;; amdgpu-corpus repo=pytorch/pytorch kind=compiled arch=gfx906 opt=O3
	.amdgcn_target "amdgcn-amd-amdhsa--gfx906"
	.amdhsa_code_object_version 6
	.section	.text._ZN2at6native29vectorized_elementwise_kernelILi16EZNS0_21compare_scalar_kernelIhEEvRNS_18TensorIteratorBaseENS0_12_GLOBAL__N_16OpTypeET_EUlhE_St5arrayIPcLm2EEEEviT0_T1_,"axG",@progbits,_ZN2at6native29vectorized_elementwise_kernelILi16EZNS0_21compare_scalar_kernelIhEEvRNS_18TensorIteratorBaseENS0_12_GLOBAL__N_16OpTypeET_EUlhE_St5arrayIPcLm2EEEEviT0_T1_,comdat
	.globl	_ZN2at6native29vectorized_elementwise_kernelILi16EZNS0_21compare_scalar_kernelIhEEvRNS_18TensorIteratorBaseENS0_12_GLOBAL__N_16OpTypeET_EUlhE_St5arrayIPcLm2EEEEviT0_T1_ ; -- Begin function _ZN2at6native29vectorized_elementwise_kernelILi16EZNS0_21compare_scalar_kernelIhEEvRNS_18TensorIteratorBaseENS0_12_GLOBAL__N_16OpTypeET_EUlhE_St5arrayIPcLm2EEEEviT0_T1_
	.p2align	8
	.type	_ZN2at6native29vectorized_elementwise_kernelILi16EZNS0_21compare_scalar_kernelIhEEvRNS_18TensorIteratorBaseENS0_12_GLOBAL__N_16OpTypeET_EUlhE_St5arrayIPcLm2EEEEviT0_T1_,@function
_ZN2at6native29vectorized_elementwise_kernelILi16EZNS0_21compare_scalar_kernelIhEEvRNS_18TensorIteratorBaseENS0_12_GLOBAL__N_16OpTypeET_EUlhE_St5arrayIPcLm2EEEEviT0_T1_: ; @_ZN2at6native29vectorized_elementwise_kernelILi16EZNS0_21compare_scalar_kernelIhEEvRNS_18TensorIteratorBaseENS0_12_GLOBAL__N_16OpTypeET_EUlhE_St5arrayIPcLm2EEEEviT0_T1_
; %bb.0:
	s_load_dwordx8 s[8:15], s[4:5], 0x0
	s_waitcnt lgkmcnt(0)
	s_lshl_b32 s11, s6, 12
	s_mov_b64 s[0:1], -1
	s_sub_i32 s8, s8, s11
	s_cmpk_gt_i32 s8, 0xfff
	s_cbranch_scc0 .LBB0_211
; %bb.1:
	s_ashr_i32 s33, s11, 31
	s_add_u32 s0, s14, s11
	s_addc_u32 s1, s15, s33
	v_lshlrev_b32_e32 v5, 4, v0
	global_load_dwordx4 v[1:4], v5, s[0:1]
	s_cmp_lt_i32 s9, 1
	s_mov_b64 s[2:3], 0
	s_cbranch_scc1 .LBB0_5
; %bb.2:
	s_cmp_gt_i32 s9, 1
	s_cbranch_scc0 .LBB0_6
; %bb.3:
	s_cmp_eq_u32 s9, 2
	s_cbranch_scc0 .LBB0_7
; %bb.4:
	s_and_b32 s0, s10, 0xff
	s_waitcnt vmcnt(0)
	v_cmp_le_u16_sdwa s[0:1], v1, s0 src0_sel:BYTE_0 src1_sel:DWORD
	s_mov_b64 s[4:5], 0
	s_branch .LBB0_8
.LBB0_5:
                                        ; implicit-def: $sgpr0_sgpr1
	s_mov_b64 s[4:5], 0
	s_cbranch_execnz .LBB0_11
	s_branch .LBB0_12
.LBB0_6:
	s_mov_b64 s[4:5], 0
                                        ; implicit-def: $sgpr0_sgpr1
	s_cbranch_execnz .LBB0_9
	s_branch .LBB0_10
.LBB0_7:
	s_mov_b64 s[4:5], -1
                                        ; implicit-def: $sgpr0_sgpr1
.LBB0_8:
	s_branch .LBB0_10
.LBB0_9:
	s_and_b32 s6, s10, 0xff
	s_waitcnt vmcnt(0)
	v_cmp_gt_u16_sdwa s[6:7], v1, s6 src0_sel:BYTE_0 src1_sel:DWORD
	s_andn2_b64 s[0:1], s[0:1], exec
	s_and_b64 s[6:7], s[6:7], exec
	s_or_b64 s[0:1], s[0:1], s[6:7]
.LBB0_10:
	s_branch .LBB0_12
.LBB0_11:
	s_cmp_lg_u32 s9, 0
	s_mov_b64 s[2:3], -1
	s_cselect_b64 s[4:5], -1, 0
.LBB0_12:
	s_andn2_b64 vcc, exec, s[4:5]
	s_cbranch_vccz .LBB0_19
; %bb.13:
	s_andn2_b64 vcc, exec, s[2:3]
	s_cbranch_vccnz .LBB0_15
.LBB0_14:
	s_and_b32 s2, s10, 0xff
	s_waitcnt vmcnt(0)
	v_cmp_ge_u16_sdwa s[2:3], v1, s2 src0_sel:BYTE_0 src1_sel:DWORD
	s_andn2_b64 s[0:1], s[0:1], exec
	s_and_b64 s[2:3], s[2:3], exec
	s_or_b64 s[0:1], s[0:1], s[2:3]
.LBB0_15:
	s_waitcnt vmcnt(0)
	v_lshrrev_b32_e32 v6, 8, v4
	v_lshrrev_b32_e32 v7, 8, v3
	;; [unrolled: 1-line block ×4, first 2 shown]
	s_cmp_lt_i32 s9, 1
	s_mov_b64 s[4:5], 0
	s_cbranch_scc1 .LBB0_20
; %bb.16:
	s_cmp_gt_i32 s9, 1
	s_cbranch_scc0 .LBB0_21
; %bb.17:
	s_cmp_eq_u32 s9, 2
	s_cbranch_scc0 .LBB0_251
; %bb.18:
	s_and_b32 s2, s10, 0xff
	v_cmp_le_u16_sdwa s[2:3], v9, s2 src0_sel:BYTE_0 src1_sel:DWORD
	s_mov_b64 s[6:7], 0
	s_branch .LBB0_23
.LBB0_19:
	s_and_b32 s2, s10, 0xff
	s_waitcnt vmcnt(0)
	v_cmp_lt_u16_sdwa s[4:5], v1, s2 src0_sel:BYTE_0 src1_sel:DWORD
	s_andn2_b64 s[0:1], s[0:1], exec
	s_and_b64 s[4:5], s[4:5], exec
	s_or_b64 s[0:1], s[0:1], s[4:5]
	s_cbranch_execz .LBB0_14
	s_branch .LBB0_15
.LBB0_20:
                                        ; implicit-def: $sgpr2_sgpr3
	s_mov_b64 s[6:7], 0
	s_cbranch_execnz .LBB0_24
	s_branch .LBB0_25
.LBB0_21:
	s_mov_b64 s[6:7], 0
                                        ; implicit-def: $sgpr2_sgpr3
	s_cbranch_execz .LBB0_23
; %bb.22:
	s_and_b32 s16, s10, 0xff
	v_cmp_gt_u16_sdwa s[16:17], v9, s16 src0_sel:BYTE_0 src1_sel:DWORD
	s_andn2_b64 s[2:3], s[2:3], exec
	s_and_b64 s[16:17], s[16:17], exec
	s_or_b64 s[2:3], s[2:3], s[16:17]
.LBB0_23:
	s_branch .LBB0_25
.LBB0_24:
	s_cmp_lg_u32 s9, 0
	s_mov_b64 s[4:5], -1
	s_cselect_b64 s[6:7], -1, 0
.LBB0_25:
	s_andn2_b64 vcc, exec, s[6:7]
	s_cbranch_vccz .LBB0_31
; %bb.26:
	s_andn2_b64 vcc, exec, s[4:5]
	s_cbranch_vccz .LBB0_32
.LBB0_27:
	s_cmp_lt_i32 s9, 1
	s_mov_b64 s[6:7], 0
	s_cbranch_scc1 .LBB0_33
.LBB0_28:
	s_cmp_gt_i32 s9, 1
	s_cbranch_scc0 .LBB0_34
; %bb.29:
	s_cmp_eq_u32 s9, 2
	s_cbranch_scc0 .LBB0_252
; %bb.30:
	s_movk_i32 s4, 0xff
	v_and_b32_sdwa v9, v1, s4 dst_sel:DWORD dst_unused:UNUSED_PAD src0_sel:WORD_1 src1_sel:DWORD
	s_and_b32 s4, s10, 0xff
	v_cmp_ge_u16_e64 s[4:5], s4, v9
	s_mov_b64 s[16:17], 0
	s_branch .LBB0_36
.LBB0_31:
	s_and_b32 s4, s10, 0xff
	v_cmp_lt_u16_sdwa s[6:7], v9, s4 src0_sel:BYTE_0 src1_sel:DWORD
	s_andn2_b64 s[2:3], s[2:3], exec
	s_and_b64 s[6:7], s[6:7], exec
	s_or_b64 s[2:3], s[2:3], s[6:7]
	s_cbranch_execnz .LBB0_27
.LBB0_32:
	s_and_b32 s4, s10, 0xff
	v_cmp_ge_u16_sdwa s[4:5], v9, s4 src0_sel:BYTE_0 src1_sel:DWORD
	s_andn2_b64 s[2:3], s[2:3], exec
	s_and_b64 s[4:5], s[4:5], exec
	s_or_b64 s[2:3], s[2:3], s[4:5]
	s_cmp_lt_i32 s9, 1
	s_mov_b64 s[6:7], 0
	s_cbranch_scc0 .LBB0_28
.LBB0_33:
                                        ; implicit-def: $sgpr4_sgpr5
	s_mov_b64 s[16:17], 0
	s_cbranch_execnz .LBB0_37
	s_branch .LBB0_38
.LBB0_34:
	s_mov_b64 s[16:17], 0
                                        ; implicit-def: $sgpr4_sgpr5
	s_cbranch_execz .LBB0_36
; %bb.35:
	s_movk_i32 s18, 0xff
	v_and_b32_sdwa v9, v1, s18 dst_sel:DWORD dst_unused:UNUSED_PAD src0_sel:WORD_1 src1_sel:DWORD
	s_and_b32 s18, s10, 0xff
	v_cmp_lt_u16_e32 vcc, s18, v9
	s_andn2_b64 s[4:5], s[4:5], exec
	s_and_b64 s[18:19], vcc, exec
	s_or_b64 s[4:5], s[4:5], s[18:19]
.LBB0_36:
	s_branch .LBB0_38
.LBB0_37:
	s_cmp_lg_u32 s9, 0
	s_mov_b64 s[6:7], -1
	s_cselect_b64 s[16:17], -1, 0
.LBB0_38:
	s_andn2_b64 vcc, exec, s[16:17]
	s_cbranch_vccz .LBB0_44
; %bb.39:
	s_andn2_b64 vcc, exec, s[6:7]
	s_cbranch_vccz .LBB0_45
.LBB0_40:
	s_cmp_lt_i32 s9, 1
	s_mov_b64 s[16:17], 0
	s_cbranch_scc1 .LBB0_46
.LBB0_41:
	s_cmp_gt_i32 s9, 1
	s_cbranch_scc0 .LBB0_47
; %bb.42:
	s_cmp_eq_u32 s9, 2
	s_cbranch_scc0 .LBB0_253
; %bb.43:
	s_and_b32 s6, s10, 0xff
	v_cmp_le_u16_sdwa s[6:7], v1, s6 src0_sel:BYTE_3 src1_sel:DWORD
	s_mov_b64 s[18:19], 0
	s_branch .LBB0_49
.LBB0_44:
	s_movk_i32 s6, 0xff
	v_and_b32_sdwa v9, v1, s6 dst_sel:DWORD dst_unused:UNUSED_PAD src0_sel:WORD_1 src1_sel:DWORD
	s_and_b32 s6, s10, 0xff
	v_cmp_gt_u16_e32 vcc, s6, v9
	s_andn2_b64 s[4:5], s[4:5], exec
	s_and_b64 s[16:17], vcc, exec
	s_or_b64 s[4:5], s[4:5], s[16:17]
	s_cbranch_execnz .LBB0_40
.LBB0_45:
	s_movk_i32 s6, 0xff
	v_and_b32_sdwa v9, v1, s6 dst_sel:DWORD dst_unused:UNUSED_PAD src0_sel:WORD_1 src1_sel:DWORD
	s_and_b32 s6, s10, 0xff
	v_cmp_le_u16_e32 vcc, s6, v9
	s_andn2_b64 s[4:5], s[4:5], exec
	s_and_b64 s[6:7], vcc, exec
	s_or_b64 s[4:5], s[4:5], s[6:7]
	s_cmp_lt_i32 s9, 1
	s_mov_b64 s[16:17], 0
	s_cbranch_scc0 .LBB0_41
.LBB0_46:
                                        ; implicit-def: $sgpr6_sgpr7
	s_mov_b64 s[18:19], 0
	s_cbranch_execnz .LBB0_50
	s_branch .LBB0_51
.LBB0_47:
	s_mov_b64 s[18:19], 0
                                        ; implicit-def: $sgpr6_sgpr7
	s_cbranch_execz .LBB0_49
; %bb.48:
	s_and_b32 s20, s10, 0xff
	v_cmp_gt_u16_sdwa s[20:21], v1, s20 src0_sel:BYTE_3 src1_sel:DWORD
	s_andn2_b64 s[6:7], s[6:7], exec
	s_and_b64 s[20:21], s[20:21], exec
	s_or_b64 s[6:7], s[6:7], s[20:21]
.LBB0_49:
	s_branch .LBB0_51
.LBB0_50:
	s_cmp_lg_u32 s9, 0
	s_mov_b64 s[16:17], -1
	s_cselect_b64 s[18:19], -1, 0
.LBB0_51:
	s_andn2_b64 vcc, exec, s[18:19]
	s_cbranch_vccz .LBB0_57
; %bb.52:
	s_andn2_b64 vcc, exec, s[16:17]
	s_cbranch_vccz .LBB0_58
.LBB0_53:
	s_cmp_lt_i32 s9, 1
	s_mov_b64 s[18:19], 0
	s_cbranch_scc1 .LBB0_59
.LBB0_54:
	s_cmp_gt_i32 s9, 1
	s_cbranch_scc0 .LBB0_60
; %bb.55:
	s_cmp_eq_u32 s9, 2
	s_cbranch_scc0 .LBB0_254
; %bb.56:
	s_and_b32 s16, s10, 0xff
	v_cmp_le_u16_sdwa s[16:17], v2, s16 src0_sel:BYTE_0 src1_sel:DWORD
	s_mov_b64 s[20:21], 0
	s_branch .LBB0_62
.LBB0_57:
	s_and_b32 s16, s10, 0xff
	v_cmp_lt_u16_sdwa s[18:19], v1, s16 src0_sel:BYTE_3 src1_sel:DWORD
	s_andn2_b64 s[6:7], s[6:7], exec
	s_and_b64 s[18:19], s[18:19], exec
	s_or_b64 s[6:7], s[6:7], s[18:19]
	s_cbranch_execnz .LBB0_53
.LBB0_58:
	s_and_b32 s16, s10, 0xff
	v_cmp_ge_u16_sdwa s[16:17], v1, s16 src0_sel:BYTE_3 src1_sel:DWORD
	s_andn2_b64 s[6:7], s[6:7], exec
	s_and_b64 s[16:17], s[16:17], exec
	s_or_b64 s[6:7], s[6:7], s[16:17]
	s_cmp_lt_i32 s9, 1
	s_mov_b64 s[18:19], 0
	s_cbranch_scc0 .LBB0_54
.LBB0_59:
                                        ; implicit-def: $sgpr16_sgpr17
	s_mov_b64 s[20:21], 0
	s_cbranch_execnz .LBB0_63
	s_branch .LBB0_64
.LBB0_60:
	s_mov_b64 s[20:21], 0
                                        ; implicit-def: $sgpr16_sgpr17
	s_cbranch_execz .LBB0_62
; %bb.61:
	s_and_b32 s22, s10, 0xff
	v_cmp_gt_u16_sdwa s[22:23], v2, s22 src0_sel:BYTE_0 src1_sel:DWORD
	s_andn2_b64 s[16:17], s[16:17], exec
	s_and_b64 s[22:23], s[22:23], exec
	s_or_b64 s[16:17], s[16:17], s[22:23]
.LBB0_62:
	s_branch .LBB0_64
.LBB0_63:
	s_cmp_lg_u32 s9, 0
	s_mov_b64 s[18:19], -1
	s_cselect_b64 s[20:21], -1, 0
.LBB0_64:
	s_andn2_b64 vcc, exec, s[20:21]
	s_cbranch_vccz .LBB0_70
; %bb.65:
	s_andn2_b64 vcc, exec, s[18:19]
	s_cbranch_vccz .LBB0_71
.LBB0_66:
	s_cmp_lt_i32 s9, 1
	s_mov_b64 s[20:21], 0
	s_cbranch_scc1 .LBB0_72
.LBB0_67:
	s_cmp_gt_i32 s9, 1
	s_cbranch_scc0 .LBB0_73
; %bb.68:
	s_cmp_eq_u32 s9, 2
	s_cbranch_scc0 .LBB0_255
; %bb.69:
	s_and_b32 s18, s10, 0xff
	v_cmp_le_u16_sdwa s[18:19], v8, s18 src0_sel:BYTE_0 src1_sel:DWORD
	s_mov_b64 s[22:23], 0
	s_branch .LBB0_75
.LBB0_70:
	s_and_b32 s18, s10, 0xff
	v_cmp_lt_u16_sdwa s[20:21], v2, s18 src0_sel:BYTE_0 src1_sel:DWORD
	s_andn2_b64 s[16:17], s[16:17], exec
	s_and_b64 s[20:21], s[20:21], exec
	s_or_b64 s[16:17], s[16:17], s[20:21]
	s_cbranch_execnz .LBB0_66
.LBB0_71:
	s_and_b32 s18, s10, 0xff
	v_cmp_ge_u16_sdwa s[18:19], v2, s18 src0_sel:BYTE_0 src1_sel:DWORD
	s_andn2_b64 s[16:17], s[16:17], exec
	s_and_b64 s[18:19], s[18:19], exec
	s_or_b64 s[16:17], s[16:17], s[18:19]
	s_cmp_lt_i32 s9, 1
	s_mov_b64 s[20:21], 0
	s_cbranch_scc0 .LBB0_67
.LBB0_72:
                                        ; implicit-def: $sgpr18_sgpr19
	s_mov_b64 s[22:23], 0
	s_cbranch_execnz .LBB0_76
	s_branch .LBB0_77
.LBB0_73:
	s_mov_b64 s[22:23], 0
                                        ; implicit-def: $sgpr18_sgpr19
	s_cbranch_execz .LBB0_75
; %bb.74:
	s_and_b32 s24, s10, 0xff
	v_cmp_gt_u16_sdwa s[24:25], v8, s24 src0_sel:BYTE_0 src1_sel:DWORD
	s_andn2_b64 s[18:19], s[18:19], exec
	s_and_b64 s[24:25], s[24:25], exec
	s_or_b64 s[18:19], s[18:19], s[24:25]
.LBB0_75:
	s_branch .LBB0_77
.LBB0_76:
	s_cmp_lg_u32 s9, 0
	s_mov_b64 s[20:21], -1
	s_cselect_b64 s[22:23], -1, 0
.LBB0_77:
	s_andn2_b64 vcc, exec, s[22:23]
	s_cbranch_vccz .LBB0_83
; %bb.78:
	s_andn2_b64 vcc, exec, s[20:21]
	s_cbranch_vccz .LBB0_84
.LBB0_79:
	s_cmp_lt_i32 s9, 1
	s_mov_b64 s[22:23], 0
	s_cbranch_scc1 .LBB0_85
.LBB0_80:
	s_cmp_gt_i32 s9, 1
	s_cbranch_scc0 .LBB0_86
; %bb.81:
	s_cmp_eq_u32 s9, 2
	s_cbranch_scc0 .LBB0_256
; %bb.82:
	s_movk_i32 s20, 0xff
	v_and_b32_sdwa v1, v2, s20 dst_sel:DWORD dst_unused:UNUSED_PAD src0_sel:WORD_1 src1_sel:DWORD
	s_and_b32 s20, s10, 0xff
	v_cmp_ge_u16_e64 s[20:21], s20, v1
	s_mov_b64 s[24:25], 0
	s_branch .LBB0_88
.LBB0_83:
	s_and_b32 s20, s10, 0xff
	v_cmp_lt_u16_sdwa s[22:23], v8, s20 src0_sel:BYTE_0 src1_sel:DWORD
	s_andn2_b64 s[18:19], s[18:19], exec
	s_and_b64 s[22:23], s[22:23], exec
	s_or_b64 s[18:19], s[18:19], s[22:23]
	s_cbranch_execnz .LBB0_79
.LBB0_84:
	s_and_b32 s20, s10, 0xff
	v_cmp_ge_u16_sdwa s[20:21], v8, s20 src0_sel:BYTE_0 src1_sel:DWORD
	s_andn2_b64 s[18:19], s[18:19], exec
	s_and_b64 s[20:21], s[20:21], exec
	s_or_b64 s[18:19], s[18:19], s[20:21]
	s_cmp_lt_i32 s9, 1
	s_mov_b64 s[22:23], 0
	s_cbranch_scc0 .LBB0_80
.LBB0_85:
                                        ; implicit-def: $sgpr20_sgpr21
	s_mov_b64 s[24:25], 0
	s_cbranch_execnz .LBB0_89
	s_branch .LBB0_90
.LBB0_86:
	s_mov_b64 s[24:25], 0
                                        ; implicit-def: $sgpr20_sgpr21
	s_cbranch_execz .LBB0_88
; %bb.87:
	s_movk_i32 s26, 0xff
	v_and_b32_sdwa v1, v2, s26 dst_sel:DWORD dst_unused:UNUSED_PAD src0_sel:WORD_1 src1_sel:DWORD
	s_and_b32 s26, s10, 0xff
	v_cmp_lt_u16_e32 vcc, s26, v1
	s_andn2_b64 s[20:21], s[20:21], exec
	s_and_b64 s[26:27], vcc, exec
	s_or_b64 s[20:21], s[20:21], s[26:27]
.LBB0_88:
	s_branch .LBB0_90
.LBB0_89:
	s_cmp_lg_u32 s9, 0
	s_mov_b64 s[22:23], -1
	s_cselect_b64 s[24:25], -1, 0
.LBB0_90:
	s_andn2_b64 vcc, exec, s[24:25]
	s_cbranch_vccz .LBB0_96
; %bb.91:
	s_andn2_b64 vcc, exec, s[22:23]
	s_cbranch_vccz .LBB0_97
.LBB0_92:
	s_cmp_lt_i32 s9, 1
	s_mov_b64 s[24:25], 0
	s_cbranch_scc1 .LBB0_98
.LBB0_93:
	s_cmp_gt_i32 s9, 1
	s_cbranch_scc0 .LBB0_99
; %bb.94:
	s_cmp_eq_u32 s9, 2
	s_cbranch_scc0 .LBB0_257
; %bb.95:
	s_and_b32 s22, s10, 0xff
	v_cmp_le_u16_sdwa s[22:23], v2, s22 src0_sel:BYTE_3 src1_sel:DWORD
	s_mov_b64 s[26:27], 0
	s_branch .LBB0_101
.LBB0_96:
	s_movk_i32 s22, 0xff
	v_and_b32_sdwa v1, v2, s22 dst_sel:DWORD dst_unused:UNUSED_PAD src0_sel:WORD_1 src1_sel:DWORD
	s_and_b32 s22, s10, 0xff
	v_cmp_gt_u16_e32 vcc, s22, v1
	s_andn2_b64 s[20:21], s[20:21], exec
	s_and_b64 s[24:25], vcc, exec
	s_or_b64 s[20:21], s[20:21], s[24:25]
	s_cbranch_execnz .LBB0_92
.LBB0_97:
	s_movk_i32 s22, 0xff
	v_and_b32_sdwa v1, v2, s22 dst_sel:DWORD dst_unused:UNUSED_PAD src0_sel:WORD_1 src1_sel:DWORD
	s_and_b32 s22, s10, 0xff
	v_cmp_le_u16_e32 vcc, s22, v1
	s_andn2_b64 s[20:21], s[20:21], exec
	s_and_b64 s[22:23], vcc, exec
	s_or_b64 s[20:21], s[20:21], s[22:23]
	s_cmp_lt_i32 s9, 1
	s_mov_b64 s[24:25], 0
	s_cbranch_scc0 .LBB0_93
.LBB0_98:
                                        ; implicit-def: $sgpr22_sgpr23
	s_mov_b64 s[26:27], 0
	s_cbranch_execnz .LBB0_102
	s_branch .LBB0_103
.LBB0_99:
	s_mov_b64 s[26:27], 0
                                        ; implicit-def: $sgpr22_sgpr23
	s_cbranch_execz .LBB0_101
; %bb.100:
	s_and_b32 s28, s10, 0xff
	v_cmp_gt_u16_sdwa s[28:29], v2, s28 src0_sel:BYTE_3 src1_sel:DWORD
	s_andn2_b64 s[22:23], s[22:23], exec
	s_and_b64 s[28:29], s[28:29], exec
	s_or_b64 s[22:23], s[22:23], s[28:29]
.LBB0_101:
	s_branch .LBB0_103
.LBB0_102:
	s_cmp_lg_u32 s9, 0
	s_mov_b64 s[24:25], -1
	s_cselect_b64 s[26:27], -1, 0
.LBB0_103:
	s_andn2_b64 vcc, exec, s[26:27]
	s_cbranch_vccz .LBB0_109
; %bb.104:
	s_andn2_b64 vcc, exec, s[24:25]
	s_cbranch_vccz .LBB0_110
.LBB0_105:
	s_cmp_lt_i32 s9, 1
	s_mov_b64 s[26:27], 0
	s_cbranch_scc1 .LBB0_111
.LBB0_106:
	s_cmp_gt_i32 s9, 1
	s_cbranch_scc0 .LBB0_112
; %bb.107:
	s_cmp_eq_u32 s9, 2
	s_cbranch_scc0 .LBB0_258
; %bb.108:
	s_and_b32 s24, s10, 0xff
	v_cmp_le_u16_sdwa s[24:25], v3, s24 src0_sel:BYTE_0 src1_sel:DWORD
	s_mov_b64 s[28:29], 0
	s_branch .LBB0_114
.LBB0_109:
	s_and_b32 s24, s10, 0xff
	v_cmp_lt_u16_sdwa s[26:27], v2, s24 src0_sel:BYTE_3 src1_sel:DWORD
	s_andn2_b64 s[22:23], s[22:23], exec
	s_and_b64 s[26:27], s[26:27], exec
	s_or_b64 s[22:23], s[22:23], s[26:27]
	s_cbranch_execnz .LBB0_105
.LBB0_110:
	s_and_b32 s24, s10, 0xff
	v_cmp_ge_u16_sdwa s[24:25], v2, s24 src0_sel:BYTE_3 src1_sel:DWORD
	s_andn2_b64 s[22:23], s[22:23], exec
	s_and_b64 s[24:25], s[24:25], exec
	s_or_b64 s[22:23], s[22:23], s[24:25]
	s_cmp_lt_i32 s9, 1
	s_mov_b64 s[26:27], 0
	s_cbranch_scc0 .LBB0_106
.LBB0_111:
                                        ; implicit-def: $sgpr24_sgpr25
	s_mov_b64 s[28:29], 0
	s_cbranch_execnz .LBB0_115
	s_branch .LBB0_116
.LBB0_112:
	s_mov_b64 s[28:29], 0
                                        ; implicit-def: $sgpr24_sgpr25
	s_cbranch_execz .LBB0_114
; %bb.113:
	s_and_b32 s30, s10, 0xff
	v_cmp_gt_u16_sdwa s[30:31], v3, s30 src0_sel:BYTE_0 src1_sel:DWORD
	s_andn2_b64 s[24:25], s[24:25], exec
	s_and_b64 s[30:31], s[30:31], exec
	s_or_b64 s[24:25], s[24:25], s[30:31]
.LBB0_114:
	s_branch .LBB0_116
.LBB0_115:
	s_cmp_lg_u32 s9, 0
	s_mov_b64 s[26:27], -1
	s_cselect_b64 s[28:29], -1, 0
.LBB0_116:
	s_andn2_b64 vcc, exec, s[28:29]
	s_cbranch_vccz .LBB0_122
; %bb.117:
	s_andn2_b64 vcc, exec, s[26:27]
	s_cbranch_vccz .LBB0_123
.LBB0_118:
	s_cmp_lt_i32 s9, 1
	s_mov_b64 s[28:29], 0
	s_cbranch_scc1 .LBB0_124
.LBB0_119:
	s_cmp_gt_i32 s9, 1
	s_cbranch_scc0 .LBB0_125
; %bb.120:
	s_cmp_eq_u32 s9, 2
	s_cbranch_scc0 .LBB0_259
; %bb.121:
	s_and_b32 s26, s10, 0xff
	v_cmp_le_u16_sdwa s[26:27], v7, s26 src0_sel:BYTE_0 src1_sel:DWORD
	s_mov_b64 s[30:31], 0
	s_branch .LBB0_127
.LBB0_122:
	s_and_b32 s26, s10, 0xff
	v_cmp_lt_u16_sdwa s[28:29], v3, s26 src0_sel:BYTE_0 src1_sel:DWORD
	s_andn2_b64 s[24:25], s[24:25], exec
	s_and_b64 s[28:29], s[28:29], exec
	s_or_b64 s[24:25], s[24:25], s[28:29]
	s_cbranch_execnz .LBB0_118
.LBB0_123:
	s_and_b32 s26, s10, 0xff
	v_cmp_ge_u16_sdwa s[26:27], v3, s26 src0_sel:BYTE_0 src1_sel:DWORD
	s_andn2_b64 s[24:25], s[24:25], exec
	s_and_b64 s[26:27], s[26:27], exec
	s_or_b64 s[24:25], s[24:25], s[26:27]
	s_cmp_lt_i32 s9, 1
	s_mov_b64 s[28:29], 0
	s_cbranch_scc0 .LBB0_119
.LBB0_124:
                                        ; implicit-def: $sgpr26_sgpr27
	s_mov_b64 s[30:31], 0
	s_cbranch_execnz .LBB0_128
	s_branch .LBB0_129
.LBB0_125:
	s_mov_b64 s[30:31], 0
                                        ; implicit-def: $sgpr26_sgpr27
	s_cbranch_execz .LBB0_127
; %bb.126:
	s_and_b32 s34, s10, 0xff
	v_cmp_gt_u16_sdwa s[34:35], v7, s34 src0_sel:BYTE_0 src1_sel:DWORD
	s_andn2_b64 s[26:27], s[26:27], exec
	s_and_b64 s[34:35], s[34:35], exec
	s_or_b64 s[26:27], s[26:27], s[34:35]
.LBB0_127:
	s_branch .LBB0_129
.LBB0_128:
	s_cmp_lg_u32 s9, 0
	s_mov_b64 s[28:29], -1
	s_cselect_b64 s[30:31], -1, 0
.LBB0_129:
	s_andn2_b64 vcc, exec, s[30:31]
	s_cbranch_vccz .LBB0_135
; %bb.130:
	s_andn2_b64 vcc, exec, s[28:29]
	s_cbranch_vccz .LBB0_136
.LBB0_131:
	s_cmp_lt_i32 s9, 1
	s_mov_b64 s[30:31], 0
	s_cbranch_scc1 .LBB0_137
.LBB0_132:
	s_cmp_gt_i32 s9, 1
	s_cbranch_scc0 .LBB0_138
; %bb.133:
	s_cmp_eq_u32 s9, 2
	s_cbranch_scc0 .LBB0_260
; %bb.134:
	s_movk_i32 s28, 0xff
	v_and_b32_sdwa v1, v3, s28 dst_sel:DWORD dst_unused:UNUSED_PAD src0_sel:WORD_1 src1_sel:DWORD
	s_and_b32 s28, s10, 0xff
	v_cmp_ge_u16_e64 s[28:29], s28, v1
	s_mov_b64 s[34:35], 0
	s_branch .LBB0_140
.LBB0_135:
	s_and_b32 s28, s10, 0xff
	v_cmp_lt_u16_sdwa s[30:31], v7, s28 src0_sel:BYTE_0 src1_sel:DWORD
	s_andn2_b64 s[26:27], s[26:27], exec
	s_and_b64 s[30:31], s[30:31], exec
	s_or_b64 s[26:27], s[26:27], s[30:31]
	s_cbranch_execnz .LBB0_131
.LBB0_136:
	s_and_b32 s28, s10, 0xff
	v_cmp_ge_u16_sdwa s[28:29], v7, s28 src0_sel:BYTE_0 src1_sel:DWORD
	s_andn2_b64 s[26:27], s[26:27], exec
	s_and_b64 s[28:29], s[28:29], exec
	s_or_b64 s[26:27], s[26:27], s[28:29]
	s_cmp_lt_i32 s9, 1
	s_mov_b64 s[30:31], 0
	s_cbranch_scc0 .LBB0_132
.LBB0_137:
                                        ; implicit-def: $sgpr28_sgpr29
	s_mov_b64 s[34:35], 0
	s_cbranch_execnz .LBB0_141
	s_branch .LBB0_142
.LBB0_138:
	s_mov_b64 s[34:35], 0
                                        ; implicit-def: $sgpr28_sgpr29
	s_cbranch_execz .LBB0_140
; %bb.139:
	s_movk_i32 s36, 0xff
	v_and_b32_sdwa v1, v3, s36 dst_sel:DWORD dst_unused:UNUSED_PAD src0_sel:WORD_1 src1_sel:DWORD
	s_and_b32 s36, s10, 0xff
	v_cmp_lt_u16_e32 vcc, s36, v1
	s_andn2_b64 s[28:29], s[28:29], exec
	s_and_b64 s[36:37], vcc, exec
	s_or_b64 s[28:29], s[28:29], s[36:37]
.LBB0_140:
	s_branch .LBB0_142
.LBB0_141:
	s_cmp_lg_u32 s9, 0
	s_mov_b64 s[30:31], -1
	s_cselect_b64 s[34:35], -1, 0
.LBB0_142:
	s_andn2_b64 vcc, exec, s[34:35]
	s_cbranch_vccz .LBB0_148
; %bb.143:
	s_andn2_b64 vcc, exec, s[30:31]
	s_cbranch_vccz .LBB0_149
.LBB0_144:
	s_cmp_lt_i32 s9, 1
	s_mov_b64 s[34:35], 0
	s_cbranch_scc1 .LBB0_150
.LBB0_145:
	s_cmp_gt_i32 s9, 1
	s_cbranch_scc0 .LBB0_151
; %bb.146:
	s_cmp_eq_u32 s9, 2
	s_cbranch_scc0 .LBB0_261
; %bb.147:
	s_and_b32 s30, s10, 0xff
	v_cmp_le_u16_sdwa s[30:31], v3, s30 src0_sel:BYTE_3 src1_sel:DWORD
	s_mov_b64 s[36:37], 0
	s_branch .LBB0_153
.LBB0_148:
	s_movk_i32 s30, 0xff
	v_and_b32_sdwa v1, v3, s30 dst_sel:DWORD dst_unused:UNUSED_PAD src0_sel:WORD_1 src1_sel:DWORD
	s_and_b32 s30, s10, 0xff
	v_cmp_gt_u16_e32 vcc, s30, v1
	s_andn2_b64 s[28:29], s[28:29], exec
	s_and_b64 s[34:35], vcc, exec
	s_or_b64 s[28:29], s[28:29], s[34:35]
	s_cbranch_execnz .LBB0_144
.LBB0_149:
	s_movk_i32 s30, 0xff
	v_and_b32_sdwa v1, v3, s30 dst_sel:DWORD dst_unused:UNUSED_PAD src0_sel:WORD_1 src1_sel:DWORD
	s_and_b32 s30, s10, 0xff
	v_cmp_le_u16_e32 vcc, s30, v1
	s_andn2_b64 s[28:29], s[28:29], exec
	s_and_b64 s[30:31], vcc, exec
	s_or_b64 s[28:29], s[28:29], s[30:31]
	s_cmp_lt_i32 s9, 1
	s_mov_b64 s[34:35], 0
	s_cbranch_scc0 .LBB0_145
.LBB0_150:
                                        ; implicit-def: $sgpr30_sgpr31
	s_mov_b64 s[36:37], 0
	s_cbranch_execnz .LBB0_154
	s_branch .LBB0_155
.LBB0_151:
	s_mov_b64 s[36:37], 0
                                        ; implicit-def: $sgpr30_sgpr31
	s_cbranch_execz .LBB0_153
; %bb.152:
	s_and_b32 s38, s10, 0xff
	v_cmp_gt_u16_sdwa s[38:39], v3, s38 src0_sel:BYTE_3 src1_sel:DWORD
	s_andn2_b64 s[30:31], s[30:31], exec
	s_and_b64 s[38:39], s[38:39], exec
	s_or_b64 s[30:31], s[30:31], s[38:39]
.LBB0_153:
	s_branch .LBB0_155
.LBB0_154:
	s_cmp_lg_u32 s9, 0
	s_mov_b64 s[34:35], -1
	s_cselect_b64 s[36:37], -1, 0
.LBB0_155:
	s_andn2_b64 vcc, exec, s[36:37]
	s_cbranch_vccz .LBB0_161
; %bb.156:
	s_andn2_b64 vcc, exec, s[34:35]
	s_cbranch_vccz .LBB0_162
.LBB0_157:
	s_cmp_lt_i32 s9, 1
	s_mov_b64 s[36:37], 0
	s_cbranch_scc1 .LBB0_163
.LBB0_158:
	s_cmp_gt_i32 s9, 1
	s_cbranch_scc0 .LBB0_164
; %bb.159:
	s_cmp_eq_u32 s9, 2
	s_cbranch_scc0 .LBB0_262
; %bb.160:
	s_and_b32 s34, s10, 0xff
	v_cmp_le_u16_sdwa s[34:35], v4, s34 src0_sel:BYTE_0 src1_sel:DWORD
	s_mov_b64 s[38:39], 0
	s_branch .LBB0_166
.LBB0_161:
	s_and_b32 s34, s10, 0xff
	v_cmp_lt_u16_sdwa s[36:37], v3, s34 src0_sel:BYTE_3 src1_sel:DWORD
	s_andn2_b64 s[30:31], s[30:31], exec
	s_and_b64 s[36:37], s[36:37], exec
	s_or_b64 s[30:31], s[30:31], s[36:37]
	s_cbranch_execnz .LBB0_157
.LBB0_162:
	s_and_b32 s34, s10, 0xff
	v_cmp_ge_u16_sdwa s[34:35], v3, s34 src0_sel:BYTE_3 src1_sel:DWORD
	s_andn2_b64 s[30:31], s[30:31], exec
	s_and_b64 s[34:35], s[34:35], exec
	s_or_b64 s[30:31], s[30:31], s[34:35]
	s_cmp_lt_i32 s9, 1
	s_mov_b64 s[36:37], 0
	s_cbranch_scc0 .LBB0_158
.LBB0_163:
                                        ; implicit-def: $sgpr34_sgpr35
	s_mov_b64 s[38:39], 0
	s_cbranch_execnz .LBB0_167
	s_branch .LBB0_168
.LBB0_164:
	s_mov_b64 s[38:39], 0
                                        ; implicit-def: $sgpr34_sgpr35
	s_cbranch_execz .LBB0_166
; %bb.165:
	s_and_b32 s40, s10, 0xff
	v_cmp_gt_u16_sdwa s[40:41], v4, s40 src0_sel:BYTE_0 src1_sel:DWORD
	s_andn2_b64 s[34:35], s[34:35], exec
	s_and_b64 s[40:41], s[40:41], exec
	s_or_b64 s[34:35], s[34:35], s[40:41]
.LBB0_166:
	s_branch .LBB0_168
.LBB0_167:
	s_cmp_lg_u32 s9, 0
	s_mov_b64 s[36:37], -1
	s_cselect_b64 s[38:39], -1, 0
.LBB0_168:
	s_andn2_b64 vcc, exec, s[38:39]
	s_cbranch_vccz .LBB0_174
; %bb.169:
	s_andn2_b64 vcc, exec, s[36:37]
	s_cbranch_vccz .LBB0_175
.LBB0_170:
	s_cmp_lt_i32 s9, 1
	s_mov_b64 s[38:39], 0
	s_cbranch_scc1 .LBB0_176
.LBB0_171:
	s_cmp_gt_i32 s9, 1
	s_cbranch_scc0 .LBB0_177
; %bb.172:
	s_cmp_eq_u32 s9, 2
	s_cbranch_scc0 .LBB0_263
; %bb.173:
	s_and_b32 s36, s10, 0xff
	v_cmp_le_u16_sdwa s[36:37], v6, s36 src0_sel:BYTE_0 src1_sel:DWORD
	s_mov_b64 s[40:41], 0
	s_branch .LBB0_179
.LBB0_174:
	s_and_b32 s36, s10, 0xff
	v_cmp_lt_u16_sdwa s[38:39], v4, s36 src0_sel:BYTE_0 src1_sel:DWORD
	s_andn2_b64 s[34:35], s[34:35], exec
	s_and_b64 s[38:39], s[38:39], exec
	s_or_b64 s[34:35], s[34:35], s[38:39]
	s_cbranch_execnz .LBB0_170
.LBB0_175:
	s_and_b32 s36, s10, 0xff
	v_cmp_ge_u16_sdwa s[36:37], v4, s36 src0_sel:BYTE_0 src1_sel:DWORD
	s_andn2_b64 s[34:35], s[34:35], exec
	s_and_b64 s[36:37], s[36:37], exec
	s_or_b64 s[34:35], s[34:35], s[36:37]
	s_cmp_lt_i32 s9, 1
	s_mov_b64 s[38:39], 0
	s_cbranch_scc0 .LBB0_171
.LBB0_176:
                                        ; implicit-def: $sgpr36_sgpr37
	s_mov_b64 s[40:41], 0
	s_cbranch_execnz .LBB0_180
	s_branch .LBB0_181
.LBB0_177:
	s_mov_b64 s[40:41], 0
                                        ; implicit-def: $sgpr36_sgpr37
	s_cbranch_execz .LBB0_179
; %bb.178:
	s_and_b32 s42, s10, 0xff
	v_cmp_gt_u16_sdwa s[42:43], v6, s42 src0_sel:BYTE_0 src1_sel:DWORD
	s_andn2_b64 s[36:37], s[36:37], exec
	s_and_b64 s[42:43], s[42:43], exec
	s_or_b64 s[36:37], s[36:37], s[42:43]
.LBB0_179:
	s_branch .LBB0_181
.LBB0_180:
	s_cmp_lg_u32 s9, 0
	s_mov_b64 s[38:39], -1
	s_cselect_b64 s[40:41], -1, 0
.LBB0_181:
	s_andn2_b64 vcc, exec, s[40:41]
	s_cbranch_vccz .LBB0_187
; %bb.182:
	s_andn2_b64 vcc, exec, s[38:39]
	s_cbranch_vccz .LBB0_188
.LBB0_183:
	s_cmp_lt_i32 s9, 1
	s_mov_b64 s[40:41], 0
	s_cbranch_scc1 .LBB0_189
.LBB0_184:
	s_cmp_gt_i32 s9, 1
	s_cbranch_scc0 .LBB0_190
; %bb.185:
	s_cmp_eq_u32 s9, 2
	s_cbranch_scc0 .LBB0_264
; %bb.186:
	s_movk_i32 s38, 0xff
	v_and_b32_sdwa v1, v4, s38 dst_sel:DWORD dst_unused:UNUSED_PAD src0_sel:WORD_1 src1_sel:DWORD
	s_and_b32 s38, s10, 0xff
	v_cmp_ge_u16_e64 s[38:39], s38, v1
	s_mov_b64 s[42:43], 0
	s_branch .LBB0_192
.LBB0_187:
	s_and_b32 s38, s10, 0xff
	v_cmp_lt_u16_sdwa s[40:41], v6, s38 src0_sel:BYTE_0 src1_sel:DWORD
	s_andn2_b64 s[36:37], s[36:37], exec
	s_and_b64 s[40:41], s[40:41], exec
	s_or_b64 s[36:37], s[36:37], s[40:41]
	s_cbranch_execnz .LBB0_183
.LBB0_188:
	s_and_b32 s38, s10, 0xff
	v_cmp_ge_u16_sdwa s[38:39], v6, s38 src0_sel:BYTE_0 src1_sel:DWORD
	s_andn2_b64 s[36:37], s[36:37], exec
	s_and_b64 s[38:39], s[38:39], exec
	s_or_b64 s[36:37], s[36:37], s[38:39]
	s_cmp_lt_i32 s9, 1
	s_mov_b64 s[40:41], 0
	s_cbranch_scc0 .LBB0_184
.LBB0_189:
                                        ; implicit-def: $sgpr38_sgpr39
	s_mov_b64 s[42:43], 0
	s_cbranch_execnz .LBB0_193
	s_branch .LBB0_194
.LBB0_190:
	s_mov_b64 s[42:43], 0
                                        ; implicit-def: $sgpr38_sgpr39
	s_cbranch_execz .LBB0_192
; %bb.191:
	s_movk_i32 s44, 0xff
	v_and_b32_sdwa v1, v4, s44 dst_sel:DWORD dst_unused:UNUSED_PAD src0_sel:WORD_1 src1_sel:DWORD
	s_and_b32 s44, s10, 0xff
	v_cmp_lt_u16_e32 vcc, s44, v1
	s_andn2_b64 s[38:39], s[38:39], exec
	s_and_b64 s[44:45], vcc, exec
	s_or_b64 s[38:39], s[38:39], s[44:45]
.LBB0_192:
	s_branch .LBB0_194
.LBB0_193:
	s_cmp_lg_u32 s9, 0
	s_mov_b64 s[40:41], -1
	s_cselect_b64 s[42:43], -1, 0
.LBB0_194:
	s_andn2_b64 vcc, exec, s[42:43]
	s_cbranch_vccz .LBB0_200
; %bb.195:
	s_andn2_b64 vcc, exec, s[40:41]
	s_cbranch_vccz .LBB0_201
.LBB0_196:
	s_cmp_lt_i32 s9, 1
	s_mov_b64 s[42:43], 0
	s_cbranch_scc1 .LBB0_202
.LBB0_197:
	s_cmp_gt_i32 s9, 1
	s_cbranch_scc0 .LBB0_203
; %bb.198:
	s_cmp_eq_u32 s9, 2
	s_cbranch_scc0 .LBB0_265
; %bb.199:
	s_and_b32 s40, s10, 0xff
	v_cmp_le_u16_sdwa s[40:41], v4, s40 src0_sel:BYTE_3 src1_sel:DWORD
	s_mov_b64 s[44:45], 0
	s_branch .LBB0_205
.LBB0_200:
	s_movk_i32 s40, 0xff
	v_and_b32_sdwa v1, v4, s40 dst_sel:DWORD dst_unused:UNUSED_PAD src0_sel:WORD_1 src1_sel:DWORD
	s_and_b32 s40, s10, 0xff
	v_cmp_gt_u16_e32 vcc, s40, v1
	s_andn2_b64 s[38:39], s[38:39], exec
	s_and_b64 s[42:43], vcc, exec
	s_or_b64 s[38:39], s[38:39], s[42:43]
	s_cbranch_execnz .LBB0_196
.LBB0_201:
	s_movk_i32 s40, 0xff
	v_and_b32_sdwa v1, v4, s40 dst_sel:DWORD dst_unused:UNUSED_PAD src0_sel:WORD_1 src1_sel:DWORD
	s_and_b32 s40, s10, 0xff
	v_cmp_le_u16_e32 vcc, s40, v1
	s_andn2_b64 s[38:39], s[38:39], exec
	s_and_b64 s[40:41], vcc, exec
	s_or_b64 s[38:39], s[38:39], s[40:41]
	s_cmp_lt_i32 s9, 1
	s_mov_b64 s[42:43], 0
	s_cbranch_scc0 .LBB0_197
.LBB0_202:
                                        ; implicit-def: $sgpr40_sgpr41
	s_mov_b64 s[44:45], 0
	s_cbranch_execnz .LBB0_206
	s_branch .LBB0_207
.LBB0_203:
	s_mov_b64 s[44:45], 0
                                        ; implicit-def: $sgpr40_sgpr41
	s_cbranch_execz .LBB0_205
; %bb.204:
	s_and_b32 s46, s10, 0xff
	v_cmp_gt_u16_sdwa s[46:47], v4, s46 src0_sel:BYTE_3 src1_sel:DWORD
	s_andn2_b64 s[40:41], s[40:41], exec
	s_and_b64 s[46:47], s[46:47], exec
	s_or_b64 s[40:41], s[40:41], s[46:47]
.LBB0_205:
	s_branch .LBB0_207
.LBB0_206:
	s_cmp_lg_u32 s9, 0
	s_mov_b64 s[42:43], -1
	s_cselect_b64 s[44:45], -1, 0
.LBB0_207:
	s_andn2_b64 vcc, exec, s[44:45]
	s_cbranch_vccz .LBB0_249
; %bb.208:
	s_andn2_b64 vcc, exec, s[42:43]
	s_cbranch_vccnz .LBB0_210
.LBB0_209:
	s_and_b32 s42, s10, 0xff
	v_cmp_ge_u16_sdwa s[42:43], v4, s42 src0_sel:BYTE_3 src1_sel:DWORD
	s_andn2_b64 s[40:41], s[40:41], exec
	s_and_b64 s[42:43], s[42:43], exec
	s_or_b64 s[40:41], s[40:41], s[42:43]
.LBB0_210:
	v_cndmask_b32_e64 v1, 0, 1, s[2:3]
	v_lshlrev_b16_e32 v1, 8, v1
	v_cndmask_b32_e64 v2, 0, 1, s[0:1]
	v_or_b32_e32 v1, v2, v1
	v_cndmask_b32_e64 v2, 0, 1, s[6:7]
	v_lshlrev_b16_e32 v2, 8, v2
	v_cndmask_b32_e64 v3, 0, 1, s[4:5]
	v_or_b32_sdwa v2, v3, v2 dst_sel:WORD_1 dst_unused:UNUSED_PAD src0_sel:DWORD src1_sel:DWORD
	v_or_b32_sdwa v1, v1, v2 dst_sel:DWORD dst_unused:UNUSED_PAD src0_sel:WORD_0 src1_sel:DWORD
	v_cndmask_b32_e64 v2, 0, 1, s[18:19]
	v_lshlrev_b16_e32 v2, 8, v2
	v_cndmask_b32_e64 v3, 0, 1, s[16:17]
	v_or_b32_e32 v2, v3, v2
	v_cndmask_b32_e64 v3, 0, 1, s[22:23]
	v_lshlrev_b16_e32 v3, 8, v3
	v_cndmask_b32_e64 v4, 0, 1, s[20:21]
	v_or_b32_sdwa v3, v4, v3 dst_sel:WORD_1 dst_unused:UNUSED_PAD src0_sel:DWORD src1_sel:DWORD
	v_or_b32_sdwa v2, v2, v3 dst_sel:DWORD dst_unused:UNUSED_PAD src0_sel:WORD_0 src1_sel:DWORD
	;; [unrolled: 9-line block ×3, first 2 shown]
	v_cndmask_b32_e64 v4, 0, 1, s[36:37]
	v_lshlrev_b16_e32 v4, 8, v4
	v_cndmask_b32_e64 v6, 0, 1, s[34:35]
	v_or_b32_e32 v4, v6, v4
	v_cndmask_b32_e64 v6, 0, 1, s[40:41]
	v_lshlrev_b16_e32 v6, 8, v6
	v_cndmask_b32_e64 v7, 0, 1, s[38:39]
	s_add_u32 s42, s12, s11
	v_or_b32_sdwa v6, v7, v6 dst_sel:WORD_1 dst_unused:UNUSED_PAD src0_sel:DWORD src1_sel:DWORD
	s_addc_u32 s43, s13, s33
	v_or_b32_sdwa v4, v4, v6 dst_sel:DWORD dst_unused:UNUSED_PAD src0_sel:WORD_0 src1_sel:DWORD
	global_store_dwordx4 v5, v[1:4], s[42:43]
	s_mov_b64 s[0:1], 0
.LBB0_211:
	s_and_b64 vcc, exec, s[0:1]
	s_cbranch_vccz .LBB0_519
; %bb.212:
	v_cmp_gt_i32_e64 s[0:1], s8, v0
	v_mov_b32_e32 v4, 0
	v_or_b32_e32 v3, s11, v0
	v_mov_b32_e32 v5, 0
	v_mov_b32_e32 v6, 0
	;; [unrolled: 1-line block ×16, first 2 shown]
	s_and_saveexec_b64 s[2:3], s[0:1]
	s_cbranch_execz .LBB0_244
; %bb.213:
	global_load_ubyte v10, v3, s[14:15]
	v_or_b32_e32 v1, 0x100, v0
	v_cmp_gt_u32_e32 vcc, s8, v1
	v_mov_b32_e32 v21, 0
	v_mov_b32_e32 v20, 0
	;; [unrolled: 1-line block ×15, first 2 shown]
	s_and_saveexec_b64 s[4:5], vcc
	s_cbranch_execz .LBB0_243
; %bb.214:
	v_add_u32_e32 v1, s11, v0
	global_load_ubyte v21, v1, s[14:15] offset:256
	v_or_b32_e32 v2, 0x200, v0
	v_mov_b32_e32 v20, 0
	v_cmp_gt_u32_e32 vcc, s8, v2
	v_mov_b32_e32 v19, 0
	v_mov_b32_e32 v18, 0
	;; [unrolled: 1-line block ×13, first 2 shown]
	s_and_saveexec_b64 s[6:7], vcc
	s_cbranch_execz .LBB0_242
; %bb.215:
	v_mov_b32_e32 v2, s15
	v_add_co_u32_e32 v1, vcc, s14, v1
	v_addc_co_u32_e32 v2, vcc, 0, v2, vcc
	global_load_ubyte v20, v[1:2], off offset:512
	v_or_b32_e32 v5, 0x300, v0
	v_cmp_gt_u32_e32 vcc, s8, v5
	v_mov_b32_e32 v19, 0
	v_mov_b32_e32 v18, 0
	;; [unrolled: 1-line block ×13, first 2 shown]
	s_and_saveexec_b64 s[14:15], vcc
	s_cbranch_execz .LBB0_241
; %bb.216:
	global_load_ubyte v19, v[1:2], off offset:768
	v_or_b32_e32 v5, 0x400, v0
	v_cmp_gt_u32_e32 vcc, s8, v5
	v_mov_b32_e32 v18, 0
	v_mov_b32_e32 v17, 0
	;; [unrolled: 1-line block ×12, first 2 shown]
	s_and_saveexec_b64 s[16:17], vcc
	s_cbranch_execz .LBB0_240
; %bb.217:
	global_load_ubyte v18, v[1:2], off offset:1024
	v_or_b32_e32 v5, 0x500, v0
	v_cmp_gt_u32_e32 vcc, s8, v5
	v_mov_b32_e32 v17, 0
	v_mov_b32_e32 v16, 0
	;; [unrolled: 1-line block ×11, first 2 shown]
	s_and_saveexec_b64 s[18:19], vcc
	s_cbranch_execz .LBB0_239
; %bb.218:
	global_load_ubyte v17, v[1:2], off offset:1280
	v_or_b32_e32 v5, 0x600, v0
	v_cmp_gt_u32_e32 vcc, s8, v5
	v_mov_b32_e32 v16, 0
	v_mov_b32_e32 v15, 0
	v_mov_b32_e32 v14, 0
	v_mov_b32_e32 v13, 0
	v_mov_b32_e32 v12, 0
	v_mov_b32_e32 v11, 0
	v_mov_b32_e32 v9, 0
	v_mov_b32_e32 v7, 0
	v_mov_b32_e32 v6, 0
	v_mov_b32_e32 v5, 0
	s_and_saveexec_b64 s[20:21], vcc
	s_cbranch_execz .LBB0_238
; %bb.219:
	global_load_ubyte v16, v[1:2], off offset:1536
	v_or_b32_e32 v5, 0x700, v0
	v_cmp_gt_u32_e32 vcc, s8, v5
	v_mov_b32_e32 v15, 0
	v_mov_b32_e32 v14, 0
	;; [unrolled: 1-line block ×9, first 2 shown]
	s_and_saveexec_b64 s[22:23], vcc
	s_cbranch_execz .LBB0_237
; %bb.220:
	global_load_ubyte v15, v[1:2], off offset:1792
	v_or_b32_e32 v5, 0x800, v0
	v_cmp_gt_u32_e32 vcc, s8, v5
	v_mov_b32_e32 v14, 0
	v_mov_b32_e32 v13, 0
	;; [unrolled: 1-line block ×8, first 2 shown]
	s_and_saveexec_b64 s[24:25], vcc
	s_cbranch_execz .LBB0_236
; %bb.221:
	global_load_ubyte v14, v[1:2], off offset:2048
	v_or_b32_e32 v5, 0x900, v0
	v_cmp_gt_u32_e32 vcc, s8, v5
	v_mov_b32_e32 v13, 0
	v_mov_b32_e32 v12, 0
	v_mov_b32_e32 v11, 0
	v_mov_b32_e32 v9, 0
	v_mov_b32_e32 v7, 0
	v_mov_b32_e32 v6, 0
	v_mov_b32_e32 v5, 0
	s_and_saveexec_b64 s[26:27], vcc
	s_cbranch_execz .LBB0_235
; %bb.222:
	global_load_ubyte v13, v[1:2], off offset:2304
	v_or_b32_e32 v5, 0xa00, v0
	v_cmp_gt_u32_e32 vcc, s8, v5
	v_mov_b32_e32 v12, 0
	v_mov_b32_e32 v11, 0
	;; [unrolled: 1-line block ×6, first 2 shown]
	s_and_saveexec_b64 s[28:29], vcc
	s_cbranch_execz .LBB0_234
; %bb.223:
	global_load_ubyte v12, v[1:2], off offset:2560
	v_or_b32_e32 v5, 0xb00, v0
	v_cmp_gt_u32_e32 vcc, s8, v5
	v_mov_b32_e32 v11, 0
	v_mov_b32_e32 v9, 0
	;; [unrolled: 1-line block ×5, first 2 shown]
	s_and_saveexec_b64 s[30:31], vcc
	s_cbranch_execz .LBB0_233
; %bb.224:
	global_load_ubyte v11, v[1:2], off offset:2816
	v_or_b32_e32 v5, 0xc00, v0
	v_cmp_gt_u32_e32 vcc, s8, v5
	v_mov_b32_e32 v9, 0
	v_mov_b32_e32 v7, 0
	;; [unrolled: 1-line block ×4, first 2 shown]
	s_and_saveexec_b64 s[34:35], vcc
	s_cbranch_execz .LBB0_232
; %bb.225:
	global_load_ubyte v9, v[1:2], off offset:3072
	v_or_b32_e32 v5, 0xd00, v0
	v_cmp_gt_u32_e32 vcc, s8, v5
	v_mov_b32_e32 v7, 0
	v_mov_b32_e32 v6, 0
	;; [unrolled: 1-line block ×3, first 2 shown]
	s_and_saveexec_b64 s[36:37], vcc
	s_cbranch_execz .LBB0_231
; %bb.226:
	global_load_ubyte v7, v[1:2], off offset:3328
	v_or_b32_e32 v5, 0xe00, v0
	v_cmp_gt_u32_e32 vcc, s8, v5
	v_mov_b32_e32 v6, 0
	v_mov_b32_e32 v5, 0
	s_and_saveexec_b64 s[38:39], vcc
	s_cbranch_execz .LBB0_230
; %bb.227:
	global_load_ubyte v6, v[1:2], off offset:3584
	v_or_b32_e32 v5, 0xf00, v0
	v_cmp_gt_u32_e32 vcc, s8, v5
	v_mov_b32_e32 v5, 0
	s_and_saveexec_b64 s[40:41], vcc
	s_cbranch_execz .LBB0_229
; %bb.228:
	global_load_ubyte v5, v[1:2], off offset:3840
.LBB0_229:
	s_or_b64 exec, exec, s[40:41]
.LBB0_230:
	s_or_b64 exec, exec, s[38:39]
.LBB0_231:
	s_or_b64 exec, exec, s[36:37]
.LBB0_232:
	s_or_b64 exec, exec, s[34:35]
.LBB0_233:
	s_or_b64 exec, exec, s[30:31]
.LBB0_234:
	s_or_b64 exec, exec, s[28:29]
.LBB0_235:
	s_or_b64 exec, exec, s[26:27]
.LBB0_236:
	s_or_b64 exec, exec, s[24:25]
.LBB0_237:
	s_or_b64 exec, exec, s[22:23]
.LBB0_238:
	s_or_b64 exec, exec, s[20:21]
.LBB0_239:
	s_or_b64 exec, exec, s[18:19]
.LBB0_240:
	s_or_b64 exec, exec, s[16:17]
.LBB0_241:
	s_or_b64 exec, exec, s[14:15]
.LBB0_242:
	s_or_b64 exec, exec, s[6:7]
.LBB0_243:
	s_or_b64 exec, exec, s[4:5]
.LBB0_244:
	s_or_b64 exec, exec, s[2:3]
	v_mov_b32_e32 v8, v4
	v_mov_b32_e32 v2, v4
	;; [unrolled: 1-line block ×3, first 2 shown]
	s_and_saveexec_b64 s[2:3], s[0:1]
	s_cbranch_execz .LBB0_276
; %bb.245:
	s_cmp_lt_i32 s9, 1
	s_mov_b64 s[4:5], 0
	s_cbranch_scc1 .LBB0_250
; %bb.246:
	s_cmp_gt_i32 s9, 1
	s_cbranch_scc0 .LBB0_266
; %bb.247:
	s_cmp_eq_u32 s9, 2
	s_cbranch_scc0 .LBB0_267
; %bb.248:
	s_and_b32 s6, s10, 0xff
	s_waitcnt vmcnt(0)
	v_cmp_le_u16_sdwa s[6:7], v10, s6 src0_sel:BYTE_0 src1_sel:DWORD
	s_mov_b64 s[14:15], 0
	s_branch .LBB0_268
.LBB0_249:
	s_and_b32 s42, s10, 0xff
	v_cmp_lt_u16_sdwa s[44:45], v4, s42 src0_sel:BYTE_3 src1_sel:DWORD
	s_andn2_b64 s[40:41], s[40:41], exec
	s_and_b64 s[44:45], s[44:45], exec
	s_or_b64 s[40:41], s[40:41], s[44:45]
	s_cbranch_execz .LBB0_209
	s_branch .LBB0_210
.LBB0_250:
                                        ; implicit-def: $sgpr6_sgpr7
	s_mov_b64 s[14:15], 0
	s_cbranch_execnz .LBB0_271
	s_branch .LBB0_272
.LBB0_251:
	s_mov_b64 s[6:7], -1
                                        ; implicit-def: $sgpr2_sgpr3
	s_branch .LBB0_23
.LBB0_252:
	s_mov_b64 s[16:17], -1
                                        ; implicit-def: $sgpr4_sgpr5
	s_branch .LBB0_36
.LBB0_253:
	s_mov_b64 s[18:19], -1
                                        ; implicit-def: $sgpr6_sgpr7
	s_branch .LBB0_49
.LBB0_254:
	s_mov_b64 s[20:21], -1
                                        ; implicit-def: $sgpr16_sgpr17
	s_branch .LBB0_62
.LBB0_255:
	s_mov_b64 s[22:23], -1
                                        ; implicit-def: $sgpr18_sgpr19
	s_branch .LBB0_75
.LBB0_256:
	s_mov_b64 s[24:25], -1
                                        ; implicit-def: $sgpr20_sgpr21
	s_branch .LBB0_88
.LBB0_257:
	s_mov_b64 s[26:27], -1
                                        ; implicit-def: $sgpr22_sgpr23
	s_branch .LBB0_101
.LBB0_258:
	s_mov_b64 s[28:29], -1
                                        ; implicit-def: $sgpr24_sgpr25
	s_branch .LBB0_114
.LBB0_259:
	s_mov_b64 s[30:31], -1
                                        ; implicit-def: $sgpr26_sgpr27
	s_branch .LBB0_127
.LBB0_260:
	s_mov_b64 s[34:35], -1
                                        ; implicit-def: $sgpr28_sgpr29
	s_branch .LBB0_140
.LBB0_261:
	s_mov_b64 s[36:37], -1
                                        ; implicit-def: $sgpr30_sgpr31
	s_branch .LBB0_153
.LBB0_262:
	s_mov_b64 s[38:39], -1
                                        ; implicit-def: $sgpr34_sgpr35
	s_branch .LBB0_166
.LBB0_263:
	s_mov_b64 s[40:41], -1
                                        ; implicit-def: $sgpr36_sgpr37
	s_branch .LBB0_179
.LBB0_264:
	s_mov_b64 s[42:43], -1
                                        ; implicit-def: $sgpr38_sgpr39
	s_branch .LBB0_192
.LBB0_265:
	s_mov_b64 s[44:45], -1
                                        ; implicit-def: $sgpr40_sgpr41
	s_branch .LBB0_205
.LBB0_266:
	s_mov_b64 s[14:15], 0
                                        ; implicit-def: $sgpr6_sgpr7
	s_cbranch_execnz .LBB0_269
	s_branch .LBB0_270
.LBB0_267:
	s_mov_b64 s[14:15], -1
                                        ; implicit-def: $sgpr6_sgpr7
.LBB0_268:
	s_branch .LBB0_270
.LBB0_269:
	s_and_b32 s16, s10, 0xff
	s_waitcnt vmcnt(0)
	v_cmp_gt_u16_sdwa s[16:17], v10, s16 src0_sel:BYTE_0 src1_sel:DWORD
	s_andn2_b64 s[6:7], s[6:7], exec
	s_and_b64 s[16:17], s[16:17], exec
	s_or_b64 s[6:7], s[6:7], s[16:17]
.LBB0_270:
	s_branch .LBB0_272
.LBB0_271:
	s_cmp_lg_u32 s9, 0
	s_mov_b64 s[4:5], -1
	s_cselect_b64 s[14:15], -1, 0
.LBB0_272:
	s_andn2_b64 vcc, exec, s[14:15]
	s_cbranch_vccz .LBB0_281
; %bb.273:
	s_andn2_b64 vcc, exec, s[4:5]
	s_cbranch_vccnz .LBB0_275
.LBB0_274:
	s_and_b32 s4, s10, 0xff
	s_waitcnt vmcnt(0)
	v_cmp_ge_u16_sdwa s[4:5], v10, s4 src0_sel:BYTE_0 src1_sel:DWORD
	s_andn2_b64 s[6:7], s[6:7], exec
	s_and_b64 s[4:5], s[4:5], exec
	s_or_b64 s[6:7], s[6:7], s[4:5]
.LBB0_275:
	v_cndmask_b32_e64 v1, 0, 1, s[6:7]
	v_mov_b32_e32 v8, 0
	v_and_b32_e32 v4, 0xffff, v1
	v_mov_b32_e32 v2, v8
	v_mov_b32_e32 v1, v8
.LBB0_276:
	s_or_b64 exec, exec, s[2:3]
	s_waitcnt vmcnt(0)
	v_or_b32_e32 v10, 0x100, v0
	v_cmp_gt_i32_e32 vcc, s8, v10
	s_and_saveexec_b64 s[2:3], vcc
	s_cbranch_execz .LBB0_291
; %bb.277:
	s_cmp_lt_i32 s9, 1
	s_mov_b64 s[4:5], 0
	s_cbranch_scc1 .LBB0_282
; %bb.278:
	s_cmp_gt_i32 s9, 1
	s_cbranch_scc0 .LBB0_283
; %bb.279:
	s_cmp_eq_u32 s9, 2
	s_cbranch_scc0 .LBB0_535
; %bb.280:
	s_and_b32 s6, s10, 0xff
	v_cmp_le_u16_sdwa s[6:7], v21, s6 src0_sel:BYTE_0 src1_sel:DWORD
	s_mov_b64 s[14:15], 0
	s_branch .LBB0_285
.LBB0_281:
	s_and_b32 s4, s10, 0xff
	s_waitcnt vmcnt(0)
	v_cmp_lt_u16_sdwa s[14:15], v10, s4 src0_sel:BYTE_0 src1_sel:DWORD
	s_andn2_b64 s[6:7], s[6:7], exec
	s_and_b64 s[14:15], s[14:15], exec
	s_or_b64 s[6:7], s[6:7], s[14:15]
	s_cbranch_execz .LBB0_274
	s_branch .LBB0_275
.LBB0_282:
                                        ; implicit-def: $sgpr6_sgpr7
	s_mov_b64 s[14:15], 0
	s_cbranch_execnz .LBB0_286
	s_branch .LBB0_287
.LBB0_283:
	s_mov_b64 s[14:15], 0
                                        ; implicit-def: $sgpr6_sgpr7
	s_cbranch_execz .LBB0_285
; %bb.284:
	s_and_b32 s16, s10, 0xff
	v_cmp_gt_u16_sdwa s[16:17], v21, s16 src0_sel:BYTE_0 src1_sel:DWORD
	s_andn2_b64 s[6:7], s[6:7], exec
	s_and_b64 s[16:17], s[16:17], exec
	s_or_b64 s[6:7], s[6:7], s[16:17]
.LBB0_285:
	s_branch .LBB0_287
.LBB0_286:
	s_cmp_lg_u32 s9, 0
	s_mov_b64 s[4:5], -1
	s_cselect_b64 s[14:15], -1, 0
.LBB0_287:
	s_andn2_b64 vcc, exec, s[14:15]
	s_cbranch_vccz .LBB0_296
; %bb.288:
	s_andn2_b64 vcc, exec, s[4:5]
	s_cbranch_vccnz .LBB0_290
.LBB0_289:
	s_and_b32 s4, s10, 0xff
	v_cmp_ge_u16_sdwa s[4:5], v21, s4 src0_sel:BYTE_0 src1_sel:DWORD
	s_andn2_b64 s[6:7], s[6:7], exec
	s_and_b64 s[4:5], s[4:5], exec
	s_or_b64 s[6:7], s[6:7], s[4:5]
.LBB0_290:
	v_cndmask_b32_e64 v21, 0, 1, s[6:7]
	v_lshlrev_b16_e32 v21, 8, v21
	v_or_b32_sdwa v21, v4, v21 dst_sel:DWORD dst_unused:UNUSED_PAD src0_sel:BYTE_0 src1_sel:DWORD
	v_and_b32_e32 v21, 0xffff, v21
	s_mov_b32 s4, 0xffff0000
	v_and_or_b32 v4, v4, s4, v21
.LBB0_291:
	s_or_b64 exec, exec, s[2:3]
	v_or_b32_e32 v21, 0x200, v0
	v_cmp_gt_i32_e32 vcc, s8, v21
	s_and_saveexec_b64 s[2:3], vcc
	s_cbranch_execz .LBB0_306
; %bb.292:
	s_cmp_lt_i32 s9, 1
	s_mov_b64 s[4:5], 0
	s_cbranch_scc1 .LBB0_297
; %bb.293:
	s_cmp_gt_i32 s9, 1
	s_cbranch_scc0 .LBB0_298
; %bb.294:
	s_cmp_eq_u32 s9, 2
	s_cbranch_scc0 .LBB0_536
; %bb.295:
	s_and_b32 s6, s10, 0xff
	v_cmp_le_u16_sdwa s[6:7], v20, s6 src0_sel:BYTE_0 src1_sel:DWORD
	s_mov_b64 s[14:15], 0
	s_branch .LBB0_300
.LBB0_296:
	s_and_b32 s4, s10, 0xff
	v_cmp_lt_u16_sdwa s[14:15], v21, s4 src0_sel:BYTE_0 src1_sel:DWORD
	s_andn2_b64 s[6:7], s[6:7], exec
	s_and_b64 s[14:15], s[14:15], exec
	s_or_b64 s[6:7], s[6:7], s[14:15]
	s_cbranch_execz .LBB0_289
	s_branch .LBB0_290
.LBB0_297:
                                        ; implicit-def: $sgpr6_sgpr7
	s_mov_b64 s[14:15], 0
	s_cbranch_execnz .LBB0_301
	s_branch .LBB0_302
.LBB0_298:
	s_mov_b64 s[14:15], 0
                                        ; implicit-def: $sgpr6_sgpr7
	s_cbranch_execz .LBB0_300
; %bb.299:
	s_and_b32 s16, s10, 0xff
	v_cmp_gt_u16_sdwa s[16:17], v20, s16 src0_sel:BYTE_0 src1_sel:DWORD
	s_andn2_b64 s[6:7], s[6:7], exec
	s_and_b64 s[16:17], s[16:17], exec
	s_or_b64 s[6:7], s[6:7], s[16:17]
.LBB0_300:
	s_branch .LBB0_302
.LBB0_301:
	s_cmp_lg_u32 s9, 0
	s_mov_b64 s[4:5], -1
	s_cselect_b64 s[14:15], -1, 0
.LBB0_302:
	s_andn2_b64 vcc, exec, s[14:15]
	s_cbranch_vccz .LBB0_311
; %bb.303:
	s_andn2_b64 vcc, exec, s[4:5]
	s_cbranch_vccnz .LBB0_305
.LBB0_304:
	s_and_b32 s4, s10, 0xff
	v_cmp_ge_u16_sdwa s[4:5], v20, s4 src0_sel:BYTE_0 src1_sel:DWORD
	s_andn2_b64 s[6:7], s[6:7], exec
	s_and_b64 s[4:5], s[4:5], exec
	s_or_b64 s[6:7], s[6:7], s[4:5]
.LBB0_305:
	s_movk_i32 s4, 0xff00
	v_and_b32_sdwa v20, v4, s4 dst_sel:DWORD dst_unused:UNUSED_PAD src0_sel:WORD_1 src1_sel:DWORD
	v_cndmask_b32_e64 v21, 0, 1, s[6:7]
	v_or_b32_sdwa v20, v21, v20 dst_sel:WORD_1 dst_unused:UNUSED_PAD src0_sel:DWORD src1_sel:DWORD
	s_mov_b32 s4, 0xffff
	v_and_or_b32 v4, v4, s4, v20
.LBB0_306:
	s_or_b64 exec, exec, s[2:3]
	v_or_b32_e32 v20, 0x300, v0
	v_cmp_gt_i32_e32 vcc, s8, v20
	s_and_saveexec_b64 s[2:3], vcc
	s_cbranch_execz .LBB0_321
; %bb.307:
	s_cmp_lt_i32 s9, 1
	s_mov_b64 s[4:5], 0
	s_cbranch_scc1 .LBB0_312
; %bb.308:
	s_cmp_gt_i32 s9, 1
	s_cbranch_scc0 .LBB0_313
; %bb.309:
	s_cmp_eq_u32 s9, 2
	s_cbranch_scc0 .LBB0_537
; %bb.310:
	s_and_b32 s6, s10, 0xff
	v_cmp_le_u16_sdwa s[6:7], v19, s6 src0_sel:BYTE_0 src1_sel:DWORD
	s_mov_b64 s[14:15], 0
	s_branch .LBB0_315
.LBB0_311:
	s_and_b32 s4, s10, 0xff
	v_cmp_lt_u16_sdwa s[14:15], v20, s4 src0_sel:BYTE_0 src1_sel:DWORD
	s_andn2_b64 s[6:7], s[6:7], exec
	s_and_b64 s[14:15], s[14:15], exec
	s_or_b64 s[6:7], s[6:7], s[14:15]
	s_cbranch_execz .LBB0_304
	s_branch .LBB0_305
.LBB0_312:
                                        ; implicit-def: $sgpr6_sgpr7
	s_mov_b64 s[14:15], 0
	s_cbranch_execnz .LBB0_316
	s_branch .LBB0_317
.LBB0_313:
	s_mov_b64 s[14:15], 0
                                        ; implicit-def: $sgpr6_sgpr7
	s_cbranch_execz .LBB0_315
; %bb.314:
	s_and_b32 s16, s10, 0xff
	v_cmp_gt_u16_sdwa s[16:17], v19, s16 src0_sel:BYTE_0 src1_sel:DWORD
	s_andn2_b64 s[6:7], s[6:7], exec
	s_and_b64 s[16:17], s[16:17], exec
	s_or_b64 s[6:7], s[6:7], s[16:17]
.LBB0_315:
	s_branch .LBB0_317
.LBB0_316:
	s_cmp_lg_u32 s9, 0
	s_mov_b64 s[4:5], -1
	s_cselect_b64 s[14:15], -1, 0
.LBB0_317:
	s_andn2_b64 vcc, exec, s[14:15]
	s_cbranch_vccz .LBB0_326
; %bb.318:
	s_andn2_b64 vcc, exec, s[4:5]
	s_cbranch_vccnz .LBB0_320
.LBB0_319:
	s_and_b32 s4, s10, 0xff
	v_cmp_ge_u16_sdwa s[4:5], v19, s4 src0_sel:BYTE_0 src1_sel:DWORD
	s_andn2_b64 s[6:7], s[6:7], exec
	s_and_b64 s[4:5], s[4:5], exec
	s_or_b64 s[6:7], s[6:7], s[4:5]
.LBB0_320:
	s_movk_i32 s4, 0xff
	v_cndmask_b32_e64 v20, 0, 1, s[6:7]
	v_and_b32_sdwa v19, v4, s4 dst_sel:DWORD dst_unused:UNUSED_PAD src0_sel:WORD_1 src1_sel:DWORD
	v_lshlrev_b16_e32 v20, 8, v20
	v_or_b32_sdwa v19, v19, v20 dst_sel:WORD_1 dst_unused:UNUSED_PAD src0_sel:DWORD src1_sel:DWORD
	s_mov_b32 s4, 0xffff
	v_and_or_b32 v4, v4, s4, v19
.LBB0_321:
	s_or_b64 exec, exec, s[2:3]
	v_or_b32_e32 v19, 0x400, v0
	v_cmp_gt_i32_e32 vcc, s8, v19
	s_and_saveexec_b64 s[2:3], vcc
	s_cbranch_execz .LBB0_336
; %bb.322:
	s_cmp_lt_i32 s9, 1
	s_mov_b64 s[4:5], 0
	s_cbranch_scc1 .LBB0_327
; %bb.323:
	s_cmp_gt_i32 s9, 1
	s_cbranch_scc0 .LBB0_328
; %bb.324:
	s_cmp_eq_u32 s9, 2
	s_cbranch_scc0 .LBB0_538
; %bb.325:
	s_and_b32 s6, s10, 0xff
	v_cmp_le_u16_sdwa s[6:7], v18, s6 src0_sel:BYTE_0 src1_sel:DWORD
	s_mov_b64 s[14:15], 0
	s_branch .LBB0_330
.LBB0_326:
	s_and_b32 s4, s10, 0xff
	v_cmp_lt_u16_sdwa s[14:15], v19, s4 src0_sel:BYTE_0 src1_sel:DWORD
	s_andn2_b64 s[6:7], s[6:7], exec
	s_and_b64 s[14:15], s[14:15], exec
	s_or_b64 s[6:7], s[6:7], s[14:15]
	s_cbranch_execz .LBB0_319
	s_branch .LBB0_320
.LBB0_327:
                                        ; implicit-def: $sgpr6_sgpr7
	s_mov_b64 s[14:15], 0
	s_cbranch_execnz .LBB0_331
	s_branch .LBB0_332
.LBB0_328:
	s_mov_b64 s[14:15], 0
                                        ; implicit-def: $sgpr6_sgpr7
	s_cbranch_execz .LBB0_330
; %bb.329:
	s_and_b32 s16, s10, 0xff
	v_cmp_gt_u16_sdwa s[16:17], v18, s16 src0_sel:BYTE_0 src1_sel:DWORD
	s_andn2_b64 s[6:7], s[6:7], exec
	s_and_b64 s[16:17], s[16:17], exec
	s_or_b64 s[6:7], s[6:7], s[16:17]
.LBB0_330:
	s_branch .LBB0_332
.LBB0_331:
	s_cmp_lg_u32 s9, 0
	s_mov_b64 s[4:5], -1
	s_cselect_b64 s[14:15], -1, 0
.LBB0_332:
	s_andn2_b64 vcc, exec, s[14:15]
	s_cbranch_vccz .LBB0_341
; %bb.333:
	s_andn2_b64 vcc, exec, s[4:5]
	s_cbranch_vccnz .LBB0_335
.LBB0_334:
	s_and_b32 s4, s10, 0xff
	v_cmp_ge_u16_sdwa s[4:5], v18, s4 src0_sel:BYTE_0 src1_sel:DWORD
	s_andn2_b64 s[6:7], s[6:7], exec
	s_and_b64 s[4:5], s[4:5], exec
	s_or_b64 s[6:7], s[6:7], s[4:5]
.LBB0_335:
	v_and_b32_e32 v18, 0xffffff00, v8
	v_cndmask_b32_e64 v19, 0, 1, s[6:7]
	v_or_b32_e32 v18, v19, v18
	v_and_b32_e32 v18, 0xffff, v18
	s_mov_b32 s4, 0xffff0000
	v_and_or_b32 v8, v8, s4, v18
.LBB0_336:
	s_or_b64 exec, exec, s[2:3]
	v_or_b32_e32 v18, 0x500, v0
	v_cmp_gt_i32_e32 vcc, s8, v18
	s_and_saveexec_b64 s[2:3], vcc
	s_cbranch_execz .LBB0_351
; %bb.337:
	s_cmp_lt_i32 s9, 1
	s_mov_b64 s[4:5], 0
	s_cbranch_scc1 .LBB0_342
; %bb.338:
	s_cmp_gt_i32 s9, 1
	s_cbranch_scc0 .LBB0_343
; %bb.339:
	s_cmp_eq_u32 s9, 2
	s_cbranch_scc0 .LBB0_539
; %bb.340:
	s_and_b32 s6, s10, 0xff
	v_cmp_le_u16_sdwa s[6:7], v17, s6 src0_sel:BYTE_0 src1_sel:DWORD
	s_mov_b64 s[14:15], 0
	s_branch .LBB0_345
.LBB0_341:
	s_and_b32 s4, s10, 0xff
	v_cmp_lt_u16_sdwa s[14:15], v18, s4 src0_sel:BYTE_0 src1_sel:DWORD
	s_andn2_b64 s[6:7], s[6:7], exec
	s_and_b64 s[14:15], s[14:15], exec
	s_or_b64 s[6:7], s[6:7], s[14:15]
	s_cbranch_execz .LBB0_334
	s_branch .LBB0_335
.LBB0_342:
                                        ; implicit-def: $sgpr6_sgpr7
	s_mov_b64 s[14:15], 0
	s_cbranch_execnz .LBB0_346
	s_branch .LBB0_347
.LBB0_343:
	s_mov_b64 s[14:15], 0
                                        ; implicit-def: $sgpr6_sgpr7
	s_cbranch_execz .LBB0_345
; %bb.344:
	s_and_b32 s16, s10, 0xff
	v_cmp_gt_u16_sdwa s[16:17], v17, s16 src0_sel:BYTE_0 src1_sel:DWORD
	s_andn2_b64 s[6:7], s[6:7], exec
	s_and_b64 s[16:17], s[16:17], exec
	s_or_b64 s[6:7], s[6:7], s[16:17]
.LBB0_345:
	s_branch .LBB0_347
.LBB0_346:
	s_cmp_lg_u32 s9, 0
	s_mov_b64 s[4:5], -1
	s_cselect_b64 s[14:15], -1, 0
.LBB0_347:
	s_andn2_b64 vcc, exec, s[14:15]
	s_cbranch_vccz .LBB0_356
; %bb.348:
	s_andn2_b64 vcc, exec, s[4:5]
	s_cbranch_vccnz .LBB0_350
.LBB0_349:
	s_and_b32 s4, s10, 0xff
	v_cmp_ge_u16_sdwa s[4:5], v17, s4 src0_sel:BYTE_0 src1_sel:DWORD
	s_andn2_b64 s[6:7], s[6:7], exec
	s_and_b64 s[4:5], s[4:5], exec
	s_or_b64 s[6:7], s[6:7], s[4:5]
.LBB0_350:
	v_cndmask_b32_e64 v17, 0, 1, s[6:7]
	v_lshlrev_b16_e32 v17, 8, v17
	v_or_b32_sdwa v17, v8, v17 dst_sel:DWORD dst_unused:UNUSED_PAD src0_sel:BYTE_0 src1_sel:DWORD
	v_and_b32_e32 v17, 0xffff, v17
	s_mov_b32 s4, 0xffff0000
	v_and_or_b32 v8, v8, s4, v17
.LBB0_351:
	s_or_b64 exec, exec, s[2:3]
	v_or_b32_e32 v17, 0x600, v0
	v_cmp_gt_i32_e32 vcc, s8, v17
	s_and_saveexec_b64 s[2:3], vcc
	s_cbranch_execz .LBB0_366
; %bb.352:
	s_cmp_lt_i32 s9, 1
	s_mov_b64 s[4:5], 0
	s_cbranch_scc1 .LBB0_357
; %bb.353:
	s_cmp_gt_i32 s9, 1
	s_cbranch_scc0 .LBB0_358
; %bb.354:
	s_cmp_eq_u32 s9, 2
	s_cbranch_scc0 .LBB0_540
; %bb.355:
	s_and_b32 s6, s10, 0xff
	v_cmp_le_u16_sdwa s[6:7], v16, s6 src0_sel:BYTE_0 src1_sel:DWORD
	s_mov_b64 s[14:15], 0
	s_branch .LBB0_360
.LBB0_356:
	s_and_b32 s4, s10, 0xff
	v_cmp_lt_u16_sdwa s[14:15], v17, s4 src0_sel:BYTE_0 src1_sel:DWORD
	s_andn2_b64 s[6:7], s[6:7], exec
	s_and_b64 s[14:15], s[14:15], exec
	s_or_b64 s[6:7], s[6:7], s[14:15]
	s_cbranch_execz .LBB0_349
	s_branch .LBB0_350
.LBB0_357:
                                        ; implicit-def: $sgpr6_sgpr7
	s_mov_b64 s[14:15], 0
	s_cbranch_execnz .LBB0_361
	s_branch .LBB0_362
.LBB0_358:
	s_mov_b64 s[14:15], 0
                                        ; implicit-def: $sgpr6_sgpr7
	s_cbranch_execz .LBB0_360
; %bb.359:
	s_and_b32 s16, s10, 0xff
	v_cmp_gt_u16_sdwa s[16:17], v16, s16 src0_sel:BYTE_0 src1_sel:DWORD
	s_andn2_b64 s[6:7], s[6:7], exec
	s_and_b64 s[16:17], s[16:17], exec
	s_or_b64 s[6:7], s[6:7], s[16:17]
.LBB0_360:
	s_branch .LBB0_362
.LBB0_361:
	s_cmp_lg_u32 s9, 0
	s_mov_b64 s[4:5], -1
	s_cselect_b64 s[14:15], -1, 0
.LBB0_362:
	s_andn2_b64 vcc, exec, s[14:15]
	s_cbranch_vccz .LBB0_371
; %bb.363:
	s_andn2_b64 vcc, exec, s[4:5]
	s_cbranch_vccnz .LBB0_365
.LBB0_364:
	s_and_b32 s4, s10, 0xff
	v_cmp_ge_u16_sdwa s[4:5], v16, s4 src0_sel:BYTE_0 src1_sel:DWORD
	s_andn2_b64 s[6:7], s[6:7], exec
	s_and_b64 s[4:5], s[4:5], exec
	s_or_b64 s[6:7], s[6:7], s[4:5]
.LBB0_365:
	s_movk_i32 s4, 0xff00
	v_and_b32_sdwa v16, v8, s4 dst_sel:DWORD dst_unused:UNUSED_PAD src0_sel:WORD_1 src1_sel:DWORD
	v_cndmask_b32_e64 v17, 0, 1, s[6:7]
	v_or_b32_sdwa v16, v17, v16 dst_sel:WORD_1 dst_unused:UNUSED_PAD src0_sel:DWORD src1_sel:DWORD
	s_mov_b32 s4, 0xffff
	v_and_or_b32 v8, v8, s4, v16
.LBB0_366:
	s_or_b64 exec, exec, s[2:3]
	v_or_b32_e32 v16, 0x700, v0
	v_cmp_gt_i32_e32 vcc, s8, v16
	s_and_saveexec_b64 s[2:3], vcc
	s_cbranch_execz .LBB0_381
; %bb.367:
	s_cmp_lt_i32 s9, 1
	s_mov_b64 s[4:5], 0
	s_cbranch_scc1 .LBB0_372
; %bb.368:
	s_cmp_gt_i32 s9, 1
	s_cbranch_scc0 .LBB0_373
; %bb.369:
	s_cmp_eq_u32 s9, 2
	s_cbranch_scc0 .LBB0_541
; %bb.370:
	s_and_b32 s6, s10, 0xff
	v_cmp_le_u16_sdwa s[6:7], v15, s6 src0_sel:BYTE_0 src1_sel:DWORD
	s_mov_b64 s[14:15], 0
	s_branch .LBB0_375
.LBB0_371:
	s_and_b32 s4, s10, 0xff
	v_cmp_lt_u16_sdwa s[14:15], v16, s4 src0_sel:BYTE_0 src1_sel:DWORD
	s_andn2_b64 s[6:7], s[6:7], exec
	s_and_b64 s[14:15], s[14:15], exec
	s_or_b64 s[6:7], s[6:7], s[14:15]
	s_cbranch_execz .LBB0_364
	s_branch .LBB0_365
.LBB0_372:
                                        ; implicit-def: $sgpr6_sgpr7
	s_mov_b64 s[14:15], 0
	s_cbranch_execnz .LBB0_376
	s_branch .LBB0_377
.LBB0_373:
	s_mov_b64 s[14:15], 0
                                        ; implicit-def: $sgpr6_sgpr7
	s_cbranch_execz .LBB0_375
; %bb.374:
	s_and_b32 s16, s10, 0xff
	v_cmp_gt_u16_sdwa s[16:17], v15, s16 src0_sel:BYTE_0 src1_sel:DWORD
	s_andn2_b64 s[6:7], s[6:7], exec
	s_and_b64 s[16:17], s[16:17], exec
	s_or_b64 s[6:7], s[6:7], s[16:17]
.LBB0_375:
	s_branch .LBB0_377
.LBB0_376:
	s_cmp_lg_u32 s9, 0
	s_mov_b64 s[4:5], -1
	s_cselect_b64 s[14:15], -1, 0
.LBB0_377:
	s_andn2_b64 vcc, exec, s[14:15]
	s_cbranch_vccz .LBB0_386
; %bb.378:
	s_andn2_b64 vcc, exec, s[4:5]
	s_cbranch_vccnz .LBB0_380
.LBB0_379:
	s_and_b32 s4, s10, 0xff
	v_cmp_ge_u16_sdwa s[4:5], v15, s4 src0_sel:BYTE_0 src1_sel:DWORD
	s_andn2_b64 s[6:7], s[6:7], exec
	s_and_b64 s[4:5], s[4:5], exec
	s_or_b64 s[6:7], s[6:7], s[4:5]
.LBB0_380:
	s_movk_i32 s4, 0xff
	v_cndmask_b32_e64 v16, 0, 1, s[6:7]
	v_and_b32_sdwa v15, v8, s4 dst_sel:DWORD dst_unused:UNUSED_PAD src0_sel:WORD_1 src1_sel:DWORD
	v_lshlrev_b16_e32 v16, 8, v16
	v_or_b32_sdwa v15, v15, v16 dst_sel:WORD_1 dst_unused:UNUSED_PAD src0_sel:DWORD src1_sel:DWORD
	s_mov_b32 s4, 0xffff
	v_and_or_b32 v8, v8, s4, v15
.LBB0_381:
	s_or_b64 exec, exec, s[2:3]
	v_or_b32_e32 v15, 0x800, v0
	v_cmp_gt_i32_e32 vcc, s8, v15
	s_and_saveexec_b64 s[2:3], vcc
	s_cbranch_execz .LBB0_396
; %bb.382:
	s_cmp_lt_i32 s9, 1
	s_mov_b64 s[4:5], 0
	s_cbranch_scc1 .LBB0_387
; %bb.383:
	s_cmp_gt_i32 s9, 1
	s_cbranch_scc0 .LBB0_388
; %bb.384:
	s_cmp_eq_u32 s9, 2
	s_cbranch_scc0 .LBB0_542
; %bb.385:
	s_and_b32 s6, s10, 0xff
	v_cmp_le_u16_sdwa s[6:7], v14, s6 src0_sel:BYTE_0 src1_sel:DWORD
	s_mov_b64 s[14:15], 0
	s_branch .LBB0_390
.LBB0_386:
	s_and_b32 s4, s10, 0xff
	v_cmp_lt_u16_sdwa s[14:15], v15, s4 src0_sel:BYTE_0 src1_sel:DWORD
	s_andn2_b64 s[6:7], s[6:7], exec
	s_and_b64 s[14:15], s[14:15], exec
	s_or_b64 s[6:7], s[6:7], s[14:15]
	s_cbranch_execz .LBB0_379
	s_branch .LBB0_380
.LBB0_387:
                                        ; implicit-def: $sgpr6_sgpr7
	s_mov_b64 s[14:15], 0
	s_cbranch_execnz .LBB0_391
	s_branch .LBB0_392
.LBB0_388:
	s_mov_b64 s[14:15], 0
                                        ; implicit-def: $sgpr6_sgpr7
	s_cbranch_execz .LBB0_390
; %bb.389:
	s_and_b32 s16, s10, 0xff
	v_cmp_gt_u16_sdwa s[16:17], v14, s16 src0_sel:BYTE_0 src1_sel:DWORD
	s_andn2_b64 s[6:7], s[6:7], exec
	s_and_b64 s[16:17], s[16:17], exec
	s_or_b64 s[6:7], s[6:7], s[16:17]
.LBB0_390:
	s_branch .LBB0_392
.LBB0_391:
	s_cmp_lg_u32 s9, 0
	s_mov_b64 s[4:5], -1
	s_cselect_b64 s[14:15], -1, 0
.LBB0_392:
	s_andn2_b64 vcc, exec, s[14:15]
	s_cbranch_vccz .LBB0_401
; %bb.393:
	s_andn2_b64 vcc, exec, s[4:5]
	s_cbranch_vccnz .LBB0_395
.LBB0_394:
	s_and_b32 s4, s10, 0xff
	v_cmp_ge_u16_sdwa s[4:5], v14, s4 src0_sel:BYTE_0 src1_sel:DWORD
	s_andn2_b64 s[6:7], s[6:7], exec
	s_and_b64 s[4:5], s[4:5], exec
	s_or_b64 s[6:7], s[6:7], s[4:5]
.LBB0_395:
	v_and_b32_e32 v14, 0xffffff00, v2
	v_cndmask_b32_e64 v15, 0, 1, s[6:7]
	v_or_b32_e32 v14, v15, v14
	v_and_b32_e32 v14, 0xffff, v14
	s_mov_b32 s4, 0xffff0000
	v_and_or_b32 v2, v2, s4, v14
.LBB0_396:
	s_or_b64 exec, exec, s[2:3]
	v_or_b32_e32 v14, 0x900, v0
	v_cmp_gt_i32_e32 vcc, s8, v14
	s_and_saveexec_b64 s[2:3], vcc
	s_cbranch_execz .LBB0_411
; %bb.397:
	s_cmp_lt_i32 s9, 1
	s_mov_b64 s[4:5], 0
	s_cbranch_scc1 .LBB0_402
; %bb.398:
	s_cmp_gt_i32 s9, 1
	s_cbranch_scc0 .LBB0_403
; %bb.399:
	s_cmp_eq_u32 s9, 2
	s_cbranch_scc0 .LBB0_543
; %bb.400:
	s_and_b32 s6, s10, 0xff
	v_cmp_le_u16_sdwa s[6:7], v13, s6 src0_sel:BYTE_0 src1_sel:DWORD
	s_mov_b64 s[14:15], 0
	s_branch .LBB0_405
.LBB0_401:
	s_and_b32 s4, s10, 0xff
	v_cmp_lt_u16_sdwa s[14:15], v14, s4 src0_sel:BYTE_0 src1_sel:DWORD
	s_andn2_b64 s[6:7], s[6:7], exec
	s_and_b64 s[14:15], s[14:15], exec
	s_or_b64 s[6:7], s[6:7], s[14:15]
	s_cbranch_execz .LBB0_394
	s_branch .LBB0_395
.LBB0_402:
                                        ; implicit-def: $sgpr6_sgpr7
	s_mov_b64 s[14:15], 0
	s_cbranch_execnz .LBB0_406
	s_branch .LBB0_407
.LBB0_403:
	s_mov_b64 s[14:15], 0
                                        ; implicit-def: $sgpr6_sgpr7
	s_cbranch_execz .LBB0_405
; %bb.404:
	s_and_b32 s16, s10, 0xff
	v_cmp_gt_u16_sdwa s[16:17], v13, s16 src0_sel:BYTE_0 src1_sel:DWORD
	s_andn2_b64 s[6:7], s[6:7], exec
	s_and_b64 s[16:17], s[16:17], exec
	s_or_b64 s[6:7], s[6:7], s[16:17]
.LBB0_405:
	s_branch .LBB0_407
.LBB0_406:
	s_cmp_lg_u32 s9, 0
	s_mov_b64 s[4:5], -1
	s_cselect_b64 s[14:15], -1, 0
.LBB0_407:
	s_andn2_b64 vcc, exec, s[14:15]
	s_cbranch_vccz .LBB0_416
; %bb.408:
	s_andn2_b64 vcc, exec, s[4:5]
	s_cbranch_vccnz .LBB0_410
.LBB0_409:
	s_and_b32 s4, s10, 0xff
	v_cmp_ge_u16_sdwa s[4:5], v13, s4 src0_sel:BYTE_0 src1_sel:DWORD
	s_andn2_b64 s[6:7], s[6:7], exec
	s_and_b64 s[4:5], s[4:5], exec
	s_or_b64 s[6:7], s[6:7], s[4:5]
.LBB0_410:
	v_cndmask_b32_e64 v13, 0, 1, s[6:7]
	v_lshlrev_b16_e32 v13, 8, v13
	v_or_b32_sdwa v13, v2, v13 dst_sel:DWORD dst_unused:UNUSED_PAD src0_sel:BYTE_0 src1_sel:DWORD
	v_and_b32_e32 v13, 0xffff, v13
	s_mov_b32 s4, 0xffff0000
	v_and_or_b32 v2, v2, s4, v13
.LBB0_411:
	s_or_b64 exec, exec, s[2:3]
	v_or_b32_e32 v13, 0xa00, v0
	v_cmp_gt_i32_e32 vcc, s8, v13
	s_and_saveexec_b64 s[2:3], vcc
	s_cbranch_execz .LBB0_426
; %bb.412:
	s_cmp_lt_i32 s9, 1
	s_mov_b64 s[4:5], 0
	s_cbranch_scc1 .LBB0_417
; %bb.413:
	s_cmp_gt_i32 s9, 1
	s_cbranch_scc0 .LBB0_418
; %bb.414:
	s_cmp_eq_u32 s9, 2
	s_cbranch_scc0 .LBB0_544
; %bb.415:
	s_and_b32 s6, s10, 0xff
	v_cmp_le_u16_sdwa s[6:7], v12, s6 src0_sel:BYTE_0 src1_sel:DWORD
	s_mov_b64 s[14:15], 0
	s_branch .LBB0_420
.LBB0_416:
	s_and_b32 s4, s10, 0xff
	v_cmp_lt_u16_sdwa s[14:15], v13, s4 src0_sel:BYTE_0 src1_sel:DWORD
	s_andn2_b64 s[6:7], s[6:7], exec
	s_and_b64 s[14:15], s[14:15], exec
	s_or_b64 s[6:7], s[6:7], s[14:15]
	s_cbranch_execz .LBB0_409
	s_branch .LBB0_410
.LBB0_417:
                                        ; implicit-def: $sgpr6_sgpr7
	s_mov_b64 s[14:15], 0
	s_cbranch_execnz .LBB0_421
	s_branch .LBB0_422
.LBB0_418:
	s_mov_b64 s[14:15], 0
                                        ; implicit-def: $sgpr6_sgpr7
	s_cbranch_execz .LBB0_420
; %bb.419:
	s_and_b32 s16, s10, 0xff
	v_cmp_gt_u16_sdwa s[16:17], v12, s16 src0_sel:BYTE_0 src1_sel:DWORD
	s_andn2_b64 s[6:7], s[6:7], exec
	s_and_b64 s[16:17], s[16:17], exec
	s_or_b64 s[6:7], s[6:7], s[16:17]
.LBB0_420:
	s_branch .LBB0_422
.LBB0_421:
	s_cmp_lg_u32 s9, 0
	s_mov_b64 s[4:5], -1
	s_cselect_b64 s[14:15], -1, 0
.LBB0_422:
	s_andn2_b64 vcc, exec, s[14:15]
	s_cbranch_vccz .LBB0_431
; %bb.423:
	s_andn2_b64 vcc, exec, s[4:5]
	s_cbranch_vccnz .LBB0_425
.LBB0_424:
	s_and_b32 s4, s10, 0xff
	v_cmp_ge_u16_sdwa s[4:5], v12, s4 src0_sel:BYTE_0 src1_sel:DWORD
	s_andn2_b64 s[6:7], s[6:7], exec
	s_and_b64 s[4:5], s[4:5], exec
	s_or_b64 s[6:7], s[6:7], s[4:5]
.LBB0_425:
	s_movk_i32 s4, 0xff00
	v_and_b32_sdwa v12, v2, s4 dst_sel:DWORD dst_unused:UNUSED_PAD src0_sel:WORD_1 src1_sel:DWORD
	v_cndmask_b32_e64 v13, 0, 1, s[6:7]
	v_or_b32_sdwa v12, v13, v12 dst_sel:WORD_1 dst_unused:UNUSED_PAD src0_sel:DWORD src1_sel:DWORD
	s_mov_b32 s4, 0xffff
	v_and_or_b32 v2, v2, s4, v12
.LBB0_426:
	s_or_b64 exec, exec, s[2:3]
	v_or_b32_e32 v12, 0xb00, v0
	v_cmp_gt_i32_e32 vcc, s8, v12
	s_and_saveexec_b64 s[2:3], vcc
	s_cbranch_execz .LBB0_441
; %bb.427:
	s_cmp_lt_i32 s9, 1
	s_mov_b64 s[4:5], 0
	s_cbranch_scc1 .LBB0_432
; %bb.428:
	s_cmp_gt_i32 s9, 1
	s_cbranch_scc0 .LBB0_433
; %bb.429:
	s_cmp_eq_u32 s9, 2
	s_cbranch_scc0 .LBB0_545
; %bb.430:
	s_and_b32 s6, s10, 0xff
	v_cmp_le_u16_sdwa s[6:7], v11, s6 src0_sel:BYTE_0 src1_sel:DWORD
	s_mov_b64 s[14:15], 0
	s_branch .LBB0_435
.LBB0_431:
	s_and_b32 s4, s10, 0xff
	v_cmp_lt_u16_sdwa s[14:15], v12, s4 src0_sel:BYTE_0 src1_sel:DWORD
	s_andn2_b64 s[6:7], s[6:7], exec
	s_and_b64 s[14:15], s[14:15], exec
	s_or_b64 s[6:7], s[6:7], s[14:15]
	s_cbranch_execz .LBB0_424
	s_branch .LBB0_425
.LBB0_432:
                                        ; implicit-def: $sgpr6_sgpr7
	s_mov_b64 s[14:15], 0
	s_cbranch_execnz .LBB0_436
	s_branch .LBB0_437
.LBB0_433:
	s_mov_b64 s[14:15], 0
                                        ; implicit-def: $sgpr6_sgpr7
	s_cbranch_execz .LBB0_435
; %bb.434:
	s_and_b32 s16, s10, 0xff
	v_cmp_gt_u16_sdwa s[16:17], v11, s16 src0_sel:BYTE_0 src1_sel:DWORD
	s_andn2_b64 s[6:7], s[6:7], exec
	s_and_b64 s[16:17], s[16:17], exec
	s_or_b64 s[6:7], s[6:7], s[16:17]
.LBB0_435:
	s_branch .LBB0_437
.LBB0_436:
	s_cmp_lg_u32 s9, 0
	s_mov_b64 s[4:5], -1
	s_cselect_b64 s[14:15], -1, 0
.LBB0_437:
	s_andn2_b64 vcc, exec, s[14:15]
	s_cbranch_vccz .LBB0_446
; %bb.438:
	s_andn2_b64 vcc, exec, s[4:5]
	s_cbranch_vccnz .LBB0_440
.LBB0_439:
	s_and_b32 s4, s10, 0xff
	v_cmp_ge_u16_sdwa s[4:5], v11, s4 src0_sel:BYTE_0 src1_sel:DWORD
	s_andn2_b64 s[6:7], s[6:7], exec
	s_and_b64 s[4:5], s[4:5], exec
	s_or_b64 s[6:7], s[6:7], s[4:5]
.LBB0_440:
	s_movk_i32 s4, 0xff
	v_cndmask_b32_e64 v12, 0, 1, s[6:7]
	v_and_b32_sdwa v11, v2, s4 dst_sel:DWORD dst_unused:UNUSED_PAD src0_sel:WORD_1 src1_sel:DWORD
	v_lshlrev_b16_e32 v12, 8, v12
	v_or_b32_sdwa v11, v11, v12 dst_sel:WORD_1 dst_unused:UNUSED_PAD src0_sel:DWORD src1_sel:DWORD
	s_mov_b32 s4, 0xffff
	v_and_or_b32 v2, v2, s4, v11
.LBB0_441:
	s_or_b64 exec, exec, s[2:3]
	v_or_b32_e32 v11, 0xc00, v0
	v_cmp_gt_i32_e32 vcc, s8, v11
	s_and_saveexec_b64 s[2:3], vcc
	s_cbranch_execz .LBB0_456
; %bb.442:
	s_cmp_lt_i32 s9, 1
	s_mov_b64 s[4:5], 0
	s_cbranch_scc1 .LBB0_447
; %bb.443:
	s_cmp_gt_i32 s9, 1
	s_cbranch_scc0 .LBB0_448
; %bb.444:
	s_cmp_eq_u32 s9, 2
	s_cbranch_scc0 .LBB0_546
; %bb.445:
	s_and_b32 s6, s10, 0xff
	v_cmp_le_u16_sdwa s[6:7], v9, s6 src0_sel:BYTE_0 src1_sel:DWORD
	s_mov_b64 s[14:15], 0
	s_branch .LBB0_450
.LBB0_446:
	s_and_b32 s4, s10, 0xff
	v_cmp_lt_u16_sdwa s[14:15], v11, s4 src0_sel:BYTE_0 src1_sel:DWORD
	s_andn2_b64 s[6:7], s[6:7], exec
	s_and_b64 s[14:15], s[14:15], exec
	s_or_b64 s[6:7], s[6:7], s[14:15]
	s_cbranch_execz .LBB0_439
	s_branch .LBB0_440
.LBB0_447:
                                        ; implicit-def: $sgpr6_sgpr7
	s_mov_b64 s[14:15], 0
	s_cbranch_execnz .LBB0_451
	s_branch .LBB0_452
.LBB0_448:
	s_mov_b64 s[14:15], 0
                                        ; implicit-def: $sgpr6_sgpr7
	s_cbranch_execz .LBB0_450
; %bb.449:
	s_and_b32 s16, s10, 0xff
	v_cmp_gt_u16_sdwa s[16:17], v9, s16 src0_sel:BYTE_0 src1_sel:DWORD
	s_andn2_b64 s[6:7], s[6:7], exec
	s_and_b64 s[16:17], s[16:17], exec
	s_or_b64 s[6:7], s[6:7], s[16:17]
.LBB0_450:
	s_branch .LBB0_452
.LBB0_451:
	s_cmp_lg_u32 s9, 0
	s_mov_b64 s[4:5], -1
	s_cselect_b64 s[14:15], -1, 0
.LBB0_452:
	s_andn2_b64 vcc, exec, s[14:15]
	s_cbranch_vccz .LBB0_461
; %bb.453:
	s_andn2_b64 vcc, exec, s[4:5]
	s_cbranch_vccnz .LBB0_455
.LBB0_454:
	s_and_b32 s4, s10, 0xff
	v_cmp_ge_u16_sdwa s[4:5], v9, s4 src0_sel:BYTE_0 src1_sel:DWORD
	s_andn2_b64 s[6:7], s[6:7], exec
	s_and_b64 s[4:5], s[4:5], exec
	s_or_b64 s[6:7], s[6:7], s[4:5]
.LBB0_455:
	v_and_b32_e32 v9, 0xffffff00, v1
	v_cndmask_b32_e64 v11, 0, 1, s[6:7]
	v_or_b32_e32 v9, v11, v9
	v_and_b32_e32 v9, 0xffff, v9
	s_mov_b32 s4, 0xffff0000
	v_and_or_b32 v1, v1, s4, v9
.LBB0_456:
	s_or_b64 exec, exec, s[2:3]
	v_or_b32_e32 v9, 0xd00, v0
	v_cmp_gt_i32_e32 vcc, s8, v9
	s_and_saveexec_b64 s[2:3], vcc
	s_cbranch_execz .LBB0_471
; %bb.457:
	s_cmp_lt_i32 s9, 1
	s_mov_b64 s[4:5], 0
	s_cbranch_scc1 .LBB0_462
; %bb.458:
	s_cmp_gt_i32 s9, 1
	s_cbranch_scc0 .LBB0_463
; %bb.459:
	s_cmp_eq_u32 s9, 2
	s_cbranch_scc0 .LBB0_547
; %bb.460:
	s_and_b32 s6, s10, 0xff
	v_cmp_le_u16_sdwa s[6:7], v7, s6 src0_sel:BYTE_0 src1_sel:DWORD
	s_mov_b64 s[14:15], 0
	s_branch .LBB0_465
.LBB0_461:
	s_and_b32 s4, s10, 0xff
	v_cmp_lt_u16_sdwa s[14:15], v9, s4 src0_sel:BYTE_0 src1_sel:DWORD
	s_andn2_b64 s[6:7], s[6:7], exec
	s_and_b64 s[14:15], s[14:15], exec
	s_or_b64 s[6:7], s[6:7], s[14:15]
	s_cbranch_execz .LBB0_454
	s_branch .LBB0_455
.LBB0_462:
                                        ; implicit-def: $sgpr6_sgpr7
	s_mov_b64 s[14:15], 0
	s_cbranch_execnz .LBB0_466
	s_branch .LBB0_467
.LBB0_463:
	s_mov_b64 s[14:15], 0
                                        ; implicit-def: $sgpr6_sgpr7
	s_cbranch_execz .LBB0_465
; %bb.464:
	s_and_b32 s16, s10, 0xff
	v_cmp_gt_u16_sdwa s[16:17], v7, s16 src0_sel:BYTE_0 src1_sel:DWORD
	s_andn2_b64 s[6:7], s[6:7], exec
	s_and_b64 s[16:17], s[16:17], exec
	s_or_b64 s[6:7], s[6:7], s[16:17]
.LBB0_465:
	s_branch .LBB0_467
.LBB0_466:
	s_cmp_lg_u32 s9, 0
	s_mov_b64 s[4:5], -1
	s_cselect_b64 s[14:15], -1, 0
.LBB0_467:
	s_andn2_b64 vcc, exec, s[14:15]
	s_cbranch_vccz .LBB0_476
; %bb.468:
	s_andn2_b64 vcc, exec, s[4:5]
	s_cbranch_vccnz .LBB0_470
.LBB0_469:
	s_and_b32 s4, s10, 0xff
	v_cmp_ge_u16_sdwa s[4:5], v7, s4 src0_sel:BYTE_0 src1_sel:DWORD
	s_andn2_b64 s[6:7], s[6:7], exec
	s_and_b64 s[4:5], s[4:5], exec
	s_or_b64 s[6:7], s[6:7], s[4:5]
.LBB0_470:
	v_cndmask_b32_e64 v7, 0, 1, s[6:7]
	v_lshlrev_b16_e32 v7, 8, v7
	v_or_b32_sdwa v7, v1, v7 dst_sel:DWORD dst_unused:UNUSED_PAD src0_sel:BYTE_0 src1_sel:DWORD
	v_and_b32_e32 v7, 0xffff, v7
	s_mov_b32 s4, 0xffff0000
	v_and_or_b32 v1, v1, s4, v7
.LBB0_471:
	s_or_b64 exec, exec, s[2:3]
	v_or_b32_e32 v7, 0xe00, v0
	v_cmp_gt_i32_e32 vcc, s8, v7
	s_and_saveexec_b64 s[2:3], vcc
	s_cbranch_execz .LBB0_486
; %bb.472:
	s_cmp_lt_i32 s9, 1
	s_mov_b64 s[4:5], 0
	s_cbranch_scc1 .LBB0_477
; %bb.473:
	s_cmp_gt_i32 s9, 1
	s_cbranch_scc0 .LBB0_478
; %bb.474:
	s_cmp_eq_u32 s9, 2
	s_cbranch_scc0 .LBB0_548
; %bb.475:
	s_and_b32 s6, s10, 0xff
	v_cmp_le_u16_sdwa s[6:7], v6, s6 src0_sel:BYTE_0 src1_sel:DWORD
	s_mov_b64 s[14:15], 0
	s_branch .LBB0_480
.LBB0_476:
	s_and_b32 s4, s10, 0xff
	v_cmp_lt_u16_sdwa s[14:15], v7, s4 src0_sel:BYTE_0 src1_sel:DWORD
	s_andn2_b64 s[6:7], s[6:7], exec
	s_and_b64 s[14:15], s[14:15], exec
	s_or_b64 s[6:7], s[6:7], s[14:15]
	s_cbranch_execz .LBB0_469
	s_branch .LBB0_470
.LBB0_477:
                                        ; implicit-def: $sgpr6_sgpr7
	s_mov_b64 s[14:15], 0
	s_cbranch_execnz .LBB0_481
	s_branch .LBB0_482
.LBB0_478:
	s_mov_b64 s[14:15], 0
                                        ; implicit-def: $sgpr6_sgpr7
	s_cbranch_execz .LBB0_480
; %bb.479:
	s_and_b32 s16, s10, 0xff
	v_cmp_gt_u16_sdwa s[16:17], v6, s16 src0_sel:BYTE_0 src1_sel:DWORD
	s_andn2_b64 s[6:7], s[6:7], exec
	s_and_b64 s[16:17], s[16:17], exec
	s_or_b64 s[6:7], s[6:7], s[16:17]
.LBB0_480:
	s_branch .LBB0_482
.LBB0_481:
	s_cmp_lg_u32 s9, 0
	s_mov_b64 s[4:5], -1
	s_cselect_b64 s[14:15], -1, 0
.LBB0_482:
	s_andn2_b64 vcc, exec, s[14:15]
	s_cbranch_vccz .LBB0_491
; %bb.483:
	s_andn2_b64 vcc, exec, s[4:5]
	s_cbranch_vccnz .LBB0_485
.LBB0_484:
	s_and_b32 s4, s10, 0xff
	v_cmp_ge_u16_sdwa s[4:5], v6, s4 src0_sel:BYTE_0 src1_sel:DWORD
	s_andn2_b64 s[6:7], s[6:7], exec
	s_and_b64 s[4:5], s[4:5], exec
	s_or_b64 s[6:7], s[6:7], s[4:5]
.LBB0_485:
	s_movk_i32 s4, 0xff00
	v_and_b32_sdwa v6, v1, s4 dst_sel:DWORD dst_unused:UNUSED_PAD src0_sel:WORD_1 src1_sel:DWORD
	v_cndmask_b32_e64 v7, 0, 1, s[6:7]
	v_or_b32_sdwa v6, v7, v6 dst_sel:WORD_1 dst_unused:UNUSED_PAD src0_sel:DWORD src1_sel:DWORD
	s_mov_b32 s4, 0xffff
	v_and_or_b32 v1, v1, s4, v6
.LBB0_486:
	s_or_b64 exec, exec, s[2:3]
	v_or_b32_e32 v6, 0xf00, v0
	v_cmp_gt_i32_e32 vcc, s8, v6
	s_and_saveexec_b64 s[2:3], vcc
	s_cbranch_execz .LBB0_501
; %bb.487:
	s_cmp_lt_i32 s9, 1
	s_mov_b64 s[4:5], 0
	s_cbranch_scc1 .LBB0_492
; %bb.488:
	s_cmp_gt_i32 s9, 1
	s_cbranch_scc0 .LBB0_493
; %bb.489:
	s_cmp_eq_u32 s9, 2
	s_cbranch_scc0 .LBB0_549
; %bb.490:
	s_and_b32 s6, s10, 0xff
	v_cmp_le_u16_sdwa s[6:7], v5, s6 src0_sel:BYTE_0 src1_sel:DWORD
	s_mov_b64 s[14:15], 0
	s_branch .LBB0_495
.LBB0_491:
	s_and_b32 s4, s10, 0xff
	v_cmp_lt_u16_sdwa s[14:15], v6, s4 src0_sel:BYTE_0 src1_sel:DWORD
	s_andn2_b64 s[6:7], s[6:7], exec
	s_and_b64 s[14:15], s[14:15], exec
	s_or_b64 s[6:7], s[6:7], s[14:15]
	s_cbranch_execz .LBB0_484
	s_branch .LBB0_485
.LBB0_492:
                                        ; implicit-def: $sgpr6_sgpr7
	s_mov_b64 s[14:15], 0
	s_cbranch_execnz .LBB0_496
	s_branch .LBB0_497
.LBB0_493:
	s_mov_b64 s[14:15], 0
                                        ; implicit-def: $sgpr6_sgpr7
	s_cbranch_execz .LBB0_495
; %bb.494:
	s_and_b32 s16, s10, 0xff
	v_cmp_gt_u16_sdwa s[16:17], v5, s16 src0_sel:BYTE_0 src1_sel:DWORD
	s_andn2_b64 s[6:7], s[6:7], exec
	s_and_b64 s[16:17], s[16:17], exec
	s_or_b64 s[6:7], s[6:7], s[16:17]
.LBB0_495:
	s_branch .LBB0_497
.LBB0_496:
	s_cmp_lg_u32 s9, 0
	s_mov_b64 s[4:5], -1
	s_cselect_b64 s[14:15], -1, 0
.LBB0_497:
	s_andn2_b64 vcc, exec, s[14:15]
	s_cbranch_vccz .LBB0_534
; %bb.498:
	s_andn2_b64 vcc, exec, s[4:5]
	s_cbranch_vccnz .LBB0_500
.LBB0_499:
	s_and_b32 s4, s10, 0xff
	v_cmp_ge_u16_sdwa s[4:5], v5, s4 src0_sel:BYTE_0 src1_sel:DWORD
	s_andn2_b64 s[6:7], s[6:7], exec
	s_and_b64 s[4:5], s[4:5], exec
	s_or_b64 s[6:7], s[6:7], s[4:5]
.LBB0_500:
	s_movk_i32 s4, 0xff
	v_cndmask_b32_e64 v6, 0, 1, s[6:7]
	v_and_b32_sdwa v5, v1, s4 dst_sel:DWORD dst_unused:UNUSED_PAD src0_sel:WORD_1 src1_sel:DWORD
	v_lshlrev_b16_e32 v6, 8, v6
	v_or_b32_sdwa v5, v5, v6 dst_sel:WORD_1 dst_unused:UNUSED_PAD src0_sel:DWORD src1_sel:DWORD
	s_mov_b32 s4, 0xffff
	v_and_or_b32 v1, v1, s4, v5
.LBB0_501:
	s_or_b64 exec, exec, s[2:3]
	s_and_saveexec_b64 s[2:3], s[0:1]
	s_xor_b64 s[0:1], exec, s[2:3]
	s_cbranch_execz .LBB0_503
; %bb.502:
	v_mov_b32_e32 v0, v10
	global_store_byte v3, v4, s[12:13]
.LBB0_503:
	s_or_b64 exec, exec, s[0:1]
	v_cmp_gt_i32_e32 vcc, s8, v0
	s_and_saveexec_b64 s[0:1], vcc
	s_cbranch_execnz .LBB0_520
; %bb.504:
	s_or_b64 exec, exec, s[0:1]
	v_cmp_gt_i32_e32 vcc, s8, v0
	s_and_saveexec_b64 s[0:1], vcc
	s_cbranch_execnz .LBB0_521
.LBB0_505:
	s_or_b64 exec, exec, s[0:1]
	v_cmp_gt_i32_e32 vcc, s8, v0
	s_and_saveexec_b64 s[0:1], vcc
	s_cbranch_execnz .LBB0_522
.LBB0_506:
	s_or_b64 exec, exec, s[0:1]
	v_cmp_gt_i32_e32 vcc, s8, v0
	s_and_saveexec_b64 s[0:1], vcc
	s_cbranch_execnz .LBB0_523
.LBB0_507:
	s_or_b64 exec, exec, s[0:1]
	v_cmp_gt_i32_e32 vcc, s8, v0
	s_and_saveexec_b64 s[0:1], vcc
	s_cbranch_execnz .LBB0_524
.LBB0_508:
	s_or_b64 exec, exec, s[0:1]
	v_cmp_gt_i32_e32 vcc, s8, v0
	s_and_saveexec_b64 s[0:1], vcc
	s_cbranch_execnz .LBB0_525
.LBB0_509:
	s_or_b64 exec, exec, s[0:1]
	v_cmp_gt_i32_e32 vcc, s8, v0
	s_and_saveexec_b64 s[0:1], vcc
	s_cbranch_execnz .LBB0_526
.LBB0_510:
	s_or_b64 exec, exec, s[0:1]
	v_cmp_gt_i32_e32 vcc, s8, v0
	s_and_saveexec_b64 s[0:1], vcc
	s_cbranch_execnz .LBB0_527
.LBB0_511:
	s_or_b64 exec, exec, s[0:1]
	v_cmp_gt_i32_e32 vcc, s8, v0
	s_and_saveexec_b64 s[0:1], vcc
	s_cbranch_execnz .LBB0_528
.LBB0_512:
	s_or_b64 exec, exec, s[0:1]
	v_cmp_gt_i32_e32 vcc, s8, v0
	s_and_saveexec_b64 s[0:1], vcc
	s_cbranch_execnz .LBB0_529
.LBB0_513:
	s_or_b64 exec, exec, s[0:1]
	v_cmp_gt_i32_e32 vcc, s8, v0
	s_and_saveexec_b64 s[0:1], vcc
	s_cbranch_execnz .LBB0_530
.LBB0_514:
	s_or_b64 exec, exec, s[0:1]
	v_cmp_gt_i32_e32 vcc, s8, v0
	s_and_saveexec_b64 s[0:1], vcc
	s_cbranch_execnz .LBB0_531
.LBB0_515:
	s_or_b64 exec, exec, s[0:1]
	v_cmp_gt_i32_e32 vcc, s8, v0
	s_and_saveexec_b64 s[0:1], vcc
	s_cbranch_execnz .LBB0_532
.LBB0_516:
	s_or_b64 exec, exec, s[0:1]
	v_cmp_gt_i32_e32 vcc, s8, v0
	s_and_saveexec_b64 s[0:1], vcc
	s_cbranch_execnz .LBB0_533
.LBB0_517:
	s_or_b64 exec, exec, s[0:1]
	v_cmp_gt_i32_e32 vcc, s8, v0
	s_and_saveexec_b64 s[0:1], vcc
	s_cbranch_execz .LBB0_519
.LBB0_518:
	v_lshrrev_b32_e32 v1, 24, v1
	v_add_u32_e32 v0, s11, v0
	global_store_byte v0, v1, s[12:13]
.LBB0_519:
	s_endpgm
.LBB0_520:
	v_lshrrev_b32_e32 v3, 8, v4
	v_add_u32_e32 v5, s11, v0
	v_add_u32_e32 v0, 0x100, v0
	global_store_byte v5, v3, s[12:13]
	s_or_b64 exec, exec, s[0:1]
	v_cmp_gt_i32_e32 vcc, s8, v0
	s_and_saveexec_b64 s[0:1], vcc
	s_cbranch_execz .LBB0_505
.LBB0_521:
	v_add_u32_e32 v3, s11, v0
	v_add_u32_e32 v0, 0x100, v0
	global_store_byte_d16_hi v3, v4, s[12:13]
	s_or_b64 exec, exec, s[0:1]
	v_cmp_gt_i32_e32 vcc, s8, v0
	s_and_saveexec_b64 s[0:1], vcc
	s_cbranch_execz .LBB0_506
.LBB0_522:
	v_lshrrev_b32_e32 v3, 24, v4
	v_add_u32_e32 v4, s11, v0
	v_add_u32_e32 v0, 0x100, v0
	global_store_byte v4, v3, s[12:13]
	s_or_b64 exec, exec, s[0:1]
	v_cmp_gt_i32_e32 vcc, s8, v0
	s_and_saveexec_b64 s[0:1], vcc
	s_cbranch_execz .LBB0_507
.LBB0_523:
	v_add_u32_e32 v3, s11, v0
	v_add_u32_e32 v0, 0x100, v0
	global_store_byte v3, v8, s[12:13]
	s_or_b64 exec, exec, s[0:1]
	v_cmp_gt_i32_e32 vcc, s8, v0
	s_and_saveexec_b64 s[0:1], vcc
	s_cbranch_execz .LBB0_508
.LBB0_524:
	v_lshrrev_b32_e32 v3, 8, v8
	v_add_u32_e32 v4, s11, v0
	v_add_u32_e32 v0, 0x100, v0
	global_store_byte v4, v3, s[12:13]
	s_or_b64 exec, exec, s[0:1]
	v_cmp_gt_i32_e32 vcc, s8, v0
	s_and_saveexec_b64 s[0:1], vcc
	s_cbranch_execz .LBB0_509
.LBB0_525:
	v_add_u32_e32 v3, s11, v0
	v_add_u32_e32 v0, 0x100, v0
	global_store_byte_d16_hi v3, v8, s[12:13]
	s_or_b64 exec, exec, s[0:1]
	v_cmp_gt_i32_e32 vcc, s8, v0
	s_and_saveexec_b64 s[0:1], vcc
	s_cbranch_execz .LBB0_510
.LBB0_526:
	v_lshrrev_b32_e32 v3, 24, v8
	v_add_u32_e32 v4, s11, v0
	v_add_u32_e32 v0, 0x100, v0
	global_store_byte v4, v3, s[12:13]
	s_or_b64 exec, exec, s[0:1]
	v_cmp_gt_i32_e32 vcc, s8, v0
	s_and_saveexec_b64 s[0:1], vcc
	s_cbranch_execz .LBB0_511
.LBB0_527:
	v_add_u32_e32 v3, s11, v0
	v_add_u32_e32 v0, 0x100, v0
	global_store_byte v3, v2, s[12:13]
	s_or_b64 exec, exec, s[0:1]
	v_cmp_gt_i32_e32 vcc, s8, v0
	s_and_saveexec_b64 s[0:1], vcc
	s_cbranch_execz .LBB0_512
.LBB0_528:
	v_lshrrev_b32_e32 v3, 8, v2
	v_add_u32_e32 v4, s11, v0
	v_add_u32_e32 v0, 0x100, v0
	global_store_byte v4, v3, s[12:13]
	s_or_b64 exec, exec, s[0:1]
	v_cmp_gt_i32_e32 vcc, s8, v0
	s_and_saveexec_b64 s[0:1], vcc
	s_cbranch_execz .LBB0_513
.LBB0_529:
	v_add_u32_e32 v3, s11, v0
	v_add_u32_e32 v0, 0x100, v0
	global_store_byte_d16_hi v3, v2, s[12:13]
	s_or_b64 exec, exec, s[0:1]
	v_cmp_gt_i32_e32 vcc, s8, v0
	s_and_saveexec_b64 s[0:1], vcc
	s_cbranch_execz .LBB0_514
.LBB0_530:
	v_lshrrev_b32_e32 v2, 24, v2
	v_add_u32_e32 v3, s11, v0
	v_add_u32_e32 v0, 0x100, v0
	global_store_byte v3, v2, s[12:13]
	s_or_b64 exec, exec, s[0:1]
	v_cmp_gt_i32_e32 vcc, s8, v0
	s_and_saveexec_b64 s[0:1], vcc
	s_cbranch_execz .LBB0_515
.LBB0_531:
	v_add_u32_e32 v2, s11, v0
	v_add_u32_e32 v0, 0x100, v0
	global_store_byte v2, v1, s[12:13]
	s_or_b64 exec, exec, s[0:1]
	v_cmp_gt_i32_e32 vcc, s8, v0
	s_and_saveexec_b64 s[0:1], vcc
	s_cbranch_execz .LBB0_516
.LBB0_532:
	v_lshrrev_b32_e32 v2, 8, v1
	v_add_u32_e32 v3, s11, v0
	v_add_u32_e32 v0, 0x100, v0
	global_store_byte v3, v2, s[12:13]
	s_or_b64 exec, exec, s[0:1]
	v_cmp_gt_i32_e32 vcc, s8, v0
	s_and_saveexec_b64 s[0:1], vcc
	s_cbranch_execz .LBB0_517
.LBB0_533:
	v_add_u32_e32 v2, s11, v0
	v_add_u32_e32 v0, 0x100, v0
	global_store_byte_d16_hi v2, v1, s[12:13]
	s_or_b64 exec, exec, s[0:1]
	v_cmp_gt_i32_e32 vcc, s8, v0
	s_and_saveexec_b64 s[0:1], vcc
	s_cbranch_execnz .LBB0_518
	s_branch .LBB0_519
.LBB0_534:
	s_and_b32 s4, s10, 0xff
	v_cmp_lt_u16_sdwa s[14:15], v5, s4 src0_sel:BYTE_0 src1_sel:DWORD
	s_andn2_b64 s[6:7], s[6:7], exec
	s_and_b64 s[14:15], s[14:15], exec
	s_or_b64 s[6:7], s[6:7], s[14:15]
	s_cbranch_execz .LBB0_499
	s_branch .LBB0_500
.LBB0_535:
	s_mov_b64 s[14:15], -1
                                        ; implicit-def: $sgpr6_sgpr7
	s_branch .LBB0_285
.LBB0_536:
	s_mov_b64 s[14:15], -1
                                        ; implicit-def: $sgpr6_sgpr7
	s_branch .LBB0_300
.LBB0_537:
	s_mov_b64 s[14:15], -1
                                        ; implicit-def: $sgpr6_sgpr7
	s_branch .LBB0_315
.LBB0_538:
	s_mov_b64 s[14:15], -1
                                        ; implicit-def: $sgpr6_sgpr7
	s_branch .LBB0_330
.LBB0_539:
	s_mov_b64 s[14:15], -1
                                        ; implicit-def: $sgpr6_sgpr7
	s_branch .LBB0_345
.LBB0_540:
	s_mov_b64 s[14:15], -1
                                        ; implicit-def: $sgpr6_sgpr7
	s_branch .LBB0_360
.LBB0_541:
	s_mov_b64 s[14:15], -1
                                        ; implicit-def: $sgpr6_sgpr7
	s_branch .LBB0_375
.LBB0_542:
	s_mov_b64 s[14:15], -1
                                        ; implicit-def: $sgpr6_sgpr7
	s_branch .LBB0_390
.LBB0_543:
	s_mov_b64 s[14:15], -1
                                        ; implicit-def: $sgpr6_sgpr7
	s_branch .LBB0_405
.LBB0_544:
	s_mov_b64 s[14:15], -1
                                        ; implicit-def: $sgpr6_sgpr7
	s_branch .LBB0_420
.LBB0_545:
	s_mov_b64 s[14:15], -1
                                        ; implicit-def: $sgpr6_sgpr7
	s_branch .LBB0_435
.LBB0_546:
	s_mov_b64 s[14:15], -1
                                        ; implicit-def: $sgpr6_sgpr7
	s_branch .LBB0_450
.LBB0_547:
	s_mov_b64 s[14:15], -1
                                        ; implicit-def: $sgpr6_sgpr7
	s_branch .LBB0_465
.LBB0_548:
	s_mov_b64 s[14:15], -1
                                        ; implicit-def: $sgpr6_sgpr7
	s_branch .LBB0_480
.LBB0_549:
	s_mov_b64 s[14:15], -1
                                        ; implicit-def: $sgpr6_sgpr7
	s_branch .LBB0_495
	.section	.rodata,"a",@progbits
	.p2align	6, 0x0
	.amdhsa_kernel _ZN2at6native29vectorized_elementwise_kernelILi16EZNS0_21compare_scalar_kernelIhEEvRNS_18TensorIteratorBaseENS0_12_GLOBAL__N_16OpTypeET_EUlhE_St5arrayIPcLm2EEEEviT0_T1_
		.amdhsa_group_segment_fixed_size 0
		.amdhsa_private_segment_fixed_size 0
		.amdhsa_kernarg_size 32
		.amdhsa_user_sgpr_count 6
		.amdhsa_user_sgpr_private_segment_buffer 1
		.amdhsa_user_sgpr_dispatch_ptr 0
		.amdhsa_user_sgpr_queue_ptr 0
		.amdhsa_user_sgpr_kernarg_segment_ptr 1
		.amdhsa_user_sgpr_dispatch_id 0
		.amdhsa_user_sgpr_flat_scratch_init 0
		.amdhsa_user_sgpr_private_segment_size 0
		.amdhsa_uses_dynamic_stack 0
		.amdhsa_system_sgpr_private_segment_wavefront_offset 0
		.amdhsa_system_sgpr_workgroup_id_x 1
		.amdhsa_system_sgpr_workgroup_id_y 0
		.amdhsa_system_sgpr_workgroup_id_z 0
		.amdhsa_system_sgpr_workgroup_info 0
		.amdhsa_system_vgpr_workitem_id 0
		.amdhsa_next_free_vgpr 22
		.amdhsa_next_free_sgpr 48
		.amdhsa_reserve_vcc 1
		.amdhsa_reserve_flat_scratch 0
		.amdhsa_float_round_mode_32 0
		.amdhsa_float_round_mode_16_64 0
		.amdhsa_float_denorm_mode_32 3
		.amdhsa_float_denorm_mode_16_64 3
		.amdhsa_dx10_clamp 1
		.amdhsa_ieee_mode 1
		.amdhsa_fp16_overflow 0
		.amdhsa_exception_fp_ieee_invalid_op 0
		.amdhsa_exception_fp_denorm_src 0
		.amdhsa_exception_fp_ieee_div_zero 0
		.amdhsa_exception_fp_ieee_overflow 0
		.amdhsa_exception_fp_ieee_underflow 0
		.amdhsa_exception_fp_ieee_inexact 0
		.amdhsa_exception_int_div_zero 0
	.end_amdhsa_kernel
	.section	.text._ZN2at6native29vectorized_elementwise_kernelILi16EZNS0_21compare_scalar_kernelIhEEvRNS_18TensorIteratorBaseENS0_12_GLOBAL__N_16OpTypeET_EUlhE_St5arrayIPcLm2EEEEviT0_T1_,"axG",@progbits,_ZN2at6native29vectorized_elementwise_kernelILi16EZNS0_21compare_scalar_kernelIhEEvRNS_18TensorIteratorBaseENS0_12_GLOBAL__N_16OpTypeET_EUlhE_St5arrayIPcLm2EEEEviT0_T1_,comdat
.Lfunc_end0:
	.size	_ZN2at6native29vectorized_elementwise_kernelILi16EZNS0_21compare_scalar_kernelIhEEvRNS_18TensorIteratorBaseENS0_12_GLOBAL__N_16OpTypeET_EUlhE_St5arrayIPcLm2EEEEviT0_T1_, .Lfunc_end0-_ZN2at6native29vectorized_elementwise_kernelILi16EZNS0_21compare_scalar_kernelIhEEvRNS_18TensorIteratorBaseENS0_12_GLOBAL__N_16OpTypeET_EUlhE_St5arrayIPcLm2EEEEviT0_T1_
                                        ; -- End function
	.set _ZN2at6native29vectorized_elementwise_kernelILi16EZNS0_21compare_scalar_kernelIhEEvRNS_18TensorIteratorBaseENS0_12_GLOBAL__N_16OpTypeET_EUlhE_St5arrayIPcLm2EEEEviT0_T1_.num_vgpr, 22
	.set _ZN2at6native29vectorized_elementwise_kernelILi16EZNS0_21compare_scalar_kernelIhEEvRNS_18TensorIteratorBaseENS0_12_GLOBAL__N_16OpTypeET_EUlhE_St5arrayIPcLm2EEEEviT0_T1_.num_agpr, 0
	.set _ZN2at6native29vectorized_elementwise_kernelILi16EZNS0_21compare_scalar_kernelIhEEvRNS_18TensorIteratorBaseENS0_12_GLOBAL__N_16OpTypeET_EUlhE_St5arrayIPcLm2EEEEviT0_T1_.numbered_sgpr, 48
	.set _ZN2at6native29vectorized_elementwise_kernelILi16EZNS0_21compare_scalar_kernelIhEEvRNS_18TensorIteratorBaseENS0_12_GLOBAL__N_16OpTypeET_EUlhE_St5arrayIPcLm2EEEEviT0_T1_.num_named_barrier, 0
	.set _ZN2at6native29vectorized_elementwise_kernelILi16EZNS0_21compare_scalar_kernelIhEEvRNS_18TensorIteratorBaseENS0_12_GLOBAL__N_16OpTypeET_EUlhE_St5arrayIPcLm2EEEEviT0_T1_.private_seg_size, 0
	.set _ZN2at6native29vectorized_elementwise_kernelILi16EZNS0_21compare_scalar_kernelIhEEvRNS_18TensorIteratorBaseENS0_12_GLOBAL__N_16OpTypeET_EUlhE_St5arrayIPcLm2EEEEviT0_T1_.uses_vcc, 1
	.set _ZN2at6native29vectorized_elementwise_kernelILi16EZNS0_21compare_scalar_kernelIhEEvRNS_18TensorIteratorBaseENS0_12_GLOBAL__N_16OpTypeET_EUlhE_St5arrayIPcLm2EEEEviT0_T1_.uses_flat_scratch, 0
	.set _ZN2at6native29vectorized_elementwise_kernelILi16EZNS0_21compare_scalar_kernelIhEEvRNS_18TensorIteratorBaseENS0_12_GLOBAL__N_16OpTypeET_EUlhE_St5arrayIPcLm2EEEEviT0_T1_.has_dyn_sized_stack, 0
	.set _ZN2at6native29vectorized_elementwise_kernelILi16EZNS0_21compare_scalar_kernelIhEEvRNS_18TensorIteratorBaseENS0_12_GLOBAL__N_16OpTypeET_EUlhE_St5arrayIPcLm2EEEEviT0_T1_.has_recursion, 0
	.set _ZN2at6native29vectorized_elementwise_kernelILi16EZNS0_21compare_scalar_kernelIhEEvRNS_18TensorIteratorBaseENS0_12_GLOBAL__N_16OpTypeET_EUlhE_St5arrayIPcLm2EEEEviT0_T1_.has_indirect_call, 0
	.section	.AMDGPU.csdata,"",@progbits
; Kernel info:
; codeLenInByte = 10156
; TotalNumSgprs: 52
; NumVgprs: 22
; ScratchSize: 0
; MemoryBound: 0
; FloatMode: 240
; IeeeMode: 1
; LDSByteSize: 0 bytes/workgroup (compile time only)
; SGPRBlocks: 6
; VGPRBlocks: 5
; NumSGPRsForWavesPerEU: 52
; NumVGPRsForWavesPerEU: 22
; Occupancy: 10
; WaveLimiterHint : 0
; COMPUTE_PGM_RSRC2:SCRATCH_EN: 0
; COMPUTE_PGM_RSRC2:USER_SGPR: 6
; COMPUTE_PGM_RSRC2:TRAP_HANDLER: 0
; COMPUTE_PGM_RSRC2:TGID_X_EN: 1
; COMPUTE_PGM_RSRC2:TGID_Y_EN: 0
; COMPUTE_PGM_RSRC2:TGID_Z_EN: 0
; COMPUTE_PGM_RSRC2:TIDIG_COMP_CNT: 0
	.section	.text._ZN2at6native29vectorized_elementwise_kernelILi8EZNS0_21compare_scalar_kernelIhEEvRNS_18TensorIteratorBaseENS0_12_GLOBAL__N_16OpTypeET_EUlhE_St5arrayIPcLm2EEEEviT0_T1_,"axG",@progbits,_ZN2at6native29vectorized_elementwise_kernelILi8EZNS0_21compare_scalar_kernelIhEEvRNS_18TensorIteratorBaseENS0_12_GLOBAL__N_16OpTypeET_EUlhE_St5arrayIPcLm2EEEEviT0_T1_,comdat
	.globl	_ZN2at6native29vectorized_elementwise_kernelILi8EZNS0_21compare_scalar_kernelIhEEvRNS_18TensorIteratorBaseENS0_12_GLOBAL__N_16OpTypeET_EUlhE_St5arrayIPcLm2EEEEviT0_T1_ ; -- Begin function _ZN2at6native29vectorized_elementwise_kernelILi8EZNS0_21compare_scalar_kernelIhEEvRNS_18TensorIteratorBaseENS0_12_GLOBAL__N_16OpTypeET_EUlhE_St5arrayIPcLm2EEEEviT0_T1_
	.p2align	8
	.type	_ZN2at6native29vectorized_elementwise_kernelILi8EZNS0_21compare_scalar_kernelIhEEvRNS_18TensorIteratorBaseENS0_12_GLOBAL__N_16OpTypeET_EUlhE_St5arrayIPcLm2EEEEviT0_T1_,@function
_ZN2at6native29vectorized_elementwise_kernelILi8EZNS0_21compare_scalar_kernelIhEEvRNS_18TensorIteratorBaseENS0_12_GLOBAL__N_16OpTypeET_EUlhE_St5arrayIPcLm2EEEEviT0_T1_: ; @_ZN2at6native29vectorized_elementwise_kernelILi8EZNS0_21compare_scalar_kernelIhEEvRNS_18TensorIteratorBaseENS0_12_GLOBAL__N_16OpTypeET_EUlhE_St5arrayIPcLm2EEEEviT0_T1_
; %bb.0:
	s_load_dwordx8 s[8:15], s[4:5], 0x0
	s_waitcnt lgkmcnt(0)
	s_lshl_b32 s11, s6, 12
	s_mov_b64 s[0:1], -1
	s_sub_i32 s8, s8, s11
	s_cmpk_gt_i32 s8, 0xfff
	s_cbranch_scc0 .LBB1_211
; %bb.1:
	s_ashr_i32 s33, s11, 31
	s_add_u32 s0, s14, s11
	s_addc_u32 s1, s15, s33
	v_lshlrev_b32_e32 v5, 3, v0
	global_load_dwordx2 v[3:4], v5, s[0:1]
	global_load_dwordx2 v[1:2], v5, s[0:1] offset:2048
	s_cmp_lt_i32 s9, 1
	s_mov_b64 s[2:3], 0
	s_cbranch_scc1 .LBB1_5
; %bb.2:
	s_cmp_gt_i32 s9, 1
	s_cbranch_scc0 .LBB1_6
; %bb.3:
	s_cmp_eq_u32 s9, 2
	s_cbranch_scc0 .LBB1_7
; %bb.4:
	s_and_b32 s0, s10, 0xff
	s_waitcnt vmcnt(1)
	v_cmp_le_u16_sdwa s[0:1], v3, s0 src0_sel:BYTE_0 src1_sel:DWORD
	s_mov_b64 s[4:5], 0
	s_branch .LBB1_8
.LBB1_5:
                                        ; implicit-def: $sgpr0_sgpr1
	s_mov_b64 s[4:5], 0
	s_cbranch_execnz .LBB1_11
	s_branch .LBB1_12
.LBB1_6:
	s_mov_b64 s[4:5], 0
                                        ; implicit-def: $sgpr0_sgpr1
	s_cbranch_execnz .LBB1_9
	s_branch .LBB1_10
.LBB1_7:
	s_mov_b64 s[4:5], -1
                                        ; implicit-def: $sgpr0_sgpr1
.LBB1_8:
	s_branch .LBB1_10
.LBB1_9:
	s_and_b32 s6, s10, 0xff
	s_waitcnt vmcnt(1)
	v_cmp_gt_u16_sdwa s[6:7], v3, s6 src0_sel:BYTE_0 src1_sel:DWORD
	s_andn2_b64 s[0:1], s[0:1], exec
	s_and_b64 s[6:7], s[6:7], exec
	s_or_b64 s[0:1], s[0:1], s[6:7]
.LBB1_10:
	s_branch .LBB1_12
.LBB1_11:
	s_cmp_lg_u32 s9, 0
	s_mov_b64 s[2:3], -1
	s_cselect_b64 s[4:5], -1, 0
.LBB1_12:
	s_andn2_b64 vcc, exec, s[4:5]
	s_cbranch_vccz .LBB1_18
; %bb.13:
	s_andn2_b64 vcc, exec, s[2:3]
	s_cbranch_vccz .LBB1_19
.LBB1_14:
	s_cmp_lt_i32 s9, 1
	s_mov_b64 s[4:5], 0
	s_cbranch_scc1 .LBB1_20
.LBB1_15:
	s_cmp_gt_i32 s9, 1
	s_cbranch_scc0 .LBB1_21
; %bb.16:
	s_cmp_eq_u32 s9, 2
	s_cbranch_scc0 .LBB1_251
; %bb.17:
	s_waitcnt vmcnt(1)
	v_lshrrev_b32_e32 v6, 8, v3
	s_and_b32 s2, s10, 0xff
	v_cmp_le_u16_sdwa s[2:3], v6, s2 src0_sel:BYTE_0 src1_sel:DWORD
	s_mov_b64 s[6:7], 0
	s_branch .LBB1_23
.LBB1_18:
	s_and_b32 s2, s10, 0xff
	s_waitcnt vmcnt(1)
	v_cmp_lt_u16_sdwa s[4:5], v3, s2 src0_sel:BYTE_0 src1_sel:DWORD
	s_andn2_b64 s[0:1], s[0:1], exec
	s_and_b64 s[4:5], s[4:5], exec
	s_or_b64 s[0:1], s[0:1], s[4:5]
	s_cbranch_execnz .LBB1_14
.LBB1_19:
	s_and_b32 s2, s10, 0xff
	s_waitcnt vmcnt(1)
	v_cmp_ge_u16_sdwa s[2:3], v3, s2 src0_sel:BYTE_0 src1_sel:DWORD
	s_andn2_b64 s[0:1], s[0:1], exec
	s_and_b64 s[2:3], s[2:3], exec
	s_or_b64 s[0:1], s[0:1], s[2:3]
	s_cmp_lt_i32 s9, 1
	s_mov_b64 s[4:5], 0
	s_cbranch_scc0 .LBB1_15
.LBB1_20:
                                        ; implicit-def: $sgpr2_sgpr3
	s_mov_b64 s[6:7], 0
	s_cbranch_execnz .LBB1_24
	s_branch .LBB1_25
.LBB1_21:
	s_mov_b64 s[6:7], 0
                                        ; implicit-def: $sgpr2_sgpr3
	s_cbranch_execz .LBB1_23
; %bb.22:
	s_waitcnt vmcnt(1)
	v_lshrrev_b32_e32 v6, 8, v3
	s_and_b32 s16, s10, 0xff
	v_cmp_gt_u16_sdwa s[16:17], v6, s16 src0_sel:BYTE_0 src1_sel:DWORD
	s_andn2_b64 s[2:3], s[2:3], exec
	s_and_b64 s[16:17], s[16:17], exec
	s_or_b64 s[2:3], s[2:3], s[16:17]
.LBB1_23:
	s_branch .LBB1_25
.LBB1_24:
	s_cmp_lg_u32 s9, 0
	s_mov_b64 s[4:5], -1
	s_cselect_b64 s[6:7], -1, 0
.LBB1_25:
	s_andn2_b64 vcc, exec, s[6:7]
	s_waitcnt vmcnt(1)
	v_lshrrev_b32_e32 v6, 8, v3
	s_cbranch_vccz .LBB1_31
; %bb.26:
	s_andn2_b64 vcc, exec, s[4:5]
	s_cbranch_vccz .LBB1_32
.LBB1_27:
	s_cmp_lt_i32 s9, 1
	s_mov_b64 s[6:7], 0
	s_cbranch_scc1 .LBB1_33
.LBB1_28:
	s_cmp_gt_i32 s9, 1
	s_cbranch_scc0 .LBB1_34
; %bb.29:
	s_cmp_eq_u32 s9, 2
	s_cbranch_scc0 .LBB1_252
; %bb.30:
	s_movk_i32 s4, 0xff
	v_and_b32_sdwa v6, v3, s4 dst_sel:DWORD dst_unused:UNUSED_PAD src0_sel:WORD_1 src1_sel:DWORD
	s_and_b32 s4, s10, 0xff
	v_cmp_ge_u16_e64 s[4:5], s4, v6
	s_mov_b64 s[16:17], 0
	s_branch .LBB1_36
.LBB1_31:
	s_and_b32 s4, s10, 0xff
	v_cmp_lt_u16_sdwa s[6:7], v6, s4 src0_sel:BYTE_0 src1_sel:DWORD
	s_andn2_b64 s[2:3], s[2:3], exec
	s_and_b64 s[6:7], s[6:7], exec
	s_or_b64 s[2:3], s[2:3], s[6:7]
	s_cbranch_execnz .LBB1_27
.LBB1_32:
	s_and_b32 s4, s10, 0xff
	v_cmp_ge_u16_sdwa s[4:5], v6, s4 src0_sel:BYTE_0 src1_sel:DWORD
	s_andn2_b64 s[2:3], s[2:3], exec
	s_and_b64 s[4:5], s[4:5], exec
	s_or_b64 s[2:3], s[2:3], s[4:5]
	s_cmp_lt_i32 s9, 1
	s_mov_b64 s[6:7], 0
	s_cbranch_scc0 .LBB1_28
.LBB1_33:
                                        ; implicit-def: $sgpr4_sgpr5
	s_mov_b64 s[16:17], 0
	s_cbranch_execnz .LBB1_37
	s_branch .LBB1_38
.LBB1_34:
	s_mov_b64 s[16:17], 0
                                        ; implicit-def: $sgpr4_sgpr5
	s_cbranch_execz .LBB1_36
; %bb.35:
	s_movk_i32 s18, 0xff
	v_and_b32_sdwa v6, v3, s18 dst_sel:DWORD dst_unused:UNUSED_PAD src0_sel:WORD_1 src1_sel:DWORD
	s_and_b32 s18, s10, 0xff
	v_cmp_lt_u16_e32 vcc, s18, v6
	s_andn2_b64 s[4:5], s[4:5], exec
	s_and_b64 s[18:19], vcc, exec
	s_or_b64 s[4:5], s[4:5], s[18:19]
.LBB1_36:
	s_branch .LBB1_38
.LBB1_37:
	s_cmp_lg_u32 s9, 0
	s_mov_b64 s[6:7], -1
	s_cselect_b64 s[16:17], -1, 0
.LBB1_38:
	s_andn2_b64 vcc, exec, s[16:17]
	s_cbranch_vccz .LBB1_44
; %bb.39:
	s_andn2_b64 vcc, exec, s[6:7]
	s_cbranch_vccz .LBB1_45
.LBB1_40:
	s_cmp_lt_i32 s9, 1
	s_mov_b64 s[16:17], 0
	s_cbranch_scc1 .LBB1_46
.LBB1_41:
	s_cmp_gt_i32 s9, 1
	s_cbranch_scc0 .LBB1_47
; %bb.42:
	s_cmp_eq_u32 s9, 2
	s_cbranch_scc0 .LBB1_253
; %bb.43:
	s_and_b32 s6, s10, 0xff
	v_cmp_le_u16_sdwa s[6:7], v3, s6 src0_sel:BYTE_3 src1_sel:DWORD
	s_mov_b64 s[18:19], 0
	s_branch .LBB1_49
.LBB1_44:
	s_movk_i32 s6, 0xff
	v_and_b32_sdwa v6, v3, s6 dst_sel:DWORD dst_unused:UNUSED_PAD src0_sel:WORD_1 src1_sel:DWORD
	s_and_b32 s6, s10, 0xff
	v_cmp_gt_u16_e32 vcc, s6, v6
	s_andn2_b64 s[4:5], s[4:5], exec
	s_and_b64 s[16:17], vcc, exec
	s_or_b64 s[4:5], s[4:5], s[16:17]
	s_cbranch_execnz .LBB1_40
.LBB1_45:
	s_movk_i32 s6, 0xff
	v_and_b32_sdwa v6, v3, s6 dst_sel:DWORD dst_unused:UNUSED_PAD src0_sel:WORD_1 src1_sel:DWORD
	s_and_b32 s6, s10, 0xff
	v_cmp_le_u16_e32 vcc, s6, v6
	s_andn2_b64 s[4:5], s[4:5], exec
	s_and_b64 s[6:7], vcc, exec
	s_or_b64 s[4:5], s[4:5], s[6:7]
	s_cmp_lt_i32 s9, 1
	s_mov_b64 s[16:17], 0
	s_cbranch_scc0 .LBB1_41
.LBB1_46:
                                        ; implicit-def: $sgpr6_sgpr7
	s_mov_b64 s[18:19], 0
	s_cbranch_execnz .LBB1_50
	s_branch .LBB1_51
.LBB1_47:
	s_mov_b64 s[18:19], 0
                                        ; implicit-def: $sgpr6_sgpr7
	s_cbranch_execz .LBB1_49
; %bb.48:
	s_and_b32 s20, s10, 0xff
	v_cmp_gt_u16_sdwa s[20:21], v3, s20 src0_sel:BYTE_3 src1_sel:DWORD
	s_andn2_b64 s[6:7], s[6:7], exec
	s_and_b64 s[20:21], s[20:21], exec
	s_or_b64 s[6:7], s[6:7], s[20:21]
.LBB1_49:
	s_branch .LBB1_51
.LBB1_50:
	s_cmp_lg_u32 s9, 0
	s_mov_b64 s[16:17], -1
	s_cselect_b64 s[18:19], -1, 0
.LBB1_51:
	s_andn2_b64 vcc, exec, s[18:19]
	s_cbranch_vccz .LBB1_57
; %bb.52:
	s_andn2_b64 vcc, exec, s[16:17]
	s_cbranch_vccz .LBB1_58
.LBB1_53:
	s_cmp_lt_i32 s9, 1
	s_mov_b64 s[18:19], 0
	s_cbranch_scc1 .LBB1_59
.LBB1_54:
	s_cmp_gt_i32 s9, 1
	s_cbranch_scc0 .LBB1_60
; %bb.55:
	s_cmp_eq_u32 s9, 2
	s_cbranch_scc0 .LBB1_254
; %bb.56:
	s_and_b32 s16, s10, 0xff
	v_cmp_le_u16_sdwa s[16:17], v4, s16 src0_sel:BYTE_0 src1_sel:DWORD
	s_mov_b64 s[20:21], 0
	s_branch .LBB1_62
.LBB1_57:
	s_and_b32 s16, s10, 0xff
	v_cmp_lt_u16_sdwa s[18:19], v3, s16 src0_sel:BYTE_3 src1_sel:DWORD
	s_andn2_b64 s[6:7], s[6:7], exec
	s_and_b64 s[18:19], s[18:19], exec
	s_or_b64 s[6:7], s[6:7], s[18:19]
	s_cbranch_execnz .LBB1_53
.LBB1_58:
	s_and_b32 s16, s10, 0xff
	v_cmp_ge_u16_sdwa s[16:17], v3, s16 src0_sel:BYTE_3 src1_sel:DWORD
	s_andn2_b64 s[6:7], s[6:7], exec
	s_and_b64 s[16:17], s[16:17], exec
	s_or_b64 s[6:7], s[6:7], s[16:17]
	s_cmp_lt_i32 s9, 1
	s_mov_b64 s[18:19], 0
	s_cbranch_scc0 .LBB1_54
.LBB1_59:
                                        ; implicit-def: $sgpr16_sgpr17
	s_mov_b64 s[20:21], 0
	s_cbranch_execnz .LBB1_63
	s_branch .LBB1_64
.LBB1_60:
	s_mov_b64 s[20:21], 0
                                        ; implicit-def: $sgpr16_sgpr17
	s_cbranch_execz .LBB1_62
; %bb.61:
	s_and_b32 s22, s10, 0xff
	v_cmp_gt_u16_sdwa s[22:23], v4, s22 src0_sel:BYTE_0 src1_sel:DWORD
	s_andn2_b64 s[16:17], s[16:17], exec
	s_and_b64 s[22:23], s[22:23], exec
	s_or_b64 s[16:17], s[16:17], s[22:23]
.LBB1_62:
	s_branch .LBB1_64
.LBB1_63:
	s_cmp_lg_u32 s9, 0
	s_mov_b64 s[18:19], -1
	s_cselect_b64 s[20:21], -1, 0
.LBB1_64:
	s_andn2_b64 vcc, exec, s[20:21]
	s_cbranch_vccz .LBB1_70
; %bb.65:
	s_andn2_b64 vcc, exec, s[18:19]
	s_cbranch_vccz .LBB1_71
.LBB1_66:
	s_cmp_lt_i32 s9, 1
	s_mov_b64 s[20:21], 0
	s_cbranch_scc1 .LBB1_72
.LBB1_67:
	s_cmp_gt_i32 s9, 1
	s_cbranch_scc0 .LBB1_73
; %bb.68:
	s_cmp_eq_u32 s9, 2
	s_cbranch_scc0 .LBB1_255
; %bb.69:
	v_lshrrev_b32_e32 v3, 8, v4
	s_and_b32 s18, s10, 0xff
	v_cmp_le_u16_sdwa s[18:19], v3, s18 src0_sel:BYTE_0 src1_sel:DWORD
	s_mov_b64 s[22:23], 0
	s_branch .LBB1_75
.LBB1_70:
	s_and_b32 s18, s10, 0xff
	v_cmp_lt_u16_sdwa s[20:21], v4, s18 src0_sel:BYTE_0 src1_sel:DWORD
	s_andn2_b64 s[16:17], s[16:17], exec
	s_and_b64 s[20:21], s[20:21], exec
	s_or_b64 s[16:17], s[16:17], s[20:21]
	s_cbranch_execnz .LBB1_66
.LBB1_71:
	s_and_b32 s18, s10, 0xff
	v_cmp_ge_u16_sdwa s[18:19], v4, s18 src0_sel:BYTE_0 src1_sel:DWORD
	s_andn2_b64 s[16:17], s[16:17], exec
	s_and_b64 s[18:19], s[18:19], exec
	s_or_b64 s[16:17], s[16:17], s[18:19]
	s_cmp_lt_i32 s9, 1
	s_mov_b64 s[20:21], 0
	s_cbranch_scc0 .LBB1_67
.LBB1_72:
                                        ; implicit-def: $sgpr18_sgpr19
	s_mov_b64 s[22:23], 0
	s_cbranch_execnz .LBB1_76
	s_branch .LBB1_77
.LBB1_73:
	s_mov_b64 s[22:23], 0
                                        ; implicit-def: $sgpr18_sgpr19
	s_cbranch_execz .LBB1_75
; %bb.74:
	v_lshrrev_b32_e32 v3, 8, v4
	s_and_b32 s24, s10, 0xff
	v_cmp_gt_u16_sdwa s[24:25], v3, s24 src0_sel:BYTE_0 src1_sel:DWORD
	s_andn2_b64 s[18:19], s[18:19], exec
	s_and_b64 s[24:25], s[24:25], exec
	s_or_b64 s[18:19], s[18:19], s[24:25]
.LBB1_75:
	s_branch .LBB1_77
.LBB1_76:
	s_cmp_lg_u32 s9, 0
	s_mov_b64 s[20:21], -1
	s_cselect_b64 s[22:23], -1, 0
.LBB1_77:
	s_andn2_b64 vcc, exec, s[22:23]
	v_lshrrev_b32_e32 v3, 8, v4
	s_cbranch_vccz .LBB1_83
; %bb.78:
	s_andn2_b64 vcc, exec, s[20:21]
	s_cbranch_vccz .LBB1_84
.LBB1_79:
	s_cmp_lt_i32 s9, 1
	s_mov_b64 s[22:23], 0
	s_cbranch_scc1 .LBB1_85
.LBB1_80:
	s_cmp_gt_i32 s9, 1
	s_cbranch_scc0 .LBB1_86
; %bb.81:
	s_cmp_eq_u32 s9, 2
	s_cbranch_scc0 .LBB1_256
; %bb.82:
	s_movk_i32 s20, 0xff
	v_and_b32_sdwa v3, v4, s20 dst_sel:DWORD dst_unused:UNUSED_PAD src0_sel:WORD_1 src1_sel:DWORD
	s_and_b32 s20, s10, 0xff
	v_cmp_ge_u16_e64 s[20:21], s20, v3
	s_mov_b64 s[24:25], 0
	s_branch .LBB1_88
.LBB1_83:
	s_and_b32 s20, s10, 0xff
	v_cmp_lt_u16_sdwa s[22:23], v3, s20 src0_sel:BYTE_0 src1_sel:DWORD
	s_andn2_b64 s[18:19], s[18:19], exec
	s_and_b64 s[22:23], s[22:23], exec
	s_or_b64 s[18:19], s[18:19], s[22:23]
	s_cbranch_execnz .LBB1_79
.LBB1_84:
	s_and_b32 s20, s10, 0xff
	v_cmp_ge_u16_sdwa s[20:21], v3, s20 src0_sel:BYTE_0 src1_sel:DWORD
	s_andn2_b64 s[18:19], s[18:19], exec
	s_and_b64 s[20:21], s[20:21], exec
	s_or_b64 s[18:19], s[18:19], s[20:21]
	s_cmp_lt_i32 s9, 1
	s_mov_b64 s[22:23], 0
	s_cbranch_scc0 .LBB1_80
.LBB1_85:
                                        ; implicit-def: $sgpr20_sgpr21
	s_mov_b64 s[24:25], 0
	s_cbranch_execnz .LBB1_89
	s_branch .LBB1_90
.LBB1_86:
	s_mov_b64 s[24:25], 0
                                        ; implicit-def: $sgpr20_sgpr21
	s_cbranch_execz .LBB1_88
; %bb.87:
	s_movk_i32 s26, 0xff
	v_and_b32_sdwa v3, v4, s26 dst_sel:DWORD dst_unused:UNUSED_PAD src0_sel:WORD_1 src1_sel:DWORD
	s_and_b32 s26, s10, 0xff
	v_cmp_lt_u16_e32 vcc, s26, v3
	s_andn2_b64 s[20:21], s[20:21], exec
	s_and_b64 s[26:27], vcc, exec
	s_or_b64 s[20:21], s[20:21], s[26:27]
.LBB1_88:
	s_branch .LBB1_90
.LBB1_89:
	s_cmp_lg_u32 s9, 0
	s_mov_b64 s[22:23], -1
	s_cselect_b64 s[24:25], -1, 0
.LBB1_90:
	s_andn2_b64 vcc, exec, s[24:25]
	s_cbranch_vccz .LBB1_96
; %bb.91:
	s_andn2_b64 vcc, exec, s[22:23]
	s_cbranch_vccz .LBB1_97
.LBB1_92:
	s_cmp_lt_i32 s9, 1
	s_mov_b64 s[24:25], 0
	s_cbranch_scc1 .LBB1_98
.LBB1_93:
	s_cmp_gt_i32 s9, 1
	s_cbranch_scc0 .LBB1_99
; %bb.94:
	s_cmp_eq_u32 s9, 2
	s_cbranch_scc0 .LBB1_257
; %bb.95:
	s_and_b32 s22, s10, 0xff
	v_cmp_le_u16_sdwa s[22:23], v4, s22 src0_sel:BYTE_3 src1_sel:DWORD
	s_mov_b64 s[26:27], 0
	s_branch .LBB1_101
.LBB1_96:
	s_movk_i32 s22, 0xff
	v_and_b32_sdwa v3, v4, s22 dst_sel:DWORD dst_unused:UNUSED_PAD src0_sel:WORD_1 src1_sel:DWORD
	s_and_b32 s22, s10, 0xff
	v_cmp_gt_u16_e32 vcc, s22, v3
	s_andn2_b64 s[20:21], s[20:21], exec
	s_and_b64 s[24:25], vcc, exec
	s_or_b64 s[20:21], s[20:21], s[24:25]
	s_cbranch_execnz .LBB1_92
.LBB1_97:
	s_movk_i32 s22, 0xff
	v_and_b32_sdwa v3, v4, s22 dst_sel:DWORD dst_unused:UNUSED_PAD src0_sel:WORD_1 src1_sel:DWORD
	s_and_b32 s22, s10, 0xff
	v_cmp_le_u16_e32 vcc, s22, v3
	s_andn2_b64 s[20:21], s[20:21], exec
	s_and_b64 s[22:23], vcc, exec
	s_or_b64 s[20:21], s[20:21], s[22:23]
	s_cmp_lt_i32 s9, 1
	s_mov_b64 s[24:25], 0
	s_cbranch_scc0 .LBB1_93
.LBB1_98:
                                        ; implicit-def: $sgpr22_sgpr23
	s_mov_b64 s[26:27], 0
	s_cbranch_execnz .LBB1_102
	s_branch .LBB1_103
.LBB1_99:
	s_mov_b64 s[26:27], 0
                                        ; implicit-def: $sgpr22_sgpr23
	s_cbranch_execz .LBB1_101
; %bb.100:
	s_and_b32 s28, s10, 0xff
	v_cmp_gt_u16_sdwa s[28:29], v4, s28 src0_sel:BYTE_3 src1_sel:DWORD
	s_andn2_b64 s[22:23], s[22:23], exec
	s_and_b64 s[28:29], s[28:29], exec
	s_or_b64 s[22:23], s[22:23], s[28:29]
.LBB1_101:
	s_branch .LBB1_103
.LBB1_102:
	s_cmp_lg_u32 s9, 0
	s_mov_b64 s[24:25], -1
	s_cselect_b64 s[26:27], -1, 0
.LBB1_103:
	s_andn2_b64 vcc, exec, s[26:27]
	s_cbranch_vccz .LBB1_109
; %bb.104:
	s_andn2_b64 vcc, exec, s[24:25]
	s_cbranch_vccz .LBB1_110
.LBB1_105:
	s_cmp_lt_i32 s9, 1
	s_mov_b64 s[26:27], 0
	s_cbranch_scc1 .LBB1_111
.LBB1_106:
	s_cmp_gt_i32 s9, 1
	s_cbranch_scc0 .LBB1_112
; %bb.107:
	s_cmp_eq_u32 s9, 2
	s_cbranch_scc0 .LBB1_258
; %bb.108:
	s_and_b32 s24, s10, 0xff
	s_waitcnt vmcnt(0)
	v_cmp_le_u16_sdwa s[24:25], v1, s24 src0_sel:BYTE_0 src1_sel:DWORD
	s_mov_b64 s[28:29], 0
	s_branch .LBB1_114
.LBB1_109:
	s_and_b32 s24, s10, 0xff
	v_cmp_lt_u16_sdwa s[26:27], v4, s24 src0_sel:BYTE_3 src1_sel:DWORD
	s_andn2_b64 s[22:23], s[22:23], exec
	s_and_b64 s[26:27], s[26:27], exec
	s_or_b64 s[22:23], s[22:23], s[26:27]
	s_cbranch_execnz .LBB1_105
.LBB1_110:
	s_and_b32 s24, s10, 0xff
	v_cmp_ge_u16_sdwa s[24:25], v4, s24 src0_sel:BYTE_3 src1_sel:DWORD
	s_andn2_b64 s[22:23], s[22:23], exec
	s_and_b64 s[24:25], s[24:25], exec
	s_or_b64 s[22:23], s[22:23], s[24:25]
	s_cmp_lt_i32 s9, 1
	s_mov_b64 s[26:27], 0
	s_cbranch_scc0 .LBB1_106
.LBB1_111:
                                        ; implicit-def: $sgpr24_sgpr25
	s_mov_b64 s[28:29], 0
	s_cbranch_execnz .LBB1_115
	s_branch .LBB1_116
.LBB1_112:
	s_mov_b64 s[28:29], 0
                                        ; implicit-def: $sgpr24_sgpr25
	s_cbranch_execz .LBB1_114
; %bb.113:
	s_and_b32 s30, s10, 0xff
	s_waitcnt vmcnt(0)
	v_cmp_gt_u16_sdwa s[30:31], v1, s30 src0_sel:BYTE_0 src1_sel:DWORD
	s_andn2_b64 s[24:25], s[24:25], exec
	s_and_b64 s[30:31], s[30:31], exec
	s_or_b64 s[24:25], s[24:25], s[30:31]
.LBB1_114:
	s_branch .LBB1_116
.LBB1_115:
	s_cmp_lg_u32 s9, 0
	s_mov_b64 s[26:27], -1
	s_cselect_b64 s[28:29], -1, 0
.LBB1_116:
	s_andn2_b64 vcc, exec, s[28:29]
	s_cbranch_vccz .LBB1_122
; %bb.117:
	s_andn2_b64 vcc, exec, s[26:27]
	s_cbranch_vccz .LBB1_123
.LBB1_118:
	s_cmp_lt_i32 s9, 1
	s_mov_b64 s[28:29], 0
	s_cbranch_scc1 .LBB1_124
.LBB1_119:
	s_cmp_gt_i32 s9, 1
	s_cbranch_scc0 .LBB1_125
; %bb.120:
	s_cmp_eq_u32 s9, 2
	s_cbranch_scc0 .LBB1_259
; %bb.121:
	s_waitcnt vmcnt(0)
	v_lshrrev_b32_e32 v3, 8, v1
	s_and_b32 s26, s10, 0xff
	v_cmp_le_u16_sdwa s[26:27], v3, s26 src0_sel:BYTE_0 src1_sel:DWORD
	s_mov_b64 s[30:31], 0
	s_branch .LBB1_127
.LBB1_122:
	s_and_b32 s26, s10, 0xff
	s_waitcnt vmcnt(0)
	v_cmp_lt_u16_sdwa s[28:29], v1, s26 src0_sel:BYTE_0 src1_sel:DWORD
	s_andn2_b64 s[24:25], s[24:25], exec
	s_and_b64 s[28:29], s[28:29], exec
	s_or_b64 s[24:25], s[24:25], s[28:29]
	s_cbranch_execnz .LBB1_118
.LBB1_123:
	s_and_b32 s26, s10, 0xff
	s_waitcnt vmcnt(0)
	v_cmp_ge_u16_sdwa s[26:27], v1, s26 src0_sel:BYTE_0 src1_sel:DWORD
	s_andn2_b64 s[24:25], s[24:25], exec
	s_and_b64 s[26:27], s[26:27], exec
	s_or_b64 s[24:25], s[24:25], s[26:27]
	s_cmp_lt_i32 s9, 1
	s_mov_b64 s[28:29], 0
	s_cbranch_scc0 .LBB1_119
.LBB1_124:
                                        ; implicit-def: $sgpr26_sgpr27
	s_mov_b64 s[30:31], 0
	s_cbranch_execnz .LBB1_128
	s_branch .LBB1_129
.LBB1_125:
	s_mov_b64 s[30:31], 0
                                        ; implicit-def: $sgpr26_sgpr27
	s_cbranch_execz .LBB1_127
; %bb.126:
	s_waitcnt vmcnt(0)
	v_lshrrev_b32_e32 v3, 8, v1
	s_and_b32 s34, s10, 0xff
	v_cmp_gt_u16_sdwa s[34:35], v3, s34 src0_sel:BYTE_0 src1_sel:DWORD
	s_andn2_b64 s[26:27], s[26:27], exec
	s_and_b64 s[34:35], s[34:35], exec
	s_or_b64 s[26:27], s[26:27], s[34:35]
.LBB1_127:
	s_branch .LBB1_129
.LBB1_128:
	s_cmp_lg_u32 s9, 0
	s_mov_b64 s[28:29], -1
	s_cselect_b64 s[30:31], -1, 0
.LBB1_129:
	s_andn2_b64 vcc, exec, s[30:31]
	s_waitcnt vmcnt(0)
	v_lshrrev_b32_e32 v3, 8, v1
	s_cbranch_vccz .LBB1_135
; %bb.130:
	s_andn2_b64 vcc, exec, s[28:29]
	s_cbranch_vccz .LBB1_136
.LBB1_131:
	s_cmp_lt_i32 s9, 1
	s_mov_b64 s[30:31], 0
	s_cbranch_scc1 .LBB1_137
.LBB1_132:
	s_cmp_gt_i32 s9, 1
	s_cbranch_scc0 .LBB1_138
; %bb.133:
	s_cmp_eq_u32 s9, 2
	s_cbranch_scc0 .LBB1_260
; %bb.134:
	s_movk_i32 s28, 0xff
	v_and_b32_sdwa v3, v1, s28 dst_sel:DWORD dst_unused:UNUSED_PAD src0_sel:WORD_1 src1_sel:DWORD
	s_and_b32 s28, s10, 0xff
	v_cmp_ge_u16_e64 s[28:29], s28, v3
	s_mov_b64 s[34:35], 0
	s_branch .LBB1_140
.LBB1_135:
	s_and_b32 s28, s10, 0xff
	v_cmp_lt_u16_sdwa s[30:31], v3, s28 src0_sel:BYTE_0 src1_sel:DWORD
	s_andn2_b64 s[26:27], s[26:27], exec
	s_and_b64 s[30:31], s[30:31], exec
	s_or_b64 s[26:27], s[26:27], s[30:31]
	s_cbranch_execnz .LBB1_131
.LBB1_136:
	s_and_b32 s28, s10, 0xff
	v_cmp_ge_u16_sdwa s[28:29], v3, s28 src0_sel:BYTE_0 src1_sel:DWORD
	s_andn2_b64 s[26:27], s[26:27], exec
	s_and_b64 s[28:29], s[28:29], exec
	s_or_b64 s[26:27], s[26:27], s[28:29]
	s_cmp_lt_i32 s9, 1
	s_mov_b64 s[30:31], 0
	s_cbranch_scc0 .LBB1_132
.LBB1_137:
                                        ; implicit-def: $sgpr28_sgpr29
	s_mov_b64 s[34:35], 0
	s_cbranch_execnz .LBB1_141
	s_branch .LBB1_142
.LBB1_138:
	s_mov_b64 s[34:35], 0
                                        ; implicit-def: $sgpr28_sgpr29
	s_cbranch_execz .LBB1_140
; %bb.139:
	s_movk_i32 s36, 0xff
	v_and_b32_sdwa v3, v1, s36 dst_sel:DWORD dst_unused:UNUSED_PAD src0_sel:WORD_1 src1_sel:DWORD
	s_and_b32 s36, s10, 0xff
	v_cmp_lt_u16_e32 vcc, s36, v3
	s_andn2_b64 s[28:29], s[28:29], exec
	s_and_b64 s[36:37], vcc, exec
	s_or_b64 s[28:29], s[28:29], s[36:37]
.LBB1_140:
	s_branch .LBB1_142
.LBB1_141:
	s_cmp_lg_u32 s9, 0
	s_mov_b64 s[30:31], -1
	s_cselect_b64 s[34:35], -1, 0
.LBB1_142:
	s_andn2_b64 vcc, exec, s[34:35]
	s_cbranch_vccz .LBB1_148
; %bb.143:
	s_andn2_b64 vcc, exec, s[30:31]
	s_cbranch_vccz .LBB1_149
.LBB1_144:
	s_cmp_lt_i32 s9, 1
	s_mov_b64 s[34:35], 0
	s_cbranch_scc1 .LBB1_150
.LBB1_145:
	s_cmp_gt_i32 s9, 1
	s_cbranch_scc0 .LBB1_151
; %bb.146:
	s_cmp_eq_u32 s9, 2
	s_cbranch_scc0 .LBB1_261
; %bb.147:
	s_and_b32 s30, s10, 0xff
	v_cmp_le_u16_sdwa s[30:31], v1, s30 src0_sel:BYTE_3 src1_sel:DWORD
	s_mov_b64 s[36:37], 0
	s_branch .LBB1_153
.LBB1_148:
	s_movk_i32 s30, 0xff
	v_and_b32_sdwa v3, v1, s30 dst_sel:DWORD dst_unused:UNUSED_PAD src0_sel:WORD_1 src1_sel:DWORD
	s_and_b32 s30, s10, 0xff
	v_cmp_gt_u16_e32 vcc, s30, v3
	s_andn2_b64 s[28:29], s[28:29], exec
	s_and_b64 s[34:35], vcc, exec
	s_or_b64 s[28:29], s[28:29], s[34:35]
	s_cbranch_execnz .LBB1_144
.LBB1_149:
	s_movk_i32 s30, 0xff
	v_and_b32_sdwa v3, v1, s30 dst_sel:DWORD dst_unused:UNUSED_PAD src0_sel:WORD_1 src1_sel:DWORD
	s_and_b32 s30, s10, 0xff
	v_cmp_le_u16_e32 vcc, s30, v3
	s_andn2_b64 s[28:29], s[28:29], exec
	s_and_b64 s[30:31], vcc, exec
	s_or_b64 s[28:29], s[28:29], s[30:31]
	s_cmp_lt_i32 s9, 1
	s_mov_b64 s[34:35], 0
	s_cbranch_scc0 .LBB1_145
.LBB1_150:
                                        ; implicit-def: $sgpr30_sgpr31
	s_mov_b64 s[36:37], 0
	s_cbranch_execnz .LBB1_154
	s_branch .LBB1_155
.LBB1_151:
	s_mov_b64 s[36:37], 0
                                        ; implicit-def: $sgpr30_sgpr31
	s_cbranch_execz .LBB1_153
; %bb.152:
	s_and_b32 s38, s10, 0xff
	v_cmp_gt_u16_sdwa s[38:39], v1, s38 src0_sel:BYTE_3 src1_sel:DWORD
	s_andn2_b64 s[30:31], s[30:31], exec
	s_and_b64 s[38:39], s[38:39], exec
	s_or_b64 s[30:31], s[30:31], s[38:39]
.LBB1_153:
	s_branch .LBB1_155
.LBB1_154:
	s_cmp_lg_u32 s9, 0
	s_mov_b64 s[34:35], -1
	s_cselect_b64 s[36:37], -1, 0
.LBB1_155:
	s_andn2_b64 vcc, exec, s[36:37]
	s_cbranch_vccz .LBB1_161
; %bb.156:
	s_andn2_b64 vcc, exec, s[34:35]
	s_cbranch_vccz .LBB1_162
.LBB1_157:
	s_cmp_lt_i32 s9, 1
	s_mov_b64 s[36:37], 0
	s_cbranch_scc1 .LBB1_163
.LBB1_158:
	s_cmp_gt_i32 s9, 1
	s_cbranch_scc0 .LBB1_164
; %bb.159:
	s_cmp_eq_u32 s9, 2
	s_cbranch_scc0 .LBB1_262
; %bb.160:
	s_and_b32 s34, s10, 0xff
	v_cmp_le_u16_sdwa s[34:35], v2, s34 src0_sel:BYTE_0 src1_sel:DWORD
	s_mov_b64 s[38:39], 0
	s_branch .LBB1_166
.LBB1_161:
	s_and_b32 s34, s10, 0xff
	v_cmp_lt_u16_sdwa s[36:37], v1, s34 src0_sel:BYTE_3 src1_sel:DWORD
	s_andn2_b64 s[30:31], s[30:31], exec
	s_and_b64 s[36:37], s[36:37], exec
	s_or_b64 s[30:31], s[30:31], s[36:37]
	s_cbranch_execnz .LBB1_157
.LBB1_162:
	s_and_b32 s34, s10, 0xff
	v_cmp_ge_u16_sdwa s[34:35], v1, s34 src0_sel:BYTE_3 src1_sel:DWORD
	s_andn2_b64 s[30:31], s[30:31], exec
	s_and_b64 s[34:35], s[34:35], exec
	s_or_b64 s[30:31], s[30:31], s[34:35]
	s_cmp_lt_i32 s9, 1
	s_mov_b64 s[36:37], 0
	s_cbranch_scc0 .LBB1_158
.LBB1_163:
                                        ; implicit-def: $sgpr34_sgpr35
	s_mov_b64 s[38:39], 0
	s_cbranch_execnz .LBB1_167
	s_branch .LBB1_168
.LBB1_164:
	s_mov_b64 s[38:39], 0
                                        ; implicit-def: $sgpr34_sgpr35
	s_cbranch_execz .LBB1_166
; %bb.165:
	s_and_b32 s40, s10, 0xff
	v_cmp_gt_u16_sdwa s[40:41], v2, s40 src0_sel:BYTE_0 src1_sel:DWORD
	s_andn2_b64 s[34:35], s[34:35], exec
	s_and_b64 s[40:41], s[40:41], exec
	s_or_b64 s[34:35], s[34:35], s[40:41]
.LBB1_166:
	s_branch .LBB1_168
.LBB1_167:
	s_cmp_lg_u32 s9, 0
	s_mov_b64 s[36:37], -1
	s_cselect_b64 s[38:39], -1, 0
.LBB1_168:
	s_andn2_b64 vcc, exec, s[38:39]
	s_cbranch_vccz .LBB1_174
; %bb.169:
	s_andn2_b64 vcc, exec, s[36:37]
	s_cbranch_vccz .LBB1_175
.LBB1_170:
	s_cmp_lt_i32 s9, 1
	s_mov_b64 s[38:39], 0
	s_cbranch_scc1 .LBB1_176
.LBB1_171:
	s_cmp_gt_i32 s9, 1
	s_cbranch_scc0 .LBB1_177
; %bb.172:
	s_cmp_eq_u32 s9, 2
	s_cbranch_scc0 .LBB1_263
; %bb.173:
	v_lshrrev_b32_e32 v1, 8, v2
	s_and_b32 s36, s10, 0xff
	v_cmp_le_u16_sdwa s[36:37], v1, s36 src0_sel:BYTE_0 src1_sel:DWORD
	s_mov_b64 s[40:41], 0
	s_branch .LBB1_179
.LBB1_174:
	s_and_b32 s36, s10, 0xff
	v_cmp_lt_u16_sdwa s[38:39], v2, s36 src0_sel:BYTE_0 src1_sel:DWORD
	s_andn2_b64 s[34:35], s[34:35], exec
	s_and_b64 s[38:39], s[38:39], exec
	s_or_b64 s[34:35], s[34:35], s[38:39]
	s_cbranch_execnz .LBB1_170
.LBB1_175:
	s_and_b32 s36, s10, 0xff
	v_cmp_ge_u16_sdwa s[36:37], v2, s36 src0_sel:BYTE_0 src1_sel:DWORD
	s_andn2_b64 s[34:35], s[34:35], exec
	s_and_b64 s[36:37], s[36:37], exec
	s_or_b64 s[34:35], s[34:35], s[36:37]
	s_cmp_lt_i32 s9, 1
	s_mov_b64 s[38:39], 0
	s_cbranch_scc0 .LBB1_171
.LBB1_176:
                                        ; implicit-def: $sgpr36_sgpr37
	s_mov_b64 s[40:41], 0
	s_cbranch_execnz .LBB1_180
	s_branch .LBB1_181
.LBB1_177:
	s_mov_b64 s[40:41], 0
                                        ; implicit-def: $sgpr36_sgpr37
	s_cbranch_execz .LBB1_179
; %bb.178:
	v_lshrrev_b32_e32 v1, 8, v2
	s_and_b32 s42, s10, 0xff
	v_cmp_gt_u16_sdwa s[42:43], v1, s42 src0_sel:BYTE_0 src1_sel:DWORD
	s_andn2_b64 s[36:37], s[36:37], exec
	s_and_b64 s[42:43], s[42:43], exec
	s_or_b64 s[36:37], s[36:37], s[42:43]
.LBB1_179:
	s_branch .LBB1_181
.LBB1_180:
	s_cmp_lg_u32 s9, 0
	s_mov_b64 s[38:39], -1
	s_cselect_b64 s[40:41], -1, 0
.LBB1_181:
	s_andn2_b64 vcc, exec, s[40:41]
	v_lshrrev_b32_e32 v1, 8, v2
	s_cbranch_vccz .LBB1_187
; %bb.182:
	s_andn2_b64 vcc, exec, s[38:39]
	s_cbranch_vccz .LBB1_188
.LBB1_183:
	s_cmp_lt_i32 s9, 1
	s_mov_b64 s[40:41], 0
	s_cbranch_scc1 .LBB1_189
.LBB1_184:
	s_cmp_gt_i32 s9, 1
	s_cbranch_scc0 .LBB1_190
; %bb.185:
	s_cmp_eq_u32 s9, 2
	s_cbranch_scc0 .LBB1_264
; %bb.186:
	s_movk_i32 s38, 0xff
	v_and_b32_sdwa v1, v2, s38 dst_sel:DWORD dst_unused:UNUSED_PAD src0_sel:WORD_1 src1_sel:DWORD
	s_and_b32 s38, s10, 0xff
	v_cmp_ge_u16_e64 s[38:39], s38, v1
	s_mov_b64 s[42:43], 0
	s_branch .LBB1_192
.LBB1_187:
	s_and_b32 s38, s10, 0xff
	v_cmp_lt_u16_sdwa s[40:41], v1, s38 src0_sel:BYTE_0 src1_sel:DWORD
	s_andn2_b64 s[36:37], s[36:37], exec
	s_and_b64 s[40:41], s[40:41], exec
	s_or_b64 s[36:37], s[36:37], s[40:41]
	s_cbranch_execnz .LBB1_183
.LBB1_188:
	s_and_b32 s38, s10, 0xff
	v_cmp_ge_u16_sdwa s[38:39], v1, s38 src0_sel:BYTE_0 src1_sel:DWORD
	s_andn2_b64 s[36:37], s[36:37], exec
	s_and_b64 s[38:39], s[38:39], exec
	s_or_b64 s[36:37], s[36:37], s[38:39]
	s_cmp_lt_i32 s9, 1
	s_mov_b64 s[40:41], 0
	s_cbranch_scc0 .LBB1_184
.LBB1_189:
                                        ; implicit-def: $sgpr38_sgpr39
	s_mov_b64 s[42:43], 0
	s_cbranch_execnz .LBB1_193
	s_branch .LBB1_194
.LBB1_190:
	s_mov_b64 s[42:43], 0
                                        ; implicit-def: $sgpr38_sgpr39
	s_cbranch_execz .LBB1_192
; %bb.191:
	s_movk_i32 s44, 0xff
	v_and_b32_sdwa v1, v2, s44 dst_sel:DWORD dst_unused:UNUSED_PAD src0_sel:WORD_1 src1_sel:DWORD
	s_and_b32 s44, s10, 0xff
	v_cmp_lt_u16_e32 vcc, s44, v1
	s_andn2_b64 s[38:39], s[38:39], exec
	s_and_b64 s[44:45], vcc, exec
	s_or_b64 s[38:39], s[38:39], s[44:45]
.LBB1_192:
	s_branch .LBB1_194
.LBB1_193:
	s_cmp_lg_u32 s9, 0
	s_mov_b64 s[40:41], -1
	s_cselect_b64 s[42:43], -1, 0
.LBB1_194:
	s_andn2_b64 vcc, exec, s[42:43]
	s_cbranch_vccz .LBB1_200
; %bb.195:
	s_andn2_b64 vcc, exec, s[40:41]
	s_cbranch_vccz .LBB1_201
.LBB1_196:
	s_cmp_lt_i32 s9, 1
	s_mov_b64 s[42:43], 0
	s_cbranch_scc1 .LBB1_202
.LBB1_197:
	s_cmp_gt_i32 s9, 1
	s_cbranch_scc0 .LBB1_203
; %bb.198:
	s_cmp_eq_u32 s9, 2
	s_cbranch_scc0 .LBB1_265
; %bb.199:
	s_and_b32 s40, s10, 0xff
	v_cmp_le_u16_sdwa s[40:41], v2, s40 src0_sel:BYTE_3 src1_sel:DWORD
	s_mov_b64 s[44:45], 0
	s_branch .LBB1_205
.LBB1_200:
	s_movk_i32 s40, 0xff
	v_and_b32_sdwa v1, v2, s40 dst_sel:DWORD dst_unused:UNUSED_PAD src0_sel:WORD_1 src1_sel:DWORD
	s_and_b32 s40, s10, 0xff
	v_cmp_gt_u16_e32 vcc, s40, v1
	s_andn2_b64 s[38:39], s[38:39], exec
	s_and_b64 s[42:43], vcc, exec
	s_or_b64 s[38:39], s[38:39], s[42:43]
	s_cbranch_execnz .LBB1_196
.LBB1_201:
	s_movk_i32 s40, 0xff
	v_and_b32_sdwa v1, v2, s40 dst_sel:DWORD dst_unused:UNUSED_PAD src0_sel:WORD_1 src1_sel:DWORD
	s_and_b32 s40, s10, 0xff
	v_cmp_le_u16_e32 vcc, s40, v1
	s_andn2_b64 s[38:39], s[38:39], exec
	s_and_b64 s[40:41], vcc, exec
	s_or_b64 s[38:39], s[38:39], s[40:41]
	s_cmp_lt_i32 s9, 1
	s_mov_b64 s[42:43], 0
	s_cbranch_scc0 .LBB1_197
.LBB1_202:
                                        ; implicit-def: $sgpr40_sgpr41
	s_mov_b64 s[44:45], 0
	s_cbranch_execnz .LBB1_206
	s_branch .LBB1_207
.LBB1_203:
	s_mov_b64 s[44:45], 0
                                        ; implicit-def: $sgpr40_sgpr41
	s_cbranch_execz .LBB1_205
; %bb.204:
	s_and_b32 s46, s10, 0xff
	v_cmp_gt_u16_sdwa s[46:47], v2, s46 src0_sel:BYTE_3 src1_sel:DWORD
	s_andn2_b64 s[40:41], s[40:41], exec
	s_and_b64 s[46:47], s[46:47], exec
	s_or_b64 s[40:41], s[40:41], s[46:47]
.LBB1_205:
	s_branch .LBB1_207
.LBB1_206:
	s_cmp_lg_u32 s9, 0
	s_mov_b64 s[42:43], -1
	s_cselect_b64 s[44:45], -1, 0
.LBB1_207:
	s_andn2_b64 vcc, exec, s[44:45]
	s_cbranch_vccz .LBB1_249
; %bb.208:
	s_andn2_b64 vcc, exec, s[42:43]
	s_cbranch_vccnz .LBB1_210
.LBB1_209:
	s_and_b32 s42, s10, 0xff
	v_cmp_ge_u16_sdwa s[42:43], v2, s42 src0_sel:BYTE_3 src1_sel:DWORD
	s_andn2_b64 s[40:41], s[40:41], exec
	s_and_b64 s[42:43], s[42:43], exec
	s_or_b64 s[40:41], s[40:41], s[42:43]
.LBB1_210:
	v_cndmask_b32_e64 v1, 0, 1, s[2:3]
	v_lshlrev_b16_e32 v1, 8, v1
	v_cndmask_b32_e64 v2, 0, 1, s[0:1]
	v_or_b32_e32 v1, v2, v1
	v_cndmask_b32_e64 v2, 0, 1, s[6:7]
	v_lshlrev_b16_e32 v2, 8, v2
	v_cndmask_b32_e64 v3, 0, 1, s[4:5]
	v_or_b32_sdwa v2, v3, v2 dst_sel:WORD_1 dst_unused:UNUSED_PAD src0_sel:DWORD src1_sel:DWORD
	v_or_b32_sdwa v1, v1, v2 dst_sel:DWORD dst_unused:UNUSED_PAD src0_sel:WORD_0 src1_sel:DWORD
	v_cndmask_b32_e64 v2, 0, 1, s[18:19]
	v_lshlrev_b16_e32 v2, 8, v2
	v_cndmask_b32_e64 v3, 0, 1, s[16:17]
	v_or_b32_e32 v2, v3, v2
	v_cndmask_b32_e64 v3, 0, 1, s[22:23]
	v_lshlrev_b16_e32 v3, 8, v3
	v_cndmask_b32_e64 v4, 0, 1, s[20:21]
	v_or_b32_sdwa v3, v4, v3 dst_sel:WORD_1 dst_unused:UNUSED_PAD src0_sel:DWORD src1_sel:DWORD
	v_or_b32_sdwa v2, v2, v3 dst_sel:DWORD dst_unused:UNUSED_PAD src0_sel:WORD_0 src1_sel:DWORD
	v_cndmask_b32_e64 v3, 0, 1, s[26:27]
	v_lshlrev_b16_e32 v3, 8, v3
	v_cndmask_b32_e64 v4, 0, 1, s[24:25]
	v_or_b32_e32 v3, v4, v3
	v_cndmask_b32_e64 v4, 0, 1, s[30:31]
	v_lshlrev_b16_e32 v4, 8, v4
	v_cndmask_b32_e64 v6, 0, 1, s[28:29]
	v_or_b32_sdwa v4, v6, v4 dst_sel:WORD_1 dst_unused:UNUSED_PAD src0_sel:DWORD src1_sel:DWORD
	v_or_b32_sdwa v3, v3, v4 dst_sel:DWORD dst_unused:UNUSED_PAD src0_sel:WORD_0 src1_sel:DWORD
	v_cndmask_b32_e64 v4, 0, 1, s[36:37]
	v_lshlrev_b16_e32 v4, 8, v4
	v_cndmask_b32_e64 v6, 0, 1, s[34:35]
	v_or_b32_e32 v4, v6, v4
	v_cndmask_b32_e64 v6, 0, 1, s[40:41]
	v_lshlrev_b16_e32 v6, 8, v6
	v_cndmask_b32_e64 v7, 0, 1, s[38:39]
	s_add_u32 s0, s12, s11
	v_or_b32_sdwa v6, v7, v6 dst_sel:WORD_1 dst_unused:UNUSED_PAD src0_sel:DWORD src1_sel:DWORD
	s_addc_u32 s1, s13, s33
	v_or_b32_sdwa v4, v4, v6 dst_sel:DWORD dst_unused:UNUSED_PAD src0_sel:WORD_0 src1_sel:DWORD
	global_store_dwordx2 v5, v[1:2], s[0:1]
	global_store_dwordx2 v5, v[3:4], s[0:1] offset:2048
	s_mov_b64 s[0:1], 0
.LBB1_211:
	s_and_b64 vcc, exec, s[0:1]
	s_cbranch_vccz .LBB1_519
; %bb.212:
	v_cmp_gt_i32_e64 s[0:1], s8, v0
	v_mov_b32_e32 v4, 0
	v_or_b32_e32 v3, s11, v0
	v_mov_b32_e32 v5, 0
	v_mov_b32_e32 v6, 0
	;; [unrolled: 1-line block ×16, first 2 shown]
	s_and_saveexec_b64 s[2:3], s[0:1]
	s_cbranch_execz .LBB1_244
; %bb.213:
	global_load_ubyte v10, v3, s[14:15]
	v_or_b32_e32 v1, 0x100, v0
	v_cmp_gt_u32_e32 vcc, s8, v1
	v_mov_b32_e32 v21, 0
	v_mov_b32_e32 v20, 0
	;; [unrolled: 1-line block ×15, first 2 shown]
	s_and_saveexec_b64 s[4:5], vcc
	s_cbranch_execz .LBB1_243
; %bb.214:
	v_add_u32_e32 v1, s11, v0
	global_load_ubyte v21, v1, s[14:15] offset:256
	v_or_b32_e32 v2, 0x200, v0
	v_mov_b32_e32 v20, 0
	v_cmp_gt_u32_e32 vcc, s8, v2
	v_mov_b32_e32 v19, 0
	v_mov_b32_e32 v18, 0
	;; [unrolled: 1-line block ×13, first 2 shown]
	s_and_saveexec_b64 s[6:7], vcc
	s_cbranch_execz .LBB1_242
; %bb.215:
	v_mov_b32_e32 v2, s15
	v_add_co_u32_e32 v1, vcc, s14, v1
	v_addc_co_u32_e32 v2, vcc, 0, v2, vcc
	global_load_ubyte v20, v[1:2], off offset:512
	v_or_b32_e32 v5, 0x300, v0
	v_cmp_gt_u32_e32 vcc, s8, v5
	v_mov_b32_e32 v19, 0
	v_mov_b32_e32 v18, 0
	;; [unrolled: 1-line block ×13, first 2 shown]
	s_and_saveexec_b64 s[14:15], vcc
	s_cbranch_execz .LBB1_241
; %bb.216:
	global_load_ubyte v19, v[1:2], off offset:768
	v_or_b32_e32 v5, 0x400, v0
	v_cmp_gt_u32_e32 vcc, s8, v5
	v_mov_b32_e32 v18, 0
	v_mov_b32_e32 v17, 0
	;; [unrolled: 1-line block ×12, first 2 shown]
	s_and_saveexec_b64 s[16:17], vcc
	s_cbranch_execz .LBB1_240
; %bb.217:
	global_load_ubyte v18, v[1:2], off offset:1024
	v_or_b32_e32 v5, 0x500, v0
	v_cmp_gt_u32_e32 vcc, s8, v5
	v_mov_b32_e32 v17, 0
	v_mov_b32_e32 v16, 0
	;; [unrolled: 1-line block ×11, first 2 shown]
	s_and_saveexec_b64 s[18:19], vcc
	s_cbranch_execz .LBB1_239
; %bb.218:
	global_load_ubyte v17, v[1:2], off offset:1280
	v_or_b32_e32 v5, 0x600, v0
	v_cmp_gt_u32_e32 vcc, s8, v5
	v_mov_b32_e32 v16, 0
	v_mov_b32_e32 v15, 0
	;; [unrolled: 1-line block ×10, first 2 shown]
	s_and_saveexec_b64 s[20:21], vcc
	s_cbranch_execz .LBB1_238
; %bb.219:
	global_load_ubyte v16, v[1:2], off offset:1536
	v_or_b32_e32 v5, 0x700, v0
	v_cmp_gt_u32_e32 vcc, s8, v5
	v_mov_b32_e32 v15, 0
	v_mov_b32_e32 v14, 0
	;; [unrolled: 1-line block ×9, first 2 shown]
	s_and_saveexec_b64 s[22:23], vcc
	s_cbranch_execz .LBB1_237
; %bb.220:
	global_load_ubyte v15, v[1:2], off offset:1792
	v_or_b32_e32 v5, 0x800, v0
	v_cmp_gt_u32_e32 vcc, s8, v5
	v_mov_b32_e32 v14, 0
	v_mov_b32_e32 v13, 0
	;; [unrolled: 1-line block ×8, first 2 shown]
	s_and_saveexec_b64 s[24:25], vcc
	s_cbranch_execz .LBB1_236
; %bb.221:
	global_load_ubyte v14, v[1:2], off offset:2048
	v_or_b32_e32 v5, 0x900, v0
	v_cmp_gt_u32_e32 vcc, s8, v5
	v_mov_b32_e32 v13, 0
	v_mov_b32_e32 v12, 0
	;; [unrolled: 1-line block ×7, first 2 shown]
	s_and_saveexec_b64 s[26:27], vcc
	s_cbranch_execz .LBB1_235
; %bb.222:
	global_load_ubyte v13, v[1:2], off offset:2304
	v_or_b32_e32 v5, 0xa00, v0
	v_cmp_gt_u32_e32 vcc, s8, v5
	v_mov_b32_e32 v12, 0
	v_mov_b32_e32 v11, 0
	;; [unrolled: 1-line block ×6, first 2 shown]
	s_and_saveexec_b64 s[28:29], vcc
	s_cbranch_execz .LBB1_234
; %bb.223:
	global_load_ubyte v12, v[1:2], off offset:2560
	v_or_b32_e32 v5, 0xb00, v0
	v_cmp_gt_u32_e32 vcc, s8, v5
	v_mov_b32_e32 v11, 0
	v_mov_b32_e32 v9, 0
	;; [unrolled: 1-line block ×5, first 2 shown]
	s_and_saveexec_b64 s[30:31], vcc
	s_cbranch_execz .LBB1_233
; %bb.224:
	global_load_ubyte v11, v[1:2], off offset:2816
	v_or_b32_e32 v5, 0xc00, v0
	v_cmp_gt_u32_e32 vcc, s8, v5
	v_mov_b32_e32 v9, 0
	v_mov_b32_e32 v7, 0
	;; [unrolled: 1-line block ×4, first 2 shown]
	s_and_saveexec_b64 s[34:35], vcc
	s_cbranch_execz .LBB1_232
; %bb.225:
	global_load_ubyte v9, v[1:2], off offset:3072
	v_or_b32_e32 v5, 0xd00, v0
	v_cmp_gt_u32_e32 vcc, s8, v5
	v_mov_b32_e32 v7, 0
	v_mov_b32_e32 v6, 0
	;; [unrolled: 1-line block ×3, first 2 shown]
	s_and_saveexec_b64 s[36:37], vcc
	s_cbranch_execz .LBB1_231
; %bb.226:
	global_load_ubyte v7, v[1:2], off offset:3328
	v_or_b32_e32 v5, 0xe00, v0
	v_cmp_gt_u32_e32 vcc, s8, v5
	v_mov_b32_e32 v6, 0
	v_mov_b32_e32 v5, 0
	s_and_saveexec_b64 s[38:39], vcc
	s_cbranch_execz .LBB1_230
; %bb.227:
	global_load_ubyte v6, v[1:2], off offset:3584
	v_or_b32_e32 v5, 0xf00, v0
	v_cmp_gt_u32_e32 vcc, s8, v5
	v_mov_b32_e32 v5, 0
	s_and_saveexec_b64 s[40:41], vcc
	s_cbranch_execz .LBB1_229
; %bb.228:
	global_load_ubyte v5, v[1:2], off offset:3840
.LBB1_229:
	s_or_b64 exec, exec, s[40:41]
.LBB1_230:
	s_or_b64 exec, exec, s[38:39]
.LBB1_231:
	s_or_b64 exec, exec, s[36:37]
.LBB1_232:
	s_or_b64 exec, exec, s[34:35]
.LBB1_233:
	s_or_b64 exec, exec, s[30:31]
.LBB1_234:
	s_or_b64 exec, exec, s[28:29]
.LBB1_235:
	s_or_b64 exec, exec, s[26:27]
.LBB1_236:
	s_or_b64 exec, exec, s[24:25]
.LBB1_237:
	s_or_b64 exec, exec, s[22:23]
.LBB1_238:
	s_or_b64 exec, exec, s[20:21]
.LBB1_239:
	s_or_b64 exec, exec, s[18:19]
.LBB1_240:
	s_or_b64 exec, exec, s[16:17]
.LBB1_241:
	s_or_b64 exec, exec, s[14:15]
.LBB1_242:
	s_or_b64 exec, exec, s[6:7]
.LBB1_243:
	s_or_b64 exec, exec, s[4:5]
.LBB1_244:
	s_or_b64 exec, exec, s[2:3]
	v_mov_b32_e32 v8, v4
	v_mov_b32_e32 v2, v4
	;; [unrolled: 1-line block ×3, first 2 shown]
	s_and_saveexec_b64 s[2:3], s[0:1]
	s_cbranch_execz .LBB1_276
; %bb.245:
	s_cmp_lt_i32 s9, 1
	s_mov_b64 s[4:5], 0
	s_cbranch_scc1 .LBB1_250
; %bb.246:
	s_cmp_gt_i32 s9, 1
	s_cbranch_scc0 .LBB1_266
; %bb.247:
	s_cmp_eq_u32 s9, 2
	s_cbranch_scc0 .LBB1_267
; %bb.248:
	s_and_b32 s6, s10, 0xff
	s_waitcnt vmcnt(0)
	v_cmp_le_u16_sdwa s[6:7], v10, s6 src0_sel:BYTE_0 src1_sel:DWORD
	s_mov_b64 s[14:15], 0
	s_branch .LBB1_268
.LBB1_249:
	s_and_b32 s42, s10, 0xff
	v_cmp_lt_u16_sdwa s[44:45], v2, s42 src0_sel:BYTE_3 src1_sel:DWORD
	s_andn2_b64 s[40:41], s[40:41], exec
	s_and_b64 s[44:45], s[44:45], exec
	s_or_b64 s[40:41], s[40:41], s[44:45]
	s_cbranch_execz .LBB1_209
	s_branch .LBB1_210
.LBB1_250:
                                        ; implicit-def: $sgpr6_sgpr7
	s_mov_b64 s[14:15], 0
	s_cbranch_execnz .LBB1_271
	s_branch .LBB1_272
.LBB1_251:
	s_mov_b64 s[6:7], -1
                                        ; implicit-def: $sgpr2_sgpr3
	s_branch .LBB1_23
.LBB1_252:
	s_mov_b64 s[16:17], -1
                                        ; implicit-def: $sgpr4_sgpr5
	s_branch .LBB1_36
.LBB1_253:
	s_mov_b64 s[18:19], -1
                                        ; implicit-def: $sgpr6_sgpr7
	s_branch .LBB1_49
.LBB1_254:
	s_mov_b64 s[20:21], -1
                                        ; implicit-def: $sgpr16_sgpr17
	s_branch .LBB1_62
.LBB1_255:
	s_mov_b64 s[22:23], -1
                                        ; implicit-def: $sgpr18_sgpr19
	s_branch .LBB1_75
.LBB1_256:
	s_mov_b64 s[24:25], -1
                                        ; implicit-def: $sgpr20_sgpr21
	s_branch .LBB1_88
.LBB1_257:
	s_mov_b64 s[26:27], -1
                                        ; implicit-def: $sgpr22_sgpr23
	s_branch .LBB1_101
.LBB1_258:
	s_mov_b64 s[28:29], -1
                                        ; implicit-def: $sgpr24_sgpr25
	s_branch .LBB1_114
.LBB1_259:
	s_mov_b64 s[30:31], -1
                                        ; implicit-def: $sgpr26_sgpr27
	s_branch .LBB1_127
.LBB1_260:
	s_mov_b64 s[34:35], -1
                                        ; implicit-def: $sgpr28_sgpr29
	s_branch .LBB1_140
.LBB1_261:
	s_mov_b64 s[36:37], -1
                                        ; implicit-def: $sgpr30_sgpr31
	s_branch .LBB1_153
.LBB1_262:
	s_mov_b64 s[38:39], -1
                                        ; implicit-def: $sgpr34_sgpr35
	s_branch .LBB1_166
.LBB1_263:
	s_mov_b64 s[40:41], -1
                                        ; implicit-def: $sgpr36_sgpr37
	s_branch .LBB1_179
.LBB1_264:
	s_mov_b64 s[42:43], -1
                                        ; implicit-def: $sgpr38_sgpr39
	s_branch .LBB1_192
.LBB1_265:
	s_mov_b64 s[44:45], -1
                                        ; implicit-def: $sgpr40_sgpr41
	s_branch .LBB1_205
.LBB1_266:
	s_mov_b64 s[14:15], 0
                                        ; implicit-def: $sgpr6_sgpr7
	s_cbranch_execnz .LBB1_269
	s_branch .LBB1_270
.LBB1_267:
	s_mov_b64 s[14:15], -1
                                        ; implicit-def: $sgpr6_sgpr7
.LBB1_268:
	s_branch .LBB1_270
.LBB1_269:
	s_and_b32 s16, s10, 0xff
	s_waitcnt vmcnt(0)
	v_cmp_gt_u16_sdwa s[16:17], v10, s16 src0_sel:BYTE_0 src1_sel:DWORD
	s_andn2_b64 s[6:7], s[6:7], exec
	s_and_b64 s[16:17], s[16:17], exec
	s_or_b64 s[6:7], s[6:7], s[16:17]
.LBB1_270:
	s_branch .LBB1_272
.LBB1_271:
	s_cmp_lg_u32 s9, 0
	s_mov_b64 s[4:5], -1
	s_cselect_b64 s[14:15], -1, 0
.LBB1_272:
	s_andn2_b64 vcc, exec, s[14:15]
	s_cbranch_vccz .LBB1_281
; %bb.273:
	s_andn2_b64 vcc, exec, s[4:5]
	s_cbranch_vccnz .LBB1_275
.LBB1_274:
	s_and_b32 s4, s10, 0xff
	s_waitcnt vmcnt(0)
	v_cmp_ge_u16_sdwa s[4:5], v10, s4 src0_sel:BYTE_0 src1_sel:DWORD
	s_andn2_b64 s[6:7], s[6:7], exec
	s_and_b64 s[4:5], s[4:5], exec
	s_or_b64 s[6:7], s[6:7], s[4:5]
.LBB1_275:
	v_cndmask_b32_e64 v1, 0, 1, s[6:7]
	v_mov_b32_e32 v8, 0
	v_and_b32_e32 v4, 0xffff, v1
	v_mov_b32_e32 v2, v8
	v_mov_b32_e32 v1, v8
.LBB1_276:
	s_or_b64 exec, exec, s[2:3]
	s_waitcnt vmcnt(0)
	v_or_b32_e32 v10, 0x100, v0
	v_cmp_gt_i32_e32 vcc, s8, v10
	s_and_saveexec_b64 s[2:3], vcc
	s_cbranch_execz .LBB1_291
; %bb.277:
	s_cmp_lt_i32 s9, 1
	s_mov_b64 s[4:5], 0
	s_cbranch_scc1 .LBB1_282
; %bb.278:
	s_cmp_gt_i32 s9, 1
	s_cbranch_scc0 .LBB1_283
; %bb.279:
	s_cmp_eq_u32 s9, 2
	s_cbranch_scc0 .LBB1_535
; %bb.280:
	s_and_b32 s6, s10, 0xff
	v_cmp_le_u16_sdwa s[6:7], v21, s6 src0_sel:BYTE_0 src1_sel:DWORD
	s_mov_b64 s[14:15], 0
	s_branch .LBB1_285
.LBB1_281:
	s_and_b32 s4, s10, 0xff
	s_waitcnt vmcnt(0)
	v_cmp_lt_u16_sdwa s[14:15], v10, s4 src0_sel:BYTE_0 src1_sel:DWORD
	s_andn2_b64 s[6:7], s[6:7], exec
	s_and_b64 s[14:15], s[14:15], exec
	s_or_b64 s[6:7], s[6:7], s[14:15]
	s_cbranch_execz .LBB1_274
	s_branch .LBB1_275
.LBB1_282:
                                        ; implicit-def: $sgpr6_sgpr7
	s_mov_b64 s[14:15], 0
	s_cbranch_execnz .LBB1_286
	s_branch .LBB1_287
.LBB1_283:
	s_mov_b64 s[14:15], 0
                                        ; implicit-def: $sgpr6_sgpr7
	s_cbranch_execz .LBB1_285
; %bb.284:
	s_and_b32 s16, s10, 0xff
	v_cmp_gt_u16_sdwa s[16:17], v21, s16 src0_sel:BYTE_0 src1_sel:DWORD
	s_andn2_b64 s[6:7], s[6:7], exec
	s_and_b64 s[16:17], s[16:17], exec
	s_or_b64 s[6:7], s[6:7], s[16:17]
.LBB1_285:
	s_branch .LBB1_287
.LBB1_286:
	s_cmp_lg_u32 s9, 0
	s_mov_b64 s[4:5], -1
	s_cselect_b64 s[14:15], -1, 0
.LBB1_287:
	s_andn2_b64 vcc, exec, s[14:15]
	s_cbranch_vccz .LBB1_296
; %bb.288:
	s_andn2_b64 vcc, exec, s[4:5]
	s_cbranch_vccnz .LBB1_290
.LBB1_289:
	s_and_b32 s4, s10, 0xff
	v_cmp_ge_u16_sdwa s[4:5], v21, s4 src0_sel:BYTE_0 src1_sel:DWORD
	s_andn2_b64 s[6:7], s[6:7], exec
	s_and_b64 s[4:5], s[4:5], exec
	s_or_b64 s[6:7], s[6:7], s[4:5]
.LBB1_290:
	v_cndmask_b32_e64 v21, 0, 1, s[6:7]
	v_lshlrev_b16_e32 v21, 8, v21
	v_or_b32_sdwa v21, v4, v21 dst_sel:DWORD dst_unused:UNUSED_PAD src0_sel:BYTE_0 src1_sel:DWORD
	v_and_b32_e32 v21, 0xffff, v21
	s_mov_b32 s4, 0xffff0000
	v_and_or_b32 v4, v4, s4, v21
.LBB1_291:
	s_or_b64 exec, exec, s[2:3]
	v_or_b32_e32 v21, 0x200, v0
	v_cmp_gt_i32_e32 vcc, s8, v21
	s_and_saveexec_b64 s[2:3], vcc
	s_cbranch_execz .LBB1_306
; %bb.292:
	s_cmp_lt_i32 s9, 1
	s_mov_b64 s[4:5], 0
	s_cbranch_scc1 .LBB1_297
; %bb.293:
	s_cmp_gt_i32 s9, 1
	s_cbranch_scc0 .LBB1_298
; %bb.294:
	s_cmp_eq_u32 s9, 2
	s_cbranch_scc0 .LBB1_536
; %bb.295:
	s_and_b32 s6, s10, 0xff
	v_cmp_le_u16_sdwa s[6:7], v20, s6 src0_sel:BYTE_0 src1_sel:DWORD
	s_mov_b64 s[14:15], 0
	s_branch .LBB1_300
.LBB1_296:
	s_and_b32 s4, s10, 0xff
	v_cmp_lt_u16_sdwa s[14:15], v21, s4 src0_sel:BYTE_0 src1_sel:DWORD
	s_andn2_b64 s[6:7], s[6:7], exec
	s_and_b64 s[14:15], s[14:15], exec
	s_or_b64 s[6:7], s[6:7], s[14:15]
	s_cbranch_execz .LBB1_289
	s_branch .LBB1_290
.LBB1_297:
                                        ; implicit-def: $sgpr6_sgpr7
	s_mov_b64 s[14:15], 0
	s_cbranch_execnz .LBB1_301
	s_branch .LBB1_302
.LBB1_298:
	s_mov_b64 s[14:15], 0
                                        ; implicit-def: $sgpr6_sgpr7
	s_cbranch_execz .LBB1_300
; %bb.299:
	s_and_b32 s16, s10, 0xff
	v_cmp_gt_u16_sdwa s[16:17], v20, s16 src0_sel:BYTE_0 src1_sel:DWORD
	s_andn2_b64 s[6:7], s[6:7], exec
	s_and_b64 s[16:17], s[16:17], exec
	s_or_b64 s[6:7], s[6:7], s[16:17]
.LBB1_300:
	s_branch .LBB1_302
.LBB1_301:
	s_cmp_lg_u32 s9, 0
	s_mov_b64 s[4:5], -1
	s_cselect_b64 s[14:15], -1, 0
.LBB1_302:
	s_andn2_b64 vcc, exec, s[14:15]
	s_cbranch_vccz .LBB1_311
; %bb.303:
	s_andn2_b64 vcc, exec, s[4:5]
	s_cbranch_vccnz .LBB1_305
.LBB1_304:
	s_and_b32 s4, s10, 0xff
	v_cmp_ge_u16_sdwa s[4:5], v20, s4 src0_sel:BYTE_0 src1_sel:DWORD
	s_andn2_b64 s[6:7], s[6:7], exec
	s_and_b64 s[4:5], s[4:5], exec
	s_or_b64 s[6:7], s[6:7], s[4:5]
.LBB1_305:
	s_movk_i32 s4, 0xff00
	v_and_b32_sdwa v20, v4, s4 dst_sel:DWORD dst_unused:UNUSED_PAD src0_sel:WORD_1 src1_sel:DWORD
	v_cndmask_b32_e64 v21, 0, 1, s[6:7]
	v_or_b32_sdwa v20, v21, v20 dst_sel:WORD_1 dst_unused:UNUSED_PAD src0_sel:DWORD src1_sel:DWORD
	s_mov_b32 s4, 0xffff
	v_and_or_b32 v4, v4, s4, v20
.LBB1_306:
	s_or_b64 exec, exec, s[2:3]
	v_or_b32_e32 v20, 0x300, v0
	v_cmp_gt_i32_e32 vcc, s8, v20
	s_and_saveexec_b64 s[2:3], vcc
	s_cbranch_execz .LBB1_321
; %bb.307:
	s_cmp_lt_i32 s9, 1
	s_mov_b64 s[4:5], 0
	s_cbranch_scc1 .LBB1_312
; %bb.308:
	s_cmp_gt_i32 s9, 1
	s_cbranch_scc0 .LBB1_313
; %bb.309:
	s_cmp_eq_u32 s9, 2
	s_cbranch_scc0 .LBB1_537
; %bb.310:
	s_and_b32 s6, s10, 0xff
	v_cmp_le_u16_sdwa s[6:7], v19, s6 src0_sel:BYTE_0 src1_sel:DWORD
	s_mov_b64 s[14:15], 0
	s_branch .LBB1_315
.LBB1_311:
	s_and_b32 s4, s10, 0xff
	v_cmp_lt_u16_sdwa s[14:15], v20, s4 src0_sel:BYTE_0 src1_sel:DWORD
	s_andn2_b64 s[6:7], s[6:7], exec
	s_and_b64 s[14:15], s[14:15], exec
	s_or_b64 s[6:7], s[6:7], s[14:15]
	s_cbranch_execz .LBB1_304
	s_branch .LBB1_305
.LBB1_312:
                                        ; implicit-def: $sgpr6_sgpr7
	s_mov_b64 s[14:15], 0
	s_cbranch_execnz .LBB1_316
	s_branch .LBB1_317
.LBB1_313:
	s_mov_b64 s[14:15], 0
                                        ; implicit-def: $sgpr6_sgpr7
	s_cbranch_execz .LBB1_315
; %bb.314:
	s_and_b32 s16, s10, 0xff
	v_cmp_gt_u16_sdwa s[16:17], v19, s16 src0_sel:BYTE_0 src1_sel:DWORD
	s_andn2_b64 s[6:7], s[6:7], exec
	s_and_b64 s[16:17], s[16:17], exec
	s_or_b64 s[6:7], s[6:7], s[16:17]
.LBB1_315:
	s_branch .LBB1_317
.LBB1_316:
	s_cmp_lg_u32 s9, 0
	s_mov_b64 s[4:5], -1
	s_cselect_b64 s[14:15], -1, 0
.LBB1_317:
	s_andn2_b64 vcc, exec, s[14:15]
	s_cbranch_vccz .LBB1_326
; %bb.318:
	s_andn2_b64 vcc, exec, s[4:5]
	s_cbranch_vccnz .LBB1_320
.LBB1_319:
	s_and_b32 s4, s10, 0xff
	v_cmp_ge_u16_sdwa s[4:5], v19, s4 src0_sel:BYTE_0 src1_sel:DWORD
	s_andn2_b64 s[6:7], s[6:7], exec
	s_and_b64 s[4:5], s[4:5], exec
	s_or_b64 s[6:7], s[6:7], s[4:5]
.LBB1_320:
	s_movk_i32 s4, 0xff
	v_cndmask_b32_e64 v20, 0, 1, s[6:7]
	v_and_b32_sdwa v19, v4, s4 dst_sel:DWORD dst_unused:UNUSED_PAD src0_sel:WORD_1 src1_sel:DWORD
	v_lshlrev_b16_e32 v20, 8, v20
	v_or_b32_sdwa v19, v19, v20 dst_sel:WORD_1 dst_unused:UNUSED_PAD src0_sel:DWORD src1_sel:DWORD
	s_mov_b32 s4, 0xffff
	v_and_or_b32 v4, v4, s4, v19
.LBB1_321:
	s_or_b64 exec, exec, s[2:3]
	v_or_b32_e32 v19, 0x400, v0
	v_cmp_gt_i32_e32 vcc, s8, v19
	s_and_saveexec_b64 s[2:3], vcc
	s_cbranch_execz .LBB1_336
; %bb.322:
	s_cmp_lt_i32 s9, 1
	s_mov_b64 s[4:5], 0
	s_cbranch_scc1 .LBB1_327
; %bb.323:
	s_cmp_gt_i32 s9, 1
	s_cbranch_scc0 .LBB1_328
; %bb.324:
	s_cmp_eq_u32 s9, 2
	s_cbranch_scc0 .LBB1_538
; %bb.325:
	s_and_b32 s6, s10, 0xff
	v_cmp_le_u16_sdwa s[6:7], v18, s6 src0_sel:BYTE_0 src1_sel:DWORD
	s_mov_b64 s[14:15], 0
	s_branch .LBB1_330
.LBB1_326:
	s_and_b32 s4, s10, 0xff
	v_cmp_lt_u16_sdwa s[14:15], v19, s4 src0_sel:BYTE_0 src1_sel:DWORD
	s_andn2_b64 s[6:7], s[6:7], exec
	s_and_b64 s[14:15], s[14:15], exec
	s_or_b64 s[6:7], s[6:7], s[14:15]
	s_cbranch_execz .LBB1_319
	s_branch .LBB1_320
.LBB1_327:
                                        ; implicit-def: $sgpr6_sgpr7
	s_mov_b64 s[14:15], 0
	s_cbranch_execnz .LBB1_331
	s_branch .LBB1_332
.LBB1_328:
	s_mov_b64 s[14:15], 0
                                        ; implicit-def: $sgpr6_sgpr7
	s_cbranch_execz .LBB1_330
; %bb.329:
	s_and_b32 s16, s10, 0xff
	v_cmp_gt_u16_sdwa s[16:17], v18, s16 src0_sel:BYTE_0 src1_sel:DWORD
	s_andn2_b64 s[6:7], s[6:7], exec
	s_and_b64 s[16:17], s[16:17], exec
	s_or_b64 s[6:7], s[6:7], s[16:17]
.LBB1_330:
	s_branch .LBB1_332
.LBB1_331:
	s_cmp_lg_u32 s9, 0
	s_mov_b64 s[4:5], -1
	s_cselect_b64 s[14:15], -1, 0
.LBB1_332:
	s_andn2_b64 vcc, exec, s[14:15]
	s_cbranch_vccz .LBB1_341
; %bb.333:
	s_andn2_b64 vcc, exec, s[4:5]
	s_cbranch_vccnz .LBB1_335
.LBB1_334:
	s_and_b32 s4, s10, 0xff
	v_cmp_ge_u16_sdwa s[4:5], v18, s4 src0_sel:BYTE_0 src1_sel:DWORD
	s_andn2_b64 s[6:7], s[6:7], exec
	s_and_b64 s[4:5], s[4:5], exec
	s_or_b64 s[6:7], s[6:7], s[4:5]
.LBB1_335:
	v_and_b32_e32 v18, 0xffffff00, v8
	v_cndmask_b32_e64 v19, 0, 1, s[6:7]
	v_or_b32_e32 v18, v19, v18
	v_and_b32_e32 v18, 0xffff, v18
	s_mov_b32 s4, 0xffff0000
	v_and_or_b32 v8, v8, s4, v18
.LBB1_336:
	s_or_b64 exec, exec, s[2:3]
	v_or_b32_e32 v18, 0x500, v0
	v_cmp_gt_i32_e32 vcc, s8, v18
	s_and_saveexec_b64 s[2:3], vcc
	s_cbranch_execz .LBB1_351
; %bb.337:
	s_cmp_lt_i32 s9, 1
	s_mov_b64 s[4:5], 0
	s_cbranch_scc1 .LBB1_342
; %bb.338:
	s_cmp_gt_i32 s9, 1
	s_cbranch_scc0 .LBB1_343
; %bb.339:
	s_cmp_eq_u32 s9, 2
	s_cbranch_scc0 .LBB1_539
; %bb.340:
	s_and_b32 s6, s10, 0xff
	v_cmp_le_u16_sdwa s[6:7], v17, s6 src0_sel:BYTE_0 src1_sel:DWORD
	s_mov_b64 s[14:15], 0
	s_branch .LBB1_345
.LBB1_341:
	s_and_b32 s4, s10, 0xff
	v_cmp_lt_u16_sdwa s[14:15], v18, s4 src0_sel:BYTE_0 src1_sel:DWORD
	s_andn2_b64 s[6:7], s[6:7], exec
	s_and_b64 s[14:15], s[14:15], exec
	s_or_b64 s[6:7], s[6:7], s[14:15]
	s_cbranch_execz .LBB1_334
	s_branch .LBB1_335
.LBB1_342:
                                        ; implicit-def: $sgpr6_sgpr7
	s_mov_b64 s[14:15], 0
	s_cbranch_execnz .LBB1_346
	s_branch .LBB1_347
.LBB1_343:
	s_mov_b64 s[14:15], 0
                                        ; implicit-def: $sgpr6_sgpr7
	s_cbranch_execz .LBB1_345
; %bb.344:
	s_and_b32 s16, s10, 0xff
	v_cmp_gt_u16_sdwa s[16:17], v17, s16 src0_sel:BYTE_0 src1_sel:DWORD
	s_andn2_b64 s[6:7], s[6:7], exec
	s_and_b64 s[16:17], s[16:17], exec
	s_or_b64 s[6:7], s[6:7], s[16:17]
.LBB1_345:
	s_branch .LBB1_347
.LBB1_346:
	s_cmp_lg_u32 s9, 0
	s_mov_b64 s[4:5], -1
	s_cselect_b64 s[14:15], -1, 0
.LBB1_347:
	s_andn2_b64 vcc, exec, s[14:15]
	s_cbranch_vccz .LBB1_356
; %bb.348:
	s_andn2_b64 vcc, exec, s[4:5]
	s_cbranch_vccnz .LBB1_350
.LBB1_349:
	s_and_b32 s4, s10, 0xff
	v_cmp_ge_u16_sdwa s[4:5], v17, s4 src0_sel:BYTE_0 src1_sel:DWORD
	s_andn2_b64 s[6:7], s[6:7], exec
	s_and_b64 s[4:5], s[4:5], exec
	s_or_b64 s[6:7], s[6:7], s[4:5]
.LBB1_350:
	v_cndmask_b32_e64 v17, 0, 1, s[6:7]
	v_lshlrev_b16_e32 v17, 8, v17
	v_or_b32_sdwa v17, v8, v17 dst_sel:DWORD dst_unused:UNUSED_PAD src0_sel:BYTE_0 src1_sel:DWORD
	v_and_b32_e32 v17, 0xffff, v17
	s_mov_b32 s4, 0xffff0000
	v_and_or_b32 v8, v8, s4, v17
.LBB1_351:
	s_or_b64 exec, exec, s[2:3]
	v_or_b32_e32 v17, 0x600, v0
	v_cmp_gt_i32_e32 vcc, s8, v17
	s_and_saveexec_b64 s[2:3], vcc
	s_cbranch_execz .LBB1_366
; %bb.352:
	s_cmp_lt_i32 s9, 1
	s_mov_b64 s[4:5], 0
	s_cbranch_scc1 .LBB1_357
; %bb.353:
	s_cmp_gt_i32 s9, 1
	s_cbranch_scc0 .LBB1_358
; %bb.354:
	s_cmp_eq_u32 s9, 2
	s_cbranch_scc0 .LBB1_540
; %bb.355:
	s_and_b32 s6, s10, 0xff
	v_cmp_le_u16_sdwa s[6:7], v16, s6 src0_sel:BYTE_0 src1_sel:DWORD
	s_mov_b64 s[14:15], 0
	s_branch .LBB1_360
.LBB1_356:
	s_and_b32 s4, s10, 0xff
	v_cmp_lt_u16_sdwa s[14:15], v17, s4 src0_sel:BYTE_0 src1_sel:DWORD
	s_andn2_b64 s[6:7], s[6:7], exec
	s_and_b64 s[14:15], s[14:15], exec
	s_or_b64 s[6:7], s[6:7], s[14:15]
	s_cbranch_execz .LBB1_349
	s_branch .LBB1_350
.LBB1_357:
                                        ; implicit-def: $sgpr6_sgpr7
	s_mov_b64 s[14:15], 0
	s_cbranch_execnz .LBB1_361
	s_branch .LBB1_362
.LBB1_358:
	s_mov_b64 s[14:15], 0
                                        ; implicit-def: $sgpr6_sgpr7
	s_cbranch_execz .LBB1_360
; %bb.359:
	s_and_b32 s16, s10, 0xff
	v_cmp_gt_u16_sdwa s[16:17], v16, s16 src0_sel:BYTE_0 src1_sel:DWORD
	s_andn2_b64 s[6:7], s[6:7], exec
	s_and_b64 s[16:17], s[16:17], exec
	s_or_b64 s[6:7], s[6:7], s[16:17]
.LBB1_360:
	s_branch .LBB1_362
.LBB1_361:
	s_cmp_lg_u32 s9, 0
	s_mov_b64 s[4:5], -1
	s_cselect_b64 s[14:15], -1, 0
.LBB1_362:
	s_andn2_b64 vcc, exec, s[14:15]
	s_cbranch_vccz .LBB1_371
; %bb.363:
	s_andn2_b64 vcc, exec, s[4:5]
	s_cbranch_vccnz .LBB1_365
.LBB1_364:
	s_and_b32 s4, s10, 0xff
	v_cmp_ge_u16_sdwa s[4:5], v16, s4 src0_sel:BYTE_0 src1_sel:DWORD
	s_andn2_b64 s[6:7], s[6:7], exec
	s_and_b64 s[4:5], s[4:5], exec
	s_or_b64 s[6:7], s[6:7], s[4:5]
.LBB1_365:
	s_movk_i32 s4, 0xff00
	v_and_b32_sdwa v16, v8, s4 dst_sel:DWORD dst_unused:UNUSED_PAD src0_sel:WORD_1 src1_sel:DWORD
	v_cndmask_b32_e64 v17, 0, 1, s[6:7]
	v_or_b32_sdwa v16, v17, v16 dst_sel:WORD_1 dst_unused:UNUSED_PAD src0_sel:DWORD src1_sel:DWORD
	s_mov_b32 s4, 0xffff
	v_and_or_b32 v8, v8, s4, v16
.LBB1_366:
	s_or_b64 exec, exec, s[2:3]
	v_or_b32_e32 v16, 0x700, v0
	v_cmp_gt_i32_e32 vcc, s8, v16
	s_and_saveexec_b64 s[2:3], vcc
	s_cbranch_execz .LBB1_381
; %bb.367:
	s_cmp_lt_i32 s9, 1
	s_mov_b64 s[4:5], 0
	s_cbranch_scc1 .LBB1_372
; %bb.368:
	s_cmp_gt_i32 s9, 1
	s_cbranch_scc0 .LBB1_373
; %bb.369:
	s_cmp_eq_u32 s9, 2
	s_cbranch_scc0 .LBB1_541
; %bb.370:
	s_and_b32 s6, s10, 0xff
	v_cmp_le_u16_sdwa s[6:7], v15, s6 src0_sel:BYTE_0 src1_sel:DWORD
	s_mov_b64 s[14:15], 0
	s_branch .LBB1_375
.LBB1_371:
	s_and_b32 s4, s10, 0xff
	v_cmp_lt_u16_sdwa s[14:15], v16, s4 src0_sel:BYTE_0 src1_sel:DWORD
	s_andn2_b64 s[6:7], s[6:7], exec
	s_and_b64 s[14:15], s[14:15], exec
	s_or_b64 s[6:7], s[6:7], s[14:15]
	s_cbranch_execz .LBB1_364
	s_branch .LBB1_365
.LBB1_372:
                                        ; implicit-def: $sgpr6_sgpr7
	s_mov_b64 s[14:15], 0
	s_cbranch_execnz .LBB1_376
	s_branch .LBB1_377
.LBB1_373:
	s_mov_b64 s[14:15], 0
                                        ; implicit-def: $sgpr6_sgpr7
	s_cbranch_execz .LBB1_375
; %bb.374:
	s_and_b32 s16, s10, 0xff
	v_cmp_gt_u16_sdwa s[16:17], v15, s16 src0_sel:BYTE_0 src1_sel:DWORD
	s_andn2_b64 s[6:7], s[6:7], exec
	s_and_b64 s[16:17], s[16:17], exec
	s_or_b64 s[6:7], s[6:7], s[16:17]
.LBB1_375:
	s_branch .LBB1_377
.LBB1_376:
	s_cmp_lg_u32 s9, 0
	s_mov_b64 s[4:5], -1
	s_cselect_b64 s[14:15], -1, 0
.LBB1_377:
	s_andn2_b64 vcc, exec, s[14:15]
	s_cbranch_vccz .LBB1_386
; %bb.378:
	s_andn2_b64 vcc, exec, s[4:5]
	s_cbranch_vccnz .LBB1_380
.LBB1_379:
	s_and_b32 s4, s10, 0xff
	v_cmp_ge_u16_sdwa s[4:5], v15, s4 src0_sel:BYTE_0 src1_sel:DWORD
	s_andn2_b64 s[6:7], s[6:7], exec
	s_and_b64 s[4:5], s[4:5], exec
	s_or_b64 s[6:7], s[6:7], s[4:5]
.LBB1_380:
	s_movk_i32 s4, 0xff
	v_cndmask_b32_e64 v16, 0, 1, s[6:7]
	v_and_b32_sdwa v15, v8, s4 dst_sel:DWORD dst_unused:UNUSED_PAD src0_sel:WORD_1 src1_sel:DWORD
	v_lshlrev_b16_e32 v16, 8, v16
	v_or_b32_sdwa v15, v15, v16 dst_sel:WORD_1 dst_unused:UNUSED_PAD src0_sel:DWORD src1_sel:DWORD
	s_mov_b32 s4, 0xffff
	v_and_or_b32 v8, v8, s4, v15
.LBB1_381:
	s_or_b64 exec, exec, s[2:3]
	v_or_b32_e32 v15, 0x800, v0
	v_cmp_gt_i32_e32 vcc, s8, v15
	s_and_saveexec_b64 s[2:3], vcc
	s_cbranch_execz .LBB1_396
; %bb.382:
	s_cmp_lt_i32 s9, 1
	s_mov_b64 s[4:5], 0
	s_cbranch_scc1 .LBB1_387
; %bb.383:
	s_cmp_gt_i32 s9, 1
	s_cbranch_scc0 .LBB1_388
; %bb.384:
	s_cmp_eq_u32 s9, 2
	s_cbranch_scc0 .LBB1_542
; %bb.385:
	s_and_b32 s6, s10, 0xff
	v_cmp_le_u16_sdwa s[6:7], v14, s6 src0_sel:BYTE_0 src1_sel:DWORD
	s_mov_b64 s[14:15], 0
	s_branch .LBB1_390
.LBB1_386:
	s_and_b32 s4, s10, 0xff
	v_cmp_lt_u16_sdwa s[14:15], v15, s4 src0_sel:BYTE_0 src1_sel:DWORD
	s_andn2_b64 s[6:7], s[6:7], exec
	s_and_b64 s[14:15], s[14:15], exec
	s_or_b64 s[6:7], s[6:7], s[14:15]
	s_cbranch_execz .LBB1_379
	s_branch .LBB1_380
.LBB1_387:
                                        ; implicit-def: $sgpr6_sgpr7
	s_mov_b64 s[14:15], 0
	s_cbranch_execnz .LBB1_391
	s_branch .LBB1_392
.LBB1_388:
	s_mov_b64 s[14:15], 0
                                        ; implicit-def: $sgpr6_sgpr7
	s_cbranch_execz .LBB1_390
; %bb.389:
	s_and_b32 s16, s10, 0xff
	v_cmp_gt_u16_sdwa s[16:17], v14, s16 src0_sel:BYTE_0 src1_sel:DWORD
	s_andn2_b64 s[6:7], s[6:7], exec
	s_and_b64 s[16:17], s[16:17], exec
	s_or_b64 s[6:7], s[6:7], s[16:17]
.LBB1_390:
	s_branch .LBB1_392
.LBB1_391:
	s_cmp_lg_u32 s9, 0
	s_mov_b64 s[4:5], -1
	s_cselect_b64 s[14:15], -1, 0
.LBB1_392:
	s_andn2_b64 vcc, exec, s[14:15]
	s_cbranch_vccz .LBB1_401
; %bb.393:
	s_andn2_b64 vcc, exec, s[4:5]
	s_cbranch_vccnz .LBB1_395
.LBB1_394:
	s_and_b32 s4, s10, 0xff
	v_cmp_ge_u16_sdwa s[4:5], v14, s4 src0_sel:BYTE_0 src1_sel:DWORD
	s_andn2_b64 s[6:7], s[6:7], exec
	s_and_b64 s[4:5], s[4:5], exec
	s_or_b64 s[6:7], s[6:7], s[4:5]
.LBB1_395:
	v_and_b32_e32 v14, 0xffffff00, v2
	v_cndmask_b32_e64 v15, 0, 1, s[6:7]
	v_or_b32_e32 v14, v15, v14
	v_and_b32_e32 v14, 0xffff, v14
	s_mov_b32 s4, 0xffff0000
	v_and_or_b32 v2, v2, s4, v14
.LBB1_396:
	s_or_b64 exec, exec, s[2:3]
	v_or_b32_e32 v14, 0x900, v0
	v_cmp_gt_i32_e32 vcc, s8, v14
	s_and_saveexec_b64 s[2:3], vcc
	s_cbranch_execz .LBB1_411
; %bb.397:
	s_cmp_lt_i32 s9, 1
	s_mov_b64 s[4:5], 0
	s_cbranch_scc1 .LBB1_402
; %bb.398:
	s_cmp_gt_i32 s9, 1
	s_cbranch_scc0 .LBB1_403
; %bb.399:
	s_cmp_eq_u32 s9, 2
	s_cbranch_scc0 .LBB1_543
; %bb.400:
	s_and_b32 s6, s10, 0xff
	v_cmp_le_u16_sdwa s[6:7], v13, s6 src0_sel:BYTE_0 src1_sel:DWORD
	s_mov_b64 s[14:15], 0
	s_branch .LBB1_405
.LBB1_401:
	s_and_b32 s4, s10, 0xff
	v_cmp_lt_u16_sdwa s[14:15], v14, s4 src0_sel:BYTE_0 src1_sel:DWORD
	s_andn2_b64 s[6:7], s[6:7], exec
	s_and_b64 s[14:15], s[14:15], exec
	s_or_b64 s[6:7], s[6:7], s[14:15]
	s_cbranch_execz .LBB1_394
	s_branch .LBB1_395
.LBB1_402:
                                        ; implicit-def: $sgpr6_sgpr7
	s_mov_b64 s[14:15], 0
	s_cbranch_execnz .LBB1_406
	s_branch .LBB1_407
.LBB1_403:
	s_mov_b64 s[14:15], 0
                                        ; implicit-def: $sgpr6_sgpr7
	s_cbranch_execz .LBB1_405
; %bb.404:
	s_and_b32 s16, s10, 0xff
	v_cmp_gt_u16_sdwa s[16:17], v13, s16 src0_sel:BYTE_0 src1_sel:DWORD
	s_andn2_b64 s[6:7], s[6:7], exec
	s_and_b64 s[16:17], s[16:17], exec
	s_or_b64 s[6:7], s[6:7], s[16:17]
.LBB1_405:
	s_branch .LBB1_407
.LBB1_406:
	s_cmp_lg_u32 s9, 0
	s_mov_b64 s[4:5], -1
	s_cselect_b64 s[14:15], -1, 0
.LBB1_407:
	s_andn2_b64 vcc, exec, s[14:15]
	s_cbranch_vccz .LBB1_416
; %bb.408:
	s_andn2_b64 vcc, exec, s[4:5]
	s_cbranch_vccnz .LBB1_410
.LBB1_409:
	s_and_b32 s4, s10, 0xff
	v_cmp_ge_u16_sdwa s[4:5], v13, s4 src0_sel:BYTE_0 src1_sel:DWORD
	s_andn2_b64 s[6:7], s[6:7], exec
	s_and_b64 s[4:5], s[4:5], exec
	s_or_b64 s[6:7], s[6:7], s[4:5]
.LBB1_410:
	v_cndmask_b32_e64 v13, 0, 1, s[6:7]
	v_lshlrev_b16_e32 v13, 8, v13
	v_or_b32_sdwa v13, v2, v13 dst_sel:DWORD dst_unused:UNUSED_PAD src0_sel:BYTE_0 src1_sel:DWORD
	v_and_b32_e32 v13, 0xffff, v13
	s_mov_b32 s4, 0xffff0000
	v_and_or_b32 v2, v2, s4, v13
.LBB1_411:
	s_or_b64 exec, exec, s[2:3]
	v_or_b32_e32 v13, 0xa00, v0
	v_cmp_gt_i32_e32 vcc, s8, v13
	s_and_saveexec_b64 s[2:3], vcc
	s_cbranch_execz .LBB1_426
; %bb.412:
	s_cmp_lt_i32 s9, 1
	s_mov_b64 s[4:5], 0
	s_cbranch_scc1 .LBB1_417
; %bb.413:
	s_cmp_gt_i32 s9, 1
	s_cbranch_scc0 .LBB1_418
; %bb.414:
	s_cmp_eq_u32 s9, 2
	s_cbranch_scc0 .LBB1_544
; %bb.415:
	s_and_b32 s6, s10, 0xff
	v_cmp_le_u16_sdwa s[6:7], v12, s6 src0_sel:BYTE_0 src1_sel:DWORD
	s_mov_b64 s[14:15], 0
	s_branch .LBB1_420
.LBB1_416:
	s_and_b32 s4, s10, 0xff
	v_cmp_lt_u16_sdwa s[14:15], v13, s4 src0_sel:BYTE_0 src1_sel:DWORD
	s_andn2_b64 s[6:7], s[6:7], exec
	s_and_b64 s[14:15], s[14:15], exec
	s_or_b64 s[6:7], s[6:7], s[14:15]
	s_cbranch_execz .LBB1_409
	s_branch .LBB1_410
.LBB1_417:
                                        ; implicit-def: $sgpr6_sgpr7
	s_mov_b64 s[14:15], 0
	s_cbranch_execnz .LBB1_421
	s_branch .LBB1_422
.LBB1_418:
	s_mov_b64 s[14:15], 0
                                        ; implicit-def: $sgpr6_sgpr7
	s_cbranch_execz .LBB1_420
; %bb.419:
	s_and_b32 s16, s10, 0xff
	v_cmp_gt_u16_sdwa s[16:17], v12, s16 src0_sel:BYTE_0 src1_sel:DWORD
	s_andn2_b64 s[6:7], s[6:7], exec
	s_and_b64 s[16:17], s[16:17], exec
	s_or_b64 s[6:7], s[6:7], s[16:17]
.LBB1_420:
	s_branch .LBB1_422
.LBB1_421:
	s_cmp_lg_u32 s9, 0
	s_mov_b64 s[4:5], -1
	s_cselect_b64 s[14:15], -1, 0
.LBB1_422:
	s_andn2_b64 vcc, exec, s[14:15]
	s_cbranch_vccz .LBB1_431
; %bb.423:
	s_andn2_b64 vcc, exec, s[4:5]
	s_cbranch_vccnz .LBB1_425
.LBB1_424:
	s_and_b32 s4, s10, 0xff
	v_cmp_ge_u16_sdwa s[4:5], v12, s4 src0_sel:BYTE_0 src1_sel:DWORD
	s_andn2_b64 s[6:7], s[6:7], exec
	s_and_b64 s[4:5], s[4:5], exec
	s_or_b64 s[6:7], s[6:7], s[4:5]
.LBB1_425:
	s_movk_i32 s4, 0xff00
	v_and_b32_sdwa v12, v2, s4 dst_sel:DWORD dst_unused:UNUSED_PAD src0_sel:WORD_1 src1_sel:DWORD
	v_cndmask_b32_e64 v13, 0, 1, s[6:7]
	v_or_b32_sdwa v12, v13, v12 dst_sel:WORD_1 dst_unused:UNUSED_PAD src0_sel:DWORD src1_sel:DWORD
	s_mov_b32 s4, 0xffff
	v_and_or_b32 v2, v2, s4, v12
.LBB1_426:
	s_or_b64 exec, exec, s[2:3]
	v_or_b32_e32 v12, 0xb00, v0
	v_cmp_gt_i32_e32 vcc, s8, v12
	s_and_saveexec_b64 s[2:3], vcc
	s_cbranch_execz .LBB1_441
; %bb.427:
	s_cmp_lt_i32 s9, 1
	s_mov_b64 s[4:5], 0
	s_cbranch_scc1 .LBB1_432
; %bb.428:
	s_cmp_gt_i32 s9, 1
	s_cbranch_scc0 .LBB1_433
; %bb.429:
	s_cmp_eq_u32 s9, 2
	s_cbranch_scc0 .LBB1_545
; %bb.430:
	s_and_b32 s6, s10, 0xff
	v_cmp_le_u16_sdwa s[6:7], v11, s6 src0_sel:BYTE_0 src1_sel:DWORD
	s_mov_b64 s[14:15], 0
	s_branch .LBB1_435
.LBB1_431:
	s_and_b32 s4, s10, 0xff
	v_cmp_lt_u16_sdwa s[14:15], v12, s4 src0_sel:BYTE_0 src1_sel:DWORD
	s_andn2_b64 s[6:7], s[6:7], exec
	s_and_b64 s[14:15], s[14:15], exec
	s_or_b64 s[6:7], s[6:7], s[14:15]
	s_cbranch_execz .LBB1_424
	s_branch .LBB1_425
.LBB1_432:
                                        ; implicit-def: $sgpr6_sgpr7
	s_mov_b64 s[14:15], 0
	s_cbranch_execnz .LBB1_436
	s_branch .LBB1_437
.LBB1_433:
	s_mov_b64 s[14:15], 0
                                        ; implicit-def: $sgpr6_sgpr7
	s_cbranch_execz .LBB1_435
; %bb.434:
	s_and_b32 s16, s10, 0xff
	v_cmp_gt_u16_sdwa s[16:17], v11, s16 src0_sel:BYTE_0 src1_sel:DWORD
	s_andn2_b64 s[6:7], s[6:7], exec
	s_and_b64 s[16:17], s[16:17], exec
	s_or_b64 s[6:7], s[6:7], s[16:17]
.LBB1_435:
	s_branch .LBB1_437
.LBB1_436:
	s_cmp_lg_u32 s9, 0
	s_mov_b64 s[4:5], -1
	s_cselect_b64 s[14:15], -1, 0
.LBB1_437:
	s_andn2_b64 vcc, exec, s[14:15]
	s_cbranch_vccz .LBB1_446
; %bb.438:
	s_andn2_b64 vcc, exec, s[4:5]
	s_cbranch_vccnz .LBB1_440
.LBB1_439:
	s_and_b32 s4, s10, 0xff
	v_cmp_ge_u16_sdwa s[4:5], v11, s4 src0_sel:BYTE_0 src1_sel:DWORD
	s_andn2_b64 s[6:7], s[6:7], exec
	s_and_b64 s[4:5], s[4:5], exec
	s_or_b64 s[6:7], s[6:7], s[4:5]
.LBB1_440:
	s_movk_i32 s4, 0xff
	v_cndmask_b32_e64 v12, 0, 1, s[6:7]
	v_and_b32_sdwa v11, v2, s4 dst_sel:DWORD dst_unused:UNUSED_PAD src0_sel:WORD_1 src1_sel:DWORD
	v_lshlrev_b16_e32 v12, 8, v12
	v_or_b32_sdwa v11, v11, v12 dst_sel:WORD_1 dst_unused:UNUSED_PAD src0_sel:DWORD src1_sel:DWORD
	s_mov_b32 s4, 0xffff
	v_and_or_b32 v2, v2, s4, v11
.LBB1_441:
	s_or_b64 exec, exec, s[2:3]
	v_or_b32_e32 v11, 0xc00, v0
	v_cmp_gt_i32_e32 vcc, s8, v11
	s_and_saveexec_b64 s[2:3], vcc
	s_cbranch_execz .LBB1_456
; %bb.442:
	s_cmp_lt_i32 s9, 1
	s_mov_b64 s[4:5], 0
	s_cbranch_scc1 .LBB1_447
; %bb.443:
	s_cmp_gt_i32 s9, 1
	s_cbranch_scc0 .LBB1_448
; %bb.444:
	s_cmp_eq_u32 s9, 2
	s_cbranch_scc0 .LBB1_546
; %bb.445:
	s_and_b32 s6, s10, 0xff
	v_cmp_le_u16_sdwa s[6:7], v9, s6 src0_sel:BYTE_0 src1_sel:DWORD
	s_mov_b64 s[14:15], 0
	s_branch .LBB1_450
.LBB1_446:
	s_and_b32 s4, s10, 0xff
	v_cmp_lt_u16_sdwa s[14:15], v11, s4 src0_sel:BYTE_0 src1_sel:DWORD
	s_andn2_b64 s[6:7], s[6:7], exec
	s_and_b64 s[14:15], s[14:15], exec
	s_or_b64 s[6:7], s[6:7], s[14:15]
	s_cbranch_execz .LBB1_439
	s_branch .LBB1_440
.LBB1_447:
                                        ; implicit-def: $sgpr6_sgpr7
	s_mov_b64 s[14:15], 0
	s_cbranch_execnz .LBB1_451
	s_branch .LBB1_452
.LBB1_448:
	s_mov_b64 s[14:15], 0
                                        ; implicit-def: $sgpr6_sgpr7
	s_cbranch_execz .LBB1_450
; %bb.449:
	s_and_b32 s16, s10, 0xff
	v_cmp_gt_u16_sdwa s[16:17], v9, s16 src0_sel:BYTE_0 src1_sel:DWORD
	s_andn2_b64 s[6:7], s[6:7], exec
	s_and_b64 s[16:17], s[16:17], exec
	s_or_b64 s[6:7], s[6:7], s[16:17]
.LBB1_450:
	s_branch .LBB1_452
.LBB1_451:
	s_cmp_lg_u32 s9, 0
	s_mov_b64 s[4:5], -1
	s_cselect_b64 s[14:15], -1, 0
.LBB1_452:
	s_andn2_b64 vcc, exec, s[14:15]
	s_cbranch_vccz .LBB1_461
; %bb.453:
	s_andn2_b64 vcc, exec, s[4:5]
	s_cbranch_vccnz .LBB1_455
.LBB1_454:
	s_and_b32 s4, s10, 0xff
	v_cmp_ge_u16_sdwa s[4:5], v9, s4 src0_sel:BYTE_0 src1_sel:DWORD
	s_andn2_b64 s[6:7], s[6:7], exec
	s_and_b64 s[4:5], s[4:5], exec
	s_or_b64 s[6:7], s[6:7], s[4:5]
.LBB1_455:
	v_and_b32_e32 v9, 0xffffff00, v1
	v_cndmask_b32_e64 v11, 0, 1, s[6:7]
	v_or_b32_e32 v9, v11, v9
	v_and_b32_e32 v9, 0xffff, v9
	s_mov_b32 s4, 0xffff0000
	v_and_or_b32 v1, v1, s4, v9
.LBB1_456:
	s_or_b64 exec, exec, s[2:3]
	v_or_b32_e32 v9, 0xd00, v0
	v_cmp_gt_i32_e32 vcc, s8, v9
	s_and_saveexec_b64 s[2:3], vcc
	s_cbranch_execz .LBB1_471
; %bb.457:
	s_cmp_lt_i32 s9, 1
	s_mov_b64 s[4:5], 0
	s_cbranch_scc1 .LBB1_462
; %bb.458:
	s_cmp_gt_i32 s9, 1
	s_cbranch_scc0 .LBB1_463
; %bb.459:
	s_cmp_eq_u32 s9, 2
	s_cbranch_scc0 .LBB1_547
; %bb.460:
	s_and_b32 s6, s10, 0xff
	v_cmp_le_u16_sdwa s[6:7], v7, s6 src0_sel:BYTE_0 src1_sel:DWORD
	s_mov_b64 s[14:15], 0
	s_branch .LBB1_465
.LBB1_461:
	s_and_b32 s4, s10, 0xff
	v_cmp_lt_u16_sdwa s[14:15], v9, s4 src0_sel:BYTE_0 src1_sel:DWORD
	s_andn2_b64 s[6:7], s[6:7], exec
	s_and_b64 s[14:15], s[14:15], exec
	s_or_b64 s[6:7], s[6:7], s[14:15]
	s_cbranch_execz .LBB1_454
	s_branch .LBB1_455
.LBB1_462:
                                        ; implicit-def: $sgpr6_sgpr7
	s_mov_b64 s[14:15], 0
	s_cbranch_execnz .LBB1_466
	s_branch .LBB1_467
.LBB1_463:
	s_mov_b64 s[14:15], 0
                                        ; implicit-def: $sgpr6_sgpr7
	s_cbranch_execz .LBB1_465
; %bb.464:
	s_and_b32 s16, s10, 0xff
	v_cmp_gt_u16_sdwa s[16:17], v7, s16 src0_sel:BYTE_0 src1_sel:DWORD
	s_andn2_b64 s[6:7], s[6:7], exec
	s_and_b64 s[16:17], s[16:17], exec
	s_or_b64 s[6:7], s[6:7], s[16:17]
.LBB1_465:
	s_branch .LBB1_467
.LBB1_466:
	s_cmp_lg_u32 s9, 0
	s_mov_b64 s[4:5], -1
	s_cselect_b64 s[14:15], -1, 0
.LBB1_467:
	s_andn2_b64 vcc, exec, s[14:15]
	s_cbranch_vccz .LBB1_476
; %bb.468:
	s_andn2_b64 vcc, exec, s[4:5]
	s_cbranch_vccnz .LBB1_470
.LBB1_469:
	s_and_b32 s4, s10, 0xff
	v_cmp_ge_u16_sdwa s[4:5], v7, s4 src0_sel:BYTE_0 src1_sel:DWORD
	s_andn2_b64 s[6:7], s[6:7], exec
	s_and_b64 s[4:5], s[4:5], exec
	s_or_b64 s[6:7], s[6:7], s[4:5]
.LBB1_470:
	v_cndmask_b32_e64 v7, 0, 1, s[6:7]
	v_lshlrev_b16_e32 v7, 8, v7
	v_or_b32_sdwa v7, v1, v7 dst_sel:DWORD dst_unused:UNUSED_PAD src0_sel:BYTE_0 src1_sel:DWORD
	v_and_b32_e32 v7, 0xffff, v7
	s_mov_b32 s4, 0xffff0000
	v_and_or_b32 v1, v1, s4, v7
.LBB1_471:
	s_or_b64 exec, exec, s[2:3]
	v_or_b32_e32 v7, 0xe00, v0
	v_cmp_gt_i32_e32 vcc, s8, v7
	s_and_saveexec_b64 s[2:3], vcc
	s_cbranch_execz .LBB1_486
; %bb.472:
	s_cmp_lt_i32 s9, 1
	s_mov_b64 s[4:5], 0
	s_cbranch_scc1 .LBB1_477
; %bb.473:
	s_cmp_gt_i32 s9, 1
	s_cbranch_scc0 .LBB1_478
; %bb.474:
	s_cmp_eq_u32 s9, 2
	s_cbranch_scc0 .LBB1_548
; %bb.475:
	s_and_b32 s6, s10, 0xff
	v_cmp_le_u16_sdwa s[6:7], v6, s6 src0_sel:BYTE_0 src1_sel:DWORD
	s_mov_b64 s[14:15], 0
	s_branch .LBB1_480
.LBB1_476:
	s_and_b32 s4, s10, 0xff
	v_cmp_lt_u16_sdwa s[14:15], v7, s4 src0_sel:BYTE_0 src1_sel:DWORD
	s_andn2_b64 s[6:7], s[6:7], exec
	s_and_b64 s[14:15], s[14:15], exec
	s_or_b64 s[6:7], s[6:7], s[14:15]
	s_cbranch_execz .LBB1_469
	s_branch .LBB1_470
.LBB1_477:
                                        ; implicit-def: $sgpr6_sgpr7
	s_mov_b64 s[14:15], 0
	s_cbranch_execnz .LBB1_481
	s_branch .LBB1_482
.LBB1_478:
	s_mov_b64 s[14:15], 0
                                        ; implicit-def: $sgpr6_sgpr7
	s_cbranch_execz .LBB1_480
; %bb.479:
	s_and_b32 s16, s10, 0xff
	v_cmp_gt_u16_sdwa s[16:17], v6, s16 src0_sel:BYTE_0 src1_sel:DWORD
	s_andn2_b64 s[6:7], s[6:7], exec
	s_and_b64 s[16:17], s[16:17], exec
	s_or_b64 s[6:7], s[6:7], s[16:17]
.LBB1_480:
	s_branch .LBB1_482
.LBB1_481:
	s_cmp_lg_u32 s9, 0
	s_mov_b64 s[4:5], -1
	s_cselect_b64 s[14:15], -1, 0
.LBB1_482:
	s_andn2_b64 vcc, exec, s[14:15]
	s_cbranch_vccz .LBB1_491
; %bb.483:
	s_andn2_b64 vcc, exec, s[4:5]
	s_cbranch_vccnz .LBB1_485
.LBB1_484:
	s_and_b32 s4, s10, 0xff
	v_cmp_ge_u16_sdwa s[4:5], v6, s4 src0_sel:BYTE_0 src1_sel:DWORD
	s_andn2_b64 s[6:7], s[6:7], exec
	s_and_b64 s[4:5], s[4:5], exec
	s_or_b64 s[6:7], s[6:7], s[4:5]
.LBB1_485:
	s_movk_i32 s4, 0xff00
	v_and_b32_sdwa v6, v1, s4 dst_sel:DWORD dst_unused:UNUSED_PAD src0_sel:WORD_1 src1_sel:DWORD
	v_cndmask_b32_e64 v7, 0, 1, s[6:7]
	v_or_b32_sdwa v6, v7, v6 dst_sel:WORD_1 dst_unused:UNUSED_PAD src0_sel:DWORD src1_sel:DWORD
	s_mov_b32 s4, 0xffff
	v_and_or_b32 v1, v1, s4, v6
.LBB1_486:
	s_or_b64 exec, exec, s[2:3]
	v_or_b32_e32 v6, 0xf00, v0
	v_cmp_gt_i32_e32 vcc, s8, v6
	s_and_saveexec_b64 s[2:3], vcc
	s_cbranch_execz .LBB1_501
; %bb.487:
	s_cmp_lt_i32 s9, 1
	s_mov_b64 s[4:5], 0
	s_cbranch_scc1 .LBB1_492
; %bb.488:
	s_cmp_gt_i32 s9, 1
	s_cbranch_scc0 .LBB1_493
; %bb.489:
	s_cmp_eq_u32 s9, 2
	s_cbranch_scc0 .LBB1_549
; %bb.490:
	s_and_b32 s6, s10, 0xff
	v_cmp_le_u16_sdwa s[6:7], v5, s6 src0_sel:BYTE_0 src1_sel:DWORD
	s_mov_b64 s[14:15], 0
	s_branch .LBB1_495
.LBB1_491:
	s_and_b32 s4, s10, 0xff
	v_cmp_lt_u16_sdwa s[14:15], v6, s4 src0_sel:BYTE_0 src1_sel:DWORD
	s_andn2_b64 s[6:7], s[6:7], exec
	s_and_b64 s[14:15], s[14:15], exec
	s_or_b64 s[6:7], s[6:7], s[14:15]
	s_cbranch_execz .LBB1_484
	s_branch .LBB1_485
.LBB1_492:
                                        ; implicit-def: $sgpr6_sgpr7
	s_mov_b64 s[14:15], 0
	s_cbranch_execnz .LBB1_496
	s_branch .LBB1_497
.LBB1_493:
	s_mov_b64 s[14:15], 0
                                        ; implicit-def: $sgpr6_sgpr7
	s_cbranch_execz .LBB1_495
; %bb.494:
	s_and_b32 s16, s10, 0xff
	v_cmp_gt_u16_sdwa s[16:17], v5, s16 src0_sel:BYTE_0 src1_sel:DWORD
	s_andn2_b64 s[6:7], s[6:7], exec
	s_and_b64 s[16:17], s[16:17], exec
	s_or_b64 s[6:7], s[6:7], s[16:17]
.LBB1_495:
	s_branch .LBB1_497
.LBB1_496:
	s_cmp_lg_u32 s9, 0
	s_mov_b64 s[4:5], -1
	s_cselect_b64 s[14:15], -1, 0
.LBB1_497:
	s_andn2_b64 vcc, exec, s[14:15]
	s_cbranch_vccz .LBB1_534
; %bb.498:
	s_andn2_b64 vcc, exec, s[4:5]
	s_cbranch_vccnz .LBB1_500
.LBB1_499:
	s_and_b32 s4, s10, 0xff
	v_cmp_ge_u16_sdwa s[4:5], v5, s4 src0_sel:BYTE_0 src1_sel:DWORD
	s_andn2_b64 s[6:7], s[6:7], exec
	s_and_b64 s[4:5], s[4:5], exec
	s_or_b64 s[6:7], s[6:7], s[4:5]
.LBB1_500:
	s_movk_i32 s4, 0xff
	v_cndmask_b32_e64 v6, 0, 1, s[6:7]
	v_and_b32_sdwa v5, v1, s4 dst_sel:DWORD dst_unused:UNUSED_PAD src0_sel:WORD_1 src1_sel:DWORD
	v_lshlrev_b16_e32 v6, 8, v6
	v_or_b32_sdwa v5, v5, v6 dst_sel:WORD_1 dst_unused:UNUSED_PAD src0_sel:DWORD src1_sel:DWORD
	s_mov_b32 s4, 0xffff
	v_and_or_b32 v1, v1, s4, v5
.LBB1_501:
	s_or_b64 exec, exec, s[2:3]
	s_and_saveexec_b64 s[2:3], s[0:1]
	s_xor_b64 s[0:1], exec, s[2:3]
	s_cbranch_execz .LBB1_503
; %bb.502:
	v_mov_b32_e32 v0, v10
	global_store_byte v3, v4, s[12:13]
.LBB1_503:
	s_or_b64 exec, exec, s[0:1]
	v_cmp_gt_i32_e32 vcc, s8, v0
	s_and_saveexec_b64 s[0:1], vcc
	s_cbranch_execnz .LBB1_520
; %bb.504:
	s_or_b64 exec, exec, s[0:1]
	v_cmp_gt_i32_e32 vcc, s8, v0
	s_and_saveexec_b64 s[0:1], vcc
	s_cbranch_execnz .LBB1_521
.LBB1_505:
	s_or_b64 exec, exec, s[0:1]
	v_cmp_gt_i32_e32 vcc, s8, v0
	s_and_saveexec_b64 s[0:1], vcc
	s_cbranch_execnz .LBB1_522
.LBB1_506:
	s_or_b64 exec, exec, s[0:1]
	v_cmp_gt_i32_e32 vcc, s8, v0
	s_and_saveexec_b64 s[0:1], vcc
	s_cbranch_execnz .LBB1_523
.LBB1_507:
	s_or_b64 exec, exec, s[0:1]
	v_cmp_gt_i32_e32 vcc, s8, v0
	s_and_saveexec_b64 s[0:1], vcc
	s_cbranch_execnz .LBB1_524
.LBB1_508:
	s_or_b64 exec, exec, s[0:1]
	v_cmp_gt_i32_e32 vcc, s8, v0
	s_and_saveexec_b64 s[0:1], vcc
	s_cbranch_execnz .LBB1_525
.LBB1_509:
	s_or_b64 exec, exec, s[0:1]
	v_cmp_gt_i32_e32 vcc, s8, v0
	s_and_saveexec_b64 s[0:1], vcc
	s_cbranch_execnz .LBB1_526
.LBB1_510:
	s_or_b64 exec, exec, s[0:1]
	v_cmp_gt_i32_e32 vcc, s8, v0
	s_and_saveexec_b64 s[0:1], vcc
	s_cbranch_execnz .LBB1_527
.LBB1_511:
	s_or_b64 exec, exec, s[0:1]
	v_cmp_gt_i32_e32 vcc, s8, v0
	s_and_saveexec_b64 s[0:1], vcc
	s_cbranch_execnz .LBB1_528
.LBB1_512:
	s_or_b64 exec, exec, s[0:1]
	v_cmp_gt_i32_e32 vcc, s8, v0
	s_and_saveexec_b64 s[0:1], vcc
	s_cbranch_execnz .LBB1_529
.LBB1_513:
	s_or_b64 exec, exec, s[0:1]
	v_cmp_gt_i32_e32 vcc, s8, v0
	s_and_saveexec_b64 s[0:1], vcc
	s_cbranch_execnz .LBB1_530
.LBB1_514:
	s_or_b64 exec, exec, s[0:1]
	v_cmp_gt_i32_e32 vcc, s8, v0
	s_and_saveexec_b64 s[0:1], vcc
	s_cbranch_execnz .LBB1_531
.LBB1_515:
	s_or_b64 exec, exec, s[0:1]
	v_cmp_gt_i32_e32 vcc, s8, v0
	s_and_saveexec_b64 s[0:1], vcc
	s_cbranch_execnz .LBB1_532
.LBB1_516:
	s_or_b64 exec, exec, s[0:1]
	v_cmp_gt_i32_e32 vcc, s8, v0
	s_and_saveexec_b64 s[0:1], vcc
	s_cbranch_execnz .LBB1_533
.LBB1_517:
	s_or_b64 exec, exec, s[0:1]
	v_cmp_gt_i32_e32 vcc, s8, v0
	s_and_saveexec_b64 s[0:1], vcc
	s_cbranch_execz .LBB1_519
.LBB1_518:
	v_lshrrev_b32_e32 v1, 24, v1
	v_add_u32_e32 v0, s11, v0
	global_store_byte v0, v1, s[12:13]
.LBB1_519:
	s_endpgm
.LBB1_520:
	v_lshrrev_b32_e32 v3, 8, v4
	v_add_u32_e32 v5, s11, v0
	v_add_u32_e32 v0, 0x100, v0
	global_store_byte v5, v3, s[12:13]
	s_or_b64 exec, exec, s[0:1]
	v_cmp_gt_i32_e32 vcc, s8, v0
	s_and_saveexec_b64 s[0:1], vcc
	s_cbranch_execz .LBB1_505
.LBB1_521:
	v_add_u32_e32 v3, s11, v0
	v_add_u32_e32 v0, 0x100, v0
	global_store_byte_d16_hi v3, v4, s[12:13]
	s_or_b64 exec, exec, s[0:1]
	v_cmp_gt_i32_e32 vcc, s8, v0
	s_and_saveexec_b64 s[0:1], vcc
	s_cbranch_execz .LBB1_506
.LBB1_522:
	v_lshrrev_b32_e32 v3, 24, v4
	v_add_u32_e32 v4, s11, v0
	v_add_u32_e32 v0, 0x100, v0
	global_store_byte v4, v3, s[12:13]
	s_or_b64 exec, exec, s[0:1]
	v_cmp_gt_i32_e32 vcc, s8, v0
	s_and_saveexec_b64 s[0:1], vcc
	s_cbranch_execz .LBB1_507
.LBB1_523:
	v_add_u32_e32 v3, s11, v0
	v_add_u32_e32 v0, 0x100, v0
	global_store_byte v3, v8, s[12:13]
	s_or_b64 exec, exec, s[0:1]
	v_cmp_gt_i32_e32 vcc, s8, v0
	s_and_saveexec_b64 s[0:1], vcc
	s_cbranch_execz .LBB1_508
.LBB1_524:
	v_lshrrev_b32_e32 v3, 8, v8
	v_add_u32_e32 v4, s11, v0
	v_add_u32_e32 v0, 0x100, v0
	global_store_byte v4, v3, s[12:13]
	s_or_b64 exec, exec, s[0:1]
	v_cmp_gt_i32_e32 vcc, s8, v0
	s_and_saveexec_b64 s[0:1], vcc
	s_cbranch_execz .LBB1_509
.LBB1_525:
	v_add_u32_e32 v3, s11, v0
	v_add_u32_e32 v0, 0x100, v0
	global_store_byte_d16_hi v3, v8, s[12:13]
	s_or_b64 exec, exec, s[0:1]
	v_cmp_gt_i32_e32 vcc, s8, v0
	s_and_saveexec_b64 s[0:1], vcc
	s_cbranch_execz .LBB1_510
.LBB1_526:
	v_lshrrev_b32_e32 v3, 24, v8
	v_add_u32_e32 v4, s11, v0
	v_add_u32_e32 v0, 0x100, v0
	global_store_byte v4, v3, s[12:13]
	s_or_b64 exec, exec, s[0:1]
	v_cmp_gt_i32_e32 vcc, s8, v0
	s_and_saveexec_b64 s[0:1], vcc
	s_cbranch_execz .LBB1_511
.LBB1_527:
	v_add_u32_e32 v3, s11, v0
	v_add_u32_e32 v0, 0x100, v0
	global_store_byte v3, v2, s[12:13]
	s_or_b64 exec, exec, s[0:1]
	v_cmp_gt_i32_e32 vcc, s8, v0
	s_and_saveexec_b64 s[0:1], vcc
	s_cbranch_execz .LBB1_512
.LBB1_528:
	v_lshrrev_b32_e32 v3, 8, v2
	v_add_u32_e32 v4, s11, v0
	v_add_u32_e32 v0, 0x100, v0
	global_store_byte v4, v3, s[12:13]
	s_or_b64 exec, exec, s[0:1]
	v_cmp_gt_i32_e32 vcc, s8, v0
	s_and_saveexec_b64 s[0:1], vcc
	s_cbranch_execz .LBB1_513
.LBB1_529:
	v_add_u32_e32 v3, s11, v0
	v_add_u32_e32 v0, 0x100, v0
	global_store_byte_d16_hi v3, v2, s[12:13]
	s_or_b64 exec, exec, s[0:1]
	v_cmp_gt_i32_e32 vcc, s8, v0
	s_and_saveexec_b64 s[0:1], vcc
	s_cbranch_execz .LBB1_514
.LBB1_530:
	v_lshrrev_b32_e32 v2, 24, v2
	v_add_u32_e32 v3, s11, v0
	v_add_u32_e32 v0, 0x100, v0
	global_store_byte v3, v2, s[12:13]
	s_or_b64 exec, exec, s[0:1]
	v_cmp_gt_i32_e32 vcc, s8, v0
	s_and_saveexec_b64 s[0:1], vcc
	s_cbranch_execz .LBB1_515
.LBB1_531:
	v_add_u32_e32 v2, s11, v0
	v_add_u32_e32 v0, 0x100, v0
	global_store_byte v2, v1, s[12:13]
	s_or_b64 exec, exec, s[0:1]
	v_cmp_gt_i32_e32 vcc, s8, v0
	s_and_saveexec_b64 s[0:1], vcc
	s_cbranch_execz .LBB1_516
.LBB1_532:
	v_lshrrev_b32_e32 v2, 8, v1
	v_add_u32_e32 v3, s11, v0
	v_add_u32_e32 v0, 0x100, v0
	global_store_byte v3, v2, s[12:13]
	s_or_b64 exec, exec, s[0:1]
	v_cmp_gt_i32_e32 vcc, s8, v0
	s_and_saveexec_b64 s[0:1], vcc
	s_cbranch_execz .LBB1_517
.LBB1_533:
	v_add_u32_e32 v2, s11, v0
	v_add_u32_e32 v0, 0x100, v0
	global_store_byte_d16_hi v2, v1, s[12:13]
	s_or_b64 exec, exec, s[0:1]
	v_cmp_gt_i32_e32 vcc, s8, v0
	s_and_saveexec_b64 s[0:1], vcc
	s_cbranch_execnz .LBB1_518
	s_branch .LBB1_519
.LBB1_534:
	s_and_b32 s4, s10, 0xff
	v_cmp_lt_u16_sdwa s[14:15], v5, s4 src0_sel:BYTE_0 src1_sel:DWORD
	s_andn2_b64 s[6:7], s[6:7], exec
	s_and_b64 s[14:15], s[14:15], exec
	s_or_b64 s[6:7], s[6:7], s[14:15]
	s_cbranch_execz .LBB1_499
	s_branch .LBB1_500
.LBB1_535:
	s_mov_b64 s[14:15], -1
                                        ; implicit-def: $sgpr6_sgpr7
	s_branch .LBB1_285
.LBB1_536:
	s_mov_b64 s[14:15], -1
                                        ; implicit-def: $sgpr6_sgpr7
	s_branch .LBB1_300
.LBB1_537:
	s_mov_b64 s[14:15], -1
                                        ; implicit-def: $sgpr6_sgpr7
	s_branch .LBB1_315
.LBB1_538:
	s_mov_b64 s[14:15], -1
                                        ; implicit-def: $sgpr6_sgpr7
	s_branch .LBB1_330
.LBB1_539:
	s_mov_b64 s[14:15], -1
                                        ; implicit-def: $sgpr6_sgpr7
	s_branch .LBB1_345
.LBB1_540:
	s_mov_b64 s[14:15], -1
                                        ; implicit-def: $sgpr6_sgpr7
	s_branch .LBB1_360
.LBB1_541:
	s_mov_b64 s[14:15], -1
                                        ; implicit-def: $sgpr6_sgpr7
	s_branch .LBB1_375
.LBB1_542:
	s_mov_b64 s[14:15], -1
                                        ; implicit-def: $sgpr6_sgpr7
	s_branch .LBB1_390
.LBB1_543:
	s_mov_b64 s[14:15], -1
                                        ; implicit-def: $sgpr6_sgpr7
	s_branch .LBB1_405
.LBB1_544:
	s_mov_b64 s[14:15], -1
                                        ; implicit-def: $sgpr6_sgpr7
	s_branch .LBB1_420
.LBB1_545:
	s_mov_b64 s[14:15], -1
                                        ; implicit-def: $sgpr6_sgpr7
	s_branch .LBB1_435
.LBB1_546:
	s_mov_b64 s[14:15], -1
                                        ; implicit-def: $sgpr6_sgpr7
	s_branch .LBB1_450
.LBB1_547:
	s_mov_b64 s[14:15], -1
                                        ; implicit-def: $sgpr6_sgpr7
	s_branch .LBB1_465
.LBB1_548:
	s_mov_b64 s[14:15], -1
                                        ; implicit-def: $sgpr6_sgpr7
	s_branch .LBB1_480
.LBB1_549:
	s_mov_b64 s[14:15], -1
                                        ; implicit-def: $sgpr6_sgpr7
	s_branch .LBB1_495
	.section	.rodata,"a",@progbits
	.p2align	6, 0x0
	.amdhsa_kernel _ZN2at6native29vectorized_elementwise_kernelILi8EZNS0_21compare_scalar_kernelIhEEvRNS_18TensorIteratorBaseENS0_12_GLOBAL__N_16OpTypeET_EUlhE_St5arrayIPcLm2EEEEviT0_T1_
		.amdhsa_group_segment_fixed_size 0
		.amdhsa_private_segment_fixed_size 0
		.amdhsa_kernarg_size 32
		.amdhsa_user_sgpr_count 6
		.amdhsa_user_sgpr_private_segment_buffer 1
		.amdhsa_user_sgpr_dispatch_ptr 0
		.amdhsa_user_sgpr_queue_ptr 0
		.amdhsa_user_sgpr_kernarg_segment_ptr 1
		.amdhsa_user_sgpr_dispatch_id 0
		.amdhsa_user_sgpr_flat_scratch_init 0
		.amdhsa_user_sgpr_private_segment_size 0
		.amdhsa_uses_dynamic_stack 0
		.amdhsa_system_sgpr_private_segment_wavefront_offset 0
		.amdhsa_system_sgpr_workgroup_id_x 1
		.amdhsa_system_sgpr_workgroup_id_y 0
		.amdhsa_system_sgpr_workgroup_id_z 0
		.amdhsa_system_sgpr_workgroup_info 0
		.amdhsa_system_vgpr_workitem_id 0
		.amdhsa_next_free_vgpr 22
		.amdhsa_next_free_sgpr 48
		.amdhsa_reserve_vcc 1
		.amdhsa_reserve_flat_scratch 0
		.amdhsa_float_round_mode_32 0
		.amdhsa_float_round_mode_16_64 0
		.amdhsa_float_denorm_mode_32 3
		.amdhsa_float_denorm_mode_16_64 3
		.amdhsa_dx10_clamp 1
		.amdhsa_ieee_mode 1
		.amdhsa_fp16_overflow 0
		.amdhsa_exception_fp_ieee_invalid_op 0
		.amdhsa_exception_fp_denorm_src 0
		.amdhsa_exception_fp_ieee_div_zero 0
		.amdhsa_exception_fp_ieee_overflow 0
		.amdhsa_exception_fp_ieee_underflow 0
		.amdhsa_exception_fp_ieee_inexact 0
		.amdhsa_exception_int_div_zero 0
	.end_amdhsa_kernel
	.section	.text._ZN2at6native29vectorized_elementwise_kernelILi8EZNS0_21compare_scalar_kernelIhEEvRNS_18TensorIteratorBaseENS0_12_GLOBAL__N_16OpTypeET_EUlhE_St5arrayIPcLm2EEEEviT0_T1_,"axG",@progbits,_ZN2at6native29vectorized_elementwise_kernelILi8EZNS0_21compare_scalar_kernelIhEEvRNS_18TensorIteratorBaseENS0_12_GLOBAL__N_16OpTypeET_EUlhE_St5arrayIPcLm2EEEEviT0_T1_,comdat
.Lfunc_end1:
	.size	_ZN2at6native29vectorized_elementwise_kernelILi8EZNS0_21compare_scalar_kernelIhEEvRNS_18TensorIteratorBaseENS0_12_GLOBAL__N_16OpTypeET_EUlhE_St5arrayIPcLm2EEEEviT0_T1_, .Lfunc_end1-_ZN2at6native29vectorized_elementwise_kernelILi8EZNS0_21compare_scalar_kernelIhEEvRNS_18TensorIteratorBaseENS0_12_GLOBAL__N_16OpTypeET_EUlhE_St5arrayIPcLm2EEEEviT0_T1_
                                        ; -- End function
	.set _ZN2at6native29vectorized_elementwise_kernelILi8EZNS0_21compare_scalar_kernelIhEEvRNS_18TensorIteratorBaseENS0_12_GLOBAL__N_16OpTypeET_EUlhE_St5arrayIPcLm2EEEEviT0_T1_.num_vgpr, 22
	.set _ZN2at6native29vectorized_elementwise_kernelILi8EZNS0_21compare_scalar_kernelIhEEvRNS_18TensorIteratorBaseENS0_12_GLOBAL__N_16OpTypeET_EUlhE_St5arrayIPcLm2EEEEviT0_T1_.num_agpr, 0
	.set _ZN2at6native29vectorized_elementwise_kernelILi8EZNS0_21compare_scalar_kernelIhEEvRNS_18TensorIteratorBaseENS0_12_GLOBAL__N_16OpTypeET_EUlhE_St5arrayIPcLm2EEEEviT0_T1_.numbered_sgpr, 48
	.set _ZN2at6native29vectorized_elementwise_kernelILi8EZNS0_21compare_scalar_kernelIhEEvRNS_18TensorIteratorBaseENS0_12_GLOBAL__N_16OpTypeET_EUlhE_St5arrayIPcLm2EEEEviT0_T1_.num_named_barrier, 0
	.set _ZN2at6native29vectorized_elementwise_kernelILi8EZNS0_21compare_scalar_kernelIhEEvRNS_18TensorIteratorBaseENS0_12_GLOBAL__N_16OpTypeET_EUlhE_St5arrayIPcLm2EEEEviT0_T1_.private_seg_size, 0
	.set _ZN2at6native29vectorized_elementwise_kernelILi8EZNS0_21compare_scalar_kernelIhEEvRNS_18TensorIteratorBaseENS0_12_GLOBAL__N_16OpTypeET_EUlhE_St5arrayIPcLm2EEEEviT0_T1_.uses_vcc, 1
	.set _ZN2at6native29vectorized_elementwise_kernelILi8EZNS0_21compare_scalar_kernelIhEEvRNS_18TensorIteratorBaseENS0_12_GLOBAL__N_16OpTypeET_EUlhE_St5arrayIPcLm2EEEEviT0_T1_.uses_flat_scratch, 0
	.set _ZN2at6native29vectorized_elementwise_kernelILi8EZNS0_21compare_scalar_kernelIhEEvRNS_18TensorIteratorBaseENS0_12_GLOBAL__N_16OpTypeET_EUlhE_St5arrayIPcLm2EEEEviT0_T1_.has_dyn_sized_stack, 0
	.set _ZN2at6native29vectorized_elementwise_kernelILi8EZNS0_21compare_scalar_kernelIhEEvRNS_18TensorIteratorBaseENS0_12_GLOBAL__N_16OpTypeET_EUlhE_St5arrayIPcLm2EEEEviT0_T1_.has_recursion, 0
	.set _ZN2at6native29vectorized_elementwise_kernelILi8EZNS0_21compare_scalar_kernelIhEEvRNS_18TensorIteratorBaseENS0_12_GLOBAL__N_16OpTypeET_EUlhE_St5arrayIPcLm2EEEEviT0_T1_.has_indirect_call, 0
	.section	.AMDGPU.csdata,"",@progbits
; Kernel info:
; codeLenInByte = 10248
; TotalNumSgprs: 52
; NumVgprs: 22
; ScratchSize: 0
; MemoryBound: 0
; FloatMode: 240
; IeeeMode: 1
; LDSByteSize: 0 bytes/workgroup (compile time only)
; SGPRBlocks: 6
; VGPRBlocks: 5
; NumSGPRsForWavesPerEU: 52
; NumVGPRsForWavesPerEU: 22
; Occupancy: 10
; WaveLimiterHint : 1
; COMPUTE_PGM_RSRC2:SCRATCH_EN: 0
; COMPUTE_PGM_RSRC2:USER_SGPR: 6
; COMPUTE_PGM_RSRC2:TRAP_HANDLER: 0
; COMPUTE_PGM_RSRC2:TGID_X_EN: 1
; COMPUTE_PGM_RSRC2:TGID_Y_EN: 0
; COMPUTE_PGM_RSRC2:TGID_Z_EN: 0
; COMPUTE_PGM_RSRC2:TIDIG_COMP_CNT: 0
	.section	.text._ZN2at6native29vectorized_elementwise_kernelILi4EZNS0_21compare_scalar_kernelIhEEvRNS_18TensorIteratorBaseENS0_12_GLOBAL__N_16OpTypeET_EUlhE_St5arrayIPcLm2EEEEviT0_T1_,"axG",@progbits,_ZN2at6native29vectorized_elementwise_kernelILi4EZNS0_21compare_scalar_kernelIhEEvRNS_18TensorIteratorBaseENS0_12_GLOBAL__N_16OpTypeET_EUlhE_St5arrayIPcLm2EEEEviT0_T1_,comdat
	.globl	_ZN2at6native29vectorized_elementwise_kernelILi4EZNS0_21compare_scalar_kernelIhEEvRNS_18TensorIteratorBaseENS0_12_GLOBAL__N_16OpTypeET_EUlhE_St5arrayIPcLm2EEEEviT0_T1_ ; -- Begin function _ZN2at6native29vectorized_elementwise_kernelILi4EZNS0_21compare_scalar_kernelIhEEvRNS_18TensorIteratorBaseENS0_12_GLOBAL__N_16OpTypeET_EUlhE_St5arrayIPcLm2EEEEviT0_T1_
	.p2align	8
	.type	_ZN2at6native29vectorized_elementwise_kernelILi4EZNS0_21compare_scalar_kernelIhEEvRNS_18TensorIteratorBaseENS0_12_GLOBAL__N_16OpTypeET_EUlhE_St5arrayIPcLm2EEEEviT0_T1_,@function
_ZN2at6native29vectorized_elementwise_kernelILi4EZNS0_21compare_scalar_kernelIhEEvRNS_18TensorIteratorBaseENS0_12_GLOBAL__N_16OpTypeET_EUlhE_St5arrayIPcLm2EEEEviT0_T1_: ; @_ZN2at6native29vectorized_elementwise_kernelILi4EZNS0_21compare_scalar_kernelIhEEvRNS_18TensorIteratorBaseENS0_12_GLOBAL__N_16OpTypeET_EUlhE_St5arrayIPcLm2EEEEviT0_T1_
; %bb.0:
	s_load_dwordx8 s[8:15], s[4:5], 0x0
	s_waitcnt lgkmcnt(0)
	s_lshl_b32 s11, s6, 12
	s_mov_b64 s[0:1], -1
	s_sub_i32 s8, s8, s11
	s_cmpk_gt_i32 s8, 0xfff
	s_cbranch_scc0 .LBB2_211
; %bb.1:
	s_ashr_i32 s33, s11, 31
	s_add_u32 s0, s14, s11
	s_addc_u32 s1, s15, s33
	v_lshlrev_b32_e32 v1, 2, v0
	global_load_dword v5, v1, s[0:1]
	global_load_dword v4, v1, s[0:1] offset:1024
	global_load_dword v3, v1, s[0:1] offset:2048
	global_load_dword v2, v1, s[0:1] offset:3072
	s_cmp_lt_i32 s9, 1
	s_mov_b64 s[2:3], 0
	s_cbranch_scc1 .LBB2_5
; %bb.2:
	s_cmp_gt_i32 s9, 1
	s_cbranch_scc0 .LBB2_6
; %bb.3:
	s_cmp_eq_u32 s9, 2
	s_cbranch_scc0 .LBB2_7
; %bb.4:
	s_and_b32 s0, s10, 0xff
	s_waitcnt vmcnt(3)
	v_cmp_le_u16_sdwa s[0:1], v5, s0 src0_sel:BYTE_0 src1_sel:DWORD
	s_mov_b64 s[4:5], 0
	s_branch .LBB2_8
.LBB2_5:
                                        ; implicit-def: $sgpr0_sgpr1
	s_mov_b64 s[4:5], 0
	s_cbranch_execnz .LBB2_11
	s_branch .LBB2_12
.LBB2_6:
	s_mov_b64 s[4:5], 0
                                        ; implicit-def: $sgpr0_sgpr1
	s_cbranch_execnz .LBB2_9
	s_branch .LBB2_10
.LBB2_7:
	s_mov_b64 s[4:5], -1
                                        ; implicit-def: $sgpr0_sgpr1
.LBB2_8:
	s_branch .LBB2_10
.LBB2_9:
	s_and_b32 s6, s10, 0xff
	s_waitcnt vmcnt(3)
	v_cmp_gt_u16_sdwa s[6:7], v5, s6 src0_sel:BYTE_0 src1_sel:DWORD
	s_andn2_b64 s[0:1], s[0:1], exec
	s_and_b64 s[6:7], s[6:7], exec
	s_or_b64 s[0:1], s[0:1], s[6:7]
.LBB2_10:
	s_branch .LBB2_12
.LBB2_11:
	s_cmp_lg_u32 s9, 0
	s_mov_b64 s[2:3], -1
	s_cselect_b64 s[4:5], -1, 0
.LBB2_12:
	s_andn2_b64 vcc, exec, s[4:5]
	s_cbranch_vccz .LBB2_18
; %bb.13:
	s_andn2_b64 vcc, exec, s[2:3]
	s_cbranch_vccz .LBB2_19
.LBB2_14:
	s_cmp_lt_i32 s9, 1
	s_mov_b64 s[4:5], 0
	s_cbranch_scc1 .LBB2_20
.LBB2_15:
	s_cmp_gt_i32 s9, 1
	s_cbranch_scc0 .LBB2_21
; %bb.16:
	s_cmp_eq_u32 s9, 2
	s_cbranch_scc0 .LBB2_251
; %bb.17:
	s_waitcnt vmcnt(3)
	v_lshrrev_b32_e32 v6, 8, v5
	s_and_b32 s2, s10, 0xff
	v_cmp_le_u16_sdwa s[2:3], v6, s2 src0_sel:BYTE_0 src1_sel:DWORD
	s_mov_b64 s[6:7], 0
	s_branch .LBB2_23
.LBB2_18:
	s_and_b32 s2, s10, 0xff
	s_waitcnt vmcnt(3)
	v_cmp_lt_u16_sdwa s[4:5], v5, s2 src0_sel:BYTE_0 src1_sel:DWORD
	s_andn2_b64 s[0:1], s[0:1], exec
	s_and_b64 s[4:5], s[4:5], exec
	s_or_b64 s[0:1], s[0:1], s[4:5]
	s_cbranch_execnz .LBB2_14
.LBB2_19:
	s_and_b32 s2, s10, 0xff
	s_waitcnt vmcnt(3)
	v_cmp_ge_u16_sdwa s[2:3], v5, s2 src0_sel:BYTE_0 src1_sel:DWORD
	s_andn2_b64 s[0:1], s[0:1], exec
	s_and_b64 s[2:3], s[2:3], exec
	s_or_b64 s[0:1], s[0:1], s[2:3]
	s_cmp_lt_i32 s9, 1
	s_mov_b64 s[4:5], 0
	s_cbranch_scc0 .LBB2_15
.LBB2_20:
                                        ; implicit-def: $sgpr2_sgpr3
	s_mov_b64 s[6:7], 0
	s_cbranch_execnz .LBB2_24
	s_branch .LBB2_25
.LBB2_21:
	s_mov_b64 s[6:7], 0
                                        ; implicit-def: $sgpr2_sgpr3
	s_cbranch_execz .LBB2_23
; %bb.22:
	s_waitcnt vmcnt(3)
	v_lshrrev_b32_e32 v6, 8, v5
	s_and_b32 s16, s10, 0xff
	v_cmp_gt_u16_sdwa s[16:17], v6, s16 src0_sel:BYTE_0 src1_sel:DWORD
	s_andn2_b64 s[2:3], s[2:3], exec
	s_and_b64 s[16:17], s[16:17], exec
	s_or_b64 s[2:3], s[2:3], s[16:17]
.LBB2_23:
	s_branch .LBB2_25
.LBB2_24:
	s_cmp_lg_u32 s9, 0
	s_mov_b64 s[4:5], -1
	s_cselect_b64 s[6:7], -1, 0
.LBB2_25:
	s_andn2_b64 vcc, exec, s[6:7]
	s_waitcnt vmcnt(3)
	v_lshrrev_b32_e32 v6, 8, v5
	s_cbranch_vccz .LBB2_31
; %bb.26:
	s_andn2_b64 vcc, exec, s[4:5]
	s_cbranch_vccz .LBB2_32
.LBB2_27:
	s_cmp_lt_i32 s9, 1
	s_mov_b64 s[6:7], 0
	s_cbranch_scc1 .LBB2_33
.LBB2_28:
	s_cmp_gt_i32 s9, 1
	s_cbranch_scc0 .LBB2_34
; %bb.29:
	s_cmp_eq_u32 s9, 2
	s_cbranch_scc0 .LBB2_252
; %bb.30:
	s_movk_i32 s4, 0xff
	v_and_b32_sdwa v6, v5, s4 dst_sel:DWORD dst_unused:UNUSED_PAD src0_sel:WORD_1 src1_sel:DWORD
	s_and_b32 s4, s10, 0xff
	v_cmp_ge_u16_e64 s[4:5], s4, v6
	s_mov_b64 s[16:17], 0
	s_branch .LBB2_36
.LBB2_31:
	s_and_b32 s4, s10, 0xff
	v_cmp_lt_u16_sdwa s[6:7], v6, s4 src0_sel:BYTE_0 src1_sel:DWORD
	s_andn2_b64 s[2:3], s[2:3], exec
	s_and_b64 s[6:7], s[6:7], exec
	s_or_b64 s[2:3], s[2:3], s[6:7]
	s_cbranch_execnz .LBB2_27
.LBB2_32:
	s_and_b32 s4, s10, 0xff
	v_cmp_ge_u16_sdwa s[4:5], v6, s4 src0_sel:BYTE_0 src1_sel:DWORD
	s_andn2_b64 s[2:3], s[2:3], exec
	s_and_b64 s[4:5], s[4:5], exec
	s_or_b64 s[2:3], s[2:3], s[4:5]
	s_cmp_lt_i32 s9, 1
	s_mov_b64 s[6:7], 0
	s_cbranch_scc0 .LBB2_28
.LBB2_33:
                                        ; implicit-def: $sgpr4_sgpr5
	s_mov_b64 s[16:17], 0
	s_cbranch_execnz .LBB2_37
	s_branch .LBB2_38
.LBB2_34:
	s_mov_b64 s[16:17], 0
                                        ; implicit-def: $sgpr4_sgpr5
	s_cbranch_execz .LBB2_36
; %bb.35:
	s_movk_i32 s18, 0xff
	v_and_b32_sdwa v6, v5, s18 dst_sel:DWORD dst_unused:UNUSED_PAD src0_sel:WORD_1 src1_sel:DWORD
	s_and_b32 s18, s10, 0xff
	v_cmp_lt_u16_e32 vcc, s18, v6
	s_andn2_b64 s[4:5], s[4:5], exec
	s_and_b64 s[18:19], vcc, exec
	s_or_b64 s[4:5], s[4:5], s[18:19]
.LBB2_36:
	s_branch .LBB2_38
.LBB2_37:
	s_cmp_lg_u32 s9, 0
	s_mov_b64 s[6:7], -1
	s_cselect_b64 s[16:17], -1, 0
.LBB2_38:
	s_andn2_b64 vcc, exec, s[16:17]
	s_cbranch_vccz .LBB2_44
; %bb.39:
	s_andn2_b64 vcc, exec, s[6:7]
	s_cbranch_vccz .LBB2_45
.LBB2_40:
	s_cmp_lt_i32 s9, 1
	s_mov_b64 s[16:17], 0
	s_cbranch_scc1 .LBB2_46
.LBB2_41:
	s_cmp_gt_i32 s9, 1
	s_cbranch_scc0 .LBB2_47
; %bb.42:
	s_cmp_eq_u32 s9, 2
	s_cbranch_scc0 .LBB2_253
; %bb.43:
	s_and_b32 s6, s10, 0xff
	v_cmp_le_u16_sdwa s[6:7], v5, s6 src0_sel:BYTE_3 src1_sel:DWORD
	s_mov_b64 s[18:19], 0
	s_branch .LBB2_49
.LBB2_44:
	s_movk_i32 s6, 0xff
	v_and_b32_sdwa v6, v5, s6 dst_sel:DWORD dst_unused:UNUSED_PAD src0_sel:WORD_1 src1_sel:DWORD
	s_and_b32 s6, s10, 0xff
	v_cmp_gt_u16_e32 vcc, s6, v6
	s_andn2_b64 s[4:5], s[4:5], exec
	s_and_b64 s[16:17], vcc, exec
	s_or_b64 s[4:5], s[4:5], s[16:17]
	s_cbranch_execnz .LBB2_40
.LBB2_45:
	s_movk_i32 s6, 0xff
	v_and_b32_sdwa v6, v5, s6 dst_sel:DWORD dst_unused:UNUSED_PAD src0_sel:WORD_1 src1_sel:DWORD
	s_and_b32 s6, s10, 0xff
	v_cmp_le_u16_e32 vcc, s6, v6
	s_andn2_b64 s[4:5], s[4:5], exec
	s_and_b64 s[6:7], vcc, exec
	s_or_b64 s[4:5], s[4:5], s[6:7]
	s_cmp_lt_i32 s9, 1
	s_mov_b64 s[16:17], 0
	s_cbranch_scc0 .LBB2_41
.LBB2_46:
                                        ; implicit-def: $sgpr6_sgpr7
	s_mov_b64 s[18:19], 0
	s_cbranch_execnz .LBB2_50
	s_branch .LBB2_51
.LBB2_47:
	s_mov_b64 s[18:19], 0
                                        ; implicit-def: $sgpr6_sgpr7
	s_cbranch_execz .LBB2_49
; %bb.48:
	s_and_b32 s20, s10, 0xff
	v_cmp_gt_u16_sdwa s[20:21], v5, s20 src0_sel:BYTE_3 src1_sel:DWORD
	s_andn2_b64 s[6:7], s[6:7], exec
	s_and_b64 s[20:21], s[20:21], exec
	s_or_b64 s[6:7], s[6:7], s[20:21]
.LBB2_49:
	s_branch .LBB2_51
.LBB2_50:
	s_cmp_lg_u32 s9, 0
	s_mov_b64 s[16:17], -1
	s_cselect_b64 s[18:19], -1, 0
.LBB2_51:
	s_andn2_b64 vcc, exec, s[18:19]
	s_cbranch_vccz .LBB2_57
; %bb.52:
	s_andn2_b64 vcc, exec, s[16:17]
	s_cbranch_vccz .LBB2_58
.LBB2_53:
	s_cmp_lt_i32 s9, 1
	s_mov_b64 s[18:19], 0
	s_cbranch_scc1 .LBB2_59
.LBB2_54:
	s_cmp_gt_i32 s9, 1
	s_cbranch_scc0 .LBB2_60
; %bb.55:
	s_cmp_eq_u32 s9, 2
	s_cbranch_scc0 .LBB2_254
; %bb.56:
	s_and_b32 s16, s10, 0xff
	s_waitcnt vmcnt(2)
	v_cmp_le_u16_sdwa s[16:17], v4, s16 src0_sel:BYTE_0 src1_sel:DWORD
	s_mov_b64 s[20:21], 0
	s_branch .LBB2_62
.LBB2_57:
	s_and_b32 s16, s10, 0xff
	v_cmp_lt_u16_sdwa s[18:19], v5, s16 src0_sel:BYTE_3 src1_sel:DWORD
	s_andn2_b64 s[6:7], s[6:7], exec
	s_and_b64 s[18:19], s[18:19], exec
	s_or_b64 s[6:7], s[6:7], s[18:19]
	s_cbranch_execnz .LBB2_53
.LBB2_58:
	s_and_b32 s16, s10, 0xff
	v_cmp_ge_u16_sdwa s[16:17], v5, s16 src0_sel:BYTE_3 src1_sel:DWORD
	s_andn2_b64 s[6:7], s[6:7], exec
	s_and_b64 s[16:17], s[16:17], exec
	s_or_b64 s[6:7], s[6:7], s[16:17]
	s_cmp_lt_i32 s9, 1
	s_mov_b64 s[18:19], 0
	s_cbranch_scc0 .LBB2_54
.LBB2_59:
                                        ; implicit-def: $sgpr16_sgpr17
	s_mov_b64 s[20:21], 0
	s_cbranch_execnz .LBB2_63
	s_branch .LBB2_64
.LBB2_60:
	s_mov_b64 s[20:21], 0
                                        ; implicit-def: $sgpr16_sgpr17
	s_cbranch_execz .LBB2_62
; %bb.61:
	s_and_b32 s22, s10, 0xff
	s_waitcnt vmcnt(2)
	v_cmp_gt_u16_sdwa s[22:23], v4, s22 src0_sel:BYTE_0 src1_sel:DWORD
	s_andn2_b64 s[16:17], s[16:17], exec
	s_and_b64 s[22:23], s[22:23], exec
	s_or_b64 s[16:17], s[16:17], s[22:23]
.LBB2_62:
	s_branch .LBB2_64
.LBB2_63:
	s_cmp_lg_u32 s9, 0
	s_mov_b64 s[18:19], -1
	s_cselect_b64 s[20:21], -1, 0
.LBB2_64:
	s_andn2_b64 vcc, exec, s[20:21]
	s_cbranch_vccz .LBB2_70
; %bb.65:
	s_andn2_b64 vcc, exec, s[18:19]
	s_cbranch_vccz .LBB2_71
.LBB2_66:
	s_cmp_lt_i32 s9, 1
	s_mov_b64 s[20:21], 0
	s_cbranch_scc1 .LBB2_72
.LBB2_67:
	s_cmp_gt_i32 s9, 1
	s_cbranch_scc0 .LBB2_73
; %bb.68:
	s_cmp_eq_u32 s9, 2
	s_cbranch_scc0 .LBB2_255
; %bb.69:
	s_waitcnt vmcnt(2)
	v_lshrrev_b32_e32 v5, 8, v4
	s_and_b32 s18, s10, 0xff
	v_cmp_le_u16_sdwa s[18:19], v5, s18 src0_sel:BYTE_0 src1_sel:DWORD
	s_mov_b64 s[22:23], 0
	s_branch .LBB2_75
.LBB2_70:
	s_and_b32 s18, s10, 0xff
	s_waitcnt vmcnt(2)
	v_cmp_lt_u16_sdwa s[20:21], v4, s18 src0_sel:BYTE_0 src1_sel:DWORD
	s_andn2_b64 s[16:17], s[16:17], exec
	s_and_b64 s[20:21], s[20:21], exec
	s_or_b64 s[16:17], s[16:17], s[20:21]
	s_cbranch_execnz .LBB2_66
.LBB2_71:
	s_and_b32 s18, s10, 0xff
	s_waitcnt vmcnt(2)
	v_cmp_ge_u16_sdwa s[18:19], v4, s18 src0_sel:BYTE_0 src1_sel:DWORD
	s_andn2_b64 s[16:17], s[16:17], exec
	s_and_b64 s[18:19], s[18:19], exec
	s_or_b64 s[16:17], s[16:17], s[18:19]
	s_cmp_lt_i32 s9, 1
	s_mov_b64 s[20:21], 0
	s_cbranch_scc0 .LBB2_67
.LBB2_72:
                                        ; implicit-def: $sgpr18_sgpr19
	s_mov_b64 s[22:23], 0
	s_cbranch_execnz .LBB2_76
	s_branch .LBB2_77
.LBB2_73:
	s_mov_b64 s[22:23], 0
                                        ; implicit-def: $sgpr18_sgpr19
	s_cbranch_execz .LBB2_75
; %bb.74:
	s_waitcnt vmcnt(2)
	v_lshrrev_b32_e32 v5, 8, v4
	s_and_b32 s24, s10, 0xff
	v_cmp_gt_u16_sdwa s[24:25], v5, s24 src0_sel:BYTE_0 src1_sel:DWORD
	s_andn2_b64 s[18:19], s[18:19], exec
	s_and_b64 s[24:25], s[24:25], exec
	s_or_b64 s[18:19], s[18:19], s[24:25]
.LBB2_75:
	s_branch .LBB2_77
.LBB2_76:
	s_cmp_lg_u32 s9, 0
	s_mov_b64 s[20:21], -1
	s_cselect_b64 s[22:23], -1, 0
.LBB2_77:
	s_andn2_b64 vcc, exec, s[22:23]
	s_waitcnt vmcnt(2)
	v_lshrrev_b32_e32 v5, 8, v4
	s_cbranch_vccz .LBB2_83
; %bb.78:
	s_andn2_b64 vcc, exec, s[20:21]
	s_cbranch_vccz .LBB2_84
.LBB2_79:
	s_cmp_lt_i32 s9, 1
	s_mov_b64 s[22:23], 0
	s_cbranch_scc1 .LBB2_85
.LBB2_80:
	s_cmp_gt_i32 s9, 1
	s_cbranch_scc0 .LBB2_86
; %bb.81:
	s_cmp_eq_u32 s9, 2
	s_cbranch_scc0 .LBB2_256
; %bb.82:
	s_movk_i32 s20, 0xff
	v_and_b32_sdwa v5, v4, s20 dst_sel:DWORD dst_unused:UNUSED_PAD src0_sel:WORD_1 src1_sel:DWORD
	s_and_b32 s20, s10, 0xff
	v_cmp_ge_u16_e64 s[20:21], s20, v5
	s_mov_b64 s[24:25], 0
	s_branch .LBB2_88
.LBB2_83:
	s_and_b32 s20, s10, 0xff
	v_cmp_lt_u16_sdwa s[22:23], v5, s20 src0_sel:BYTE_0 src1_sel:DWORD
	s_andn2_b64 s[18:19], s[18:19], exec
	s_and_b64 s[22:23], s[22:23], exec
	s_or_b64 s[18:19], s[18:19], s[22:23]
	s_cbranch_execnz .LBB2_79
.LBB2_84:
	s_and_b32 s20, s10, 0xff
	v_cmp_ge_u16_sdwa s[20:21], v5, s20 src0_sel:BYTE_0 src1_sel:DWORD
	s_andn2_b64 s[18:19], s[18:19], exec
	s_and_b64 s[20:21], s[20:21], exec
	s_or_b64 s[18:19], s[18:19], s[20:21]
	s_cmp_lt_i32 s9, 1
	s_mov_b64 s[22:23], 0
	s_cbranch_scc0 .LBB2_80
.LBB2_85:
                                        ; implicit-def: $sgpr20_sgpr21
	s_mov_b64 s[24:25], 0
	s_cbranch_execnz .LBB2_89
	s_branch .LBB2_90
.LBB2_86:
	s_mov_b64 s[24:25], 0
                                        ; implicit-def: $sgpr20_sgpr21
	s_cbranch_execz .LBB2_88
; %bb.87:
	s_movk_i32 s26, 0xff
	v_and_b32_sdwa v5, v4, s26 dst_sel:DWORD dst_unused:UNUSED_PAD src0_sel:WORD_1 src1_sel:DWORD
	s_and_b32 s26, s10, 0xff
	v_cmp_lt_u16_e32 vcc, s26, v5
	s_andn2_b64 s[20:21], s[20:21], exec
	s_and_b64 s[26:27], vcc, exec
	s_or_b64 s[20:21], s[20:21], s[26:27]
.LBB2_88:
	s_branch .LBB2_90
.LBB2_89:
	s_cmp_lg_u32 s9, 0
	s_mov_b64 s[22:23], -1
	s_cselect_b64 s[24:25], -1, 0
.LBB2_90:
	s_andn2_b64 vcc, exec, s[24:25]
	s_cbranch_vccz .LBB2_96
; %bb.91:
	s_andn2_b64 vcc, exec, s[22:23]
	s_cbranch_vccz .LBB2_97
.LBB2_92:
	s_cmp_lt_i32 s9, 1
	s_mov_b64 s[24:25], 0
	s_cbranch_scc1 .LBB2_98
.LBB2_93:
	s_cmp_gt_i32 s9, 1
	s_cbranch_scc0 .LBB2_99
; %bb.94:
	s_cmp_eq_u32 s9, 2
	s_cbranch_scc0 .LBB2_257
; %bb.95:
	s_and_b32 s22, s10, 0xff
	v_cmp_le_u16_sdwa s[22:23], v4, s22 src0_sel:BYTE_3 src1_sel:DWORD
	s_mov_b64 s[26:27], 0
	s_branch .LBB2_101
.LBB2_96:
	s_movk_i32 s22, 0xff
	v_and_b32_sdwa v5, v4, s22 dst_sel:DWORD dst_unused:UNUSED_PAD src0_sel:WORD_1 src1_sel:DWORD
	s_and_b32 s22, s10, 0xff
	v_cmp_gt_u16_e32 vcc, s22, v5
	s_andn2_b64 s[20:21], s[20:21], exec
	s_and_b64 s[24:25], vcc, exec
	s_or_b64 s[20:21], s[20:21], s[24:25]
	s_cbranch_execnz .LBB2_92
.LBB2_97:
	s_movk_i32 s22, 0xff
	v_and_b32_sdwa v5, v4, s22 dst_sel:DWORD dst_unused:UNUSED_PAD src0_sel:WORD_1 src1_sel:DWORD
	s_and_b32 s22, s10, 0xff
	v_cmp_le_u16_e32 vcc, s22, v5
	s_andn2_b64 s[20:21], s[20:21], exec
	s_and_b64 s[22:23], vcc, exec
	s_or_b64 s[20:21], s[20:21], s[22:23]
	s_cmp_lt_i32 s9, 1
	s_mov_b64 s[24:25], 0
	s_cbranch_scc0 .LBB2_93
.LBB2_98:
                                        ; implicit-def: $sgpr22_sgpr23
	s_mov_b64 s[26:27], 0
	s_cbranch_execnz .LBB2_102
	s_branch .LBB2_103
.LBB2_99:
	s_mov_b64 s[26:27], 0
                                        ; implicit-def: $sgpr22_sgpr23
	s_cbranch_execz .LBB2_101
; %bb.100:
	s_and_b32 s28, s10, 0xff
	v_cmp_gt_u16_sdwa s[28:29], v4, s28 src0_sel:BYTE_3 src1_sel:DWORD
	s_andn2_b64 s[22:23], s[22:23], exec
	s_and_b64 s[28:29], s[28:29], exec
	s_or_b64 s[22:23], s[22:23], s[28:29]
.LBB2_101:
	s_branch .LBB2_103
.LBB2_102:
	s_cmp_lg_u32 s9, 0
	s_mov_b64 s[24:25], -1
	s_cselect_b64 s[26:27], -1, 0
.LBB2_103:
	s_andn2_b64 vcc, exec, s[26:27]
	s_cbranch_vccz .LBB2_109
; %bb.104:
	s_andn2_b64 vcc, exec, s[24:25]
	s_cbranch_vccz .LBB2_110
.LBB2_105:
	s_cmp_lt_i32 s9, 1
	s_mov_b64 s[26:27], 0
	s_cbranch_scc1 .LBB2_111
.LBB2_106:
	s_cmp_gt_i32 s9, 1
	s_cbranch_scc0 .LBB2_112
; %bb.107:
	s_cmp_eq_u32 s9, 2
	s_cbranch_scc0 .LBB2_258
; %bb.108:
	s_and_b32 s24, s10, 0xff
	s_waitcnt vmcnt(1)
	v_cmp_le_u16_sdwa s[24:25], v3, s24 src0_sel:BYTE_0 src1_sel:DWORD
	s_mov_b64 s[28:29], 0
	s_branch .LBB2_114
.LBB2_109:
	s_and_b32 s24, s10, 0xff
	v_cmp_lt_u16_sdwa s[26:27], v4, s24 src0_sel:BYTE_3 src1_sel:DWORD
	s_andn2_b64 s[22:23], s[22:23], exec
	s_and_b64 s[26:27], s[26:27], exec
	s_or_b64 s[22:23], s[22:23], s[26:27]
	s_cbranch_execnz .LBB2_105
.LBB2_110:
	s_and_b32 s24, s10, 0xff
	v_cmp_ge_u16_sdwa s[24:25], v4, s24 src0_sel:BYTE_3 src1_sel:DWORD
	s_andn2_b64 s[22:23], s[22:23], exec
	s_and_b64 s[24:25], s[24:25], exec
	s_or_b64 s[22:23], s[22:23], s[24:25]
	s_cmp_lt_i32 s9, 1
	s_mov_b64 s[26:27], 0
	s_cbranch_scc0 .LBB2_106
.LBB2_111:
                                        ; implicit-def: $sgpr24_sgpr25
	s_mov_b64 s[28:29], 0
	s_cbranch_execnz .LBB2_115
	s_branch .LBB2_116
.LBB2_112:
	s_mov_b64 s[28:29], 0
                                        ; implicit-def: $sgpr24_sgpr25
	s_cbranch_execz .LBB2_114
; %bb.113:
	s_and_b32 s30, s10, 0xff
	s_waitcnt vmcnt(1)
	v_cmp_gt_u16_sdwa s[30:31], v3, s30 src0_sel:BYTE_0 src1_sel:DWORD
	s_andn2_b64 s[24:25], s[24:25], exec
	s_and_b64 s[30:31], s[30:31], exec
	s_or_b64 s[24:25], s[24:25], s[30:31]
.LBB2_114:
	s_branch .LBB2_116
.LBB2_115:
	s_cmp_lg_u32 s9, 0
	s_mov_b64 s[26:27], -1
	s_cselect_b64 s[28:29], -1, 0
.LBB2_116:
	s_andn2_b64 vcc, exec, s[28:29]
	s_cbranch_vccz .LBB2_122
; %bb.117:
	s_andn2_b64 vcc, exec, s[26:27]
	s_cbranch_vccz .LBB2_123
.LBB2_118:
	s_cmp_lt_i32 s9, 1
	s_mov_b64 s[28:29], 0
	s_cbranch_scc1 .LBB2_124
.LBB2_119:
	s_cmp_gt_i32 s9, 1
	s_cbranch_scc0 .LBB2_125
; %bb.120:
	s_cmp_eq_u32 s9, 2
	s_cbranch_scc0 .LBB2_259
; %bb.121:
	s_waitcnt vmcnt(1)
	v_lshrrev_b32_e32 v4, 8, v3
	s_and_b32 s26, s10, 0xff
	v_cmp_le_u16_sdwa s[26:27], v4, s26 src0_sel:BYTE_0 src1_sel:DWORD
	s_mov_b64 s[30:31], 0
	s_branch .LBB2_127
.LBB2_122:
	s_and_b32 s26, s10, 0xff
	s_waitcnt vmcnt(1)
	v_cmp_lt_u16_sdwa s[28:29], v3, s26 src0_sel:BYTE_0 src1_sel:DWORD
	s_andn2_b64 s[24:25], s[24:25], exec
	s_and_b64 s[28:29], s[28:29], exec
	s_or_b64 s[24:25], s[24:25], s[28:29]
	s_cbranch_execnz .LBB2_118
.LBB2_123:
	s_and_b32 s26, s10, 0xff
	s_waitcnt vmcnt(1)
	v_cmp_ge_u16_sdwa s[26:27], v3, s26 src0_sel:BYTE_0 src1_sel:DWORD
	s_andn2_b64 s[24:25], s[24:25], exec
	s_and_b64 s[26:27], s[26:27], exec
	s_or_b64 s[24:25], s[24:25], s[26:27]
	s_cmp_lt_i32 s9, 1
	s_mov_b64 s[28:29], 0
	s_cbranch_scc0 .LBB2_119
.LBB2_124:
                                        ; implicit-def: $sgpr26_sgpr27
	s_mov_b64 s[30:31], 0
	s_cbranch_execnz .LBB2_128
	s_branch .LBB2_129
.LBB2_125:
	s_mov_b64 s[30:31], 0
                                        ; implicit-def: $sgpr26_sgpr27
	s_cbranch_execz .LBB2_127
; %bb.126:
	s_waitcnt vmcnt(1)
	v_lshrrev_b32_e32 v4, 8, v3
	s_and_b32 s34, s10, 0xff
	v_cmp_gt_u16_sdwa s[34:35], v4, s34 src0_sel:BYTE_0 src1_sel:DWORD
	s_andn2_b64 s[26:27], s[26:27], exec
	s_and_b64 s[34:35], s[34:35], exec
	s_or_b64 s[26:27], s[26:27], s[34:35]
.LBB2_127:
	s_branch .LBB2_129
.LBB2_128:
	s_cmp_lg_u32 s9, 0
	s_mov_b64 s[28:29], -1
	s_cselect_b64 s[30:31], -1, 0
.LBB2_129:
	s_andn2_b64 vcc, exec, s[30:31]
	s_waitcnt vmcnt(1)
	v_lshrrev_b32_e32 v4, 8, v3
	s_cbranch_vccz .LBB2_135
; %bb.130:
	s_andn2_b64 vcc, exec, s[28:29]
	s_cbranch_vccz .LBB2_136
.LBB2_131:
	s_cmp_lt_i32 s9, 1
	s_mov_b64 s[30:31], 0
	s_cbranch_scc1 .LBB2_137
.LBB2_132:
	s_cmp_gt_i32 s9, 1
	s_cbranch_scc0 .LBB2_138
; %bb.133:
	s_cmp_eq_u32 s9, 2
	s_cbranch_scc0 .LBB2_260
; %bb.134:
	s_movk_i32 s28, 0xff
	v_and_b32_sdwa v4, v3, s28 dst_sel:DWORD dst_unused:UNUSED_PAD src0_sel:WORD_1 src1_sel:DWORD
	s_and_b32 s28, s10, 0xff
	v_cmp_ge_u16_e64 s[28:29], s28, v4
	s_mov_b64 s[34:35], 0
	s_branch .LBB2_140
.LBB2_135:
	s_and_b32 s28, s10, 0xff
	v_cmp_lt_u16_sdwa s[30:31], v4, s28 src0_sel:BYTE_0 src1_sel:DWORD
	s_andn2_b64 s[26:27], s[26:27], exec
	s_and_b64 s[30:31], s[30:31], exec
	s_or_b64 s[26:27], s[26:27], s[30:31]
	s_cbranch_execnz .LBB2_131
.LBB2_136:
	s_and_b32 s28, s10, 0xff
	v_cmp_ge_u16_sdwa s[28:29], v4, s28 src0_sel:BYTE_0 src1_sel:DWORD
	s_andn2_b64 s[26:27], s[26:27], exec
	s_and_b64 s[28:29], s[28:29], exec
	s_or_b64 s[26:27], s[26:27], s[28:29]
	s_cmp_lt_i32 s9, 1
	s_mov_b64 s[30:31], 0
	s_cbranch_scc0 .LBB2_132
.LBB2_137:
                                        ; implicit-def: $sgpr28_sgpr29
	s_mov_b64 s[34:35], 0
	s_cbranch_execnz .LBB2_141
	s_branch .LBB2_142
.LBB2_138:
	s_mov_b64 s[34:35], 0
                                        ; implicit-def: $sgpr28_sgpr29
	s_cbranch_execz .LBB2_140
; %bb.139:
	s_movk_i32 s36, 0xff
	v_and_b32_sdwa v4, v3, s36 dst_sel:DWORD dst_unused:UNUSED_PAD src0_sel:WORD_1 src1_sel:DWORD
	s_and_b32 s36, s10, 0xff
	v_cmp_lt_u16_e32 vcc, s36, v4
	s_andn2_b64 s[28:29], s[28:29], exec
	s_and_b64 s[36:37], vcc, exec
	s_or_b64 s[28:29], s[28:29], s[36:37]
.LBB2_140:
	s_branch .LBB2_142
.LBB2_141:
	s_cmp_lg_u32 s9, 0
	s_mov_b64 s[30:31], -1
	s_cselect_b64 s[34:35], -1, 0
.LBB2_142:
	s_andn2_b64 vcc, exec, s[34:35]
	s_cbranch_vccz .LBB2_148
; %bb.143:
	s_andn2_b64 vcc, exec, s[30:31]
	s_cbranch_vccz .LBB2_149
.LBB2_144:
	s_cmp_lt_i32 s9, 1
	s_mov_b64 s[34:35], 0
	s_cbranch_scc1 .LBB2_150
.LBB2_145:
	s_cmp_gt_i32 s9, 1
	s_cbranch_scc0 .LBB2_151
; %bb.146:
	s_cmp_eq_u32 s9, 2
	s_cbranch_scc0 .LBB2_261
; %bb.147:
	s_and_b32 s30, s10, 0xff
	v_cmp_le_u16_sdwa s[30:31], v3, s30 src0_sel:BYTE_3 src1_sel:DWORD
	s_mov_b64 s[36:37], 0
	s_branch .LBB2_153
.LBB2_148:
	s_movk_i32 s30, 0xff
	v_and_b32_sdwa v4, v3, s30 dst_sel:DWORD dst_unused:UNUSED_PAD src0_sel:WORD_1 src1_sel:DWORD
	s_and_b32 s30, s10, 0xff
	v_cmp_gt_u16_e32 vcc, s30, v4
	s_andn2_b64 s[28:29], s[28:29], exec
	s_and_b64 s[34:35], vcc, exec
	s_or_b64 s[28:29], s[28:29], s[34:35]
	s_cbranch_execnz .LBB2_144
.LBB2_149:
	s_movk_i32 s30, 0xff
	v_and_b32_sdwa v4, v3, s30 dst_sel:DWORD dst_unused:UNUSED_PAD src0_sel:WORD_1 src1_sel:DWORD
	s_and_b32 s30, s10, 0xff
	v_cmp_le_u16_e32 vcc, s30, v4
	s_andn2_b64 s[28:29], s[28:29], exec
	s_and_b64 s[30:31], vcc, exec
	s_or_b64 s[28:29], s[28:29], s[30:31]
	s_cmp_lt_i32 s9, 1
	s_mov_b64 s[34:35], 0
	s_cbranch_scc0 .LBB2_145
.LBB2_150:
                                        ; implicit-def: $sgpr30_sgpr31
	s_mov_b64 s[36:37], 0
	s_cbranch_execnz .LBB2_154
	s_branch .LBB2_155
.LBB2_151:
	s_mov_b64 s[36:37], 0
                                        ; implicit-def: $sgpr30_sgpr31
	s_cbranch_execz .LBB2_153
; %bb.152:
	s_and_b32 s38, s10, 0xff
	v_cmp_gt_u16_sdwa s[38:39], v3, s38 src0_sel:BYTE_3 src1_sel:DWORD
	s_andn2_b64 s[30:31], s[30:31], exec
	s_and_b64 s[38:39], s[38:39], exec
	s_or_b64 s[30:31], s[30:31], s[38:39]
.LBB2_153:
	s_branch .LBB2_155
.LBB2_154:
	s_cmp_lg_u32 s9, 0
	s_mov_b64 s[34:35], -1
	s_cselect_b64 s[36:37], -1, 0
.LBB2_155:
	s_andn2_b64 vcc, exec, s[36:37]
	s_cbranch_vccz .LBB2_161
; %bb.156:
	s_andn2_b64 vcc, exec, s[34:35]
	s_cbranch_vccz .LBB2_162
.LBB2_157:
	s_cmp_lt_i32 s9, 1
	s_mov_b64 s[36:37], 0
	s_cbranch_scc1 .LBB2_163
.LBB2_158:
	s_cmp_gt_i32 s9, 1
	s_cbranch_scc0 .LBB2_164
; %bb.159:
	s_cmp_eq_u32 s9, 2
	s_cbranch_scc0 .LBB2_262
; %bb.160:
	s_and_b32 s34, s10, 0xff
	s_waitcnt vmcnt(0)
	v_cmp_le_u16_sdwa s[34:35], v2, s34 src0_sel:BYTE_0 src1_sel:DWORD
	s_mov_b64 s[38:39], 0
	s_branch .LBB2_166
.LBB2_161:
	s_and_b32 s34, s10, 0xff
	v_cmp_lt_u16_sdwa s[36:37], v3, s34 src0_sel:BYTE_3 src1_sel:DWORD
	s_andn2_b64 s[30:31], s[30:31], exec
	s_and_b64 s[36:37], s[36:37], exec
	s_or_b64 s[30:31], s[30:31], s[36:37]
	s_cbranch_execnz .LBB2_157
.LBB2_162:
	s_and_b32 s34, s10, 0xff
	v_cmp_ge_u16_sdwa s[34:35], v3, s34 src0_sel:BYTE_3 src1_sel:DWORD
	s_andn2_b64 s[30:31], s[30:31], exec
	s_and_b64 s[34:35], s[34:35], exec
	s_or_b64 s[30:31], s[30:31], s[34:35]
	s_cmp_lt_i32 s9, 1
	s_mov_b64 s[36:37], 0
	s_cbranch_scc0 .LBB2_158
.LBB2_163:
                                        ; implicit-def: $sgpr34_sgpr35
	s_mov_b64 s[38:39], 0
	s_cbranch_execnz .LBB2_167
	s_branch .LBB2_168
.LBB2_164:
	s_mov_b64 s[38:39], 0
                                        ; implicit-def: $sgpr34_sgpr35
	s_cbranch_execz .LBB2_166
; %bb.165:
	s_and_b32 s40, s10, 0xff
	s_waitcnt vmcnt(0)
	v_cmp_gt_u16_sdwa s[40:41], v2, s40 src0_sel:BYTE_0 src1_sel:DWORD
	s_andn2_b64 s[34:35], s[34:35], exec
	s_and_b64 s[40:41], s[40:41], exec
	s_or_b64 s[34:35], s[34:35], s[40:41]
.LBB2_166:
	s_branch .LBB2_168
.LBB2_167:
	s_cmp_lg_u32 s9, 0
	s_mov_b64 s[36:37], -1
	s_cselect_b64 s[38:39], -1, 0
.LBB2_168:
	s_andn2_b64 vcc, exec, s[38:39]
	s_cbranch_vccz .LBB2_174
; %bb.169:
	s_andn2_b64 vcc, exec, s[36:37]
	s_cbranch_vccz .LBB2_175
.LBB2_170:
	s_cmp_lt_i32 s9, 1
	s_mov_b64 s[38:39], 0
	s_cbranch_scc1 .LBB2_176
.LBB2_171:
	s_cmp_gt_i32 s9, 1
	s_cbranch_scc0 .LBB2_177
; %bb.172:
	s_cmp_eq_u32 s9, 2
	s_cbranch_scc0 .LBB2_263
; %bb.173:
	s_waitcnt vmcnt(0)
	v_lshrrev_b32_e32 v3, 8, v2
	s_and_b32 s36, s10, 0xff
	v_cmp_le_u16_sdwa s[36:37], v3, s36 src0_sel:BYTE_0 src1_sel:DWORD
	s_mov_b64 s[40:41], 0
	s_branch .LBB2_179
.LBB2_174:
	s_and_b32 s36, s10, 0xff
	s_waitcnt vmcnt(0)
	v_cmp_lt_u16_sdwa s[38:39], v2, s36 src0_sel:BYTE_0 src1_sel:DWORD
	s_andn2_b64 s[34:35], s[34:35], exec
	s_and_b64 s[38:39], s[38:39], exec
	s_or_b64 s[34:35], s[34:35], s[38:39]
	s_cbranch_execnz .LBB2_170
.LBB2_175:
	s_and_b32 s36, s10, 0xff
	s_waitcnt vmcnt(0)
	v_cmp_ge_u16_sdwa s[36:37], v2, s36 src0_sel:BYTE_0 src1_sel:DWORD
	s_andn2_b64 s[34:35], s[34:35], exec
	s_and_b64 s[36:37], s[36:37], exec
	s_or_b64 s[34:35], s[34:35], s[36:37]
	s_cmp_lt_i32 s9, 1
	s_mov_b64 s[38:39], 0
	s_cbranch_scc0 .LBB2_171
.LBB2_176:
                                        ; implicit-def: $sgpr36_sgpr37
	s_mov_b64 s[40:41], 0
	s_cbranch_execnz .LBB2_180
	s_branch .LBB2_181
.LBB2_177:
	s_mov_b64 s[40:41], 0
                                        ; implicit-def: $sgpr36_sgpr37
	s_cbranch_execz .LBB2_179
; %bb.178:
	s_waitcnt vmcnt(0)
	v_lshrrev_b32_e32 v3, 8, v2
	s_and_b32 s42, s10, 0xff
	v_cmp_gt_u16_sdwa s[42:43], v3, s42 src0_sel:BYTE_0 src1_sel:DWORD
	s_andn2_b64 s[36:37], s[36:37], exec
	s_and_b64 s[42:43], s[42:43], exec
	s_or_b64 s[36:37], s[36:37], s[42:43]
.LBB2_179:
	s_branch .LBB2_181
.LBB2_180:
	s_cmp_lg_u32 s9, 0
	s_mov_b64 s[38:39], -1
	s_cselect_b64 s[40:41], -1, 0
.LBB2_181:
	s_andn2_b64 vcc, exec, s[40:41]
	s_waitcnt vmcnt(0)
	v_lshrrev_b32_e32 v3, 8, v2
	s_cbranch_vccz .LBB2_187
; %bb.182:
	s_andn2_b64 vcc, exec, s[38:39]
	s_cbranch_vccz .LBB2_188
.LBB2_183:
	s_cmp_lt_i32 s9, 1
	s_mov_b64 s[40:41], 0
	s_cbranch_scc1 .LBB2_189
.LBB2_184:
	s_cmp_gt_i32 s9, 1
	s_cbranch_scc0 .LBB2_190
; %bb.185:
	s_cmp_eq_u32 s9, 2
	s_cbranch_scc0 .LBB2_264
; %bb.186:
	s_movk_i32 s38, 0xff
	v_and_b32_sdwa v3, v2, s38 dst_sel:DWORD dst_unused:UNUSED_PAD src0_sel:WORD_1 src1_sel:DWORD
	s_and_b32 s38, s10, 0xff
	v_cmp_ge_u16_e64 s[38:39], s38, v3
	s_mov_b64 s[42:43], 0
	s_branch .LBB2_192
.LBB2_187:
	s_and_b32 s38, s10, 0xff
	v_cmp_lt_u16_sdwa s[40:41], v3, s38 src0_sel:BYTE_0 src1_sel:DWORD
	s_andn2_b64 s[36:37], s[36:37], exec
	s_and_b64 s[40:41], s[40:41], exec
	s_or_b64 s[36:37], s[36:37], s[40:41]
	s_cbranch_execnz .LBB2_183
.LBB2_188:
	s_and_b32 s38, s10, 0xff
	v_cmp_ge_u16_sdwa s[38:39], v3, s38 src0_sel:BYTE_0 src1_sel:DWORD
	s_andn2_b64 s[36:37], s[36:37], exec
	s_and_b64 s[38:39], s[38:39], exec
	s_or_b64 s[36:37], s[36:37], s[38:39]
	s_cmp_lt_i32 s9, 1
	s_mov_b64 s[40:41], 0
	s_cbranch_scc0 .LBB2_184
.LBB2_189:
                                        ; implicit-def: $sgpr38_sgpr39
	s_mov_b64 s[42:43], 0
	s_cbranch_execnz .LBB2_193
	s_branch .LBB2_194
.LBB2_190:
	s_mov_b64 s[42:43], 0
                                        ; implicit-def: $sgpr38_sgpr39
	s_cbranch_execz .LBB2_192
; %bb.191:
	s_movk_i32 s44, 0xff
	v_and_b32_sdwa v3, v2, s44 dst_sel:DWORD dst_unused:UNUSED_PAD src0_sel:WORD_1 src1_sel:DWORD
	s_and_b32 s44, s10, 0xff
	v_cmp_lt_u16_e32 vcc, s44, v3
	s_andn2_b64 s[38:39], s[38:39], exec
	s_and_b64 s[44:45], vcc, exec
	s_or_b64 s[38:39], s[38:39], s[44:45]
.LBB2_192:
	s_branch .LBB2_194
.LBB2_193:
	s_cmp_lg_u32 s9, 0
	s_mov_b64 s[40:41], -1
	s_cselect_b64 s[42:43], -1, 0
.LBB2_194:
	s_andn2_b64 vcc, exec, s[42:43]
	s_cbranch_vccz .LBB2_200
; %bb.195:
	s_andn2_b64 vcc, exec, s[40:41]
	s_cbranch_vccz .LBB2_201
.LBB2_196:
	s_cmp_lt_i32 s9, 1
	s_mov_b64 s[42:43], 0
	s_cbranch_scc1 .LBB2_202
.LBB2_197:
	s_cmp_gt_i32 s9, 1
	s_cbranch_scc0 .LBB2_203
; %bb.198:
	s_cmp_eq_u32 s9, 2
	s_cbranch_scc0 .LBB2_265
; %bb.199:
	s_and_b32 s40, s10, 0xff
	v_cmp_le_u16_sdwa s[40:41], v2, s40 src0_sel:BYTE_3 src1_sel:DWORD
	s_mov_b64 s[44:45], 0
	s_branch .LBB2_205
.LBB2_200:
	s_movk_i32 s40, 0xff
	v_and_b32_sdwa v3, v2, s40 dst_sel:DWORD dst_unused:UNUSED_PAD src0_sel:WORD_1 src1_sel:DWORD
	s_and_b32 s40, s10, 0xff
	v_cmp_gt_u16_e32 vcc, s40, v3
	s_andn2_b64 s[38:39], s[38:39], exec
	s_and_b64 s[42:43], vcc, exec
	s_or_b64 s[38:39], s[38:39], s[42:43]
	s_cbranch_execnz .LBB2_196
.LBB2_201:
	s_movk_i32 s40, 0xff
	v_and_b32_sdwa v3, v2, s40 dst_sel:DWORD dst_unused:UNUSED_PAD src0_sel:WORD_1 src1_sel:DWORD
	s_and_b32 s40, s10, 0xff
	v_cmp_le_u16_e32 vcc, s40, v3
	s_andn2_b64 s[38:39], s[38:39], exec
	s_and_b64 s[40:41], vcc, exec
	s_or_b64 s[38:39], s[38:39], s[40:41]
	s_cmp_lt_i32 s9, 1
	s_mov_b64 s[42:43], 0
	s_cbranch_scc0 .LBB2_197
.LBB2_202:
                                        ; implicit-def: $sgpr40_sgpr41
	s_mov_b64 s[44:45], 0
	s_cbranch_execnz .LBB2_206
	s_branch .LBB2_207
.LBB2_203:
	s_mov_b64 s[44:45], 0
                                        ; implicit-def: $sgpr40_sgpr41
	s_cbranch_execz .LBB2_205
; %bb.204:
	s_and_b32 s46, s10, 0xff
	v_cmp_gt_u16_sdwa s[46:47], v2, s46 src0_sel:BYTE_3 src1_sel:DWORD
	s_andn2_b64 s[40:41], s[40:41], exec
	s_and_b64 s[46:47], s[46:47], exec
	s_or_b64 s[40:41], s[40:41], s[46:47]
.LBB2_205:
	s_branch .LBB2_207
.LBB2_206:
	s_cmp_lg_u32 s9, 0
	s_mov_b64 s[42:43], -1
	s_cselect_b64 s[44:45], -1, 0
.LBB2_207:
	s_andn2_b64 vcc, exec, s[44:45]
	s_cbranch_vccz .LBB2_249
; %bb.208:
	s_andn2_b64 vcc, exec, s[42:43]
	s_cbranch_vccnz .LBB2_210
.LBB2_209:
	s_and_b32 s42, s10, 0xff
	v_cmp_ge_u16_sdwa s[42:43], v2, s42 src0_sel:BYTE_3 src1_sel:DWORD
	s_andn2_b64 s[40:41], s[40:41], exec
	s_and_b64 s[42:43], s[42:43], exec
	s_or_b64 s[40:41], s[40:41], s[42:43]
.LBB2_210:
	v_cndmask_b32_e64 v2, 0, 1, s[2:3]
	v_lshlrev_b16_e32 v2, 8, v2
	v_cndmask_b32_e64 v3, 0, 1, s[0:1]
	v_or_b32_e32 v2, v3, v2
	v_cndmask_b32_e64 v3, 0, 1, s[6:7]
	v_lshlrev_b16_e32 v3, 8, v3
	v_cndmask_b32_e64 v4, 0, 1, s[4:5]
	v_or_b32_sdwa v3, v4, v3 dst_sel:WORD_1 dst_unused:UNUSED_PAD src0_sel:DWORD src1_sel:DWORD
	v_or_b32_sdwa v2, v2, v3 dst_sel:DWORD dst_unused:UNUSED_PAD src0_sel:WORD_0 src1_sel:DWORD
	v_cndmask_b32_e64 v3, 0, 1, s[18:19]
	v_lshlrev_b16_e32 v3, 8, v3
	v_cndmask_b32_e64 v4, 0, 1, s[16:17]
	v_or_b32_e32 v3, v4, v3
	v_cndmask_b32_e64 v4, 0, 1, s[22:23]
	v_lshlrev_b16_e32 v4, 8, v4
	v_cndmask_b32_e64 v5, 0, 1, s[20:21]
	v_or_b32_sdwa v4, v5, v4 dst_sel:WORD_1 dst_unused:UNUSED_PAD src0_sel:DWORD src1_sel:DWORD
	v_or_b32_sdwa v3, v3, v4 dst_sel:DWORD dst_unused:UNUSED_PAD src0_sel:WORD_0 src1_sel:DWORD
	;; [unrolled: 9-line block ×3, first 2 shown]
	v_cndmask_b32_e64 v5, 0, 1, s[36:37]
	v_lshlrev_b16_e32 v5, 8, v5
	v_cndmask_b32_e64 v6, 0, 1, s[34:35]
	v_or_b32_e32 v5, v6, v5
	v_cndmask_b32_e64 v6, 0, 1, s[40:41]
	v_lshlrev_b16_e32 v6, 8, v6
	v_cndmask_b32_e64 v7, 0, 1, s[38:39]
	s_add_u32 s0, s12, s11
	v_or_b32_sdwa v6, v7, v6 dst_sel:WORD_1 dst_unused:UNUSED_PAD src0_sel:DWORD src1_sel:DWORD
	s_addc_u32 s1, s13, s33
	v_or_b32_sdwa v5, v5, v6 dst_sel:DWORD dst_unused:UNUSED_PAD src0_sel:WORD_0 src1_sel:DWORD
	global_store_dword v1, v2, s[0:1]
	global_store_dword v1, v3, s[0:1] offset:1024
	global_store_dword v1, v4, s[0:1] offset:2048
	;; [unrolled: 1-line block ×3, first 2 shown]
	s_mov_b64 s[0:1], 0
.LBB2_211:
	s_and_b64 vcc, exec, s[0:1]
	s_cbranch_vccz .LBB2_519
; %bb.212:
	v_cmp_gt_i32_e64 s[0:1], s8, v0
	v_mov_b32_e32 v4, 0
	v_or_b32_e32 v3, s11, v0
	v_mov_b32_e32 v5, 0
	v_mov_b32_e32 v6, 0
	;; [unrolled: 1-line block ×16, first 2 shown]
	s_and_saveexec_b64 s[2:3], s[0:1]
	s_cbranch_execz .LBB2_244
; %bb.213:
	global_load_ubyte v10, v3, s[14:15]
	v_or_b32_e32 v1, 0x100, v0
	v_cmp_gt_u32_e32 vcc, s8, v1
	v_mov_b32_e32 v21, 0
	v_mov_b32_e32 v20, 0
	;; [unrolled: 1-line block ×15, first 2 shown]
	s_and_saveexec_b64 s[4:5], vcc
	s_cbranch_execz .LBB2_243
; %bb.214:
	v_add_u32_e32 v1, s11, v0
	global_load_ubyte v21, v1, s[14:15] offset:256
	v_or_b32_e32 v2, 0x200, v0
	v_mov_b32_e32 v20, 0
	v_cmp_gt_u32_e32 vcc, s8, v2
	v_mov_b32_e32 v19, 0
	v_mov_b32_e32 v18, 0
	;; [unrolled: 1-line block ×13, first 2 shown]
	s_and_saveexec_b64 s[6:7], vcc
	s_cbranch_execz .LBB2_242
; %bb.215:
	v_mov_b32_e32 v2, s15
	v_add_co_u32_e32 v1, vcc, s14, v1
	v_addc_co_u32_e32 v2, vcc, 0, v2, vcc
	global_load_ubyte v20, v[1:2], off offset:512
	v_or_b32_e32 v5, 0x300, v0
	v_cmp_gt_u32_e32 vcc, s8, v5
	v_mov_b32_e32 v19, 0
	v_mov_b32_e32 v18, 0
	;; [unrolled: 1-line block ×13, first 2 shown]
	s_and_saveexec_b64 s[14:15], vcc
	s_cbranch_execz .LBB2_241
; %bb.216:
	global_load_ubyte v19, v[1:2], off offset:768
	v_or_b32_e32 v5, 0x400, v0
	v_cmp_gt_u32_e32 vcc, s8, v5
	v_mov_b32_e32 v18, 0
	v_mov_b32_e32 v17, 0
	;; [unrolled: 1-line block ×12, first 2 shown]
	s_and_saveexec_b64 s[16:17], vcc
	s_cbranch_execz .LBB2_240
; %bb.217:
	global_load_ubyte v18, v[1:2], off offset:1024
	v_or_b32_e32 v5, 0x500, v0
	v_cmp_gt_u32_e32 vcc, s8, v5
	v_mov_b32_e32 v17, 0
	v_mov_b32_e32 v16, 0
	;; [unrolled: 1-line block ×11, first 2 shown]
	s_and_saveexec_b64 s[18:19], vcc
	s_cbranch_execz .LBB2_239
; %bb.218:
	global_load_ubyte v17, v[1:2], off offset:1280
	v_or_b32_e32 v5, 0x600, v0
	v_cmp_gt_u32_e32 vcc, s8, v5
	v_mov_b32_e32 v16, 0
	v_mov_b32_e32 v15, 0
	v_mov_b32_e32 v14, 0
	v_mov_b32_e32 v13, 0
	v_mov_b32_e32 v12, 0
	v_mov_b32_e32 v11, 0
	v_mov_b32_e32 v9, 0
	v_mov_b32_e32 v7, 0
	v_mov_b32_e32 v6, 0
	v_mov_b32_e32 v5, 0
	s_and_saveexec_b64 s[20:21], vcc
	s_cbranch_execz .LBB2_238
; %bb.219:
	global_load_ubyte v16, v[1:2], off offset:1536
	v_or_b32_e32 v5, 0x700, v0
	v_cmp_gt_u32_e32 vcc, s8, v5
	v_mov_b32_e32 v15, 0
	v_mov_b32_e32 v14, 0
	;; [unrolled: 1-line block ×9, first 2 shown]
	s_and_saveexec_b64 s[22:23], vcc
	s_cbranch_execz .LBB2_237
; %bb.220:
	global_load_ubyte v15, v[1:2], off offset:1792
	v_or_b32_e32 v5, 0x800, v0
	v_cmp_gt_u32_e32 vcc, s8, v5
	v_mov_b32_e32 v14, 0
	v_mov_b32_e32 v13, 0
	;; [unrolled: 1-line block ×8, first 2 shown]
	s_and_saveexec_b64 s[24:25], vcc
	s_cbranch_execz .LBB2_236
; %bb.221:
	global_load_ubyte v14, v[1:2], off offset:2048
	v_or_b32_e32 v5, 0x900, v0
	v_cmp_gt_u32_e32 vcc, s8, v5
	v_mov_b32_e32 v13, 0
	v_mov_b32_e32 v12, 0
	;; [unrolled: 1-line block ×7, first 2 shown]
	s_and_saveexec_b64 s[26:27], vcc
	s_cbranch_execz .LBB2_235
; %bb.222:
	global_load_ubyte v13, v[1:2], off offset:2304
	v_or_b32_e32 v5, 0xa00, v0
	v_cmp_gt_u32_e32 vcc, s8, v5
	v_mov_b32_e32 v12, 0
	v_mov_b32_e32 v11, 0
	;; [unrolled: 1-line block ×6, first 2 shown]
	s_and_saveexec_b64 s[28:29], vcc
	s_cbranch_execz .LBB2_234
; %bb.223:
	global_load_ubyte v12, v[1:2], off offset:2560
	v_or_b32_e32 v5, 0xb00, v0
	v_cmp_gt_u32_e32 vcc, s8, v5
	v_mov_b32_e32 v11, 0
	v_mov_b32_e32 v9, 0
	;; [unrolled: 1-line block ×5, first 2 shown]
	s_and_saveexec_b64 s[30:31], vcc
	s_cbranch_execz .LBB2_233
; %bb.224:
	global_load_ubyte v11, v[1:2], off offset:2816
	v_or_b32_e32 v5, 0xc00, v0
	v_cmp_gt_u32_e32 vcc, s8, v5
	v_mov_b32_e32 v9, 0
	v_mov_b32_e32 v7, 0
	;; [unrolled: 1-line block ×4, first 2 shown]
	s_and_saveexec_b64 s[34:35], vcc
	s_cbranch_execz .LBB2_232
; %bb.225:
	global_load_ubyte v9, v[1:2], off offset:3072
	v_or_b32_e32 v5, 0xd00, v0
	v_cmp_gt_u32_e32 vcc, s8, v5
	v_mov_b32_e32 v7, 0
	v_mov_b32_e32 v6, 0
	;; [unrolled: 1-line block ×3, first 2 shown]
	s_and_saveexec_b64 s[36:37], vcc
	s_cbranch_execz .LBB2_231
; %bb.226:
	global_load_ubyte v7, v[1:2], off offset:3328
	v_or_b32_e32 v5, 0xe00, v0
	v_cmp_gt_u32_e32 vcc, s8, v5
	v_mov_b32_e32 v6, 0
	v_mov_b32_e32 v5, 0
	s_and_saveexec_b64 s[38:39], vcc
	s_cbranch_execz .LBB2_230
; %bb.227:
	global_load_ubyte v6, v[1:2], off offset:3584
	v_or_b32_e32 v5, 0xf00, v0
	v_cmp_gt_u32_e32 vcc, s8, v5
	v_mov_b32_e32 v5, 0
	s_and_saveexec_b64 s[40:41], vcc
	s_cbranch_execz .LBB2_229
; %bb.228:
	global_load_ubyte v5, v[1:2], off offset:3840
.LBB2_229:
	s_or_b64 exec, exec, s[40:41]
.LBB2_230:
	s_or_b64 exec, exec, s[38:39]
.LBB2_231:
	s_or_b64 exec, exec, s[36:37]
.LBB2_232:
	s_or_b64 exec, exec, s[34:35]
.LBB2_233:
	s_or_b64 exec, exec, s[30:31]
.LBB2_234:
	s_or_b64 exec, exec, s[28:29]
.LBB2_235:
	s_or_b64 exec, exec, s[26:27]
.LBB2_236:
	s_or_b64 exec, exec, s[24:25]
.LBB2_237:
	s_or_b64 exec, exec, s[22:23]
.LBB2_238:
	s_or_b64 exec, exec, s[20:21]
.LBB2_239:
	s_or_b64 exec, exec, s[18:19]
.LBB2_240:
	s_or_b64 exec, exec, s[16:17]
.LBB2_241:
	s_or_b64 exec, exec, s[14:15]
.LBB2_242:
	s_or_b64 exec, exec, s[6:7]
.LBB2_243:
	s_or_b64 exec, exec, s[4:5]
.LBB2_244:
	s_or_b64 exec, exec, s[2:3]
	v_mov_b32_e32 v8, v4
	v_mov_b32_e32 v2, v4
	;; [unrolled: 1-line block ×3, first 2 shown]
	s_and_saveexec_b64 s[2:3], s[0:1]
	s_cbranch_execz .LBB2_276
; %bb.245:
	s_cmp_lt_i32 s9, 1
	s_mov_b64 s[4:5], 0
	s_cbranch_scc1 .LBB2_250
; %bb.246:
	s_cmp_gt_i32 s9, 1
	s_cbranch_scc0 .LBB2_266
; %bb.247:
	s_cmp_eq_u32 s9, 2
	s_cbranch_scc0 .LBB2_267
; %bb.248:
	s_and_b32 s6, s10, 0xff
	s_waitcnt vmcnt(0)
	v_cmp_le_u16_sdwa s[6:7], v10, s6 src0_sel:BYTE_0 src1_sel:DWORD
	s_mov_b64 s[14:15], 0
	s_branch .LBB2_268
.LBB2_249:
	s_and_b32 s42, s10, 0xff
	v_cmp_lt_u16_sdwa s[44:45], v2, s42 src0_sel:BYTE_3 src1_sel:DWORD
	s_andn2_b64 s[40:41], s[40:41], exec
	s_and_b64 s[44:45], s[44:45], exec
	s_or_b64 s[40:41], s[40:41], s[44:45]
	s_cbranch_execz .LBB2_209
	s_branch .LBB2_210
.LBB2_250:
                                        ; implicit-def: $sgpr6_sgpr7
	s_mov_b64 s[14:15], 0
	s_cbranch_execnz .LBB2_271
	s_branch .LBB2_272
.LBB2_251:
	s_mov_b64 s[6:7], -1
                                        ; implicit-def: $sgpr2_sgpr3
	s_branch .LBB2_23
.LBB2_252:
	s_mov_b64 s[16:17], -1
                                        ; implicit-def: $sgpr4_sgpr5
	s_branch .LBB2_36
.LBB2_253:
	s_mov_b64 s[18:19], -1
                                        ; implicit-def: $sgpr6_sgpr7
	s_branch .LBB2_49
.LBB2_254:
	s_mov_b64 s[20:21], -1
                                        ; implicit-def: $sgpr16_sgpr17
	s_branch .LBB2_62
.LBB2_255:
	s_mov_b64 s[22:23], -1
                                        ; implicit-def: $sgpr18_sgpr19
	s_branch .LBB2_75
.LBB2_256:
	s_mov_b64 s[24:25], -1
                                        ; implicit-def: $sgpr20_sgpr21
	s_branch .LBB2_88
.LBB2_257:
	s_mov_b64 s[26:27], -1
                                        ; implicit-def: $sgpr22_sgpr23
	s_branch .LBB2_101
.LBB2_258:
	s_mov_b64 s[28:29], -1
                                        ; implicit-def: $sgpr24_sgpr25
	s_branch .LBB2_114
.LBB2_259:
	s_mov_b64 s[30:31], -1
                                        ; implicit-def: $sgpr26_sgpr27
	s_branch .LBB2_127
.LBB2_260:
	s_mov_b64 s[34:35], -1
                                        ; implicit-def: $sgpr28_sgpr29
	s_branch .LBB2_140
.LBB2_261:
	s_mov_b64 s[36:37], -1
                                        ; implicit-def: $sgpr30_sgpr31
	s_branch .LBB2_153
.LBB2_262:
	s_mov_b64 s[38:39], -1
                                        ; implicit-def: $sgpr34_sgpr35
	s_branch .LBB2_166
.LBB2_263:
	s_mov_b64 s[40:41], -1
                                        ; implicit-def: $sgpr36_sgpr37
	s_branch .LBB2_179
.LBB2_264:
	s_mov_b64 s[42:43], -1
                                        ; implicit-def: $sgpr38_sgpr39
	s_branch .LBB2_192
.LBB2_265:
	s_mov_b64 s[44:45], -1
                                        ; implicit-def: $sgpr40_sgpr41
	s_branch .LBB2_205
.LBB2_266:
	s_mov_b64 s[14:15], 0
                                        ; implicit-def: $sgpr6_sgpr7
	s_cbranch_execnz .LBB2_269
	s_branch .LBB2_270
.LBB2_267:
	s_mov_b64 s[14:15], -1
                                        ; implicit-def: $sgpr6_sgpr7
.LBB2_268:
	s_branch .LBB2_270
.LBB2_269:
	s_and_b32 s16, s10, 0xff
	s_waitcnt vmcnt(0)
	v_cmp_gt_u16_sdwa s[16:17], v10, s16 src0_sel:BYTE_0 src1_sel:DWORD
	s_andn2_b64 s[6:7], s[6:7], exec
	s_and_b64 s[16:17], s[16:17], exec
	s_or_b64 s[6:7], s[6:7], s[16:17]
.LBB2_270:
	s_branch .LBB2_272
.LBB2_271:
	s_cmp_lg_u32 s9, 0
	s_mov_b64 s[4:5], -1
	s_cselect_b64 s[14:15], -1, 0
.LBB2_272:
	s_andn2_b64 vcc, exec, s[14:15]
	s_cbranch_vccz .LBB2_281
; %bb.273:
	s_andn2_b64 vcc, exec, s[4:5]
	s_cbranch_vccnz .LBB2_275
.LBB2_274:
	s_and_b32 s4, s10, 0xff
	s_waitcnt vmcnt(0)
	v_cmp_ge_u16_sdwa s[4:5], v10, s4 src0_sel:BYTE_0 src1_sel:DWORD
	s_andn2_b64 s[6:7], s[6:7], exec
	s_and_b64 s[4:5], s[4:5], exec
	s_or_b64 s[6:7], s[6:7], s[4:5]
.LBB2_275:
	v_cndmask_b32_e64 v1, 0, 1, s[6:7]
	v_mov_b32_e32 v8, 0
	v_and_b32_e32 v4, 0xffff, v1
	v_mov_b32_e32 v2, v8
	v_mov_b32_e32 v1, v8
.LBB2_276:
	s_or_b64 exec, exec, s[2:3]
	s_waitcnt vmcnt(0)
	v_or_b32_e32 v10, 0x100, v0
	v_cmp_gt_i32_e32 vcc, s8, v10
	s_and_saveexec_b64 s[2:3], vcc
	s_cbranch_execz .LBB2_291
; %bb.277:
	s_cmp_lt_i32 s9, 1
	s_mov_b64 s[4:5], 0
	s_cbranch_scc1 .LBB2_282
; %bb.278:
	s_cmp_gt_i32 s9, 1
	s_cbranch_scc0 .LBB2_283
; %bb.279:
	s_cmp_eq_u32 s9, 2
	s_cbranch_scc0 .LBB2_535
; %bb.280:
	s_and_b32 s6, s10, 0xff
	v_cmp_le_u16_sdwa s[6:7], v21, s6 src0_sel:BYTE_0 src1_sel:DWORD
	s_mov_b64 s[14:15], 0
	s_branch .LBB2_285
.LBB2_281:
	s_and_b32 s4, s10, 0xff
	s_waitcnt vmcnt(0)
	v_cmp_lt_u16_sdwa s[14:15], v10, s4 src0_sel:BYTE_0 src1_sel:DWORD
	s_andn2_b64 s[6:7], s[6:7], exec
	s_and_b64 s[14:15], s[14:15], exec
	s_or_b64 s[6:7], s[6:7], s[14:15]
	s_cbranch_execz .LBB2_274
	s_branch .LBB2_275
.LBB2_282:
                                        ; implicit-def: $sgpr6_sgpr7
	s_mov_b64 s[14:15], 0
	s_cbranch_execnz .LBB2_286
	s_branch .LBB2_287
.LBB2_283:
	s_mov_b64 s[14:15], 0
                                        ; implicit-def: $sgpr6_sgpr7
	s_cbranch_execz .LBB2_285
; %bb.284:
	s_and_b32 s16, s10, 0xff
	v_cmp_gt_u16_sdwa s[16:17], v21, s16 src0_sel:BYTE_0 src1_sel:DWORD
	s_andn2_b64 s[6:7], s[6:7], exec
	s_and_b64 s[16:17], s[16:17], exec
	s_or_b64 s[6:7], s[6:7], s[16:17]
.LBB2_285:
	s_branch .LBB2_287
.LBB2_286:
	s_cmp_lg_u32 s9, 0
	s_mov_b64 s[4:5], -1
	s_cselect_b64 s[14:15], -1, 0
.LBB2_287:
	s_andn2_b64 vcc, exec, s[14:15]
	s_cbranch_vccz .LBB2_296
; %bb.288:
	s_andn2_b64 vcc, exec, s[4:5]
	s_cbranch_vccnz .LBB2_290
.LBB2_289:
	s_and_b32 s4, s10, 0xff
	v_cmp_ge_u16_sdwa s[4:5], v21, s4 src0_sel:BYTE_0 src1_sel:DWORD
	s_andn2_b64 s[6:7], s[6:7], exec
	s_and_b64 s[4:5], s[4:5], exec
	s_or_b64 s[6:7], s[6:7], s[4:5]
.LBB2_290:
	v_cndmask_b32_e64 v21, 0, 1, s[6:7]
	v_lshlrev_b16_e32 v21, 8, v21
	v_or_b32_sdwa v21, v4, v21 dst_sel:DWORD dst_unused:UNUSED_PAD src0_sel:BYTE_0 src1_sel:DWORD
	v_and_b32_e32 v21, 0xffff, v21
	s_mov_b32 s4, 0xffff0000
	v_and_or_b32 v4, v4, s4, v21
.LBB2_291:
	s_or_b64 exec, exec, s[2:3]
	v_or_b32_e32 v21, 0x200, v0
	v_cmp_gt_i32_e32 vcc, s8, v21
	s_and_saveexec_b64 s[2:3], vcc
	s_cbranch_execz .LBB2_306
; %bb.292:
	s_cmp_lt_i32 s9, 1
	s_mov_b64 s[4:5], 0
	s_cbranch_scc1 .LBB2_297
; %bb.293:
	s_cmp_gt_i32 s9, 1
	s_cbranch_scc0 .LBB2_298
; %bb.294:
	s_cmp_eq_u32 s9, 2
	s_cbranch_scc0 .LBB2_536
; %bb.295:
	s_and_b32 s6, s10, 0xff
	v_cmp_le_u16_sdwa s[6:7], v20, s6 src0_sel:BYTE_0 src1_sel:DWORD
	s_mov_b64 s[14:15], 0
	s_branch .LBB2_300
.LBB2_296:
	s_and_b32 s4, s10, 0xff
	v_cmp_lt_u16_sdwa s[14:15], v21, s4 src0_sel:BYTE_0 src1_sel:DWORD
	s_andn2_b64 s[6:7], s[6:7], exec
	s_and_b64 s[14:15], s[14:15], exec
	s_or_b64 s[6:7], s[6:7], s[14:15]
	s_cbranch_execz .LBB2_289
	s_branch .LBB2_290
.LBB2_297:
                                        ; implicit-def: $sgpr6_sgpr7
	s_mov_b64 s[14:15], 0
	s_cbranch_execnz .LBB2_301
	s_branch .LBB2_302
.LBB2_298:
	s_mov_b64 s[14:15], 0
                                        ; implicit-def: $sgpr6_sgpr7
	s_cbranch_execz .LBB2_300
; %bb.299:
	s_and_b32 s16, s10, 0xff
	v_cmp_gt_u16_sdwa s[16:17], v20, s16 src0_sel:BYTE_0 src1_sel:DWORD
	s_andn2_b64 s[6:7], s[6:7], exec
	s_and_b64 s[16:17], s[16:17], exec
	s_or_b64 s[6:7], s[6:7], s[16:17]
.LBB2_300:
	s_branch .LBB2_302
.LBB2_301:
	s_cmp_lg_u32 s9, 0
	s_mov_b64 s[4:5], -1
	s_cselect_b64 s[14:15], -1, 0
.LBB2_302:
	s_andn2_b64 vcc, exec, s[14:15]
	s_cbranch_vccz .LBB2_311
; %bb.303:
	s_andn2_b64 vcc, exec, s[4:5]
	s_cbranch_vccnz .LBB2_305
.LBB2_304:
	s_and_b32 s4, s10, 0xff
	v_cmp_ge_u16_sdwa s[4:5], v20, s4 src0_sel:BYTE_0 src1_sel:DWORD
	s_andn2_b64 s[6:7], s[6:7], exec
	s_and_b64 s[4:5], s[4:5], exec
	s_or_b64 s[6:7], s[6:7], s[4:5]
.LBB2_305:
	s_movk_i32 s4, 0xff00
	v_and_b32_sdwa v20, v4, s4 dst_sel:DWORD dst_unused:UNUSED_PAD src0_sel:WORD_1 src1_sel:DWORD
	v_cndmask_b32_e64 v21, 0, 1, s[6:7]
	v_or_b32_sdwa v20, v21, v20 dst_sel:WORD_1 dst_unused:UNUSED_PAD src0_sel:DWORD src1_sel:DWORD
	s_mov_b32 s4, 0xffff
	v_and_or_b32 v4, v4, s4, v20
.LBB2_306:
	s_or_b64 exec, exec, s[2:3]
	v_or_b32_e32 v20, 0x300, v0
	v_cmp_gt_i32_e32 vcc, s8, v20
	s_and_saveexec_b64 s[2:3], vcc
	s_cbranch_execz .LBB2_321
; %bb.307:
	s_cmp_lt_i32 s9, 1
	s_mov_b64 s[4:5], 0
	s_cbranch_scc1 .LBB2_312
; %bb.308:
	s_cmp_gt_i32 s9, 1
	s_cbranch_scc0 .LBB2_313
; %bb.309:
	s_cmp_eq_u32 s9, 2
	s_cbranch_scc0 .LBB2_537
; %bb.310:
	s_and_b32 s6, s10, 0xff
	v_cmp_le_u16_sdwa s[6:7], v19, s6 src0_sel:BYTE_0 src1_sel:DWORD
	s_mov_b64 s[14:15], 0
	s_branch .LBB2_315
.LBB2_311:
	s_and_b32 s4, s10, 0xff
	v_cmp_lt_u16_sdwa s[14:15], v20, s4 src0_sel:BYTE_0 src1_sel:DWORD
	s_andn2_b64 s[6:7], s[6:7], exec
	s_and_b64 s[14:15], s[14:15], exec
	s_or_b64 s[6:7], s[6:7], s[14:15]
	s_cbranch_execz .LBB2_304
	s_branch .LBB2_305
.LBB2_312:
                                        ; implicit-def: $sgpr6_sgpr7
	s_mov_b64 s[14:15], 0
	s_cbranch_execnz .LBB2_316
	s_branch .LBB2_317
.LBB2_313:
	s_mov_b64 s[14:15], 0
                                        ; implicit-def: $sgpr6_sgpr7
	s_cbranch_execz .LBB2_315
; %bb.314:
	s_and_b32 s16, s10, 0xff
	v_cmp_gt_u16_sdwa s[16:17], v19, s16 src0_sel:BYTE_0 src1_sel:DWORD
	s_andn2_b64 s[6:7], s[6:7], exec
	s_and_b64 s[16:17], s[16:17], exec
	s_or_b64 s[6:7], s[6:7], s[16:17]
.LBB2_315:
	s_branch .LBB2_317
.LBB2_316:
	s_cmp_lg_u32 s9, 0
	s_mov_b64 s[4:5], -1
	s_cselect_b64 s[14:15], -1, 0
.LBB2_317:
	s_andn2_b64 vcc, exec, s[14:15]
	s_cbranch_vccz .LBB2_326
; %bb.318:
	s_andn2_b64 vcc, exec, s[4:5]
	s_cbranch_vccnz .LBB2_320
.LBB2_319:
	s_and_b32 s4, s10, 0xff
	v_cmp_ge_u16_sdwa s[4:5], v19, s4 src0_sel:BYTE_0 src1_sel:DWORD
	s_andn2_b64 s[6:7], s[6:7], exec
	s_and_b64 s[4:5], s[4:5], exec
	s_or_b64 s[6:7], s[6:7], s[4:5]
.LBB2_320:
	s_movk_i32 s4, 0xff
	v_cndmask_b32_e64 v20, 0, 1, s[6:7]
	v_and_b32_sdwa v19, v4, s4 dst_sel:DWORD dst_unused:UNUSED_PAD src0_sel:WORD_1 src1_sel:DWORD
	v_lshlrev_b16_e32 v20, 8, v20
	v_or_b32_sdwa v19, v19, v20 dst_sel:WORD_1 dst_unused:UNUSED_PAD src0_sel:DWORD src1_sel:DWORD
	s_mov_b32 s4, 0xffff
	v_and_or_b32 v4, v4, s4, v19
.LBB2_321:
	s_or_b64 exec, exec, s[2:3]
	v_or_b32_e32 v19, 0x400, v0
	v_cmp_gt_i32_e32 vcc, s8, v19
	s_and_saveexec_b64 s[2:3], vcc
	s_cbranch_execz .LBB2_336
; %bb.322:
	s_cmp_lt_i32 s9, 1
	s_mov_b64 s[4:5], 0
	s_cbranch_scc1 .LBB2_327
; %bb.323:
	s_cmp_gt_i32 s9, 1
	s_cbranch_scc0 .LBB2_328
; %bb.324:
	s_cmp_eq_u32 s9, 2
	s_cbranch_scc0 .LBB2_538
; %bb.325:
	s_and_b32 s6, s10, 0xff
	v_cmp_le_u16_sdwa s[6:7], v18, s6 src0_sel:BYTE_0 src1_sel:DWORD
	s_mov_b64 s[14:15], 0
	s_branch .LBB2_330
.LBB2_326:
	s_and_b32 s4, s10, 0xff
	v_cmp_lt_u16_sdwa s[14:15], v19, s4 src0_sel:BYTE_0 src1_sel:DWORD
	s_andn2_b64 s[6:7], s[6:7], exec
	s_and_b64 s[14:15], s[14:15], exec
	s_or_b64 s[6:7], s[6:7], s[14:15]
	s_cbranch_execz .LBB2_319
	s_branch .LBB2_320
.LBB2_327:
                                        ; implicit-def: $sgpr6_sgpr7
	s_mov_b64 s[14:15], 0
	s_cbranch_execnz .LBB2_331
	s_branch .LBB2_332
.LBB2_328:
	s_mov_b64 s[14:15], 0
                                        ; implicit-def: $sgpr6_sgpr7
	s_cbranch_execz .LBB2_330
; %bb.329:
	s_and_b32 s16, s10, 0xff
	v_cmp_gt_u16_sdwa s[16:17], v18, s16 src0_sel:BYTE_0 src1_sel:DWORD
	s_andn2_b64 s[6:7], s[6:7], exec
	s_and_b64 s[16:17], s[16:17], exec
	s_or_b64 s[6:7], s[6:7], s[16:17]
.LBB2_330:
	s_branch .LBB2_332
.LBB2_331:
	s_cmp_lg_u32 s9, 0
	s_mov_b64 s[4:5], -1
	s_cselect_b64 s[14:15], -1, 0
.LBB2_332:
	s_andn2_b64 vcc, exec, s[14:15]
	s_cbranch_vccz .LBB2_341
; %bb.333:
	s_andn2_b64 vcc, exec, s[4:5]
	s_cbranch_vccnz .LBB2_335
.LBB2_334:
	s_and_b32 s4, s10, 0xff
	v_cmp_ge_u16_sdwa s[4:5], v18, s4 src0_sel:BYTE_0 src1_sel:DWORD
	s_andn2_b64 s[6:7], s[6:7], exec
	s_and_b64 s[4:5], s[4:5], exec
	s_or_b64 s[6:7], s[6:7], s[4:5]
.LBB2_335:
	v_and_b32_e32 v18, 0xffffff00, v8
	v_cndmask_b32_e64 v19, 0, 1, s[6:7]
	v_or_b32_e32 v18, v19, v18
	v_and_b32_e32 v18, 0xffff, v18
	s_mov_b32 s4, 0xffff0000
	v_and_or_b32 v8, v8, s4, v18
.LBB2_336:
	s_or_b64 exec, exec, s[2:3]
	v_or_b32_e32 v18, 0x500, v0
	v_cmp_gt_i32_e32 vcc, s8, v18
	s_and_saveexec_b64 s[2:3], vcc
	s_cbranch_execz .LBB2_351
; %bb.337:
	s_cmp_lt_i32 s9, 1
	s_mov_b64 s[4:5], 0
	s_cbranch_scc1 .LBB2_342
; %bb.338:
	s_cmp_gt_i32 s9, 1
	s_cbranch_scc0 .LBB2_343
; %bb.339:
	s_cmp_eq_u32 s9, 2
	s_cbranch_scc0 .LBB2_539
; %bb.340:
	s_and_b32 s6, s10, 0xff
	v_cmp_le_u16_sdwa s[6:7], v17, s6 src0_sel:BYTE_0 src1_sel:DWORD
	s_mov_b64 s[14:15], 0
	s_branch .LBB2_345
.LBB2_341:
	s_and_b32 s4, s10, 0xff
	v_cmp_lt_u16_sdwa s[14:15], v18, s4 src0_sel:BYTE_0 src1_sel:DWORD
	s_andn2_b64 s[6:7], s[6:7], exec
	s_and_b64 s[14:15], s[14:15], exec
	s_or_b64 s[6:7], s[6:7], s[14:15]
	s_cbranch_execz .LBB2_334
	s_branch .LBB2_335
.LBB2_342:
                                        ; implicit-def: $sgpr6_sgpr7
	s_mov_b64 s[14:15], 0
	s_cbranch_execnz .LBB2_346
	s_branch .LBB2_347
.LBB2_343:
	s_mov_b64 s[14:15], 0
                                        ; implicit-def: $sgpr6_sgpr7
	s_cbranch_execz .LBB2_345
; %bb.344:
	s_and_b32 s16, s10, 0xff
	v_cmp_gt_u16_sdwa s[16:17], v17, s16 src0_sel:BYTE_0 src1_sel:DWORD
	s_andn2_b64 s[6:7], s[6:7], exec
	s_and_b64 s[16:17], s[16:17], exec
	s_or_b64 s[6:7], s[6:7], s[16:17]
.LBB2_345:
	s_branch .LBB2_347
.LBB2_346:
	s_cmp_lg_u32 s9, 0
	s_mov_b64 s[4:5], -1
	s_cselect_b64 s[14:15], -1, 0
.LBB2_347:
	s_andn2_b64 vcc, exec, s[14:15]
	s_cbranch_vccz .LBB2_356
; %bb.348:
	s_andn2_b64 vcc, exec, s[4:5]
	s_cbranch_vccnz .LBB2_350
.LBB2_349:
	s_and_b32 s4, s10, 0xff
	v_cmp_ge_u16_sdwa s[4:5], v17, s4 src0_sel:BYTE_0 src1_sel:DWORD
	s_andn2_b64 s[6:7], s[6:7], exec
	s_and_b64 s[4:5], s[4:5], exec
	s_or_b64 s[6:7], s[6:7], s[4:5]
.LBB2_350:
	v_cndmask_b32_e64 v17, 0, 1, s[6:7]
	v_lshlrev_b16_e32 v17, 8, v17
	v_or_b32_sdwa v17, v8, v17 dst_sel:DWORD dst_unused:UNUSED_PAD src0_sel:BYTE_0 src1_sel:DWORD
	v_and_b32_e32 v17, 0xffff, v17
	s_mov_b32 s4, 0xffff0000
	v_and_or_b32 v8, v8, s4, v17
.LBB2_351:
	s_or_b64 exec, exec, s[2:3]
	v_or_b32_e32 v17, 0x600, v0
	v_cmp_gt_i32_e32 vcc, s8, v17
	s_and_saveexec_b64 s[2:3], vcc
	s_cbranch_execz .LBB2_366
; %bb.352:
	s_cmp_lt_i32 s9, 1
	s_mov_b64 s[4:5], 0
	s_cbranch_scc1 .LBB2_357
; %bb.353:
	s_cmp_gt_i32 s9, 1
	s_cbranch_scc0 .LBB2_358
; %bb.354:
	s_cmp_eq_u32 s9, 2
	s_cbranch_scc0 .LBB2_540
; %bb.355:
	s_and_b32 s6, s10, 0xff
	v_cmp_le_u16_sdwa s[6:7], v16, s6 src0_sel:BYTE_0 src1_sel:DWORD
	s_mov_b64 s[14:15], 0
	s_branch .LBB2_360
.LBB2_356:
	s_and_b32 s4, s10, 0xff
	v_cmp_lt_u16_sdwa s[14:15], v17, s4 src0_sel:BYTE_0 src1_sel:DWORD
	s_andn2_b64 s[6:7], s[6:7], exec
	s_and_b64 s[14:15], s[14:15], exec
	s_or_b64 s[6:7], s[6:7], s[14:15]
	s_cbranch_execz .LBB2_349
	s_branch .LBB2_350
.LBB2_357:
                                        ; implicit-def: $sgpr6_sgpr7
	s_mov_b64 s[14:15], 0
	s_cbranch_execnz .LBB2_361
	s_branch .LBB2_362
.LBB2_358:
	s_mov_b64 s[14:15], 0
                                        ; implicit-def: $sgpr6_sgpr7
	s_cbranch_execz .LBB2_360
; %bb.359:
	s_and_b32 s16, s10, 0xff
	v_cmp_gt_u16_sdwa s[16:17], v16, s16 src0_sel:BYTE_0 src1_sel:DWORD
	s_andn2_b64 s[6:7], s[6:7], exec
	s_and_b64 s[16:17], s[16:17], exec
	s_or_b64 s[6:7], s[6:7], s[16:17]
.LBB2_360:
	s_branch .LBB2_362
.LBB2_361:
	s_cmp_lg_u32 s9, 0
	s_mov_b64 s[4:5], -1
	s_cselect_b64 s[14:15], -1, 0
.LBB2_362:
	s_andn2_b64 vcc, exec, s[14:15]
	s_cbranch_vccz .LBB2_371
; %bb.363:
	s_andn2_b64 vcc, exec, s[4:5]
	s_cbranch_vccnz .LBB2_365
.LBB2_364:
	s_and_b32 s4, s10, 0xff
	v_cmp_ge_u16_sdwa s[4:5], v16, s4 src0_sel:BYTE_0 src1_sel:DWORD
	s_andn2_b64 s[6:7], s[6:7], exec
	s_and_b64 s[4:5], s[4:5], exec
	s_or_b64 s[6:7], s[6:7], s[4:5]
.LBB2_365:
	s_movk_i32 s4, 0xff00
	v_and_b32_sdwa v16, v8, s4 dst_sel:DWORD dst_unused:UNUSED_PAD src0_sel:WORD_1 src1_sel:DWORD
	v_cndmask_b32_e64 v17, 0, 1, s[6:7]
	v_or_b32_sdwa v16, v17, v16 dst_sel:WORD_1 dst_unused:UNUSED_PAD src0_sel:DWORD src1_sel:DWORD
	s_mov_b32 s4, 0xffff
	v_and_or_b32 v8, v8, s4, v16
.LBB2_366:
	s_or_b64 exec, exec, s[2:3]
	v_or_b32_e32 v16, 0x700, v0
	v_cmp_gt_i32_e32 vcc, s8, v16
	s_and_saveexec_b64 s[2:3], vcc
	s_cbranch_execz .LBB2_381
; %bb.367:
	s_cmp_lt_i32 s9, 1
	s_mov_b64 s[4:5], 0
	s_cbranch_scc1 .LBB2_372
; %bb.368:
	s_cmp_gt_i32 s9, 1
	s_cbranch_scc0 .LBB2_373
; %bb.369:
	s_cmp_eq_u32 s9, 2
	s_cbranch_scc0 .LBB2_541
; %bb.370:
	s_and_b32 s6, s10, 0xff
	v_cmp_le_u16_sdwa s[6:7], v15, s6 src0_sel:BYTE_0 src1_sel:DWORD
	s_mov_b64 s[14:15], 0
	s_branch .LBB2_375
.LBB2_371:
	s_and_b32 s4, s10, 0xff
	v_cmp_lt_u16_sdwa s[14:15], v16, s4 src0_sel:BYTE_0 src1_sel:DWORD
	s_andn2_b64 s[6:7], s[6:7], exec
	s_and_b64 s[14:15], s[14:15], exec
	s_or_b64 s[6:7], s[6:7], s[14:15]
	s_cbranch_execz .LBB2_364
	s_branch .LBB2_365
.LBB2_372:
                                        ; implicit-def: $sgpr6_sgpr7
	s_mov_b64 s[14:15], 0
	s_cbranch_execnz .LBB2_376
	s_branch .LBB2_377
.LBB2_373:
	s_mov_b64 s[14:15], 0
                                        ; implicit-def: $sgpr6_sgpr7
	s_cbranch_execz .LBB2_375
; %bb.374:
	s_and_b32 s16, s10, 0xff
	v_cmp_gt_u16_sdwa s[16:17], v15, s16 src0_sel:BYTE_0 src1_sel:DWORD
	s_andn2_b64 s[6:7], s[6:7], exec
	s_and_b64 s[16:17], s[16:17], exec
	s_or_b64 s[6:7], s[6:7], s[16:17]
.LBB2_375:
	s_branch .LBB2_377
.LBB2_376:
	s_cmp_lg_u32 s9, 0
	s_mov_b64 s[4:5], -1
	s_cselect_b64 s[14:15], -1, 0
.LBB2_377:
	s_andn2_b64 vcc, exec, s[14:15]
	s_cbranch_vccz .LBB2_386
; %bb.378:
	s_andn2_b64 vcc, exec, s[4:5]
	s_cbranch_vccnz .LBB2_380
.LBB2_379:
	s_and_b32 s4, s10, 0xff
	v_cmp_ge_u16_sdwa s[4:5], v15, s4 src0_sel:BYTE_0 src1_sel:DWORD
	s_andn2_b64 s[6:7], s[6:7], exec
	s_and_b64 s[4:5], s[4:5], exec
	s_or_b64 s[6:7], s[6:7], s[4:5]
.LBB2_380:
	s_movk_i32 s4, 0xff
	v_cndmask_b32_e64 v16, 0, 1, s[6:7]
	v_and_b32_sdwa v15, v8, s4 dst_sel:DWORD dst_unused:UNUSED_PAD src0_sel:WORD_1 src1_sel:DWORD
	v_lshlrev_b16_e32 v16, 8, v16
	v_or_b32_sdwa v15, v15, v16 dst_sel:WORD_1 dst_unused:UNUSED_PAD src0_sel:DWORD src1_sel:DWORD
	s_mov_b32 s4, 0xffff
	v_and_or_b32 v8, v8, s4, v15
.LBB2_381:
	s_or_b64 exec, exec, s[2:3]
	v_or_b32_e32 v15, 0x800, v0
	v_cmp_gt_i32_e32 vcc, s8, v15
	s_and_saveexec_b64 s[2:3], vcc
	s_cbranch_execz .LBB2_396
; %bb.382:
	s_cmp_lt_i32 s9, 1
	s_mov_b64 s[4:5], 0
	s_cbranch_scc1 .LBB2_387
; %bb.383:
	s_cmp_gt_i32 s9, 1
	s_cbranch_scc0 .LBB2_388
; %bb.384:
	s_cmp_eq_u32 s9, 2
	s_cbranch_scc0 .LBB2_542
; %bb.385:
	s_and_b32 s6, s10, 0xff
	v_cmp_le_u16_sdwa s[6:7], v14, s6 src0_sel:BYTE_0 src1_sel:DWORD
	s_mov_b64 s[14:15], 0
	s_branch .LBB2_390
.LBB2_386:
	s_and_b32 s4, s10, 0xff
	v_cmp_lt_u16_sdwa s[14:15], v15, s4 src0_sel:BYTE_0 src1_sel:DWORD
	s_andn2_b64 s[6:7], s[6:7], exec
	s_and_b64 s[14:15], s[14:15], exec
	s_or_b64 s[6:7], s[6:7], s[14:15]
	s_cbranch_execz .LBB2_379
	s_branch .LBB2_380
.LBB2_387:
                                        ; implicit-def: $sgpr6_sgpr7
	s_mov_b64 s[14:15], 0
	s_cbranch_execnz .LBB2_391
	s_branch .LBB2_392
.LBB2_388:
	s_mov_b64 s[14:15], 0
                                        ; implicit-def: $sgpr6_sgpr7
	s_cbranch_execz .LBB2_390
; %bb.389:
	s_and_b32 s16, s10, 0xff
	v_cmp_gt_u16_sdwa s[16:17], v14, s16 src0_sel:BYTE_0 src1_sel:DWORD
	s_andn2_b64 s[6:7], s[6:7], exec
	s_and_b64 s[16:17], s[16:17], exec
	s_or_b64 s[6:7], s[6:7], s[16:17]
.LBB2_390:
	s_branch .LBB2_392
.LBB2_391:
	s_cmp_lg_u32 s9, 0
	s_mov_b64 s[4:5], -1
	s_cselect_b64 s[14:15], -1, 0
.LBB2_392:
	s_andn2_b64 vcc, exec, s[14:15]
	s_cbranch_vccz .LBB2_401
; %bb.393:
	s_andn2_b64 vcc, exec, s[4:5]
	s_cbranch_vccnz .LBB2_395
.LBB2_394:
	s_and_b32 s4, s10, 0xff
	v_cmp_ge_u16_sdwa s[4:5], v14, s4 src0_sel:BYTE_0 src1_sel:DWORD
	s_andn2_b64 s[6:7], s[6:7], exec
	s_and_b64 s[4:5], s[4:5], exec
	s_or_b64 s[6:7], s[6:7], s[4:5]
.LBB2_395:
	v_and_b32_e32 v14, 0xffffff00, v2
	v_cndmask_b32_e64 v15, 0, 1, s[6:7]
	v_or_b32_e32 v14, v15, v14
	v_and_b32_e32 v14, 0xffff, v14
	s_mov_b32 s4, 0xffff0000
	v_and_or_b32 v2, v2, s4, v14
.LBB2_396:
	s_or_b64 exec, exec, s[2:3]
	v_or_b32_e32 v14, 0x900, v0
	v_cmp_gt_i32_e32 vcc, s8, v14
	s_and_saveexec_b64 s[2:3], vcc
	s_cbranch_execz .LBB2_411
; %bb.397:
	s_cmp_lt_i32 s9, 1
	s_mov_b64 s[4:5], 0
	s_cbranch_scc1 .LBB2_402
; %bb.398:
	s_cmp_gt_i32 s9, 1
	s_cbranch_scc0 .LBB2_403
; %bb.399:
	s_cmp_eq_u32 s9, 2
	s_cbranch_scc0 .LBB2_543
; %bb.400:
	s_and_b32 s6, s10, 0xff
	v_cmp_le_u16_sdwa s[6:7], v13, s6 src0_sel:BYTE_0 src1_sel:DWORD
	s_mov_b64 s[14:15], 0
	s_branch .LBB2_405
.LBB2_401:
	s_and_b32 s4, s10, 0xff
	v_cmp_lt_u16_sdwa s[14:15], v14, s4 src0_sel:BYTE_0 src1_sel:DWORD
	s_andn2_b64 s[6:7], s[6:7], exec
	s_and_b64 s[14:15], s[14:15], exec
	s_or_b64 s[6:7], s[6:7], s[14:15]
	s_cbranch_execz .LBB2_394
	s_branch .LBB2_395
.LBB2_402:
                                        ; implicit-def: $sgpr6_sgpr7
	s_mov_b64 s[14:15], 0
	s_cbranch_execnz .LBB2_406
	s_branch .LBB2_407
.LBB2_403:
	s_mov_b64 s[14:15], 0
                                        ; implicit-def: $sgpr6_sgpr7
	s_cbranch_execz .LBB2_405
; %bb.404:
	s_and_b32 s16, s10, 0xff
	v_cmp_gt_u16_sdwa s[16:17], v13, s16 src0_sel:BYTE_0 src1_sel:DWORD
	s_andn2_b64 s[6:7], s[6:7], exec
	s_and_b64 s[16:17], s[16:17], exec
	s_or_b64 s[6:7], s[6:7], s[16:17]
.LBB2_405:
	s_branch .LBB2_407
.LBB2_406:
	s_cmp_lg_u32 s9, 0
	s_mov_b64 s[4:5], -1
	s_cselect_b64 s[14:15], -1, 0
.LBB2_407:
	s_andn2_b64 vcc, exec, s[14:15]
	s_cbranch_vccz .LBB2_416
; %bb.408:
	s_andn2_b64 vcc, exec, s[4:5]
	s_cbranch_vccnz .LBB2_410
.LBB2_409:
	s_and_b32 s4, s10, 0xff
	v_cmp_ge_u16_sdwa s[4:5], v13, s4 src0_sel:BYTE_0 src1_sel:DWORD
	s_andn2_b64 s[6:7], s[6:7], exec
	s_and_b64 s[4:5], s[4:5], exec
	s_or_b64 s[6:7], s[6:7], s[4:5]
.LBB2_410:
	v_cndmask_b32_e64 v13, 0, 1, s[6:7]
	v_lshlrev_b16_e32 v13, 8, v13
	v_or_b32_sdwa v13, v2, v13 dst_sel:DWORD dst_unused:UNUSED_PAD src0_sel:BYTE_0 src1_sel:DWORD
	v_and_b32_e32 v13, 0xffff, v13
	s_mov_b32 s4, 0xffff0000
	v_and_or_b32 v2, v2, s4, v13
.LBB2_411:
	s_or_b64 exec, exec, s[2:3]
	v_or_b32_e32 v13, 0xa00, v0
	v_cmp_gt_i32_e32 vcc, s8, v13
	s_and_saveexec_b64 s[2:3], vcc
	s_cbranch_execz .LBB2_426
; %bb.412:
	s_cmp_lt_i32 s9, 1
	s_mov_b64 s[4:5], 0
	s_cbranch_scc1 .LBB2_417
; %bb.413:
	s_cmp_gt_i32 s9, 1
	s_cbranch_scc0 .LBB2_418
; %bb.414:
	s_cmp_eq_u32 s9, 2
	s_cbranch_scc0 .LBB2_544
; %bb.415:
	s_and_b32 s6, s10, 0xff
	v_cmp_le_u16_sdwa s[6:7], v12, s6 src0_sel:BYTE_0 src1_sel:DWORD
	s_mov_b64 s[14:15], 0
	s_branch .LBB2_420
.LBB2_416:
	s_and_b32 s4, s10, 0xff
	v_cmp_lt_u16_sdwa s[14:15], v13, s4 src0_sel:BYTE_0 src1_sel:DWORD
	s_andn2_b64 s[6:7], s[6:7], exec
	s_and_b64 s[14:15], s[14:15], exec
	s_or_b64 s[6:7], s[6:7], s[14:15]
	s_cbranch_execz .LBB2_409
	s_branch .LBB2_410
.LBB2_417:
                                        ; implicit-def: $sgpr6_sgpr7
	s_mov_b64 s[14:15], 0
	s_cbranch_execnz .LBB2_421
	s_branch .LBB2_422
.LBB2_418:
	s_mov_b64 s[14:15], 0
                                        ; implicit-def: $sgpr6_sgpr7
	s_cbranch_execz .LBB2_420
; %bb.419:
	s_and_b32 s16, s10, 0xff
	v_cmp_gt_u16_sdwa s[16:17], v12, s16 src0_sel:BYTE_0 src1_sel:DWORD
	s_andn2_b64 s[6:7], s[6:7], exec
	s_and_b64 s[16:17], s[16:17], exec
	s_or_b64 s[6:7], s[6:7], s[16:17]
.LBB2_420:
	s_branch .LBB2_422
.LBB2_421:
	s_cmp_lg_u32 s9, 0
	s_mov_b64 s[4:5], -1
	s_cselect_b64 s[14:15], -1, 0
.LBB2_422:
	s_andn2_b64 vcc, exec, s[14:15]
	s_cbranch_vccz .LBB2_431
; %bb.423:
	s_andn2_b64 vcc, exec, s[4:5]
	s_cbranch_vccnz .LBB2_425
.LBB2_424:
	s_and_b32 s4, s10, 0xff
	v_cmp_ge_u16_sdwa s[4:5], v12, s4 src0_sel:BYTE_0 src1_sel:DWORD
	s_andn2_b64 s[6:7], s[6:7], exec
	s_and_b64 s[4:5], s[4:5], exec
	s_or_b64 s[6:7], s[6:7], s[4:5]
.LBB2_425:
	s_movk_i32 s4, 0xff00
	v_and_b32_sdwa v12, v2, s4 dst_sel:DWORD dst_unused:UNUSED_PAD src0_sel:WORD_1 src1_sel:DWORD
	v_cndmask_b32_e64 v13, 0, 1, s[6:7]
	v_or_b32_sdwa v12, v13, v12 dst_sel:WORD_1 dst_unused:UNUSED_PAD src0_sel:DWORD src1_sel:DWORD
	s_mov_b32 s4, 0xffff
	v_and_or_b32 v2, v2, s4, v12
.LBB2_426:
	s_or_b64 exec, exec, s[2:3]
	v_or_b32_e32 v12, 0xb00, v0
	v_cmp_gt_i32_e32 vcc, s8, v12
	s_and_saveexec_b64 s[2:3], vcc
	s_cbranch_execz .LBB2_441
; %bb.427:
	s_cmp_lt_i32 s9, 1
	s_mov_b64 s[4:5], 0
	s_cbranch_scc1 .LBB2_432
; %bb.428:
	s_cmp_gt_i32 s9, 1
	s_cbranch_scc0 .LBB2_433
; %bb.429:
	s_cmp_eq_u32 s9, 2
	s_cbranch_scc0 .LBB2_545
; %bb.430:
	s_and_b32 s6, s10, 0xff
	v_cmp_le_u16_sdwa s[6:7], v11, s6 src0_sel:BYTE_0 src1_sel:DWORD
	s_mov_b64 s[14:15], 0
	s_branch .LBB2_435
.LBB2_431:
	s_and_b32 s4, s10, 0xff
	v_cmp_lt_u16_sdwa s[14:15], v12, s4 src0_sel:BYTE_0 src1_sel:DWORD
	s_andn2_b64 s[6:7], s[6:7], exec
	s_and_b64 s[14:15], s[14:15], exec
	s_or_b64 s[6:7], s[6:7], s[14:15]
	s_cbranch_execz .LBB2_424
	s_branch .LBB2_425
.LBB2_432:
                                        ; implicit-def: $sgpr6_sgpr7
	s_mov_b64 s[14:15], 0
	s_cbranch_execnz .LBB2_436
	s_branch .LBB2_437
.LBB2_433:
	s_mov_b64 s[14:15], 0
                                        ; implicit-def: $sgpr6_sgpr7
	s_cbranch_execz .LBB2_435
; %bb.434:
	s_and_b32 s16, s10, 0xff
	v_cmp_gt_u16_sdwa s[16:17], v11, s16 src0_sel:BYTE_0 src1_sel:DWORD
	s_andn2_b64 s[6:7], s[6:7], exec
	s_and_b64 s[16:17], s[16:17], exec
	s_or_b64 s[6:7], s[6:7], s[16:17]
.LBB2_435:
	s_branch .LBB2_437
.LBB2_436:
	s_cmp_lg_u32 s9, 0
	s_mov_b64 s[4:5], -1
	s_cselect_b64 s[14:15], -1, 0
.LBB2_437:
	s_andn2_b64 vcc, exec, s[14:15]
	s_cbranch_vccz .LBB2_446
; %bb.438:
	s_andn2_b64 vcc, exec, s[4:5]
	s_cbranch_vccnz .LBB2_440
.LBB2_439:
	s_and_b32 s4, s10, 0xff
	v_cmp_ge_u16_sdwa s[4:5], v11, s4 src0_sel:BYTE_0 src1_sel:DWORD
	s_andn2_b64 s[6:7], s[6:7], exec
	s_and_b64 s[4:5], s[4:5], exec
	s_or_b64 s[6:7], s[6:7], s[4:5]
.LBB2_440:
	s_movk_i32 s4, 0xff
	v_cndmask_b32_e64 v12, 0, 1, s[6:7]
	v_and_b32_sdwa v11, v2, s4 dst_sel:DWORD dst_unused:UNUSED_PAD src0_sel:WORD_1 src1_sel:DWORD
	v_lshlrev_b16_e32 v12, 8, v12
	v_or_b32_sdwa v11, v11, v12 dst_sel:WORD_1 dst_unused:UNUSED_PAD src0_sel:DWORD src1_sel:DWORD
	s_mov_b32 s4, 0xffff
	v_and_or_b32 v2, v2, s4, v11
.LBB2_441:
	s_or_b64 exec, exec, s[2:3]
	v_or_b32_e32 v11, 0xc00, v0
	v_cmp_gt_i32_e32 vcc, s8, v11
	s_and_saveexec_b64 s[2:3], vcc
	s_cbranch_execz .LBB2_456
; %bb.442:
	s_cmp_lt_i32 s9, 1
	s_mov_b64 s[4:5], 0
	s_cbranch_scc1 .LBB2_447
; %bb.443:
	s_cmp_gt_i32 s9, 1
	s_cbranch_scc0 .LBB2_448
; %bb.444:
	s_cmp_eq_u32 s9, 2
	s_cbranch_scc0 .LBB2_546
; %bb.445:
	s_and_b32 s6, s10, 0xff
	v_cmp_le_u16_sdwa s[6:7], v9, s6 src0_sel:BYTE_0 src1_sel:DWORD
	s_mov_b64 s[14:15], 0
	s_branch .LBB2_450
.LBB2_446:
	s_and_b32 s4, s10, 0xff
	v_cmp_lt_u16_sdwa s[14:15], v11, s4 src0_sel:BYTE_0 src1_sel:DWORD
	s_andn2_b64 s[6:7], s[6:7], exec
	s_and_b64 s[14:15], s[14:15], exec
	s_or_b64 s[6:7], s[6:7], s[14:15]
	s_cbranch_execz .LBB2_439
	s_branch .LBB2_440
.LBB2_447:
                                        ; implicit-def: $sgpr6_sgpr7
	s_mov_b64 s[14:15], 0
	s_cbranch_execnz .LBB2_451
	s_branch .LBB2_452
.LBB2_448:
	s_mov_b64 s[14:15], 0
                                        ; implicit-def: $sgpr6_sgpr7
	s_cbranch_execz .LBB2_450
; %bb.449:
	s_and_b32 s16, s10, 0xff
	v_cmp_gt_u16_sdwa s[16:17], v9, s16 src0_sel:BYTE_0 src1_sel:DWORD
	s_andn2_b64 s[6:7], s[6:7], exec
	s_and_b64 s[16:17], s[16:17], exec
	s_or_b64 s[6:7], s[6:7], s[16:17]
.LBB2_450:
	s_branch .LBB2_452
.LBB2_451:
	s_cmp_lg_u32 s9, 0
	s_mov_b64 s[4:5], -1
	s_cselect_b64 s[14:15], -1, 0
.LBB2_452:
	s_andn2_b64 vcc, exec, s[14:15]
	s_cbranch_vccz .LBB2_461
; %bb.453:
	s_andn2_b64 vcc, exec, s[4:5]
	s_cbranch_vccnz .LBB2_455
.LBB2_454:
	s_and_b32 s4, s10, 0xff
	v_cmp_ge_u16_sdwa s[4:5], v9, s4 src0_sel:BYTE_0 src1_sel:DWORD
	s_andn2_b64 s[6:7], s[6:7], exec
	s_and_b64 s[4:5], s[4:5], exec
	s_or_b64 s[6:7], s[6:7], s[4:5]
.LBB2_455:
	v_and_b32_e32 v9, 0xffffff00, v1
	v_cndmask_b32_e64 v11, 0, 1, s[6:7]
	v_or_b32_e32 v9, v11, v9
	v_and_b32_e32 v9, 0xffff, v9
	s_mov_b32 s4, 0xffff0000
	v_and_or_b32 v1, v1, s4, v9
.LBB2_456:
	s_or_b64 exec, exec, s[2:3]
	v_or_b32_e32 v9, 0xd00, v0
	v_cmp_gt_i32_e32 vcc, s8, v9
	s_and_saveexec_b64 s[2:3], vcc
	s_cbranch_execz .LBB2_471
; %bb.457:
	s_cmp_lt_i32 s9, 1
	s_mov_b64 s[4:5], 0
	s_cbranch_scc1 .LBB2_462
; %bb.458:
	s_cmp_gt_i32 s9, 1
	s_cbranch_scc0 .LBB2_463
; %bb.459:
	s_cmp_eq_u32 s9, 2
	s_cbranch_scc0 .LBB2_547
; %bb.460:
	s_and_b32 s6, s10, 0xff
	v_cmp_le_u16_sdwa s[6:7], v7, s6 src0_sel:BYTE_0 src1_sel:DWORD
	s_mov_b64 s[14:15], 0
	s_branch .LBB2_465
.LBB2_461:
	s_and_b32 s4, s10, 0xff
	v_cmp_lt_u16_sdwa s[14:15], v9, s4 src0_sel:BYTE_0 src1_sel:DWORD
	s_andn2_b64 s[6:7], s[6:7], exec
	s_and_b64 s[14:15], s[14:15], exec
	s_or_b64 s[6:7], s[6:7], s[14:15]
	s_cbranch_execz .LBB2_454
	s_branch .LBB2_455
.LBB2_462:
                                        ; implicit-def: $sgpr6_sgpr7
	s_mov_b64 s[14:15], 0
	s_cbranch_execnz .LBB2_466
	s_branch .LBB2_467
.LBB2_463:
	s_mov_b64 s[14:15], 0
                                        ; implicit-def: $sgpr6_sgpr7
	s_cbranch_execz .LBB2_465
; %bb.464:
	s_and_b32 s16, s10, 0xff
	v_cmp_gt_u16_sdwa s[16:17], v7, s16 src0_sel:BYTE_0 src1_sel:DWORD
	s_andn2_b64 s[6:7], s[6:7], exec
	s_and_b64 s[16:17], s[16:17], exec
	s_or_b64 s[6:7], s[6:7], s[16:17]
.LBB2_465:
	s_branch .LBB2_467
.LBB2_466:
	s_cmp_lg_u32 s9, 0
	s_mov_b64 s[4:5], -1
	s_cselect_b64 s[14:15], -1, 0
.LBB2_467:
	s_andn2_b64 vcc, exec, s[14:15]
	s_cbranch_vccz .LBB2_476
; %bb.468:
	s_andn2_b64 vcc, exec, s[4:5]
	s_cbranch_vccnz .LBB2_470
.LBB2_469:
	s_and_b32 s4, s10, 0xff
	v_cmp_ge_u16_sdwa s[4:5], v7, s4 src0_sel:BYTE_0 src1_sel:DWORD
	s_andn2_b64 s[6:7], s[6:7], exec
	s_and_b64 s[4:5], s[4:5], exec
	s_or_b64 s[6:7], s[6:7], s[4:5]
.LBB2_470:
	v_cndmask_b32_e64 v7, 0, 1, s[6:7]
	v_lshlrev_b16_e32 v7, 8, v7
	v_or_b32_sdwa v7, v1, v7 dst_sel:DWORD dst_unused:UNUSED_PAD src0_sel:BYTE_0 src1_sel:DWORD
	v_and_b32_e32 v7, 0xffff, v7
	s_mov_b32 s4, 0xffff0000
	v_and_or_b32 v1, v1, s4, v7
.LBB2_471:
	s_or_b64 exec, exec, s[2:3]
	v_or_b32_e32 v7, 0xe00, v0
	v_cmp_gt_i32_e32 vcc, s8, v7
	s_and_saveexec_b64 s[2:3], vcc
	s_cbranch_execz .LBB2_486
; %bb.472:
	s_cmp_lt_i32 s9, 1
	s_mov_b64 s[4:5], 0
	s_cbranch_scc1 .LBB2_477
; %bb.473:
	s_cmp_gt_i32 s9, 1
	s_cbranch_scc0 .LBB2_478
; %bb.474:
	s_cmp_eq_u32 s9, 2
	s_cbranch_scc0 .LBB2_548
; %bb.475:
	s_and_b32 s6, s10, 0xff
	v_cmp_le_u16_sdwa s[6:7], v6, s6 src0_sel:BYTE_0 src1_sel:DWORD
	s_mov_b64 s[14:15], 0
	s_branch .LBB2_480
.LBB2_476:
	s_and_b32 s4, s10, 0xff
	v_cmp_lt_u16_sdwa s[14:15], v7, s4 src0_sel:BYTE_0 src1_sel:DWORD
	s_andn2_b64 s[6:7], s[6:7], exec
	s_and_b64 s[14:15], s[14:15], exec
	s_or_b64 s[6:7], s[6:7], s[14:15]
	s_cbranch_execz .LBB2_469
	s_branch .LBB2_470
.LBB2_477:
                                        ; implicit-def: $sgpr6_sgpr7
	s_mov_b64 s[14:15], 0
	s_cbranch_execnz .LBB2_481
	s_branch .LBB2_482
.LBB2_478:
	s_mov_b64 s[14:15], 0
                                        ; implicit-def: $sgpr6_sgpr7
	s_cbranch_execz .LBB2_480
; %bb.479:
	s_and_b32 s16, s10, 0xff
	v_cmp_gt_u16_sdwa s[16:17], v6, s16 src0_sel:BYTE_0 src1_sel:DWORD
	s_andn2_b64 s[6:7], s[6:7], exec
	s_and_b64 s[16:17], s[16:17], exec
	s_or_b64 s[6:7], s[6:7], s[16:17]
.LBB2_480:
	s_branch .LBB2_482
.LBB2_481:
	s_cmp_lg_u32 s9, 0
	s_mov_b64 s[4:5], -1
	s_cselect_b64 s[14:15], -1, 0
.LBB2_482:
	s_andn2_b64 vcc, exec, s[14:15]
	s_cbranch_vccz .LBB2_491
; %bb.483:
	s_andn2_b64 vcc, exec, s[4:5]
	s_cbranch_vccnz .LBB2_485
.LBB2_484:
	s_and_b32 s4, s10, 0xff
	v_cmp_ge_u16_sdwa s[4:5], v6, s4 src0_sel:BYTE_0 src1_sel:DWORD
	s_andn2_b64 s[6:7], s[6:7], exec
	s_and_b64 s[4:5], s[4:5], exec
	s_or_b64 s[6:7], s[6:7], s[4:5]
.LBB2_485:
	s_movk_i32 s4, 0xff00
	v_and_b32_sdwa v6, v1, s4 dst_sel:DWORD dst_unused:UNUSED_PAD src0_sel:WORD_1 src1_sel:DWORD
	v_cndmask_b32_e64 v7, 0, 1, s[6:7]
	v_or_b32_sdwa v6, v7, v6 dst_sel:WORD_1 dst_unused:UNUSED_PAD src0_sel:DWORD src1_sel:DWORD
	s_mov_b32 s4, 0xffff
	v_and_or_b32 v1, v1, s4, v6
.LBB2_486:
	s_or_b64 exec, exec, s[2:3]
	v_or_b32_e32 v6, 0xf00, v0
	v_cmp_gt_i32_e32 vcc, s8, v6
	s_and_saveexec_b64 s[2:3], vcc
	s_cbranch_execz .LBB2_501
; %bb.487:
	s_cmp_lt_i32 s9, 1
	s_mov_b64 s[4:5], 0
	s_cbranch_scc1 .LBB2_492
; %bb.488:
	s_cmp_gt_i32 s9, 1
	s_cbranch_scc0 .LBB2_493
; %bb.489:
	s_cmp_eq_u32 s9, 2
	s_cbranch_scc0 .LBB2_549
; %bb.490:
	s_and_b32 s6, s10, 0xff
	v_cmp_le_u16_sdwa s[6:7], v5, s6 src0_sel:BYTE_0 src1_sel:DWORD
	s_mov_b64 s[14:15], 0
	s_branch .LBB2_495
.LBB2_491:
	s_and_b32 s4, s10, 0xff
	v_cmp_lt_u16_sdwa s[14:15], v6, s4 src0_sel:BYTE_0 src1_sel:DWORD
	s_andn2_b64 s[6:7], s[6:7], exec
	s_and_b64 s[14:15], s[14:15], exec
	s_or_b64 s[6:7], s[6:7], s[14:15]
	s_cbranch_execz .LBB2_484
	s_branch .LBB2_485
.LBB2_492:
                                        ; implicit-def: $sgpr6_sgpr7
	s_mov_b64 s[14:15], 0
	s_cbranch_execnz .LBB2_496
	s_branch .LBB2_497
.LBB2_493:
	s_mov_b64 s[14:15], 0
                                        ; implicit-def: $sgpr6_sgpr7
	s_cbranch_execz .LBB2_495
; %bb.494:
	s_and_b32 s16, s10, 0xff
	v_cmp_gt_u16_sdwa s[16:17], v5, s16 src0_sel:BYTE_0 src1_sel:DWORD
	s_andn2_b64 s[6:7], s[6:7], exec
	s_and_b64 s[16:17], s[16:17], exec
	s_or_b64 s[6:7], s[6:7], s[16:17]
.LBB2_495:
	s_branch .LBB2_497
.LBB2_496:
	s_cmp_lg_u32 s9, 0
	s_mov_b64 s[4:5], -1
	s_cselect_b64 s[14:15], -1, 0
.LBB2_497:
	s_andn2_b64 vcc, exec, s[14:15]
	s_cbranch_vccz .LBB2_534
; %bb.498:
	s_andn2_b64 vcc, exec, s[4:5]
	s_cbranch_vccnz .LBB2_500
.LBB2_499:
	s_and_b32 s4, s10, 0xff
	v_cmp_ge_u16_sdwa s[4:5], v5, s4 src0_sel:BYTE_0 src1_sel:DWORD
	s_andn2_b64 s[6:7], s[6:7], exec
	s_and_b64 s[4:5], s[4:5], exec
	s_or_b64 s[6:7], s[6:7], s[4:5]
.LBB2_500:
	s_movk_i32 s4, 0xff
	v_cndmask_b32_e64 v6, 0, 1, s[6:7]
	v_and_b32_sdwa v5, v1, s4 dst_sel:DWORD dst_unused:UNUSED_PAD src0_sel:WORD_1 src1_sel:DWORD
	v_lshlrev_b16_e32 v6, 8, v6
	v_or_b32_sdwa v5, v5, v6 dst_sel:WORD_1 dst_unused:UNUSED_PAD src0_sel:DWORD src1_sel:DWORD
	s_mov_b32 s4, 0xffff
	v_and_or_b32 v1, v1, s4, v5
.LBB2_501:
	s_or_b64 exec, exec, s[2:3]
	s_and_saveexec_b64 s[2:3], s[0:1]
	s_xor_b64 s[0:1], exec, s[2:3]
	s_cbranch_execz .LBB2_503
; %bb.502:
	v_mov_b32_e32 v0, v10
	global_store_byte v3, v4, s[12:13]
.LBB2_503:
	s_or_b64 exec, exec, s[0:1]
	v_cmp_gt_i32_e32 vcc, s8, v0
	s_and_saveexec_b64 s[0:1], vcc
	s_cbranch_execnz .LBB2_520
; %bb.504:
	s_or_b64 exec, exec, s[0:1]
	v_cmp_gt_i32_e32 vcc, s8, v0
	s_and_saveexec_b64 s[0:1], vcc
	s_cbranch_execnz .LBB2_521
.LBB2_505:
	s_or_b64 exec, exec, s[0:1]
	v_cmp_gt_i32_e32 vcc, s8, v0
	s_and_saveexec_b64 s[0:1], vcc
	s_cbranch_execnz .LBB2_522
.LBB2_506:
	s_or_b64 exec, exec, s[0:1]
	v_cmp_gt_i32_e32 vcc, s8, v0
	s_and_saveexec_b64 s[0:1], vcc
	s_cbranch_execnz .LBB2_523
.LBB2_507:
	s_or_b64 exec, exec, s[0:1]
	v_cmp_gt_i32_e32 vcc, s8, v0
	s_and_saveexec_b64 s[0:1], vcc
	s_cbranch_execnz .LBB2_524
.LBB2_508:
	s_or_b64 exec, exec, s[0:1]
	v_cmp_gt_i32_e32 vcc, s8, v0
	s_and_saveexec_b64 s[0:1], vcc
	s_cbranch_execnz .LBB2_525
.LBB2_509:
	s_or_b64 exec, exec, s[0:1]
	v_cmp_gt_i32_e32 vcc, s8, v0
	s_and_saveexec_b64 s[0:1], vcc
	s_cbranch_execnz .LBB2_526
.LBB2_510:
	s_or_b64 exec, exec, s[0:1]
	v_cmp_gt_i32_e32 vcc, s8, v0
	s_and_saveexec_b64 s[0:1], vcc
	s_cbranch_execnz .LBB2_527
.LBB2_511:
	s_or_b64 exec, exec, s[0:1]
	v_cmp_gt_i32_e32 vcc, s8, v0
	s_and_saveexec_b64 s[0:1], vcc
	s_cbranch_execnz .LBB2_528
.LBB2_512:
	s_or_b64 exec, exec, s[0:1]
	v_cmp_gt_i32_e32 vcc, s8, v0
	s_and_saveexec_b64 s[0:1], vcc
	s_cbranch_execnz .LBB2_529
.LBB2_513:
	s_or_b64 exec, exec, s[0:1]
	v_cmp_gt_i32_e32 vcc, s8, v0
	s_and_saveexec_b64 s[0:1], vcc
	s_cbranch_execnz .LBB2_530
.LBB2_514:
	s_or_b64 exec, exec, s[0:1]
	v_cmp_gt_i32_e32 vcc, s8, v0
	s_and_saveexec_b64 s[0:1], vcc
	s_cbranch_execnz .LBB2_531
.LBB2_515:
	s_or_b64 exec, exec, s[0:1]
	v_cmp_gt_i32_e32 vcc, s8, v0
	s_and_saveexec_b64 s[0:1], vcc
	s_cbranch_execnz .LBB2_532
.LBB2_516:
	s_or_b64 exec, exec, s[0:1]
	v_cmp_gt_i32_e32 vcc, s8, v0
	s_and_saveexec_b64 s[0:1], vcc
	s_cbranch_execnz .LBB2_533
.LBB2_517:
	s_or_b64 exec, exec, s[0:1]
	v_cmp_gt_i32_e32 vcc, s8, v0
	s_and_saveexec_b64 s[0:1], vcc
	s_cbranch_execz .LBB2_519
.LBB2_518:
	v_lshrrev_b32_e32 v1, 24, v1
	v_add_u32_e32 v0, s11, v0
	global_store_byte v0, v1, s[12:13]
.LBB2_519:
	s_endpgm
.LBB2_520:
	v_lshrrev_b32_e32 v3, 8, v4
	v_add_u32_e32 v5, s11, v0
	v_add_u32_e32 v0, 0x100, v0
	global_store_byte v5, v3, s[12:13]
	s_or_b64 exec, exec, s[0:1]
	v_cmp_gt_i32_e32 vcc, s8, v0
	s_and_saveexec_b64 s[0:1], vcc
	s_cbranch_execz .LBB2_505
.LBB2_521:
	v_add_u32_e32 v3, s11, v0
	v_add_u32_e32 v0, 0x100, v0
	global_store_byte_d16_hi v3, v4, s[12:13]
	s_or_b64 exec, exec, s[0:1]
	v_cmp_gt_i32_e32 vcc, s8, v0
	s_and_saveexec_b64 s[0:1], vcc
	s_cbranch_execz .LBB2_506
.LBB2_522:
	v_lshrrev_b32_e32 v3, 24, v4
	v_add_u32_e32 v4, s11, v0
	v_add_u32_e32 v0, 0x100, v0
	global_store_byte v4, v3, s[12:13]
	s_or_b64 exec, exec, s[0:1]
	v_cmp_gt_i32_e32 vcc, s8, v0
	s_and_saveexec_b64 s[0:1], vcc
	s_cbranch_execz .LBB2_507
.LBB2_523:
	v_add_u32_e32 v3, s11, v0
	v_add_u32_e32 v0, 0x100, v0
	global_store_byte v3, v8, s[12:13]
	s_or_b64 exec, exec, s[0:1]
	v_cmp_gt_i32_e32 vcc, s8, v0
	s_and_saveexec_b64 s[0:1], vcc
	s_cbranch_execz .LBB2_508
.LBB2_524:
	v_lshrrev_b32_e32 v3, 8, v8
	v_add_u32_e32 v4, s11, v0
	v_add_u32_e32 v0, 0x100, v0
	global_store_byte v4, v3, s[12:13]
	s_or_b64 exec, exec, s[0:1]
	v_cmp_gt_i32_e32 vcc, s8, v0
	s_and_saveexec_b64 s[0:1], vcc
	s_cbranch_execz .LBB2_509
.LBB2_525:
	v_add_u32_e32 v3, s11, v0
	v_add_u32_e32 v0, 0x100, v0
	global_store_byte_d16_hi v3, v8, s[12:13]
	s_or_b64 exec, exec, s[0:1]
	v_cmp_gt_i32_e32 vcc, s8, v0
	s_and_saveexec_b64 s[0:1], vcc
	s_cbranch_execz .LBB2_510
.LBB2_526:
	v_lshrrev_b32_e32 v3, 24, v8
	v_add_u32_e32 v4, s11, v0
	v_add_u32_e32 v0, 0x100, v0
	global_store_byte v4, v3, s[12:13]
	s_or_b64 exec, exec, s[0:1]
	v_cmp_gt_i32_e32 vcc, s8, v0
	s_and_saveexec_b64 s[0:1], vcc
	s_cbranch_execz .LBB2_511
.LBB2_527:
	v_add_u32_e32 v3, s11, v0
	v_add_u32_e32 v0, 0x100, v0
	global_store_byte v3, v2, s[12:13]
	s_or_b64 exec, exec, s[0:1]
	v_cmp_gt_i32_e32 vcc, s8, v0
	s_and_saveexec_b64 s[0:1], vcc
	s_cbranch_execz .LBB2_512
.LBB2_528:
	v_lshrrev_b32_e32 v3, 8, v2
	v_add_u32_e32 v4, s11, v0
	v_add_u32_e32 v0, 0x100, v0
	global_store_byte v4, v3, s[12:13]
	s_or_b64 exec, exec, s[0:1]
	v_cmp_gt_i32_e32 vcc, s8, v0
	s_and_saveexec_b64 s[0:1], vcc
	s_cbranch_execz .LBB2_513
.LBB2_529:
	v_add_u32_e32 v3, s11, v0
	v_add_u32_e32 v0, 0x100, v0
	global_store_byte_d16_hi v3, v2, s[12:13]
	s_or_b64 exec, exec, s[0:1]
	v_cmp_gt_i32_e32 vcc, s8, v0
	s_and_saveexec_b64 s[0:1], vcc
	s_cbranch_execz .LBB2_514
.LBB2_530:
	v_lshrrev_b32_e32 v2, 24, v2
	v_add_u32_e32 v3, s11, v0
	v_add_u32_e32 v0, 0x100, v0
	global_store_byte v3, v2, s[12:13]
	s_or_b64 exec, exec, s[0:1]
	v_cmp_gt_i32_e32 vcc, s8, v0
	s_and_saveexec_b64 s[0:1], vcc
	s_cbranch_execz .LBB2_515
.LBB2_531:
	v_add_u32_e32 v2, s11, v0
	v_add_u32_e32 v0, 0x100, v0
	global_store_byte v2, v1, s[12:13]
	s_or_b64 exec, exec, s[0:1]
	v_cmp_gt_i32_e32 vcc, s8, v0
	s_and_saveexec_b64 s[0:1], vcc
	s_cbranch_execz .LBB2_516
.LBB2_532:
	v_lshrrev_b32_e32 v2, 8, v1
	v_add_u32_e32 v3, s11, v0
	v_add_u32_e32 v0, 0x100, v0
	global_store_byte v3, v2, s[12:13]
	s_or_b64 exec, exec, s[0:1]
	v_cmp_gt_i32_e32 vcc, s8, v0
	s_and_saveexec_b64 s[0:1], vcc
	s_cbranch_execz .LBB2_517
.LBB2_533:
	v_add_u32_e32 v2, s11, v0
	v_add_u32_e32 v0, 0x100, v0
	global_store_byte_d16_hi v2, v1, s[12:13]
	s_or_b64 exec, exec, s[0:1]
	v_cmp_gt_i32_e32 vcc, s8, v0
	s_and_saveexec_b64 s[0:1], vcc
	s_cbranch_execnz .LBB2_518
	s_branch .LBB2_519
.LBB2_534:
	s_and_b32 s4, s10, 0xff
	v_cmp_lt_u16_sdwa s[14:15], v5, s4 src0_sel:BYTE_0 src1_sel:DWORD
	s_andn2_b64 s[6:7], s[6:7], exec
	s_and_b64 s[14:15], s[14:15], exec
	s_or_b64 s[6:7], s[6:7], s[14:15]
	s_cbranch_execz .LBB2_499
	s_branch .LBB2_500
.LBB2_535:
	s_mov_b64 s[14:15], -1
                                        ; implicit-def: $sgpr6_sgpr7
	s_branch .LBB2_285
.LBB2_536:
	s_mov_b64 s[14:15], -1
                                        ; implicit-def: $sgpr6_sgpr7
	s_branch .LBB2_300
.LBB2_537:
	s_mov_b64 s[14:15], -1
                                        ; implicit-def: $sgpr6_sgpr7
	s_branch .LBB2_315
.LBB2_538:
	s_mov_b64 s[14:15], -1
                                        ; implicit-def: $sgpr6_sgpr7
	s_branch .LBB2_330
.LBB2_539:
	s_mov_b64 s[14:15], -1
                                        ; implicit-def: $sgpr6_sgpr7
	s_branch .LBB2_345
.LBB2_540:
	s_mov_b64 s[14:15], -1
                                        ; implicit-def: $sgpr6_sgpr7
	s_branch .LBB2_360
.LBB2_541:
	s_mov_b64 s[14:15], -1
                                        ; implicit-def: $sgpr6_sgpr7
	s_branch .LBB2_375
.LBB2_542:
	s_mov_b64 s[14:15], -1
                                        ; implicit-def: $sgpr6_sgpr7
	s_branch .LBB2_390
.LBB2_543:
	s_mov_b64 s[14:15], -1
                                        ; implicit-def: $sgpr6_sgpr7
	s_branch .LBB2_405
.LBB2_544:
	s_mov_b64 s[14:15], -1
                                        ; implicit-def: $sgpr6_sgpr7
	s_branch .LBB2_420
.LBB2_545:
	s_mov_b64 s[14:15], -1
                                        ; implicit-def: $sgpr6_sgpr7
	s_branch .LBB2_435
.LBB2_546:
	s_mov_b64 s[14:15], -1
                                        ; implicit-def: $sgpr6_sgpr7
	s_branch .LBB2_450
.LBB2_547:
	s_mov_b64 s[14:15], -1
                                        ; implicit-def: $sgpr6_sgpr7
	s_branch .LBB2_465
.LBB2_548:
	s_mov_b64 s[14:15], -1
                                        ; implicit-def: $sgpr6_sgpr7
	s_branch .LBB2_480
.LBB2_549:
	s_mov_b64 s[14:15], -1
                                        ; implicit-def: $sgpr6_sgpr7
	s_branch .LBB2_495
	.section	.rodata,"a",@progbits
	.p2align	6, 0x0
	.amdhsa_kernel _ZN2at6native29vectorized_elementwise_kernelILi4EZNS0_21compare_scalar_kernelIhEEvRNS_18TensorIteratorBaseENS0_12_GLOBAL__N_16OpTypeET_EUlhE_St5arrayIPcLm2EEEEviT0_T1_
		.amdhsa_group_segment_fixed_size 0
		.amdhsa_private_segment_fixed_size 0
		.amdhsa_kernarg_size 32
		.amdhsa_user_sgpr_count 6
		.amdhsa_user_sgpr_private_segment_buffer 1
		.amdhsa_user_sgpr_dispatch_ptr 0
		.amdhsa_user_sgpr_queue_ptr 0
		.amdhsa_user_sgpr_kernarg_segment_ptr 1
		.amdhsa_user_sgpr_dispatch_id 0
		.amdhsa_user_sgpr_flat_scratch_init 0
		.amdhsa_user_sgpr_private_segment_size 0
		.amdhsa_uses_dynamic_stack 0
		.amdhsa_system_sgpr_private_segment_wavefront_offset 0
		.amdhsa_system_sgpr_workgroup_id_x 1
		.amdhsa_system_sgpr_workgroup_id_y 0
		.amdhsa_system_sgpr_workgroup_id_z 0
		.amdhsa_system_sgpr_workgroup_info 0
		.amdhsa_system_vgpr_workitem_id 0
		.amdhsa_next_free_vgpr 22
		.amdhsa_next_free_sgpr 48
		.amdhsa_reserve_vcc 1
		.amdhsa_reserve_flat_scratch 0
		.amdhsa_float_round_mode_32 0
		.amdhsa_float_round_mode_16_64 0
		.amdhsa_float_denorm_mode_32 3
		.amdhsa_float_denorm_mode_16_64 3
		.amdhsa_dx10_clamp 1
		.amdhsa_ieee_mode 1
		.amdhsa_fp16_overflow 0
		.amdhsa_exception_fp_ieee_invalid_op 0
		.amdhsa_exception_fp_denorm_src 0
		.amdhsa_exception_fp_ieee_div_zero 0
		.amdhsa_exception_fp_ieee_overflow 0
		.amdhsa_exception_fp_ieee_underflow 0
		.amdhsa_exception_fp_ieee_inexact 0
		.amdhsa_exception_int_div_zero 0
	.end_amdhsa_kernel
	.section	.text._ZN2at6native29vectorized_elementwise_kernelILi4EZNS0_21compare_scalar_kernelIhEEvRNS_18TensorIteratorBaseENS0_12_GLOBAL__N_16OpTypeET_EUlhE_St5arrayIPcLm2EEEEviT0_T1_,"axG",@progbits,_ZN2at6native29vectorized_elementwise_kernelILi4EZNS0_21compare_scalar_kernelIhEEvRNS_18TensorIteratorBaseENS0_12_GLOBAL__N_16OpTypeET_EUlhE_St5arrayIPcLm2EEEEviT0_T1_,comdat
.Lfunc_end2:
	.size	_ZN2at6native29vectorized_elementwise_kernelILi4EZNS0_21compare_scalar_kernelIhEEvRNS_18TensorIteratorBaseENS0_12_GLOBAL__N_16OpTypeET_EUlhE_St5arrayIPcLm2EEEEviT0_T1_, .Lfunc_end2-_ZN2at6native29vectorized_elementwise_kernelILi4EZNS0_21compare_scalar_kernelIhEEvRNS_18TensorIteratorBaseENS0_12_GLOBAL__N_16OpTypeET_EUlhE_St5arrayIPcLm2EEEEviT0_T1_
                                        ; -- End function
	.set _ZN2at6native29vectorized_elementwise_kernelILi4EZNS0_21compare_scalar_kernelIhEEvRNS_18TensorIteratorBaseENS0_12_GLOBAL__N_16OpTypeET_EUlhE_St5arrayIPcLm2EEEEviT0_T1_.num_vgpr, 22
	.set _ZN2at6native29vectorized_elementwise_kernelILi4EZNS0_21compare_scalar_kernelIhEEvRNS_18TensorIteratorBaseENS0_12_GLOBAL__N_16OpTypeET_EUlhE_St5arrayIPcLm2EEEEviT0_T1_.num_agpr, 0
	.set _ZN2at6native29vectorized_elementwise_kernelILi4EZNS0_21compare_scalar_kernelIhEEvRNS_18TensorIteratorBaseENS0_12_GLOBAL__N_16OpTypeET_EUlhE_St5arrayIPcLm2EEEEviT0_T1_.numbered_sgpr, 48
	.set _ZN2at6native29vectorized_elementwise_kernelILi4EZNS0_21compare_scalar_kernelIhEEvRNS_18TensorIteratorBaseENS0_12_GLOBAL__N_16OpTypeET_EUlhE_St5arrayIPcLm2EEEEviT0_T1_.num_named_barrier, 0
	.set _ZN2at6native29vectorized_elementwise_kernelILi4EZNS0_21compare_scalar_kernelIhEEvRNS_18TensorIteratorBaseENS0_12_GLOBAL__N_16OpTypeET_EUlhE_St5arrayIPcLm2EEEEviT0_T1_.private_seg_size, 0
	.set _ZN2at6native29vectorized_elementwise_kernelILi4EZNS0_21compare_scalar_kernelIhEEvRNS_18TensorIteratorBaseENS0_12_GLOBAL__N_16OpTypeET_EUlhE_St5arrayIPcLm2EEEEviT0_T1_.uses_vcc, 1
	.set _ZN2at6native29vectorized_elementwise_kernelILi4EZNS0_21compare_scalar_kernelIhEEvRNS_18TensorIteratorBaseENS0_12_GLOBAL__N_16OpTypeET_EUlhE_St5arrayIPcLm2EEEEviT0_T1_.uses_flat_scratch, 0
	.set _ZN2at6native29vectorized_elementwise_kernelILi4EZNS0_21compare_scalar_kernelIhEEvRNS_18TensorIteratorBaseENS0_12_GLOBAL__N_16OpTypeET_EUlhE_St5arrayIPcLm2EEEEviT0_T1_.has_dyn_sized_stack, 0
	.set _ZN2at6native29vectorized_elementwise_kernelILi4EZNS0_21compare_scalar_kernelIhEEvRNS_18TensorIteratorBaseENS0_12_GLOBAL__N_16OpTypeET_EUlhE_St5arrayIPcLm2EEEEviT0_T1_.has_recursion, 0
	.set _ZN2at6native29vectorized_elementwise_kernelILi4EZNS0_21compare_scalar_kernelIhEEvRNS_18TensorIteratorBaseENS0_12_GLOBAL__N_16OpTypeET_EUlhE_St5arrayIPcLm2EEEEviT0_T1_.has_indirect_call, 0
	.section	.AMDGPU.csdata,"",@progbits
; Kernel info:
; codeLenInByte = 10336
; TotalNumSgprs: 52
; NumVgprs: 22
; ScratchSize: 0
; MemoryBound: 0
; FloatMode: 240
; IeeeMode: 1
; LDSByteSize: 0 bytes/workgroup (compile time only)
; SGPRBlocks: 6
; VGPRBlocks: 5
; NumSGPRsForWavesPerEU: 52
; NumVGPRsForWavesPerEU: 22
; Occupancy: 10
; WaveLimiterHint : 1
; COMPUTE_PGM_RSRC2:SCRATCH_EN: 0
; COMPUTE_PGM_RSRC2:USER_SGPR: 6
; COMPUTE_PGM_RSRC2:TRAP_HANDLER: 0
; COMPUTE_PGM_RSRC2:TGID_X_EN: 1
; COMPUTE_PGM_RSRC2:TGID_Y_EN: 0
; COMPUTE_PGM_RSRC2:TGID_Z_EN: 0
; COMPUTE_PGM_RSRC2:TIDIG_COMP_CNT: 0
	.section	.text._ZN2at6native29vectorized_elementwise_kernelILi2EZNS0_21compare_scalar_kernelIhEEvRNS_18TensorIteratorBaseENS0_12_GLOBAL__N_16OpTypeET_EUlhE_St5arrayIPcLm2EEEEviT0_T1_,"axG",@progbits,_ZN2at6native29vectorized_elementwise_kernelILi2EZNS0_21compare_scalar_kernelIhEEvRNS_18TensorIteratorBaseENS0_12_GLOBAL__N_16OpTypeET_EUlhE_St5arrayIPcLm2EEEEviT0_T1_,comdat
	.globl	_ZN2at6native29vectorized_elementwise_kernelILi2EZNS0_21compare_scalar_kernelIhEEvRNS_18TensorIteratorBaseENS0_12_GLOBAL__N_16OpTypeET_EUlhE_St5arrayIPcLm2EEEEviT0_T1_ ; -- Begin function _ZN2at6native29vectorized_elementwise_kernelILi2EZNS0_21compare_scalar_kernelIhEEvRNS_18TensorIteratorBaseENS0_12_GLOBAL__N_16OpTypeET_EUlhE_St5arrayIPcLm2EEEEviT0_T1_
	.p2align	8
	.type	_ZN2at6native29vectorized_elementwise_kernelILi2EZNS0_21compare_scalar_kernelIhEEvRNS_18TensorIteratorBaseENS0_12_GLOBAL__N_16OpTypeET_EUlhE_St5arrayIPcLm2EEEEviT0_T1_,@function
_ZN2at6native29vectorized_elementwise_kernelILi2EZNS0_21compare_scalar_kernelIhEEvRNS_18TensorIteratorBaseENS0_12_GLOBAL__N_16OpTypeET_EUlhE_St5arrayIPcLm2EEEEviT0_T1_: ; @_ZN2at6native29vectorized_elementwise_kernelILi2EZNS0_21compare_scalar_kernelIhEEvRNS_18TensorIteratorBaseENS0_12_GLOBAL__N_16OpTypeET_EUlhE_St5arrayIPcLm2EEEEviT0_T1_
; %bb.0:
	s_load_dwordx8 s[8:15], s[4:5], 0x0
	s_waitcnt lgkmcnt(0)
	s_lshl_b32 s11, s6, 12
	s_mov_b64 s[0:1], -1
	s_sub_i32 s8, s8, s11
	s_cmpk_gt_i32 s8, 0xfff
	s_cbranch_scc0 .LBB3_211
; %bb.1:
	s_ashr_i32 s33, s11, 31
	s_add_u32 s0, s14, s11
	s_addc_u32 s1, s15, s33
	v_lshlrev_b32_e32 v1, 1, v0
	global_load_ushort v9, v1, s[0:1]
	global_load_ushort v8, v1, s[0:1] offset:512
	global_load_ushort v7, v1, s[0:1] offset:1024
	;; [unrolled: 1-line block ×7, first 2 shown]
	s_cmp_lt_i32 s9, 1
	s_mov_b64 s[2:3], 0
	s_cbranch_scc1 .LBB3_5
; %bb.2:
	s_cmp_gt_i32 s9, 1
	s_cbranch_scc0 .LBB3_6
; %bb.3:
	s_cmp_eq_u32 s9, 2
	s_cbranch_scc0 .LBB3_7
; %bb.4:
	s_and_b32 s0, s10, 0xff
	s_waitcnt vmcnt(7)
	v_cmp_le_u16_sdwa s[0:1], v9, s0 src0_sel:BYTE_0 src1_sel:DWORD
	s_mov_b64 s[4:5], 0
	s_branch .LBB3_8
.LBB3_5:
                                        ; implicit-def: $sgpr0_sgpr1
	s_mov_b64 s[4:5], 0
	s_cbranch_execnz .LBB3_11
	s_branch .LBB3_12
.LBB3_6:
	s_mov_b64 s[4:5], 0
                                        ; implicit-def: $sgpr0_sgpr1
	s_cbranch_execnz .LBB3_9
	s_branch .LBB3_10
.LBB3_7:
	s_mov_b64 s[4:5], -1
                                        ; implicit-def: $sgpr0_sgpr1
.LBB3_8:
	s_branch .LBB3_10
.LBB3_9:
	s_and_b32 s6, s10, 0xff
	s_waitcnt vmcnt(7)
	v_cmp_gt_u16_sdwa s[6:7], v9, s6 src0_sel:BYTE_0 src1_sel:DWORD
	s_andn2_b64 s[0:1], s[0:1], exec
	s_and_b64 s[6:7], s[6:7], exec
	s_or_b64 s[0:1], s[0:1], s[6:7]
.LBB3_10:
	s_branch .LBB3_12
.LBB3_11:
	s_cmp_lg_u32 s9, 0
	s_mov_b64 s[2:3], -1
	s_cselect_b64 s[4:5], -1, 0
.LBB3_12:
	s_andn2_b64 vcc, exec, s[4:5]
	s_cbranch_vccz .LBB3_18
; %bb.13:
	s_andn2_b64 vcc, exec, s[2:3]
	s_cbranch_vccz .LBB3_19
.LBB3_14:
	s_cmp_lt_i32 s9, 1
	s_mov_b64 s[4:5], 0
	s_cbranch_scc1 .LBB3_20
.LBB3_15:
	s_cmp_gt_i32 s9, 1
	s_cbranch_scc0 .LBB3_21
; %bb.16:
	s_cmp_eq_u32 s9, 2
	s_cbranch_scc0 .LBB3_251
; %bb.17:
	s_and_b32 s2, s10, 0xff
	s_waitcnt vmcnt(7)
	v_cmp_le_u16_sdwa s[2:3], v9, s2 src0_sel:BYTE_1 src1_sel:DWORD
	s_mov_b64 s[6:7], 0
	s_branch .LBB3_23
.LBB3_18:
	s_and_b32 s2, s10, 0xff
	s_waitcnt vmcnt(7)
	v_cmp_lt_u16_sdwa s[4:5], v9, s2 src0_sel:BYTE_0 src1_sel:DWORD
	s_andn2_b64 s[0:1], s[0:1], exec
	s_and_b64 s[4:5], s[4:5], exec
	s_or_b64 s[0:1], s[0:1], s[4:5]
	s_cbranch_execnz .LBB3_14
.LBB3_19:
	s_and_b32 s2, s10, 0xff
	s_waitcnt vmcnt(7)
	v_cmp_ge_u16_sdwa s[2:3], v9, s2 src0_sel:BYTE_0 src1_sel:DWORD
	s_andn2_b64 s[0:1], s[0:1], exec
	s_and_b64 s[2:3], s[2:3], exec
	s_or_b64 s[0:1], s[0:1], s[2:3]
	s_cmp_lt_i32 s9, 1
	s_mov_b64 s[4:5], 0
	s_cbranch_scc0 .LBB3_15
.LBB3_20:
                                        ; implicit-def: $sgpr2_sgpr3
	s_mov_b64 s[6:7], 0
	s_cbranch_execnz .LBB3_24
	s_branch .LBB3_25
.LBB3_21:
	s_mov_b64 s[6:7], 0
                                        ; implicit-def: $sgpr2_sgpr3
	s_cbranch_execz .LBB3_23
; %bb.22:
	s_and_b32 s16, s10, 0xff
	s_waitcnt vmcnt(7)
	v_cmp_gt_u16_sdwa s[16:17], v9, s16 src0_sel:BYTE_1 src1_sel:DWORD
	s_andn2_b64 s[2:3], s[2:3], exec
	s_and_b64 s[16:17], s[16:17], exec
	s_or_b64 s[2:3], s[2:3], s[16:17]
.LBB3_23:
	s_branch .LBB3_25
.LBB3_24:
	s_cmp_lg_u32 s9, 0
	s_mov_b64 s[4:5], -1
	s_cselect_b64 s[6:7], -1, 0
.LBB3_25:
	s_andn2_b64 vcc, exec, s[6:7]
	s_cbranch_vccz .LBB3_31
; %bb.26:
	s_andn2_b64 vcc, exec, s[4:5]
	s_cbranch_vccz .LBB3_32
.LBB3_27:
	s_cmp_lt_i32 s9, 1
	s_mov_b64 s[6:7], 0
	s_cbranch_scc1 .LBB3_33
.LBB3_28:
	s_cmp_gt_i32 s9, 1
	s_cbranch_scc0 .LBB3_34
; %bb.29:
	s_cmp_eq_u32 s9, 2
	s_cbranch_scc0 .LBB3_252
; %bb.30:
	s_and_b32 s4, s10, 0xff
	s_waitcnt vmcnt(6)
	v_cmp_le_u16_sdwa s[4:5], v8, s4 src0_sel:BYTE_0 src1_sel:DWORD
	s_mov_b64 s[16:17], 0
	s_branch .LBB3_36
.LBB3_31:
	s_and_b32 s4, s10, 0xff
	s_waitcnt vmcnt(7)
	v_cmp_lt_u16_sdwa s[6:7], v9, s4 src0_sel:BYTE_1 src1_sel:DWORD
	s_andn2_b64 s[2:3], s[2:3], exec
	s_and_b64 s[6:7], s[6:7], exec
	s_or_b64 s[2:3], s[2:3], s[6:7]
	s_cbranch_execnz .LBB3_27
.LBB3_32:
	s_and_b32 s4, s10, 0xff
	s_waitcnt vmcnt(7)
	v_cmp_ge_u16_sdwa s[4:5], v9, s4 src0_sel:BYTE_1 src1_sel:DWORD
	s_andn2_b64 s[2:3], s[2:3], exec
	s_and_b64 s[4:5], s[4:5], exec
	s_or_b64 s[2:3], s[2:3], s[4:5]
	s_cmp_lt_i32 s9, 1
	s_mov_b64 s[6:7], 0
	s_cbranch_scc0 .LBB3_28
.LBB3_33:
                                        ; implicit-def: $sgpr4_sgpr5
	s_mov_b64 s[16:17], 0
	s_cbranch_execnz .LBB3_37
	s_branch .LBB3_38
.LBB3_34:
	s_mov_b64 s[16:17], 0
                                        ; implicit-def: $sgpr4_sgpr5
	s_cbranch_execz .LBB3_36
; %bb.35:
	s_and_b32 s18, s10, 0xff
	s_waitcnt vmcnt(6)
	v_cmp_gt_u16_sdwa s[18:19], v8, s18 src0_sel:BYTE_0 src1_sel:DWORD
	s_andn2_b64 s[4:5], s[4:5], exec
	s_and_b64 s[18:19], s[18:19], exec
	s_or_b64 s[4:5], s[4:5], s[18:19]
.LBB3_36:
	s_branch .LBB3_38
.LBB3_37:
	s_cmp_lg_u32 s9, 0
	s_mov_b64 s[6:7], -1
	s_cselect_b64 s[16:17], -1, 0
.LBB3_38:
	s_andn2_b64 vcc, exec, s[16:17]
	s_cbranch_vccz .LBB3_44
; %bb.39:
	s_andn2_b64 vcc, exec, s[6:7]
	s_cbranch_vccz .LBB3_45
.LBB3_40:
	s_cmp_lt_i32 s9, 1
	s_mov_b64 s[16:17], 0
	s_cbranch_scc1 .LBB3_46
.LBB3_41:
	s_cmp_gt_i32 s9, 1
	s_cbranch_scc0 .LBB3_47
; %bb.42:
	s_cmp_eq_u32 s9, 2
	s_cbranch_scc0 .LBB3_253
; %bb.43:
	s_and_b32 s6, s10, 0xff
	s_waitcnt vmcnt(6)
	v_cmp_le_u16_sdwa s[6:7], v8, s6 src0_sel:BYTE_1 src1_sel:DWORD
	s_mov_b64 s[18:19], 0
	s_branch .LBB3_49
.LBB3_44:
	s_and_b32 s6, s10, 0xff
	s_waitcnt vmcnt(6)
	v_cmp_lt_u16_sdwa s[16:17], v8, s6 src0_sel:BYTE_0 src1_sel:DWORD
	s_andn2_b64 s[4:5], s[4:5], exec
	s_and_b64 s[16:17], s[16:17], exec
	s_or_b64 s[4:5], s[4:5], s[16:17]
	s_cbranch_execnz .LBB3_40
.LBB3_45:
	s_and_b32 s6, s10, 0xff
	s_waitcnt vmcnt(6)
	v_cmp_ge_u16_sdwa s[6:7], v8, s6 src0_sel:BYTE_0 src1_sel:DWORD
	s_andn2_b64 s[4:5], s[4:5], exec
	s_and_b64 s[6:7], s[6:7], exec
	s_or_b64 s[4:5], s[4:5], s[6:7]
	s_cmp_lt_i32 s9, 1
	s_mov_b64 s[16:17], 0
	s_cbranch_scc0 .LBB3_41
.LBB3_46:
                                        ; implicit-def: $sgpr6_sgpr7
	s_mov_b64 s[18:19], 0
	s_cbranch_execnz .LBB3_50
	s_branch .LBB3_51
.LBB3_47:
	s_mov_b64 s[18:19], 0
                                        ; implicit-def: $sgpr6_sgpr7
	s_cbranch_execz .LBB3_49
; %bb.48:
	s_and_b32 s20, s10, 0xff
	s_waitcnt vmcnt(6)
	v_cmp_gt_u16_sdwa s[20:21], v8, s20 src0_sel:BYTE_1 src1_sel:DWORD
	s_andn2_b64 s[6:7], s[6:7], exec
	s_and_b64 s[20:21], s[20:21], exec
	s_or_b64 s[6:7], s[6:7], s[20:21]
.LBB3_49:
	s_branch .LBB3_51
.LBB3_50:
	s_cmp_lg_u32 s9, 0
	s_mov_b64 s[16:17], -1
	s_cselect_b64 s[18:19], -1, 0
.LBB3_51:
	s_andn2_b64 vcc, exec, s[18:19]
	s_cbranch_vccz .LBB3_57
; %bb.52:
	s_andn2_b64 vcc, exec, s[16:17]
	s_cbranch_vccz .LBB3_58
.LBB3_53:
	s_cmp_lt_i32 s9, 1
	s_mov_b64 s[18:19], 0
	s_cbranch_scc1 .LBB3_59
.LBB3_54:
	s_cmp_gt_i32 s9, 1
	s_cbranch_scc0 .LBB3_60
; %bb.55:
	s_cmp_eq_u32 s9, 2
	s_cbranch_scc0 .LBB3_254
; %bb.56:
	s_and_b32 s16, s10, 0xff
	s_waitcnt vmcnt(5)
	v_cmp_le_u16_sdwa s[16:17], v7, s16 src0_sel:BYTE_0 src1_sel:DWORD
	s_mov_b64 s[20:21], 0
	s_branch .LBB3_62
.LBB3_57:
	s_and_b32 s16, s10, 0xff
	s_waitcnt vmcnt(6)
	v_cmp_lt_u16_sdwa s[18:19], v8, s16 src0_sel:BYTE_1 src1_sel:DWORD
	s_andn2_b64 s[6:7], s[6:7], exec
	s_and_b64 s[18:19], s[18:19], exec
	s_or_b64 s[6:7], s[6:7], s[18:19]
	s_cbranch_execnz .LBB3_53
.LBB3_58:
	s_and_b32 s16, s10, 0xff
	s_waitcnt vmcnt(6)
	v_cmp_ge_u16_sdwa s[16:17], v8, s16 src0_sel:BYTE_1 src1_sel:DWORD
	s_andn2_b64 s[6:7], s[6:7], exec
	s_and_b64 s[16:17], s[16:17], exec
	s_or_b64 s[6:7], s[6:7], s[16:17]
	s_cmp_lt_i32 s9, 1
	s_mov_b64 s[18:19], 0
	s_cbranch_scc0 .LBB3_54
.LBB3_59:
                                        ; implicit-def: $sgpr16_sgpr17
	s_mov_b64 s[20:21], 0
	s_cbranch_execnz .LBB3_63
	s_branch .LBB3_64
.LBB3_60:
	s_mov_b64 s[20:21], 0
                                        ; implicit-def: $sgpr16_sgpr17
	s_cbranch_execz .LBB3_62
; %bb.61:
	s_and_b32 s22, s10, 0xff
	s_waitcnt vmcnt(5)
	v_cmp_gt_u16_sdwa s[22:23], v7, s22 src0_sel:BYTE_0 src1_sel:DWORD
	s_andn2_b64 s[16:17], s[16:17], exec
	s_and_b64 s[22:23], s[22:23], exec
	s_or_b64 s[16:17], s[16:17], s[22:23]
.LBB3_62:
	s_branch .LBB3_64
.LBB3_63:
	s_cmp_lg_u32 s9, 0
	s_mov_b64 s[18:19], -1
	s_cselect_b64 s[20:21], -1, 0
.LBB3_64:
	s_andn2_b64 vcc, exec, s[20:21]
	s_cbranch_vccz .LBB3_70
; %bb.65:
	s_andn2_b64 vcc, exec, s[18:19]
	s_cbranch_vccz .LBB3_71
.LBB3_66:
	s_cmp_lt_i32 s9, 1
	s_mov_b64 s[20:21], 0
	s_cbranch_scc1 .LBB3_72
.LBB3_67:
	s_cmp_gt_i32 s9, 1
	s_cbranch_scc0 .LBB3_73
; %bb.68:
	s_cmp_eq_u32 s9, 2
	s_cbranch_scc0 .LBB3_255
; %bb.69:
	s_and_b32 s18, s10, 0xff
	s_waitcnt vmcnt(5)
	v_cmp_le_u16_sdwa s[18:19], v7, s18 src0_sel:BYTE_1 src1_sel:DWORD
	s_mov_b64 s[22:23], 0
	s_branch .LBB3_75
.LBB3_70:
	s_and_b32 s18, s10, 0xff
	s_waitcnt vmcnt(5)
	v_cmp_lt_u16_sdwa s[20:21], v7, s18 src0_sel:BYTE_0 src1_sel:DWORD
	s_andn2_b64 s[16:17], s[16:17], exec
	s_and_b64 s[20:21], s[20:21], exec
	s_or_b64 s[16:17], s[16:17], s[20:21]
	s_cbranch_execnz .LBB3_66
.LBB3_71:
	s_and_b32 s18, s10, 0xff
	s_waitcnt vmcnt(5)
	v_cmp_ge_u16_sdwa s[18:19], v7, s18 src0_sel:BYTE_0 src1_sel:DWORD
	s_andn2_b64 s[16:17], s[16:17], exec
	s_and_b64 s[18:19], s[18:19], exec
	s_or_b64 s[16:17], s[16:17], s[18:19]
	s_cmp_lt_i32 s9, 1
	s_mov_b64 s[20:21], 0
	s_cbranch_scc0 .LBB3_67
.LBB3_72:
                                        ; implicit-def: $sgpr18_sgpr19
	s_mov_b64 s[22:23], 0
	s_cbranch_execnz .LBB3_76
	s_branch .LBB3_77
.LBB3_73:
	s_mov_b64 s[22:23], 0
                                        ; implicit-def: $sgpr18_sgpr19
	s_cbranch_execz .LBB3_75
; %bb.74:
	s_and_b32 s24, s10, 0xff
	s_waitcnt vmcnt(5)
	v_cmp_gt_u16_sdwa s[24:25], v7, s24 src0_sel:BYTE_1 src1_sel:DWORD
	s_andn2_b64 s[18:19], s[18:19], exec
	s_and_b64 s[24:25], s[24:25], exec
	s_or_b64 s[18:19], s[18:19], s[24:25]
.LBB3_75:
	s_branch .LBB3_77
.LBB3_76:
	s_cmp_lg_u32 s9, 0
	s_mov_b64 s[20:21], -1
	s_cselect_b64 s[22:23], -1, 0
.LBB3_77:
	s_andn2_b64 vcc, exec, s[22:23]
	s_cbranch_vccz .LBB3_83
; %bb.78:
	s_andn2_b64 vcc, exec, s[20:21]
	s_cbranch_vccz .LBB3_84
.LBB3_79:
	s_cmp_lt_i32 s9, 1
	s_mov_b64 s[22:23], 0
	s_cbranch_scc1 .LBB3_85
.LBB3_80:
	s_cmp_gt_i32 s9, 1
	s_cbranch_scc0 .LBB3_86
; %bb.81:
	s_cmp_eq_u32 s9, 2
	s_cbranch_scc0 .LBB3_256
; %bb.82:
	s_and_b32 s20, s10, 0xff
	s_waitcnt vmcnt(4)
	v_cmp_le_u16_sdwa s[20:21], v6, s20 src0_sel:BYTE_0 src1_sel:DWORD
	s_mov_b64 s[24:25], 0
	s_branch .LBB3_88
.LBB3_83:
	s_and_b32 s20, s10, 0xff
	s_waitcnt vmcnt(5)
	v_cmp_lt_u16_sdwa s[22:23], v7, s20 src0_sel:BYTE_1 src1_sel:DWORD
	s_andn2_b64 s[18:19], s[18:19], exec
	s_and_b64 s[22:23], s[22:23], exec
	s_or_b64 s[18:19], s[18:19], s[22:23]
	s_cbranch_execnz .LBB3_79
.LBB3_84:
	s_and_b32 s20, s10, 0xff
	s_waitcnt vmcnt(5)
	v_cmp_ge_u16_sdwa s[20:21], v7, s20 src0_sel:BYTE_1 src1_sel:DWORD
	s_andn2_b64 s[18:19], s[18:19], exec
	s_and_b64 s[20:21], s[20:21], exec
	s_or_b64 s[18:19], s[18:19], s[20:21]
	s_cmp_lt_i32 s9, 1
	s_mov_b64 s[22:23], 0
	s_cbranch_scc0 .LBB3_80
.LBB3_85:
                                        ; implicit-def: $sgpr20_sgpr21
	s_mov_b64 s[24:25], 0
	s_cbranch_execnz .LBB3_89
	s_branch .LBB3_90
.LBB3_86:
	s_mov_b64 s[24:25], 0
                                        ; implicit-def: $sgpr20_sgpr21
	s_cbranch_execz .LBB3_88
; %bb.87:
	s_and_b32 s26, s10, 0xff
	s_waitcnt vmcnt(4)
	v_cmp_gt_u16_sdwa s[26:27], v6, s26 src0_sel:BYTE_0 src1_sel:DWORD
	s_andn2_b64 s[20:21], s[20:21], exec
	s_and_b64 s[26:27], s[26:27], exec
	s_or_b64 s[20:21], s[20:21], s[26:27]
.LBB3_88:
	s_branch .LBB3_90
.LBB3_89:
	s_cmp_lg_u32 s9, 0
	s_mov_b64 s[22:23], -1
	s_cselect_b64 s[24:25], -1, 0
.LBB3_90:
	s_andn2_b64 vcc, exec, s[24:25]
	s_cbranch_vccz .LBB3_96
; %bb.91:
	s_andn2_b64 vcc, exec, s[22:23]
	s_cbranch_vccz .LBB3_97
.LBB3_92:
	s_cmp_lt_i32 s9, 1
	s_mov_b64 s[24:25], 0
	s_cbranch_scc1 .LBB3_98
.LBB3_93:
	s_cmp_gt_i32 s9, 1
	s_cbranch_scc0 .LBB3_99
; %bb.94:
	s_cmp_eq_u32 s9, 2
	s_cbranch_scc0 .LBB3_257
; %bb.95:
	s_and_b32 s22, s10, 0xff
	s_waitcnt vmcnt(4)
	v_cmp_le_u16_sdwa s[22:23], v6, s22 src0_sel:BYTE_1 src1_sel:DWORD
	s_mov_b64 s[26:27], 0
	s_branch .LBB3_101
.LBB3_96:
	s_and_b32 s22, s10, 0xff
	s_waitcnt vmcnt(4)
	v_cmp_lt_u16_sdwa s[24:25], v6, s22 src0_sel:BYTE_0 src1_sel:DWORD
	s_andn2_b64 s[20:21], s[20:21], exec
	s_and_b64 s[24:25], s[24:25], exec
	s_or_b64 s[20:21], s[20:21], s[24:25]
	s_cbranch_execnz .LBB3_92
.LBB3_97:
	s_and_b32 s22, s10, 0xff
	s_waitcnt vmcnt(4)
	v_cmp_ge_u16_sdwa s[22:23], v6, s22 src0_sel:BYTE_0 src1_sel:DWORD
	s_andn2_b64 s[20:21], s[20:21], exec
	s_and_b64 s[22:23], s[22:23], exec
	s_or_b64 s[20:21], s[20:21], s[22:23]
	s_cmp_lt_i32 s9, 1
	s_mov_b64 s[24:25], 0
	s_cbranch_scc0 .LBB3_93
.LBB3_98:
                                        ; implicit-def: $sgpr22_sgpr23
	s_mov_b64 s[26:27], 0
	s_cbranch_execnz .LBB3_102
	s_branch .LBB3_103
.LBB3_99:
	s_mov_b64 s[26:27], 0
                                        ; implicit-def: $sgpr22_sgpr23
	s_cbranch_execz .LBB3_101
; %bb.100:
	s_and_b32 s28, s10, 0xff
	s_waitcnt vmcnt(4)
	v_cmp_gt_u16_sdwa s[28:29], v6, s28 src0_sel:BYTE_1 src1_sel:DWORD
	s_andn2_b64 s[22:23], s[22:23], exec
	s_and_b64 s[28:29], s[28:29], exec
	s_or_b64 s[22:23], s[22:23], s[28:29]
.LBB3_101:
	s_branch .LBB3_103
.LBB3_102:
	s_cmp_lg_u32 s9, 0
	s_mov_b64 s[24:25], -1
	s_cselect_b64 s[26:27], -1, 0
.LBB3_103:
	s_andn2_b64 vcc, exec, s[26:27]
	s_cbranch_vccz .LBB3_109
; %bb.104:
	s_andn2_b64 vcc, exec, s[24:25]
	s_cbranch_vccz .LBB3_110
.LBB3_105:
	s_cmp_lt_i32 s9, 1
	s_mov_b64 s[26:27], 0
	s_cbranch_scc1 .LBB3_111
.LBB3_106:
	s_cmp_gt_i32 s9, 1
	s_cbranch_scc0 .LBB3_112
; %bb.107:
	s_cmp_eq_u32 s9, 2
	s_cbranch_scc0 .LBB3_258
; %bb.108:
	s_and_b32 s24, s10, 0xff
	s_waitcnt vmcnt(3)
	v_cmp_le_u16_sdwa s[24:25], v5, s24 src0_sel:BYTE_0 src1_sel:DWORD
	s_mov_b64 s[28:29], 0
	s_branch .LBB3_114
.LBB3_109:
	s_and_b32 s24, s10, 0xff
	s_waitcnt vmcnt(4)
	v_cmp_lt_u16_sdwa s[26:27], v6, s24 src0_sel:BYTE_1 src1_sel:DWORD
	s_andn2_b64 s[22:23], s[22:23], exec
	s_and_b64 s[26:27], s[26:27], exec
	s_or_b64 s[22:23], s[22:23], s[26:27]
	s_cbranch_execnz .LBB3_105
.LBB3_110:
	s_and_b32 s24, s10, 0xff
	s_waitcnt vmcnt(4)
	v_cmp_ge_u16_sdwa s[24:25], v6, s24 src0_sel:BYTE_1 src1_sel:DWORD
	s_andn2_b64 s[22:23], s[22:23], exec
	s_and_b64 s[24:25], s[24:25], exec
	s_or_b64 s[22:23], s[22:23], s[24:25]
	s_cmp_lt_i32 s9, 1
	s_mov_b64 s[26:27], 0
	s_cbranch_scc0 .LBB3_106
.LBB3_111:
                                        ; implicit-def: $sgpr24_sgpr25
	s_mov_b64 s[28:29], 0
	s_cbranch_execnz .LBB3_115
	s_branch .LBB3_116
.LBB3_112:
	s_mov_b64 s[28:29], 0
                                        ; implicit-def: $sgpr24_sgpr25
	s_cbranch_execz .LBB3_114
; %bb.113:
	s_and_b32 s30, s10, 0xff
	s_waitcnt vmcnt(3)
	v_cmp_gt_u16_sdwa s[30:31], v5, s30 src0_sel:BYTE_0 src1_sel:DWORD
	s_andn2_b64 s[24:25], s[24:25], exec
	s_and_b64 s[30:31], s[30:31], exec
	s_or_b64 s[24:25], s[24:25], s[30:31]
.LBB3_114:
	s_branch .LBB3_116
.LBB3_115:
	s_cmp_lg_u32 s9, 0
	s_mov_b64 s[26:27], -1
	s_cselect_b64 s[28:29], -1, 0
.LBB3_116:
	s_andn2_b64 vcc, exec, s[28:29]
	s_cbranch_vccz .LBB3_122
; %bb.117:
	s_andn2_b64 vcc, exec, s[26:27]
	s_cbranch_vccz .LBB3_123
.LBB3_118:
	s_cmp_lt_i32 s9, 1
	s_mov_b64 s[28:29], 0
	s_cbranch_scc1 .LBB3_124
.LBB3_119:
	s_cmp_gt_i32 s9, 1
	s_cbranch_scc0 .LBB3_125
; %bb.120:
	s_cmp_eq_u32 s9, 2
	s_cbranch_scc0 .LBB3_259
; %bb.121:
	s_and_b32 s26, s10, 0xff
	s_waitcnt vmcnt(3)
	v_cmp_le_u16_sdwa s[26:27], v5, s26 src0_sel:BYTE_1 src1_sel:DWORD
	s_mov_b64 s[30:31], 0
	s_branch .LBB3_127
.LBB3_122:
	s_and_b32 s26, s10, 0xff
	s_waitcnt vmcnt(3)
	v_cmp_lt_u16_sdwa s[28:29], v5, s26 src0_sel:BYTE_0 src1_sel:DWORD
	s_andn2_b64 s[24:25], s[24:25], exec
	s_and_b64 s[28:29], s[28:29], exec
	s_or_b64 s[24:25], s[24:25], s[28:29]
	s_cbranch_execnz .LBB3_118
.LBB3_123:
	s_and_b32 s26, s10, 0xff
	s_waitcnt vmcnt(3)
	v_cmp_ge_u16_sdwa s[26:27], v5, s26 src0_sel:BYTE_0 src1_sel:DWORD
	s_andn2_b64 s[24:25], s[24:25], exec
	s_and_b64 s[26:27], s[26:27], exec
	s_or_b64 s[24:25], s[24:25], s[26:27]
	s_cmp_lt_i32 s9, 1
	s_mov_b64 s[28:29], 0
	s_cbranch_scc0 .LBB3_119
.LBB3_124:
                                        ; implicit-def: $sgpr26_sgpr27
	s_mov_b64 s[30:31], 0
	s_cbranch_execnz .LBB3_128
	s_branch .LBB3_129
.LBB3_125:
	s_mov_b64 s[30:31], 0
                                        ; implicit-def: $sgpr26_sgpr27
	s_cbranch_execz .LBB3_127
; %bb.126:
	s_and_b32 s34, s10, 0xff
	s_waitcnt vmcnt(3)
	v_cmp_gt_u16_sdwa s[34:35], v5, s34 src0_sel:BYTE_1 src1_sel:DWORD
	s_andn2_b64 s[26:27], s[26:27], exec
	s_and_b64 s[34:35], s[34:35], exec
	s_or_b64 s[26:27], s[26:27], s[34:35]
.LBB3_127:
	s_branch .LBB3_129
.LBB3_128:
	s_cmp_lg_u32 s9, 0
	s_mov_b64 s[28:29], -1
	s_cselect_b64 s[30:31], -1, 0
.LBB3_129:
	s_andn2_b64 vcc, exec, s[30:31]
	s_cbranch_vccz .LBB3_135
; %bb.130:
	s_andn2_b64 vcc, exec, s[28:29]
	s_cbranch_vccz .LBB3_136
.LBB3_131:
	s_cmp_lt_i32 s9, 1
	s_mov_b64 s[30:31], 0
	s_cbranch_scc1 .LBB3_137
.LBB3_132:
	s_cmp_gt_i32 s9, 1
	s_cbranch_scc0 .LBB3_138
; %bb.133:
	s_cmp_eq_u32 s9, 2
	s_cbranch_scc0 .LBB3_260
; %bb.134:
	s_and_b32 s28, s10, 0xff
	s_waitcnt vmcnt(2)
	v_cmp_le_u16_sdwa s[28:29], v4, s28 src0_sel:BYTE_0 src1_sel:DWORD
	s_mov_b64 s[34:35], 0
	s_branch .LBB3_140
.LBB3_135:
	s_and_b32 s28, s10, 0xff
	s_waitcnt vmcnt(3)
	v_cmp_lt_u16_sdwa s[30:31], v5, s28 src0_sel:BYTE_1 src1_sel:DWORD
	s_andn2_b64 s[26:27], s[26:27], exec
	s_and_b64 s[30:31], s[30:31], exec
	s_or_b64 s[26:27], s[26:27], s[30:31]
	s_cbranch_execnz .LBB3_131
.LBB3_136:
	s_and_b32 s28, s10, 0xff
	s_waitcnt vmcnt(3)
	v_cmp_ge_u16_sdwa s[28:29], v5, s28 src0_sel:BYTE_1 src1_sel:DWORD
	s_andn2_b64 s[26:27], s[26:27], exec
	s_and_b64 s[28:29], s[28:29], exec
	s_or_b64 s[26:27], s[26:27], s[28:29]
	s_cmp_lt_i32 s9, 1
	s_mov_b64 s[30:31], 0
	s_cbranch_scc0 .LBB3_132
.LBB3_137:
                                        ; implicit-def: $sgpr28_sgpr29
	s_mov_b64 s[34:35], 0
	s_cbranch_execnz .LBB3_141
	s_branch .LBB3_142
.LBB3_138:
	s_mov_b64 s[34:35], 0
                                        ; implicit-def: $sgpr28_sgpr29
	s_cbranch_execz .LBB3_140
; %bb.139:
	s_and_b32 s36, s10, 0xff
	s_waitcnt vmcnt(2)
	v_cmp_gt_u16_sdwa s[36:37], v4, s36 src0_sel:BYTE_0 src1_sel:DWORD
	s_andn2_b64 s[28:29], s[28:29], exec
	s_and_b64 s[36:37], s[36:37], exec
	s_or_b64 s[28:29], s[28:29], s[36:37]
.LBB3_140:
	s_branch .LBB3_142
.LBB3_141:
	s_cmp_lg_u32 s9, 0
	s_mov_b64 s[30:31], -1
	s_cselect_b64 s[34:35], -1, 0
.LBB3_142:
	s_andn2_b64 vcc, exec, s[34:35]
	s_cbranch_vccz .LBB3_148
; %bb.143:
	s_andn2_b64 vcc, exec, s[30:31]
	s_cbranch_vccz .LBB3_149
.LBB3_144:
	s_cmp_lt_i32 s9, 1
	s_mov_b64 s[34:35], 0
	s_cbranch_scc1 .LBB3_150
.LBB3_145:
	s_cmp_gt_i32 s9, 1
	s_cbranch_scc0 .LBB3_151
; %bb.146:
	s_cmp_eq_u32 s9, 2
	s_cbranch_scc0 .LBB3_261
; %bb.147:
	s_and_b32 s30, s10, 0xff
	s_waitcnt vmcnt(2)
	v_cmp_le_u16_sdwa s[30:31], v4, s30 src0_sel:BYTE_1 src1_sel:DWORD
	s_mov_b64 s[36:37], 0
	s_branch .LBB3_153
.LBB3_148:
	s_and_b32 s30, s10, 0xff
	s_waitcnt vmcnt(2)
	v_cmp_lt_u16_sdwa s[34:35], v4, s30 src0_sel:BYTE_0 src1_sel:DWORD
	s_andn2_b64 s[28:29], s[28:29], exec
	s_and_b64 s[34:35], s[34:35], exec
	s_or_b64 s[28:29], s[28:29], s[34:35]
	s_cbranch_execnz .LBB3_144
.LBB3_149:
	s_and_b32 s30, s10, 0xff
	s_waitcnt vmcnt(2)
	v_cmp_ge_u16_sdwa s[30:31], v4, s30 src0_sel:BYTE_0 src1_sel:DWORD
	s_andn2_b64 s[28:29], s[28:29], exec
	s_and_b64 s[30:31], s[30:31], exec
	s_or_b64 s[28:29], s[28:29], s[30:31]
	s_cmp_lt_i32 s9, 1
	s_mov_b64 s[34:35], 0
	s_cbranch_scc0 .LBB3_145
.LBB3_150:
                                        ; implicit-def: $sgpr30_sgpr31
	s_mov_b64 s[36:37], 0
	s_cbranch_execnz .LBB3_154
	s_branch .LBB3_155
.LBB3_151:
	s_mov_b64 s[36:37], 0
                                        ; implicit-def: $sgpr30_sgpr31
	s_cbranch_execz .LBB3_153
; %bb.152:
	s_and_b32 s38, s10, 0xff
	s_waitcnt vmcnt(2)
	v_cmp_gt_u16_sdwa s[38:39], v4, s38 src0_sel:BYTE_1 src1_sel:DWORD
	s_andn2_b64 s[30:31], s[30:31], exec
	s_and_b64 s[38:39], s[38:39], exec
	s_or_b64 s[30:31], s[30:31], s[38:39]
.LBB3_153:
	s_branch .LBB3_155
.LBB3_154:
	s_cmp_lg_u32 s9, 0
	s_mov_b64 s[34:35], -1
	s_cselect_b64 s[36:37], -1, 0
.LBB3_155:
	s_andn2_b64 vcc, exec, s[36:37]
	s_cbranch_vccz .LBB3_161
; %bb.156:
	s_andn2_b64 vcc, exec, s[34:35]
	s_cbranch_vccz .LBB3_162
.LBB3_157:
	s_cmp_lt_i32 s9, 1
	s_mov_b64 s[36:37], 0
	s_cbranch_scc1 .LBB3_163
.LBB3_158:
	s_cmp_gt_i32 s9, 1
	s_cbranch_scc0 .LBB3_164
; %bb.159:
	s_cmp_eq_u32 s9, 2
	s_cbranch_scc0 .LBB3_262
; %bb.160:
	s_and_b32 s34, s10, 0xff
	s_waitcnt vmcnt(1)
	v_cmp_le_u16_sdwa s[34:35], v3, s34 src0_sel:BYTE_0 src1_sel:DWORD
	s_mov_b64 s[38:39], 0
	s_branch .LBB3_166
.LBB3_161:
	s_and_b32 s34, s10, 0xff
	s_waitcnt vmcnt(2)
	v_cmp_lt_u16_sdwa s[36:37], v4, s34 src0_sel:BYTE_1 src1_sel:DWORD
	s_andn2_b64 s[30:31], s[30:31], exec
	s_and_b64 s[36:37], s[36:37], exec
	s_or_b64 s[30:31], s[30:31], s[36:37]
	s_cbranch_execnz .LBB3_157
.LBB3_162:
	s_and_b32 s34, s10, 0xff
	s_waitcnt vmcnt(2)
	v_cmp_ge_u16_sdwa s[34:35], v4, s34 src0_sel:BYTE_1 src1_sel:DWORD
	s_andn2_b64 s[30:31], s[30:31], exec
	s_and_b64 s[34:35], s[34:35], exec
	s_or_b64 s[30:31], s[30:31], s[34:35]
	s_cmp_lt_i32 s9, 1
	s_mov_b64 s[36:37], 0
	s_cbranch_scc0 .LBB3_158
.LBB3_163:
                                        ; implicit-def: $sgpr34_sgpr35
	s_mov_b64 s[38:39], 0
	s_cbranch_execnz .LBB3_167
	s_branch .LBB3_168
.LBB3_164:
	s_mov_b64 s[38:39], 0
                                        ; implicit-def: $sgpr34_sgpr35
	s_cbranch_execz .LBB3_166
; %bb.165:
	s_and_b32 s40, s10, 0xff
	s_waitcnt vmcnt(1)
	v_cmp_gt_u16_sdwa s[40:41], v3, s40 src0_sel:BYTE_0 src1_sel:DWORD
	s_andn2_b64 s[34:35], s[34:35], exec
	s_and_b64 s[40:41], s[40:41], exec
	s_or_b64 s[34:35], s[34:35], s[40:41]
.LBB3_166:
	s_branch .LBB3_168
.LBB3_167:
	s_cmp_lg_u32 s9, 0
	s_mov_b64 s[36:37], -1
	s_cselect_b64 s[38:39], -1, 0
.LBB3_168:
	s_andn2_b64 vcc, exec, s[38:39]
	s_cbranch_vccz .LBB3_174
; %bb.169:
	s_andn2_b64 vcc, exec, s[36:37]
	s_cbranch_vccz .LBB3_175
.LBB3_170:
	s_cmp_lt_i32 s9, 1
	s_mov_b64 s[38:39], 0
	s_cbranch_scc1 .LBB3_176
.LBB3_171:
	s_cmp_gt_i32 s9, 1
	s_cbranch_scc0 .LBB3_177
; %bb.172:
	s_cmp_eq_u32 s9, 2
	s_cbranch_scc0 .LBB3_263
; %bb.173:
	s_and_b32 s36, s10, 0xff
	s_waitcnt vmcnt(1)
	v_cmp_le_u16_sdwa s[36:37], v3, s36 src0_sel:BYTE_1 src1_sel:DWORD
	s_mov_b64 s[40:41], 0
	s_branch .LBB3_179
.LBB3_174:
	s_and_b32 s36, s10, 0xff
	s_waitcnt vmcnt(1)
	v_cmp_lt_u16_sdwa s[38:39], v3, s36 src0_sel:BYTE_0 src1_sel:DWORD
	s_andn2_b64 s[34:35], s[34:35], exec
	s_and_b64 s[38:39], s[38:39], exec
	s_or_b64 s[34:35], s[34:35], s[38:39]
	s_cbranch_execnz .LBB3_170
.LBB3_175:
	s_and_b32 s36, s10, 0xff
	s_waitcnt vmcnt(1)
	v_cmp_ge_u16_sdwa s[36:37], v3, s36 src0_sel:BYTE_0 src1_sel:DWORD
	s_andn2_b64 s[34:35], s[34:35], exec
	s_and_b64 s[36:37], s[36:37], exec
	s_or_b64 s[34:35], s[34:35], s[36:37]
	s_cmp_lt_i32 s9, 1
	s_mov_b64 s[38:39], 0
	s_cbranch_scc0 .LBB3_171
.LBB3_176:
                                        ; implicit-def: $sgpr36_sgpr37
	s_mov_b64 s[40:41], 0
	s_cbranch_execnz .LBB3_180
	s_branch .LBB3_181
.LBB3_177:
	s_mov_b64 s[40:41], 0
                                        ; implicit-def: $sgpr36_sgpr37
	s_cbranch_execz .LBB3_179
; %bb.178:
	s_and_b32 s42, s10, 0xff
	s_waitcnt vmcnt(1)
	v_cmp_gt_u16_sdwa s[42:43], v3, s42 src0_sel:BYTE_1 src1_sel:DWORD
	s_andn2_b64 s[36:37], s[36:37], exec
	s_and_b64 s[42:43], s[42:43], exec
	s_or_b64 s[36:37], s[36:37], s[42:43]
.LBB3_179:
	s_branch .LBB3_181
.LBB3_180:
	s_cmp_lg_u32 s9, 0
	s_mov_b64 s[38:39], -1
	s_cselect_b64 s[40:41], -1, 0
.LBB3_181:
	s_andn2_b64 vcc, exec, s[40:41]
	s_cbranch_vccz .LBB3_187
; %bb.182:
	s_andn2_b64 vcc, exec, s[38:39]
	s_cbranch_vccz .LBB3_188
.LBB3_183:
	s_cmp_lt_i32 s9, 1
	s_mov_b64 s[40:41], 0
	s_cbranch_scc1 .LBB3_189
.LBB3_184:
	s_cmp_gt_i32 s9, 1
	s_cbranch_scc0 .LBB3_190
; %bb.185:
	s_cmp_eq_u32 s9, 2
	s_cbranch_scc0 .LBB3_264
; %bb.186:
	s_and_b32 s38, s10, 0xff
	s_waitcnt vmcnt(0)
	v_cmp_le_u16_sdwa s[38:39], v2, s38 src0_sel:BYTE_0 src1_sel:DWORD
	s_mov_b64 s[42:43], 0
	s_branch .LBB3_192
.LBB3_187:
	s_and_b32 s38, s10, 0xff
	s_waitcnt vmcnt(1)
	v_cmp_lt_u16_sdwa s[40:41], v3, s38 src0_sel:BYTE_1 src1_sel:DWORD
	s_andn2_b64 s[36:37], s[36:37], exec
	s_and_b64 s[40:41], s[40:41], exec
	s_or_b64 s[36:37], s[36:37], s[40:41]
	s_cbranch_execnz .LBB3_183
.LBB3_188:
	s_and_b32 s38, s10, 0xff
	s_waitcnt vmcnt(1)
	v_cmp_ge_u16_sdwa s[38:39], v3, s38 src0_sel:BYTE_1 src1_sel:DWORD
	s_andn2_b64 s[36:37], s[36:37], exec
	s_and_b64 s[38:39], s[38:39], exec
	s_or_b64 s[36:37], s[36:37], s[38:39]
	s_cmp_lt_i32 s9, 1
	s_mov_b64 s[40:41], 0
	s_cbranch_scc0 .LBB3_184
.LBB3_189:
                                        ; implicit-def: $sgpr38_sgpr39
	s_mov_b64 s[42:43], 0
	s_cbranch_execnz .LBB3_193
	s_branch .LBB3_194
.LBB3_190:
	s_mov_b64 s[42:43], 0
                                        ; implicit-def: $sgpr38_sgpr39
	s_cbranch_execz .LBB3_192
; %bb.191:
	s_and_b32 s44, s10, 0xff
	s_waitcnt vmcnt(0)
	v_cmp_gt_u16_sdwa s[44:45], v2, s44 src0_sel:BYTE_0 src1_sel:DWORD
	s_andn2_b64 s[38:39], s[38:39], exec
	s_and_b64 s[44:45], s[44:45], exec
	s_or_b64 s[38:39], s[38:39], s[44:45]
.LBB3_192:
	s_branch .LBB3_194
.LBB3_193:
	s_cmp_lg_u32 s9, 0
	s_mov_b64 s[40:41], -1
	s_cselect_b64 s[42:43], -1, 0
.LBB3_194:
	s_andn2_b64 vcc, exec, s[42:43]
	s_cbranch_vccz .LBB3_200
; %bb.195:
	s_andn2_b64 vcc, exec, s[40:41]
	s_cbranch_vccz .LBB3_201
.LBB3_196:
	s_cmp_lt_i32 s9, 1
	s_mov_b64 s[42:43], 0
	s_cbranch_scc1 .LBB3_202
.LBB3_197:
	s_cmp_gt_i32 s9, 1
	s_cbranch_scc0 .LBB3_203
; %bb.198:
	s_cmp_eq_u32 s9, 2
	s_cbranch_scc0 .LBB3_265
; %bb.199:
	s_and_b32 s40, s10, 0xff
	s_waitcnt vmcnt(0)
	v_cmp_le_u16_sdwa s[40:41], v2, s40 src0_sel:BYTE_1 src1_sel:DWORD
	s_mov_b64 s[44:45], 0
	s_branch .LBB3_205
.LBB3_200:
	s_and_b32 s40, s10, 0xff
	s_waitcnt vmcnt(0)
	v_cmp_lt_u16_sdwa s[42:43], v2, s40 src0_sel:BYTE_0 src1_sel:DWORD
	s_andn2_b64 s[38:39], s[38:39], exec
	s_and_b64 s[42:43], s[42:43], exec
	s_or_b64 s[38:39], s[38:39], s[42:43]
	s_cbranch_execnz .LBB3_196
.LBB3_201:
	s_and_b32 s40, s10, 0xff
	s_waitcnt vmcnt(0)
	v_cmp_ge_u16_sdwa s[40:41], v2, s40 src0_sel:BYTE_0 src1_sel:DWORD
	s_andn2_b64 s[38:39], s[38:39], exec
	s_and_b64 s[40:41], s[40:41], exec
	s_or_b64 s[38:39], s[38:39], s[40:41]
	s_cmp_lt_i32 s9, 1
	s_mov_b64 s[42:43], 0
	s_cbranch_scc0 .LBB3_197
.LBB3_202:
                                        ; implicit-def: $sgpr40_sgpr41
	s_mov_b64 s[44:45], 0
	s_cbranch_execnz .LBB3_206
	s_branch .LBB3_207
.LBB3_203:
	s_mov_b64 s[44:45], 0
                                        ; implicit-def: $sgpr40_sgpr41
	s_cbranch_execz .LBB3_205
; %bb.204:
	s_and_b32 s46, s10, 0xff
	s_waitcnt vmcnt(0)
	v_cmp_gt_u16_sdwa s[46:47], v2, s46 src0_sel:BYTE_1 src1_sel:DWORD
	s_andn2_b64 s[40:41], s[40:41], exec
	s_and_b64 s[46:47], s[46:47], exec
	s_or_b64 s[40:41], s[40:41], s[46:47]
.LBB3_205:
	s_branch .LBB3_207
.LBB3_206:
	s_cmp_lg_u32 s9, 0
	s_mov_b64 s[42:43], -1
	s_cselect_b64 s[44:45], -1, 0
.LBB3_207:
	s_andn2_b64 vcc, exec, s[44:45]
	s_cbranch_vccz .LBB3_249
; %bb.208:
	s_andn2_b64 vcc, exec, s[42:43]
	s_cbranch_vccnz .LBB3_210
.LBB3_209:
	s_and_b32 s42, s10, 0xff
	s_waitcnt vmcnt(0)
	v_cmp_ge_u16_sdwa s[42:43], v2, s42 src0_sel:BYTE_1 src1_sel:DWORD
	s_andn2_b64 s[40:41], s[40:41], exec
	s_and_b64 s[42:43], s[42:43], exec
	s_or_b64 s[40:41], s[40:41], s[42:43]
.LBB3_210:
	s_waitcnt vmcnt(0)
	v_cndmask_b32_e64 v2, 0, 1, s[6:7]
	v_lshlrev_b16_e32 v2, 8, v2
	v_cndmask_b32_e64 v3, 0, 1, s[4:5]
	v_or_b32_e32 v2, v3, v2
	v_cndmask_b32_e64 v3, 0, 1, s[2:3]
	v_lshlrev_b16_e32 v3, 8, v3
	v_cndmask_b32_e64 v4, 0, 1, s[0:1]
	v_or_b32_e32 v3, v4, v3
	;; [unrolled: 4-line block ×7, first 2 shown]
	v_cndmask_b32_e64 v9, 0, 1, s[36:37]
	s_add_u32 s0, s12, s11
	v_lshlrev_b16_e32 v9, 8, v9
	v_cndmask_b32_e64 v10, 0, 1, s[34:35]
	s_addc_u32 s1, s13, s33
	v_or_b32_e32 v9, v10, v9
	global_store_short v1, v3, s[0:1]
	global_store_short v1, v2, s[0:1] offset:512
	global_store_short v1, v5, s[0:1] offset:1024
	;; [unrolled: 1-line block ×7, first 2 shown]
	s_mov_b64 s[0:1], 0
.LBB3_211:
	s_and_b64 vcc, exec, s[0:1]
	s_cbranch_vccz .LBB3_519
; %bb.212:
	v_cmp_gt_i32_e64 s[0:1], s8, v0
	v_mov_b32_e32 v4, 0
	v_or_b32_e32 v3, s11, v0
	v_mov_b32_e32 v5, 0
	v_mov_b32_e32 v6, 0
	;; [unrolled: 1-line block ×16, first 2 shown]
	s_and_saveexec_b64 s[2:3], s[0:1]
	s_cbranch_execz .LBB3_244
; %bb.213:
	global_load_ubyte v10, v3, s[14:15]
	v_or_b32_e32 v1, 0x100, v0
	v_cmp_gt_u32_e32 vcc, s8, v1
	v_mov_b32_e32 v21, 0
	v_mov_b32_e32 v20, 0
	;; [unrolled: 1-line block ×15, first 2 shown]
	s_and_saveexec_b64 s[4:5], vcc
	s_cbranch_execz .LBB3_243
; %bb.214:
	v_add_u32_e32 v1, s11, v0
	global_load_ubyte v21, v1, s[14:15] offset:256
	v_or_b32_e32 v2, 0x200, v0
	v_mov_b32_e32 v20, 0
	v_cmp_gt_u32_e32 vcc, s8, v2
	v_mov_b32_e32 v19, 0
	v_mov_b32_e32 v18, 0
	v_mov_b32_e32 v17, 0
	v_mov_b32_e32 v16, 0
	v_mov_b32_e32 v15, 0
	v_mov_b32_e32 v14, 0
	v_mov_b32_e32 v13, 0
	v_mov_b32_e32 v12, 0
	v_mov_b32_e32 v11, 0
	v_mov_b32_e32 v9, 0
	v_mov_b32_e32 v7, 0
	v_mov_b32_e32 v6, 0
	v_mov_b32_e32 v5, 0
	s_and_saveexec_b64 s[6:7], vcc
	s_cbranch_execz .LBB3_242
; %bb.215:
	v_mov_b32_e32 v2, s15
	v_add_co_u32_e32 v1, vcc, s14, v1
	v_addc_co_u32_e32 v2, vcc, 0, v2, vcc
	global_load_ubyte v20, v[1:2], off offset:512
	v_or_b32_e32 v5, 0x300, v0
	v_cmp_gt_u32_e32 vcc, s8, v5
	v_mov_b32_e32 v19, 0
	v_mov_b32_e32 v18, 0
	;; [unrolled: 1-line block ×13, first 2 shown]
	s_and_saveexec_b64 s[14:15], vcc
	s_cbranch_execz .LBB3_241
; %bb.216:
	global_load_ubyte v19, v[1:2], off offset:768
	v_or_b32_e32 v5, 0x400, v0
	v_cmp_gt_u32_e32 vcc, s8, v5
	v_mov_b32_e32 v18, 0
	v_mov_b32_e32 v17, 0
	;; [unrolled: 1-line block ×12, first 2 shown]
	s_and_saveexec_b64 s[16:17], vcc
	s_cbranch_execz .LBB3_240
; %bb.217:
	global_load_ubyte v18, v[1:2], off offset:1024
	v_or_b32_e32 v5, 0x500, v0
	v_cmp_gt_u32_e32 vcc, s8, v5
	v_mov_b32_e32 v17, 0
	v_mov_b32_e32 v16, 0
	;; [unrolled: 1-line block ×11, first 2 shown]
	s_and_saveexec_b64 s[18:19], vcc
	s_cbranch_execz .LBB3_239
; %bb.218:
	global_load_ubyte v17, v[1:2], off offset:1280
	v_or_b32_e32 v5, 0x600, v0
	v_cmp_gt_u32_e32 vcc, s8, v5
	v_mov_b32_e32 v16, 0
	v_mov_b32_e32 v15, 0
	;; [unrolled: 1-line block ×10, first 2 shown]
	s_and_saveexec_b64 s[20:21], vcc
	s_cbranch_execz .LBB3_238
; %bb.219:
	global_load_ubyte v16, v[1:2], off offset:1536
	v_or_b32_e32 v5, 0x700, v0
	v_cmp_gt_u32_e32 vcc, s8, v5
	v_mov_b32_e32 v15, 0
	v_mov_b32_e32 v14, 0
	;; [unrolled: 1-line block ×9, first 2 shown]
	s_and_saveexec_b64 s[22:23], vcc
	s_cbranch_execz .LBB3_237
; %bb.220:
	global_load_ubyte v15, v[1:2], off offset:1792
	v_or_b32_e32 v5, 0x800, v0
	v_cmp_gt_u32_e32 vcc, s8, v5
	v_mov_b32_e32 v14, 0
	v_mov_b32_e32 v13, 0
	;; [unrolled: 1-line block ×8, first 2 shown]
	s_and_saveexec_b64 s[24:25], vcc
	s_cbranch_execz .LBB3_236
; %bb.221:
	global_load_ubyte v14, v[1:2], off offset:2048
	v_or_b32_e32 v5, 0x900, v0
	v_cmp_gt_u32_e32 vcc, s8, v5
	v_mov_b32_e32 v13, 0
	v_mov_b32_e32 v12, 0
	;; [unrolled: 1-line block ×7, first 2 shown]
	s_and_saveexec_b64 s[26:27], vcc
	s_cbranch_execz .LBB3_235
; %bb.222:
	global_load_ubyte v13, v[1:2], off offset:2304
	v_or_b32_e32 v5, 0xa00, v0
	v_cmp_gt_u32_e32 vcc, s8, v5
	v_mov_b32_e32 v12, 0
	v_mov_b32_e32 v11, 0
	;; [unrolled: 1-line block ×6, first 2 shown]
	s_and_saveexec_b64 s[28:29], vcc
	s_cbranch_execz .LBB3_234
; %bb.223:
	global_load_ubyte v12, v[1:2], off offset:2560
	v_or_b32_e32 v5, 0xb00, v0
	v_cmp_gt_u32_e32 vcc, s8, v5
	v_mov_b32_e32 v11, 0
	v_mov_b32_e32 v9, 0
	;; [unrolled: 1-line block ×5, first 2 shown]
	s_and_saveexec_b64 s[30:31], vcc
	s_cbranch_execz .LBB3_233
; %bb.224:
	global_load_ubyte v11, v[1:2], off offset:2816
	v_or_b32_e32 v5, 0xc00, v0
	v_cmp_gt_u32_e32 vcc, s8, v5
	v_mov_b32_e32 v9, 0
	v_mov_b32_e32 v7, 0
	;; [unrolled: 1-line block ×4, first 2 shown]
	s_and_saveexec_b64 s[34:35], vcc
	s_cbranch_execz .LBB3_232
; %bb.225:
	global_load_ubyte v9, v[1:2], off offset:3072
	v_or_b32_e32 v5, 0xd00, v0
	v_cmp_gt_u32_e32 vcc, s8, v5
	v_mov_b32_e32 v7, 0
	v_mov_b32_e32 v6, 0
	;; [unrolled: 1-line block ×3, first 2 shown]
	s_and_saveexec_b64 s[36:37], vcc
	s_cbranch_execz .LBB3_231
; %bb.226:
	global_load_ubyte v7, v[1:2], off offset:3328
	v_or_b32_e32 v5, 0xe00, v0
	v_cmp_gt_u32_e32 vcc, s8, v5
	v_mov_b32_e32 v6, 0
	v_mov_b32_e32 v5, 0
	s_and_saveexec_b64 s[38:39], vcc
	s_cbranch_execz .LBB3_230
; %bb.227:
	global_load_ubyte v6, v[1:2], off offset:3584
	v_or_b32_e32 v5, 0xf00, v0
	v_cmp_gt_u32_e32 vcc, s8, v5
	v_mov_b32_e32 v5, 0
	s_and_saveexec_b64 s[40:41], vcc
	s_cbranch_execz .LBB3_229
; %bb.228:
	global_load_ubyte v5, v[1:2], off offset:3840
.LBB3_229:
	s_or_b64 exec, exec, s[40:41]
.LBB3_230:
	s_or_b64 exec, exec, s[38:39]
.LBB3_231:
	s_or_b64 exec, exec, s[36:37]
.LBB3_232:
	s_or_b64 exec, exec, s[34:35]
.LBB3_233:
	s_or_b64 exec, exec, s[30:31]
.LBB3_234:
	s_or_b64 exec, exec, s[28:29]
.LBB3_235:
	s_or_b64 exec, exec, s[26:27]
.LBB3_236:
	s_or_b64 exec, exec, s[24:25]
.LBB3_237:
	s_or_b64 exec, exec, s[22:23]
.LBB3_238:
	s_or_b64 exec, exec, s[20:21]
.LBB3_239:
	s_or_b64 exec, exec, s[18:19]
.LBB3_240:
	s_or_b64 exec, exec, s[16:17]
.LBB3_241:
	s_or_b64 exec, exec, s[14:15]
.LBB3_242:
	s_or_b64 exec, exec, s[6:7]
.LBB3_243:
	s_or_b64 exec, exec, s[4:5]
.LBB3_244:
	s_or_b64 exec, exec, s[2:3]
	v_mov_b32_e32 v8, v4
	v_mov_b32_e32 v2, v4
	;; [unrolled: 1-line block ×3, first 2 shown]
	s_and_saveexec_b64 s[2:3], s[0:1]
	s_cbranch_execz .LBB3_276
; %bb.245:
	s_cmp_lt_i32 s9, 1
	s_mov_b64 s[4:5], 0
	s_cbranch_scc1 .LBB3_250
; %bb.246:
	s_cmp_gt_i32 s9, 1
	s_cbranch_scc0 .LBB3_266
; %bb.247:
	s_cmp_eq_u32 s9, 2
	s_cbranch_scc0 .LBB3_267
; %bb.248:
	s_and_b32 s6, s10, 0xff
	s_waitcnt vmcnt(0)
	v_cmp_le_u16_sdwa s[6:7], v10, s6 src0_sel:BYTE_0 src1_sel:DWORD
	s_mov_b64 s[14:15], 0
	s_branch .LBB3_268
.LBB3_249:
	s_and_b32 s42, s10, 0xff
	s_waitcnt vmcnt(0)
	v_cmp_lt_u16_sdwa s[44:45], v2, s42 src0_sel:BYTE_1 src1_sel:DWORD
	s_andn2_b64 s[40:41], s[40:41], exec
	s_and_b64 s[44:45], s[44:45], exec
	s_or_b64 s[40:41], s[40:41], s[44:45]
	s_cbranch_execz .LBB3_209
	s_branch .LBB3_210
.LBB3_250:
                                        ; implicit-def: $sgpr6_sgpr7
	s_mov_b64 s[14:15], 0
	s_cbranch_execnz .LBB3_271
	s_branch .LBB3_272
.LBB3_251:
	s_mov_b64 s[6:7], -1
                                        ; implicit-def: $sgpr2_sgpr3
	s_branch .LBB3_23
.LBB3_252:
	s_mov_b64 s[16:17], -1
                                        ; implicit-def: $sgpr4_sgpr5
	s_branch .LBB3_36
.LBB3_253:
	s_mov_b64 s[18:19], -1
                                        ; implicit-def: $sgpr6_sgpr7
	s_branch .LBB3_49
.LBB3_254:
	s_mov_b64 s[20:21], -1
                                        ; implicit-def: $sgpr16_sgpr17
	s_branch .LBB3_62
.LBB3_255:
	s_mov_b64 s[22:23], -1
                                        ; implicit-def: $sgpr18_sgpr19
	s_branch .LBB3_75
.LBB3_256:
	s_mov_b64 s[24:25], -1
                                        ; implicit-def: $sgpr20_sgpr21
	s_branch .LBB3_88
.LBB3_257:
	s_mov_b64 s[26:27], -1
                                        ; implicit-def: $sgpr22_sgpr23
	s_branch .LBB3_101
.LBB3_258:
	s_mov_b64 s[28:29], -1
                                        ; implicit-def: $sgpr24_sgpr25
	s_branch .LBB3_114
.LBB3_259:
	s_mov_b64 s[30:31], -1
                                        ; implicit-def: $sgpr26_sgpr27
	s_branch .LBB3_127
.LBB3_260:
	s_mov_b64 s[34:35], -1
                                        ; implicit-def: $sgpr28_sgpr29
	s_branch .LBB3_140
.LBB3_261:
	s_mov_b64 s[36:37], -1
                                        ; implicit-def: $sgpr30_sgpr31
	s_branch .LBB3_153
.LBB3_262:
	s_mov_b64 s[38:39], -1
                                        ; implicit-def: $sgpr34_sgpr35
	s_branch .LBB3_166
.LBB3_263:
	s_mov_b64 s[40:41], -1
                                        ; implicit-def: $sgpr36_sgpr37
	s_branch .LBB3_179
.LBB3_264:
	s_mov_b64 s[42:43], -1
                                        ; implicit-def: $sgpr38_sgpr39
	s_branch .LBB3_192
.LBB3_265:
	s_mov_b64 s[44:45], -1
                                        ; implicit-def: $sgpr40_sgpr41
	s_branch .LBB3_205
.LBB3_266:
	s_mov_b64 s[14:15], 0
                                        ; implicit-def: $sgpr6_sgpr7
	s_cbranch_execnz .LBB3_269
	s_branch .LBB3_270
.LBB3_267:
	s_mov_b64 s[14:15], -1
                                        ; implicit-def: $sgpr6_sgpr7
.LBB3_268:
	s_branch .LBB3_270
.LBB3_269:
	s_and_b32 s16, s10, 0xff
	s_waitcnt vmcnt(0)
	v_cmp_gt_u16_sdwa s[16:17], v10, s16 src0_sel:BYTE_0 src1_sel:DWORD
	s_andn2_b64 s[6:7], s[6:7], exec
	s_and_b64 s[16:17], s[16:17], exec
	s_or_b64 s[6:7], s[6:7], s[16:17]
.LBB3_270:
	s_branch .LBB3_272
.LBB3_271:
	s_cmp_lg_u32 s9, 0
	s_mov_b64 s[4:5], -1
	s_cselect_b64 s[14:15], -1, 0
.LBB3_272:
	s_andn2_b64 vcc, exec, s[14:15]
	s_cbranch_vccz .LBB3_281
; %bb.273:
	s_andn2_b64 vcc, exec, s[4:5]
	s_cbranch_vccnz .LBB3_275
.LBB3_274:
	s_and_b32 s4, s10, 0xff
	s_waitcnt vmcnt(0)
	v_cmp_ge_u16_sdwa s[4:5], v10, s4 src0_sel:BYTE_0 src1_sel:DWORD
	s_andn2_b64 s[6:7], s[6:7], exec
	s_and_b64 s[4:5], s[4:5], exec
	s_or_b64 s[6:7], s[6:7], s[4:5]
.LBB3_275:
	v_cndmask_b32_e64 v1, 0, 1, s[6:7]
	v_mov_b32_e32 v8, 0
	v_and_b32_e32 v4, 0xffff, v1
	v_mov_b32_e32 v2, v8
	v_mov_b32_e32 v1, v8
.LBB3_276:
	s_or_b64 exec, exec, s[2:3]
	s_waitcnt vmcnt(0)
	v_or_b32_e32 v10, 0x100, v0
	v_cmp_gt_i32_e32 vcc, s8, v10
	s_and_saveexec_b64 s[2:3], vcc
	s_cbranch_execz .LBB3_291
; %bb.277:
	s_cmp_lt_i32 s9, 1
	s_mov_b64 s[4:5], 0
	s_cbranch_scc1 .LBB3_282
; %bb.278:
	s_cmp_gt_i32 s9, 1
	s_cbranch_scc0 .LBB3_283
; %bb.279:
	s_cmp_eq_u32 s9, 2
	s_cbranch_scc0 .LBB3_535
; %bb.280:
	s_and_b32 s6, s10, 0xff
	v_cmp_le_u16_sdwa s[6:7], v21, s6 src0_sel:BYTE_0 src1_sel:DWORD
	s_mov_b64 s[14:15], 0
	s_branch .LBB3_285
.LBB3_281:
	s_and_b32 s4, s10, 0xff
	s_waitcnt vmcnt(0)
	v_cmp_lt_u16_sdwa s[14:15], v10, s4 src0_sel:BYTE_0 src1_sel:DWORD
	s_andn2_b64 s[6:7], s[6:7], exec
	s_and_b64 s[14:15], s[14:15], exec
	s_or_b64 s[6:7], s[6:7], s[14:15]
	s_cbranch_execz .LBB3_274
	s_branch .LBB3_275
.LBB3_282:
                                        ; implicit-def: $sgpr6_sgpr7
	s_mov_b64 s[14:15], 0
	s_cbranch_execnz .LBB3_286
	s_branch .LBB3_287
.LBB3_283:
	s_mov_b64 s[14:15], 0
                                        ; implicit-def: $sgpr6_sgpr7
	s_cbranch_execz .LBB3_285
; %bb.284:
	s_and_b32 s16, s10, 0xff
	v_cmp_gt_u16_sdwa s[16:17], v21, s16 src0_sel:BYTE_0 src1_sel:DWORD
	s_andn2_b64 s[6:7], s[6:7], exec
	s_and_b64 s[16:17], s[16:17], exec
	s_or_b64 s[6:7], s[6:7], s[16:17]
.LBB3_285:
	s_branch .LBB3_287
.LBB3_286:
	s_cmp_lg_u32 s9, 0
	s_mov_b64 s[4:5], -1
	s_cselect_b64 s[14:15], -1, 0
.LBB3_287:
	s_andn2_b64 vcc, exec, s[14:15]
	s_cbranch_vccz .LBB3_296
; %bb.288:
	s_andn2_b64 vcc, exec, s[4:5]
	s_cbranch_vccnz .LBB3_290
.LBB3_289:
	s_and_b32 s4, s10, 0xff
	v_cmp_ge_u16_sdwa s[4:5], v21, s4 src0_sel:BYTE_0 src1_sel:DWORD
	s_andn2_b64 s[6:7], s[6:7], exec
	s_and_b64 s[4:5], s[4:5], exec
	s_or_b64 s[6:7], s[6:7], s[4:5]
.LBB3_290:
	v_cndmask_b32_e64 v21, 0, 1, s[6:7]
	v_lshlrev_b16_e32 v21, 8, v21
	v_or_b32_sdwa v21, v4, v21 dst_sel:DWORD dst_unused:UNUSED_PAD src0_sel:BYTE_0 src1_sel:DWORD
	v_and_b32_e32 v21, 0xffff, v21
	s_mov_b32 s4, 0xffff0000
	v_and_or_b32 v4, v4, s4, v21
.LBB3_291:
	s_or_b64 exec, exec, s[2:3]
	v_or_b32_e32 v21, 0x200, v0
	v_cmp_gt_i32_e32 vcc, s8, v21
	s_and_saveexec_b64 s[2:3], vcc
	s_cbranch_execz .LBB3_306
; %bb.292:
	s_cmp_lt_i32 s9, 1
	s_mov_b64 s[4:5], 0
	s_cbranch_scc1 .LBB3_297
; %bb.293:
	s_cmp_gt_i32 s9, 1
	s_cbranch_scc0 .LBB3_298
; %bb.294:
	s_cmp_eq_u32 s9, 2
	s_cbranch_scc0 .LBB3_536
; %bb.295:
	s_and_b32 s6, s10, 0xff
	v_cmp_le_u16_sdwa s[6:7], v20, s6 src0_sel:BYTE_0 src1_sel:DWORD
	s_mov_b64 s[14:15], 0
	s_branch .LBB3_300
.LBB3_296:
	s_and_b32 s4, s10, 0xff
	v_cmp_lt_u16_sdwa s[14:15], v21, s4 src0_sel:BYTE_0 src1_sel:DWORD
	s_andn2_b64 s[6:7], s[6:7], exec
	s_and_b64 s[14:15], s[14:15], exec
	s_or_b64 s[6:7], s[6:7], s[14:15]
	s_cbranch_execz .LBB3_289
	s_branch .LBB3_290
.LBB3_297:
                                        ; implicit-def: $sgpr6_sgpr7
	s_mov_b64 s[14:15], 0
	s_cbranch_execnz .LBB3_301
	s_branch .LBB3_302
.LBB3_298:
	s_mov_b64 s[14:15], 0
                                        ; implicit-def: $sgpr6_sgpr7
	s_cbranch_execz .LBB3_300
; %bb.299:
	s_and_b32 s16, s10, 0xff
	v_cmp_gt_u16_sdwa s[16:17], v20, s16 src0_sel:BYTE_0 src1_sel:DWORD
	s_andn2_b64 s[6:7], s[6:7], exec
	s_and_b64 s[16:17], s[16:17], exec
	s_or_b64 s[6:7], s[6:7], s[16:17]
.LBB3_300:
	s_branch .LBB3_302
.LBB3_301:
	s_cmp_lg_u32 s9, 0
	s_mov_b64 s[4:5], -1
	s_cselect_b64 s[14:15], -1, 0
.LBB3_302:
	s_andn2_b64 vcc, exec, s[14:15]
	s_cbranch_vccz .LBB3_311
; %bb.303:
	s_andn2_b64 vcc, exec, s[4:5]
	s_cbranch_vccnz .LBB3_305
.LBB3_304:
	s_and_b32 s4, s10, 0xff
	v_cmp_ge_u16_sdwa s[4:5], v20, s4 src0_sel:BYTE_0 src1_sel:DWORD
	s_andn2_b64 s[6:7], s[6:7], exec
	s_and_b64 s[4:5], s[4:5], exec
	s_or_b64 s[6:7], s[6:7], s[4:5]
.LBB3_305:
	s_movk_i32 s4, 0xff00
	v_and_b32_sdwa v20, v4, s4 dst_sel:DWORD dst_unused:UNUSED_PAD src0_sel:WORD_1 src1_sel:DWORD
	v_cndmask_b32_e64 v21, 0, 1, s[6:7]
	v_or_b32_sdwa v20, v21, v20 dst_sel:WORD_1 dst_unused:UNUSED_PAD src0_sel:DWORD src1_sel:DWORD
	s_mov_b32 s4, 0xffff
	v_and_or_b32 v4, v4, s4, v20
.LBB3_306:
	s_or_b64 exec, exec, s[2:3]
	v_or_b32_e32 v20, 0x300, v0
	v_cmp_gt_i32_e32 vcc, s8, v20
	s_and_saveexec_b64 s[2:3], vcc
	s_cbranch_execz .LBB3_321
; %bb.307:
	s_cmp_lt_i32 s9, 1
	s_mov_b64 s[4:5], 0
	s_cbranch_scc1 .LBB3_312
; %bb.308:
	s_cmp_gt_i32 s9, 1
	s_cbranch_scc0 .LBB3_313
; %bb.309:
	s_cmp_eq_u32 s9, 2
	s_cbranch_scc0 .LBB3_537
; %bb.310:
	s_and_b32 s6, s10, 0xff
	v_cmp_le_u16_sdwa s[6:7], v19, s6 src0_sel:BYTE_0 src1_sel:DWORD
	s_mov_b64 s[14:15], 0
	s_branch .LBB3_315
.LBB3_311:
	s_and_b32 s4, s10, 0xff
	v_cmp_lt_u16_sdwa s[14:15], v20, s4 src0_sel:BYTE_0 src1_sel:DWORD
	s_andn2_b64 s[6:7], s[6:7], exec
	s_and_b64 s[14:15], s[14:15], exec
	s_or_b64 s[6:7], s[6:7], s[14:15]
	s_cbranch_execz .LBB3_304
	s_branch .LBB3_305
.LBB3_312:
                                        ; implicit-def: $sgpr6_sgpr7
	s_mov_b64 s[14:15], 0
	s_cbranch_execnz .LBB3_316
	s_branch .LBB3_317
.LBB3_313:
	s_mov_b64 s[14:15], 0
                                        ; implicit-def: $sgpr6_sgpr7
	s_cbranch_execz .LBB3_315
; %bb.314:
	s_and_b32 s16, s10, 0xff
	v_cmp_gt_u16_sdwa s[16:17], v19, s16 src0_sel:BYTE_0 src1_sel:DWORD
	s_andn2_b64 s[6:7], s[6:7], exec
	s_and_b64 s[16:17], s[16:17], exec
	s_or_b64 s[6:7], s[6:7], s[16:17]
.LBB3_315:
	s_branch .LBB3_317
.LBB3_316:
	s_cmp_lg_u32 s9, 0
	s_mov_b64 s[4:5], -1
	s_cselect_b64 s[14:15], -1, 0
.LBB3_317:
	s_andn2_b64 vcc, exec, s[14:15]
	s_cbranch_vccz .LBB3_326
; %bb.318:
	s_andn2_b64 vcc, exec, s[4:5]
	s_cbranch_vccnz .LBB3_320
.LBB3_319:
	s_and_b32 s4, s10, 0xff
	v_cmp_ge_u16_sdwa s[4:5], v19, s4 src0_sel:BYTE_0 src1_sel:DWORD
	s_andn2_b64 s[6:7], s[6:7], exec
	s_and_b64 s[4:5], s[4:5], exec
	s_or_b64 s[6:7], s[6:7], s[4:5]
.LBB3_320:
	s_movk_i32 s4, 0xff
	v_cndmask_b32_e64 v20, 0, 1, s[6:7]
	v_and_b32_sdwa v19, v4, s4 dst_sel:DWORD dst_unused:UNUSED_PAD src0_sel:WORD_1 src1_sel:DWORD
	v_lshlrev_b16_e32 v20, 8, v20
	v_or_b32_sdwa v19, v19, v20 dst_sel:WORD_1 dst_unused:UNUSED_PAD src0_sel:DWORD src1_sel:DWORD
	s_mov_b32 s4, 0xffff
	v_and_or_b32 v4, v4, s4, v19
.LBB3_321:
	s_or_b64 exec, exec, s[2:3]
	v_or_b32_e32 v19, 0x400, v0
	v_cmp_gt_i32_e32 vcc, s8, v19
	s_and_saveexec_b64 s[2:3], vcc
	s_cbranch_execz .LBB3_336
; %bb.322:
	s_cmp_lt_i32 s9, 1
	s_mov_b64 s[4:5], 0
	s_cbranch_scc1 .LBB3_327
; %bb.323:
	s_cmp_gt_i32 s9, 1
	s_cbranch_scc0 .LBB3_328
; %bb.324:
	s_cmp_eq_u32 s9, 2
	s_cbranch_scc0 .LBB3_538
; %bb.325:
	s_and_b32 s6, s10, 0xff
	v_cmp_le_u16_sdwa s[6:7], v18, s6 src0_sel:BYTE_0 src1_sel:DWORD
	s_mov_b64 s[14:15], 0
	s_branch .LBB3_330
.LBB3_326:
	s_and_b32 s4, s10, 0xff
	v_cmp_lt_u16_sdwa s[14:15], v19, s4 src0_sel:BYTE_0 src1_sel:DWORD
	s_andn2_b64 s[6:7], s[6:7], exec
	s_and_b64 s[14:15], s[14:15], exec
	s_or_b64 s[6:7], s[6:7], s[14:15]
	s_cbranch_execz .LBB3_319
	s_branch .LBB3_320
.LBB3_327:
                                        ; implicit-def: $sgpr6_sgpr7
	s_mov_b64 s[14:15], 0
	s_cbranch_execnz .LBB3_331
	s_branch .LBB3_332
.LBB3_328:
	s_mov_b64 s[14:15], 0
                                        ; implicit-def: $sgpr6_sgpr7
	s_cbranch_execz .LBB3_330
; %bb.329:
	s_and_b32 s16, s10, 0xff
	v_cmp_gt_u16_sdwa s[16:17], v18, s16 src0_sel:BYTE_0 src1_sel:DWORD
	s_andn2_b64 s[6:7], s[6:7], exec
	s_and_b64 s[16:17], s[16:17], exec
	s_or_b64 s[6:7], s[6:7], s[16:17]
.LBB3_330:
	s_branch .LBB3_332
.LBB3_331:
	s_cmp_lg_u32 s9, 0
	s_mov_b64 s[4:5], -1
	s_cselect_b64 s[14:15], -1, 0
.LBB3_332:
	s_andn2_b64 vcc, exec, s[14:15]
	s_cbranch_vccz .LBB3_341
; %bb.333:
	s_andn2_b64 vcc, exec, s[4:5]
	s_cbranch_vccnz .LBB3_335
.LBB3_334:
	s_and_b32 s4, s10, 0xff
	v_cmp_ge_u16_sdwa s[4:5], v18, s4 src0_sel:BYTE_0 src1_sel:DWORD
	s_andn2_b64 s[6:7], s[6:7], exec
	s_and_b64 s[4:5], s[4:5], exec
	s_or_b64 s[6:7], s[6:7], s[4:5]
.LBB3_335:
	v_and_b32_e32 v18, 0xffffff00, v8
	v_cndmask_b32_e64 v19, 0, 1, s[6:7]
	v_or_b32_e32 v18, v19, v18
	v_and_b32_e32 v18, 0xffff, v18
	s_mov_b32 s4, 0xffff0000
	v_and_or_b32 v8, v8, s4, v18
.LBB3_336:
	s_or_b64 exec, exec, s[2:3]
	v_or_b32_e32 v18, 0x500, v0
	v_cmp_gt_i32_e32 vcc, s8, v18
	s_and_saveexec_b64 s[2:3], vcc
	s_cbranch_execz .LBB3_351
; %bb.337:
	s_cmp_lt_i32 s9, 1
	s_mov_b64 s[4:5], 0
	s_cbranch_scc1 .LBB3_342
; %bb.338:
	s_cmp_gt_i32 s9, 1
	s_cbranch_scc0 .LBB3_343
; %bb.339:
	s_cmp_eq_u32 s9, 2
	s_cbranch_scc0 .LBB3_539
; %bb.340:
	s_and_b32 s6, s10, 0xff
	v_cmp_le_u16_sdwa s[6:7], v17, s6 src0_sel:BYTE_0 src1_sel:DWORD
	s_mov_b64 s[14:15], 0
	s_branch .LBB3_345
.LBB3_341:
	s_and_b32 s4, s10, 0xff
	v_cmp_lt_u16_sdwa s[14:15], v18, s4 src0_sel:BYTE_0 src1_sel:DWORD
	s_andn2_b64 s[6:7], s[6:7], exec
	s_and_b64 s[14:15], s[14:15], exec
	s_or_b64 s[6:7], s[6:7], s[14:15]
	s_cbranch_execz .LBB3_334
	s_branch .LBB3_335
.LBB3_342:
                                        ; implicit-def: $sgpr6_sgpr7
	s_mov_b64 s[14:15], 0
	s_cbranch_execnz .LBB3_346
	s_branch .LBB3_347
.LBB3_343:
	s_mov_b64 s[14:15], 0
                                        ; implicit-def: $sgpr6_sgpr7
	s_cbranch_execz .LBB3_345
; %bb.344:
	s_and_b32 s16, s10, 0xff
	v_cmp_gt_u16_sdwa s[16:17], v17, s16 src0_sel:BYTE_0 src1_sel:DWORD
	s_andn2_b64 s[6:7], s[6:7], exec
	s_and_b64 s[16:17], s[16:17], exec
	s_or_b64 s[6:7], s[6:7], s[16:17]
.LBB3_345:
	s_branch .LBB3_347
.LBB3_346:
	s_cmp_lg_u32 s9, 0
	s_mov_b64 s[4:5], -1
	s_cselect_b64 s[14:15], -1, 0
.LBB3_347:
	s_andn2_b64 vcc, exec, s[14:15]
	s_cbranch_vccz .LBB3_356
; %bb.348:
	s_andn2_b64 vcc, exec, s[4:5]
	s_cbranch_vccnz .LBB3_350
.LBB3_349:
	s_and_b32 s4, s10, 0xff
	v_cmp_ge_u16_sdwa s[4:5], v17, s4 src0_sel:BYTE_0 src1_sel:DWORD
	s_andn2_b64 s[6:7], s[6:7], exec
	s_and_b64 s[4:5], s[4:5], exec
	s_or_b64 s[6:7], s[6:7], s[4:5]
.LBB3_350:
	v_cndmask_b32_e64 v17, 0, 1, s[6:7]
	v_lshlrev_b16_e32 v17, 8, v17
	v_or_b32_sdwa v17, v8, v17 dst_sel:DWORD dst_unused:UNUSED_PAD src0_sel:BYTE_0 src1_sel:DWORD
	v_and_b32_e32 v17, 0xffff, v17
	s_mov_b32 s4, 0xffff0000
	v_and_or_b32 v8, v8, s4, v17
.LBB3_351:
	s_or_b64 exec, exec, s[2:3]
	v_or_b32_e32 v17, 0x600, v0
	v_cmp_gt_i32_e32 vcc, s8, v17
	s_and_saveexec_b64 s[2:3], vcc
	s_cbranch_execz .LBB3_366
; %bb.352:
	s_cmp_lt_i32 s9, 1
	s_mov_b64 s[4:5], 0
	s_cbranch_scc1 .LBB3_357
; %bb.353:
	s_cmp_gt_i32 s9, 1
	s_cbranch_scc0 .LBB3_358
; %bb.354:
	s_cmp_eq_u32 s9, 2
	s_cbranch_scc0 .LBB3_540
; %bb.355:
	s_and_b32 s6, s10, 0xff
	v_cmp_le_u16_sdwa s[6:7], v16, s6 src0_sel:BYTE_0 src1_sel:DWORD
	s_mov_b64 s[14:15], 0
	s_branch .LBB3_360
.LBB3_356:
	s_and_b32 s4, s10, 0xff
	v_cmp_lt_u16_sdwa s[14:15], v17, s4 src0_sel:BYTE_0 src1_sel:DWORD
	s_andn2_b64 s[6:7], s[6:7], exec
	s_and_b64 s[14:15], s[14:15], exec
	s_or_b64 s[6:7], s[6:7], s[14:15]
	s_cbranch_execz .LBB3_349
	s_branch .LBB3_350
.LBB3_357:
                                        ; implicit-def: $sgpr6_sgpr7
	s_mov_b64 s[14:15], 0
	s_cbranch_execnz .LBB3_361
	s_branch .LBB3_362
.LBB3_358:
	s_mov_b64 s[14:15], 0
                                        ; implicit-def: $sgpr6_sgpr7
	s_cbranch_execz .LBB3_360
; %bb.359:
	s_and_b32 s16, s10, 0xff
	v_cmp_gt_u16_sdwa s[16:17], v16, s16 src0_sel:BYTE_0 src1_sel:DWORD
	s_andn2_b64 s[6:7], s[6:7], exec
	s_and_b64 s[16:17], s[16:17], exec
	s_or_b64 s[6:7], s[6:7], s[16:17]
.LBB3_360:
	s_branch .LBB3_362
.LBB3_361:
	s_cmp_lg_u32 s9, 0
	s_mov_b64 s[4:5], -1
	s_cselect_b64 s[14:15], -1, 0
.LBB3_362:
	s_andn2_b64 vcc, exec, s[14:15]
	s_cbranch_vccz .LBB3_371
; %bb.363:
	s_andn2_b64 vcc, exec, s[4:5]
	s_cbranch_vccnz .LBB3_365
.LBB3_364:
	s_and_b32 s4, s10, 0xff
	v_cmp_ge_u16_sdwa s[4:5], v16, s4 src0_sel:BYTE_0 src1_sel:DWORD
	s_andn2_b64 s[6:7], s[6:7], exec
	s_and_b64 s[4:5], s[4:5], exec
	s_or_b64 s[6:7], s[6:7], s[4:5]
.LBB3_365:
	s_movk_i32 s4, 0xff00
	v_and_b32_sdwa v16, v8, s4 dst_sel:DWORD dst_unused:UNUSED_PAD src0_sel:WORD_1 src1_sel:DWORD
	v_cndmask_b32_e64 v17, 0, 1, s[6:7]
	v_or_b32_sdwa v16, v17, v16 dst_sel:WORD_1 dst_unused:UNUSED_PAD src0_sel:DWORD src1_sel:DWORD
	s_mov_b32 s4, 0xffff
	v_and_or_b32 v8, v8, s4, v16
.LBB3_366:
	s_or_b64 exec, exec, s[2:3]
	v_or_b32_e32 v16, 0x700, v0
	v_cmp_gt_i32_e32 vcc, s8, v16
	s_and_saveexec_b64 s[2:3], vcc
	s_cbranch_execz .LBB3_381
; %bb.367:
	s_cmp_lt_i32 s9, 1
	s_mov_b64 s[4:5], 0
	s_cbranch_scc1 .LBB3_372
; %bb.368:
	s_cmp_gt_i32 s9, 1
	s_cbranch_scc0 .LBB3_373
; %bb.369:
	s_cmp_eq_u32 s9, 2
	s_cbranch_scc0 .LBB3_541
; %bb.370:
	s_and_b32 s6, s10, 0xff
	v_cmp_le_u16_sdwa s[6:7], v15, s6 src0_sel:BYTE_0 src1_sel:DWORD
	s_mov_b64 s[14:15], 0
	s_branch .LBB3_375
.LBB3_371:
	s_and_b32 s4, s10, 0xff
	v_cmp_lt_u16_sdwa s[14:15], v16, s4 src0_sel:BYTE_0 src1_sel:DWORD
	s_andn2_b64 s[6:7], s[6:7], exec
	s_and_b64 s[14:15], s[14:15], exec
	s_or_b64 s[6:7], s[6:7], s[14:15]
	s_cbranch_execz .LBB3_364
	s_branch .LBB3_365
.LBB3_372:
                                        ; implicit-def: $sgpr6_sgpr7
	s_mov_b64 s[14:15], 0
	s_cbranch_execnz .LBB3_376
	s_branch .LBB3_377
.LBB3_373:
	s_mov_b64 s[14:15], 0
                                        ; implicit-def: $sgpr6_sgpr7
	s_cbranch_execz .LBB3_375
; %bb.374:
	s_and_b32 s16, s10, 0xff
	v_cmp_gt_u16_sdwa s[16:17], v15, s16 src0_sel:BYTE_0 src1_sel:DWORD
	s_andn2_b64 s[6:7], s[6:7], exec
	s_and_b64 s[16:17], s[16:17], exec
	s_or_b64 s[6:7], s[6:7], s[16:17]
.LBB3_375:
	s_branch .LBB3_377
.LBB3_376:
	s_cmp_lg_u32 s9, 0
	s_mov_b64 s[4:5], -1
	s_cselect_b64 s[14:15], -1, 0
.LBB3_377:
	s_andn2_b64 vcc, exec, s[14:15]
	s_cbranch_vccz .LBB3_386
; %bb.378:
	s_andn2_b64 vcc, exec, s[4:5]
	s_cbranch_vccnz .LBB3_380
.LBB3_379:
	s_and_b32 s4, s10, 0xff
	v_cmp_ge_u16_sdwa s[4:5], v15, s4 src0_sel:BYTE_0 src1_sel:DWORD
	s_andn2_b64 s[6:7], s[6:7], exec
	s_and_b64 s[4:5], s[4:5], exec
	s_or_b64 s[6:7], s[6:7], s[4:5]
.LBB3_380:
	s_movk_i32 s4, 0xff
	v_cndmask_b32_e64 v16, 0, 1, s[6:7]
	v_and_b32_sdwa v15, v8, s4 dst_sel:DWORD dst_unused:UNUSED_PAD src0_sel:WORD_1 src1_sel:DWORD
	v_lshlrev_b16_e32 v16, 8, v16
	v_or_b32_sdwa v15, v15, v16 dst_sel:WORD_1 dst_unused:UNUSED_PAD src0_sel:DWORD src1_sel:DWORD
	s_mov_b32 s4, 0xffff
	v_and_or_b32 v8, v8, s4, v15
.LBB3_381:
	s_or_b64 exec, exec, s[2:3]
	v_or_b32_e32 v15, 0x800, v0
	v_cmp_gt_i32_e32 vcc, s8, v15
	s_and_saveexec_b64 s[2:3], vcc
	s_cbranch_execz .LBB3_396
; %bb.382:
	s_cmp_lt_i32 s9, 1
	s_mov_b64 s[4:5], 0
	s_cbranch_scc1 .LBB3_387
; %bb.383:
	s_cmp_gt_i32 s9, 1
	s_cbranch_scc0 .LBB3_388
; %bb.384:
	s_cmp_eq_u32 s9, 2
	s_cbranch_scc0 .LBB3_542
; %bb.385:
	s_and_b32 s6, s10, 0xff
	v_cmp_le_u16_sdwa s[6:7], v14, s6 src0_sel:BYTE_0 src1_sel:DWORD
	s_mov_b64 s[14:15], 0
	s_branch .LBB3_390
.LBB3_386:
	s_and_b32 s4, s10, 0xff
	v_cmp_lt_u16_sdwa s[14:15], v15, s4 src0_sel:BYTE_0 src1_sel:DWORD
	s_andn2_b64 s[6:7], s[6:7], exec
	s_and_b64 s[14:15], s[14:15], exec
	s_or_b64 s[6:7], s[6:7], s[14:15]
	s_cbranch_execz .LBB3_379
	s_branch .LBB3_380
.LBB3_387:
                                        ; implicit-def: $sgpr6_sgpr7
	s_mov_b64 s[14:15], 0
	s_cbranch_execnz .LBB3_391
	s_branch .LBB3_392
.LBB3_388:
	s_mov_b64 s[14:15], 0
                                        ; implicit-def: $sgpr6_sgpr7
	s_cbranch_execz .LBB3_390
; %bb.389:
	s_and_b32 s16, s10, 0xff
	v_cmp_gt_u16_sdwa s[16:17], v14, s16 src0_sel:BYTE_0 src1_sel:DWORD
	s_andn2_b64 s[6:7], s[6:7], exec
	s_and_b64 s[16:17], s[16:17], exec
	s_or_b64 s[6:7], s[6:7], s[16:17]
.LBB3_390:
	s_branch .LBB3_392
.LBB3_391:
	s_cmp_lg_u32 s9, 0
	s_mov_b64 s[4:5], -1
	s_cselect_b64 s[14:15], -1, 0
.LBB3_392:
	s_andn2_b64 vcc, exec, s[14:15]
	s_cbranch_vccz .LBB3_401
; %bb.393:
	s_andn2_b64 vcc, exec, s[4:5]
	s_cbranch_vccnz .LBB3_395
.LBB3_394:
	s_and_b32 s4, s10, 0xff
	v_cmp_ge_u16_sdwa s[4:5], v14, s4 src0_sel:BYTE_0 src1_sel:DWORD
	s_andn2_b64 s[6:7], s[6:7], exec
	s_and_b64 s[4:5], s[4:5], exec
	s_or_b64 s[6:7], s[6:7], s[4:5]
.LBB3_395:
	v_and_b32_e32 v14, 0xffffff00, v2
	v_cndmask_b32_e64 v15, 0, 1, s[6:7]
	v_or_b32_e32 v14, v15, v14
	v_and_b32_e32 v14, 0xffff, v14
	s_mov_b32 s4, 0xffff0000
	v_and_or_b32 v2, v2, s4, v14
.LBB3_396:
	s_or_b64 exec, exec, s[2:3]
	v_or_b32_e32 v14, 0x900, v0
	v_cmp_gt_i32_e32 vcc, s8, v14
	s_and_saveexec_b64 s[2:3], vcc
	s_cbranch_execz .LBB3_411
; %bb.397:
	s_cmp_lt_i32 s9, 1
	s_mov_b64 s[4:5], 0
	s_cbranch_scc1 .LBB3_402
; %bb.398:
	s_cmp_gt_i32 s9, 1
	s_cbranch_scc0 .LBB3_403
; %bb.399:
	s_cmp_eq_u32 s9, 2
	s_cbranch_scc0 .LBB3_543
; %bb.400:
	s_and_b32 s6, s10, 0xff
	v_cmp_le_u16_sdwa s[6:7], v13, s6 src0_sel:BYTE_0 src1_sel:DWORD
	s_mov_b64 s[14:15], 0
	s_branch .LBB3_405
.LBB3_401:
	s_and_b32 s4, s10, 0xff
	v_cmp_lt_u16_sdwa s[14:15], v14, s4 src0_sel:BYTE_0 src1_sel:DWORD
	s_andn2_b64 s[6:7], s[6:7], exec
	s_and_b64 s[14:15], s[14:15], exec
	s_or_b64 s[6:7], s[6:7], s[14:15]
	s_cbranch_execz .LBB3_394
	s_branch .LBB3_395
.LBB3_402:
                                        ; implicit-def: $sgpr6_sgpr7
	s_mov_b64 s[14:15], 0
	s_cbranch_execnz .LBB3_406
	s_branch .LBB3_407
.LBB3_403:
	s_mov_b64 s[14:15], 0
                                        ; implicit-def: $sgpr6_sgpr7
	s_cbranch_execz .LBB3_405
; %bb.404:
	s_and_b32 s16, s10, 0xff
	v_cmp_gt_u16_sdwa s[16:17], v13, s16 src0_sel:BYTE_0 src1_sel:DWORD
	s_andn2_b64 s[6:7], s[6:7], exec
	s_and_b64 s[16:17], s[16:17], exec
	s_or_b64 s[6:7], s[6:7], s[16:17]
.LBB3_405:
	s_branch .LBB3_407
.LBB3_406:
	s_cmp_lg_u32 s9, 0
	s_mov_b64 s[4:5], -1
	s_cselect_b64 s[14:15], -1, 0
.LBB3_407:
	s_andn2_b64 vcc, exec, s[14:15]
	s_cbranch_vccz .LBB3_416
; %bb.408:
	s_andn2_b64 vcc, exec, s[4:5]
	s_cbranch_vccnz .LBB3_410
.LBB3_409:
	s_and_b32 s4, s10, 0xff
	v_cmp_ge_u16_sdwa s[4:5], v13, s4 src0_sel:BYTE_0 src1_sel:DWORD
	s_andn2_b64 s[6:7], s[6:7], exec
	s_and_b64 s[4:5], s[4:5], exec
	s_or_b64 s[6:7], s[6:7], s[4:5]
.LBB3_410:
	v_cndmask_b32_e64 v13, 0, 1, s[6:7]
	v_lshlrev_b16_e32 v13, 8, v13
	v_or_b32_sdwa v13, v2, v13 dst_sel:DWORD dst_unused:UNUSED_PAD src0_sel:BYTE_0 src1_sel:DWORD
	v_and_b32_e32 v13, 0xffff, v13
	s_mov_b32 s4, 0xffff0000
	v_and_or_b32 v2, v2, s4, v13
.LBB3_411:
	s_or_b64 exec, exec, s[2:3]
	v_or_b32_e32 v13, 0xa00, v0
	v_cmp_gt_i32_e32 vcc, s8, v13
	s_and_saveexec_b64 s[2:3], vcc
	s_cbranch_execz .LBB3_426
; %bb.412:
	s_cmp_lt_i32 s9, 1
	s_mov_b64 s[4:5], 0
	s_cbranch_scc1 .LBB3_417
; %bb.413:
	s_cmp_gt_i32 s9, 1
	s_cbranch_scc0 .LBB3_418
; %bb.414:
	s_cmp_eq_u32 s9, 2
	s_cbranch_scc0 .LBB3_544
; %bb.415:
	s_and_b32 s6, s10, 0xff
	v_cmp_le_u16_sdwa s[6:7], v12, s6 src0_sel:BYTE_0 src1_sel:DWORD
	s_mov_b64 s[14:15], 0
	s_branch .LBB3_420
.LBB3_416:
	s_and_b32 s4, s10, 0xff
	v_cmp_lt_u16_sdwa s[14:15], v13, s4 src0_sel:BYTE_0 src1_sel:DWORD
	s_andn2_b64 s[6:7], s[6:7], exec
	s_and_b64 s[14:15], s[14:15], exec
	s_or_b64 s[6:7], s[6:7], s[14:15]
	s_cbranch_execz .LBB3_409
	s_branch .LBB3_410
.LBB3_417:
                                        ; implicit-def: $sgpr6_sgpr7
	s_mov_b64 s[14:15], 0
	s_cbranch_execnz .LBB3_421
	s_branch .LBB3_422
.LBB3_418:
	s_mov_b64 s[14:15], 0
                                        ; implicit-def: $sgpr6_sgpr7
	s_cbranch_execz .LBB3_420
; %bb.419:
	s_and_b32 s16, s10, 0xff
	v_cmp_gt_u16_sdwa s[16:17], v12, s16 src0_sel:BYTE_0 src1_sel:DWORD
	s_andn2_b64 s[6:7], s[6:7], exec
	s_and_b64 s[16:17], s[16:17], exec
	s_or_b64 s[6:7], s[6:7], s[16:17]
.LBB3_420:
	s_branch .LBB3_422
.LBB3_421:
	s_cmp_lg_u32 s9, 0
	s_mov_b64 s[4:5], -1
	s_cselect_b64 s[14:15], -1, 0
.LBB3_422:
	s_andn2_b64 vcc, exec, s[14:15]
	s_cbranch_vccz .LBB3_431
; %bb.423:
	s_andn2_b64 vcc, exec, s[4:5]
	s_cbranch_vccnz .LBB3_425
.LBB3_424:
	s_and_b32 s4, s10, 0xff
	v_cmp_ge_u16_sdwa s[4:5], v12, s4 src0_sel:BYTE_0 src1_sel:DWORD
	s_andn2_b64 s[6:7], s[6:7], exec
	s_and_b64 s[4:5], s[4:5], exec
	s_or_b64 s[6:7], s[6:7], s[4:5]
.LBB3_425:
	s_movk_i32 s4, 0xff00
	v_and_b32_sdwa v12, v2, s4 dst_sel:DWORD dst_unused:UNUSED_PAD src0_sel:WORD_1 src1_sel:DWORD
	v_cndmask_b32_e64 v13, 0, 1, s[6:7]
	v_or_b32_sdwa v12, v13, v12 dst_sel:WORD_1 dst_unused:UNUSED_PAD src0_sel:DWORD src1_sel:DWORD
	s_mov_b32 s4, 0xffff
	v_and_or_b32 v2, v2, s4, v12
.LBB3_426:
	s_or_b64 exec, exec, s[2:3]
	v_or_b32_e32 v12, 0xb00, v0
	v_cmp_gt_i32_e32 vcc, s8, v12
	s_and_saveexec_b64 s[2:3], vcc
	s_cbranch_execz .LBB3_441
; %bb.427:
	s_cmp_lt_i32 s9, 1
	s_mov_b64 s[4:5], 0
	s_cbranch_scc1 .LBB3_432
; %bb.428:
	s_cmp_gt_i32 s9, 1
	s_cbranch_scc0 .LBB3_433
; %bb.429:
	s_cmp_eq_u32 s9, 2
	s_cbranch_scc0 .LBB3_545
; %bb.430:
	s_and_b32 s6, s10, 0xff
	v_cmp_le_u16_sdwa s[6:7], v11, s6 src0_sel:BYTE_0 src1_sel:DWORD
	s_mov_b64 s[14:15], 0
	s_branch .LBB3_435
.LBB3_431:
	s_and_b32 s4, s10, 0xff
	v_cmp_lt_u16_sdwa s[14:15], v12, s4 src0_sel:BYTE_0 src1_sel:DWORD
	s_andn2_b64 s[6:7], s[6:7], exec
	s_and_b64 s[14:15], s[14:15], exec
	s_or_b64 s[6:7], s[6:7], s[14:15]
	s_cbranch_execz .LBB3_424
	s_branch .LBB3_425
.LBB3_432:
                                        ; implicit-def: $sgpr6_sgpr7
	s_mov_b64 s[14:15], 0
	s_cbranch_execnz .LBB3_436
	s_branch .LBB3_437
.LBB3_433:
	s_mov_b64 s[14:15], 0
                                        ; implicit-def: $sgpr6_sgpr7
	s_cbranch_execz .LBB3_435
; %bb.434:
	s_and_b32 s16, s10, 0xff
	v_cmp_gt_u16_sdwa s[16:17], v11, s16 src0_sel:BYTE_0 src1_sel:DWORD
	s_andn2_b64 s[6:7], s[6:7], exec
	s_and_b64 s[16:17], s[16:17], exec
	s_or_b64 s[6:7], s[6:7], s[16:17]
.LBB3_435:
	s_branch .LBB3_437
.LBB3_436:
	s_cmp_lg_u32 s9, 0
	s_mov_b64 s[4:5], -1
	s_cselect_b64 s[14:15], -1, 0
.LBB3_437:
	s_andn2_b64 vcc, exec, s[14:15]
	s_cbranch_vccz .LBB3_446
; %bb.438:
	s_andn2_b64 vcc, exec, s[4:5]
	s_cbranch_vccnz .LBB3_440
.LBB3_439:
	s_and_b32 s4, s10, 0xff
	v_cmp_ge_u16_sdwa s[4:5], v11, s4 src0_sel:BYTE_0 src1_sel:DWORD
	s_andn2_b64 s[6:7], s[6:7], exec
	s_and_b64 s[4:5], s[4:5], exec
	s_or_b64 s[6:7], s[6:7], s[4:5]
.LBB3_440:
	s_movk_i32 s4, 0xff
	v_cndmask_b32_e64 v12, 0, 1, s[6:7]
	v_and_b32_sdwa v11, v2, s4 dst_sel:DWORD dst_unused:UNUSED_PAD src0_sel:WORD_1 src1_sel:DWORD
	v_lshlrev_b16_e32 v12, 8, v12
	v_or_b32_sdwa v11, v11, v12 dst_sel:WORD_1 dst_unused:UNUSED_PAD src0_sel:DWORD src1_sel:DWORD
	s_mov_b32 s4, 0xffff
	v_and_or_b32 v2, v2, s4, v11
.LBB3_441:
	s_or_b64 exec, exec, s[2:3]
	v_or_b32_e32 v11, 0xc00, v0
	v_cmp_gt_i32_e32 vcc, s8, v11
	s_and_saveexec_b64 s[2:3], vcc
	s_cbranch_execz .LBB3_456
; %bb.442:
	s_cmp_lt_i32 s9, 1
	s_mov_b64 s[4:5], 0
	s_cbranch_scc1 .LBB3_447
; %bb.443:
	s_cmp_gt_i32 s9, 1
	s_cbranch_scc0 .LBB3_448
; %bb.444:
	s_cmp_eq_u32 s9, 2
	s_cbranch_scc0 .LBB3_546
; %bb.445:
	s_and_b32 s6, s10, 0xff
	v_cmp_le_u16_sdwa s[6:7], v9, s6 src0_sel:BYTE_0 src1_sel:DWORD
	s_mov_b64 s[14:15], 0
	s_branch .LBB3_450
.LBB3_446:
	s_and_b32 s4, s10, 0xff
	v_cmp_lt_u16_sdwa s[14:15], v11, s4 src0_sel:BYTE_0 src1_sel:DWORD
	s_andn2_b64 s[6:7], s[6:7], exec
	s_and_b64 s[14:15], s[14:15], exec
	s_or_b64 s[6:7], s[6:7], s[14:15]
	s_cbranch_execz .LBB3_439
	s_branch .LBB3_440
.LBB3_447:
                                        ; implicit-def: $sgpr6_sgpr7
	s_mov_b64 s[14:15], 0
	s_cbranch_execnz .LBB3_451
	s_branch .LBB3_452
.LBB3_448:
	s_mov_b64 s[14:15], 0
                                        ; implicit-def: $sgpr6_sgpr7
	s_cbranch_execz .LBB3_450
; %bb.449:
	s_and_b32 s16, s10, 0xff
	v_cmp_gt_u16_sdwa s[16:17], v9, s16 src0_sel:BYTE_0 src1_sel:DWORD
	s_andn2_b64 s[6:7], s[6:7], exec
	s_and_b64 s[16:17], s[16:17], exec
	s_or_b64 s[6:7], s[6:7], s[16:17]
.LBB3_450:
	s_branch .LBB3_452
.LBB3_451:
	s_cmp_lg_u32 s9, 0
	s_mov_b64 s[4:5], -1
	s_cselect_b64 s[14:15], -1, 0
.LBB3_452:
	s_andn2_b64 vcc, exec, s[14:15]
	s_cbranch_vccz .LBB3_461
; %bb.453:
	s_andn2_b64 vcc, exec, s[4:5]
	s_cbranch_vccnz .LBB3_455
.LBB3_454:
	s_and_b32 s4, s10, 0xff
	v_cmp_ge_u16_sdwa s[4:5], v9, s4 src0_sel:BYTE_0 src1_sel:DWORD
	s_andn2_b64 s[6:7], s[6:7], exec
	s_and_b64 s[4:5], s[4:5], exec
	s_or_b64 s[6:7], s[6:7], s[4:5]
.LBB3_455:
	v_and_b32_e32 v9, 0xffffff00, v1
	v_cndmask_b32_e64 v11, 0, 1, s[6:7]
	v_or_b32_e32 v9, v11, v9
	v_and_b32_e32 v9, 0xffff, v9
	s_mov_b32 s4, 0xffff0000
	v_and_or_b32 v1, v1, s4, v9
.LBB3_456:
	s_or_b64 exec, exec, s[2:3]
	v_or_b32_e32 v9, 0xd00, v0
	v_cmp_gt_i32_e32 vcc, s8, v9
	s_and_saveexec_b64 s[2:3], vcc
	s_cbranch_execz .LBB3_471
; %bb.457:
	s_cmp_lt_i32 s9, 1
	s_mov_b64 s[4:5], 0
	s_cbranch_scc1 .LBB3_462
; %bb.458:
	s_cmp_gt_i32 s9, 1
	s_cbranch_scc0 .LBB3_463
; %bb.459:
	s_cmp_eq_u32 s9, 2
	s_cbranch_scc0 .LBB3_547
; %bb.460:
	s_and_b32 s6, s10, 0xff
	v_cmp_le_u16_sdwa s[6:7], v7, s6 src0_sel:BYTE_0 src1_sel:DWORD
	s_mov_b64 s[14:15], 0
	s_branch .LBB3_465
.LBB3_461:
	s_and_b32 s4, s10, 0xff
	v_cmp_lt_u16_sdwa s[14:15], v9, s4 src0_sel:BYTE_0 src1_sel:DWORD
	s_andn2_b64 s[6:7], s[6:7], exec
	s_and_b64 s[14:15], s[14:15], exec
	s_or_b64 s[6:7], s[6:7], s[14:15]
	s_cbranch_execz .LBB3_454
	s_branch .LBB3_455
.LBB3_462:
                                        ; implicit-def: $sgpr6_sgpr7
	s_mov_b64 s[14:15], 0
	s_cbranch_execnz .LBB3_466
	s_branch .LBB3_467
.LBB3_463:
	s_mov_b64 s[14:15], 0
                                        ; implicit-def: $sgpr6_sgpr7
	s_cbranch_execz .LBB3_465
; %bb.464:
	s_and_b32 s16, s10, 0xff
	v_cmp_gt_u16_sdwa s[16:17], v7, s16 src0_sel:BYTE_0 src1_sel:DWORD
	s_andn2_b64 s[6:7], s[6:7], exec
	s_and_b64 s[16:17], s[16:17], exec
	s_or_b64 s[6:7], s[6:7], s[16:17]
.LBB3_465:
	s_branch .LBB3_467
.LBB3_466:
	s_cmp_lg_u32 s9, 0
	s_mov_b64 s[4:5], -1
	s_cselect_b64 s[14:15], -1, 0
.LBB3_467:
	s_andn2_b64 vcc, exec, s[14:15]
	s_cbranch_vccz .LBB3_476
; %bb.468:
	s_andn2_b64 vcc, exec, s[4:5]
	s_cbranch_vccnz .LBB3_470
.LBB3_469:
	s_and_b32 s4, s10, 0xff
	v_cmp_ge_u16_sdwa s[4:5], v7, s4 src0_sel:BYTE_0 src1_sel:DWORD
	s_andn2_b64 s[6:7], s[6:7], exec
	s_and_b64 s[4:5], s[4:5], exec
	s_or_b64 s[6:7], s[6:7], s[4:5]
.LBB3_470:
	v_cndmask_b32_e64 v7, 0, 1, s[6:7]
	v_lshlrev_b16_e32 v7, 8, v7
	v_or_b32_sdwa v7, v1, v7 dst_sel:DWORD dst_unused:UNUSED_PAD src0_sel:BYTE_0 src1_sel:DWORD
	v_and_b32_e32 v7, 0xffff, v7
	s_mov_b32 s4, 0xffff0000
	v_and_or_b32 v1, v1, s4, v7
.LBB3_471:
	s_or_b64 exec, exec, s[2:3]
	v_or_b32_e32 v7, 0xe00, v0
	v_cmp_gt_i32_e32 vcc, s8, v7
	s_and_saveexec_b64 s[2:3], vcc
	s_cbranch_execz .LBB3_486
; %bb.472:
	s_cmp_lt_i32 s9, 1
	s_mov_b64 s[4:5], 0
	s_cbranch_scc1 .LBB3_477
; %bb.473:
	s_cmp_gt_i32 s9, 1
	s_cbranch_scc0 .LBB3_478
; %bb.474:
	s_cmp_eq_u32 s9, 2
	s_cbranch_scc0 .LBB3_548
; %bb.475:
	s_and_b32 s6, s10, 0xff
	v_cmp_le_u16_sdwa s[6:7], v6, s6 src0_sel:BYTE_0 src1_sel:DWORD
	s_mov_b64 s[14:15], 0
	s_branch .LBB3_480
.LBB3_476:
	s_and_b32 s4, s10, 0xff
	v_cmp_lt_u16_sdwa s[14:15], v7, s4 src0_sel:BYTE_0 src1_sel:DWORD
	s_andn2_b64 s[6:7], s[6:7], exec
	s_and_b64 s[14:15], s[14:15], exec
	s_or_b64 s[6:7], s[6:7], s[14:15]
	s_cbranch_execz .LBB3_469
	s_branch .LBB3_470
.LBB3_477:
                                        ; implicit-def: $sgpr6_sgpr7
	s_mov_b64 s[14:15], 0
	s_cbranch_execnz .LBB3_481
	s_branch .LBB3_482
.LBB3_478:
	s_mov_b64 s[14:15], 0
                                        ; implicit-def: $sgpr6_sgpr7
	s_cbranch_execz .LBB3_480
; %bb.479:
	s_and_b32 s16, s10, 0xff
	v_cmp_gt_u16_sdwa s[16:17], v6, s16 src0_sel:BYTE_0 src1_sel:DWORD
	s_andn2_b64 s[6:7], s[6:7], exec
	s_and_b64 s[16:17], s[16:17], exec
	s_or_b64 s[6:7], s[6:7], s[16:17]
.LBB3_480:
	s_branch .LBB3_482
.LBB3_481:
	s_cmp_lg_u32 s9, 0
	s_mov_b64 s[4:5], -1
	s_cselect_b64 s[14:15], -1, 0
.LBB3_482:
	s_andn2_b64 vcc, exec, s[14:15]
	s_cbranch_vccz .LBB3_491
; %bb.483:
	s_andn2_b64 vcc, exec, s[4:5]
	s_cbranch_vccnz .LBB3_485
.LBB3_484:
	s_and_b32 s4, s10, 0xff
	v_cmp_ge_u16_sdwa s[4:5], v6, s4 src0_sel:BYTE_0 src1_sel:DWORD
	s_andn2_b64 s[6:7], s[6:7], exec
	s_and_b64 s[4:5], s[4:5], exec
	s_or_b64 s[6:7], s[6:7], s[4:5]
.LBB3_485:
	s_movk_i32 s4, 0xff00
	v_and_b32_sdwa v6, v1, s4 dst_sel:DWORD dst_unused:UNUSED_PAD src0_sel:WORD_1 src1_sel:DWORD
	v_cndmask_b32_e64 v7, 0, 1, s[6:7]
	v_or_b32_sdwa v6, v7, v6 dst_sel:WORD_1 dst_unused:UNUSED_PAD src0_sel:DWORD src1_sel:DWORD
	s_mov_b32 s4, 0xffff
	v_and_or_b32 v1, v1, s4, v6
.LBB3_486:
	s_or_b64 exec, exec, s[2:3]
	v_or_b32_e32 v6, 0xf00, v0
	v_cmp_gt_i32_e32 vcc, s8, v6
	s_and_saveexec_b64 s[2:3], vcc
	s_cbranch_execz .LBB3_501
; %bb.487:
	s_cmp_lt_i32 s9, 1
	s_mov_b64 s[4:5], 0
	s_cbranch_scc1 .LBB3_492
; %bb.488:
	s_cmp_gt_i32 s9, 1
	s_cbranch_scc0 .LBB3_493
; %bb.489:
	s_cmp_eq_u32 s9, 2
	s_cbranch_scc0 .LBB3_549
; %bb.490:
	s_and_b32 s6, s10, 0xff
	v_cmp_le_u16_sdwa s[6:7], v5, s6 src0_sel:BYTE_0 src1_sel:DWORD
	s_mov_b64 s[14:15], 0
	s_branch .LBB3_495
.LBB3_491:
	s_and_b32 s4, s10, 0xff
	v_cmp_lt_u16_sdwa s[14:15], v6, s4 src0_sel:BYTE_0 src1_sel:DWORD
	s_andn2_b64 s[6:7], s[6:7], exec
	s_and_b64 s[14:15], s[14:15], exec
	s_or_b64 s[6:7], s[6:7], s[14:15]
	s_cbranch_execz .LBB3_484
	s_branch .LBB3_485
.LBB3_492:
                                        ; implicit-def: $sgpr6_sgpr7
	s_mov_b64 s[14:15], 0
	s_cbranch_execnz .LBB3_496
	s_branch .LBB3_497
.LBB3_493:
	s_mov_b64 s[14:15], 0
                                        ; implicit-def: $sgpr6_sgpr7
	s_cbranch_execz .LBB3_495
; %bb.494:
	s_and_b32 s16, s10, 0xff
	v_cmp_gt_u16_sdwa s[16:17], v5, s16 src0_sel:BYTE_0 src1_sel:DWORD
	s_andn2_b64 s[6:7], s[6:7], exec
	s_and_b64 s[16:17], s[16:17], exec
	s_or_b64 s[6:7], s[6:7], s[16:17]
.LBB3_495:
	s_branch .LBB3_497
.LBB3_496:
	s_cmp_lg_u32 s9, 0
	s_mov_b64 s[4:5], -1
	s_cselect_b64 s[14:15], -1, 0
.LBB3_497:
	s_andn2_b64 vcc, exec, s[14:15]
	s_cbranch_vccz .LBB3_534
; %bb.498:
	s_andn2_b64 vcc, exec, s[4:5]
	s_cbranch_vccnz .LBB3_500
.LBB3_499:
	s_and_b32 s4, s10, 0xff
	v_cmp_ge_u16_sdwa s[4:5], v5, s4 src0_sel:BYTE_0 src1_sel:DWORD
	s_andn2_b64 s[6:7], s[6:7], exec
	s_and_b64 s[4:5], s[4:5], exec
	s_or_b64 s[6:7], s[6:7], s[4:5]
.LBB3_500:
	s_movk_i32 s4, 0xff
	v_cndmask_b32_e64 v6, 0, 1, s[6:7]
	v_and_b32_sdwa v5, v1, s4 dst_sel:DWORD dst_unused:UNUSED_PAD src0_sel:WORD_1 src1_sel:DWORD
	v_lshlrev_b16_e32 v6, 8, v6
	v_or_b32_sdwa v5, v5, v6 dst_sel:WORD_1 dst_unused:UNUSED_PAD src0_sel:DWORD src1_sel:DWORD
	s_mov_b32 s4, 0xffff
	v_and_or_b32 v1, v1, s4, v5
.LBB3_501:
	s_or_b64 exec, exec, s[2:3]
	s_and_saveexec_b64 s[2:3], s[0:1]
	s_xor_b64 s[0:1], exec, s[2:3]
	s_cbranch_execz .LBB3_503
; %bb.502:
	v_mov_b32_e32 v0, v10
	global_store_byte v3, v4, s[12:13]
.LBB3_503:
	s_or_b64 exec, exec, s[0:1]
	v_cmp_gt_i32_e32 vcc, s8, v0
	s_and_saveexec_b64 s[0:1], vcc
	s_cbranch_execnz .LBB3_520
; %bb.504:
	s_or_b64 exec, exec, s[0:1]
	v_cmp_gt_i32_e32 vcc, s8, v0
	s_and_saveexec_b64 s[0:1], vcc
	s_cbranch_execnz .LBB3_521
.LBB3_505:
	s_or_b64 exec, exec, s[0:1]
	v_cmp_gt_i32_e32 vcc, s8, v0
	s_and_saveexec_b64 s[0:1], vcc
	s_cbranch_execnz .LBB3_522
.LBB3_506:
	s_or_b64 exec, exec, s[0:1]
	v_cmp_gt_i32_e32 vcc, s8, v0
	s_and_saveexec_b64 s[0:1], vcc
	s_cbranch_execnz .LBB3_523
.LBB3_507:
	s_or_b64 exec, exec, s[0:1]
	v_cmp_gt_i32_e32 vcc, s8, v0
	s_and_saveexec_b64 s[0:1], vcc
	s_cbranch_execnz .LBB3_524
.LBB3_508:
	s_or_b64 exec, exec, s[0:1]
	v_cmp_gt_i32_e32 vcc, s8, v0
	s_and_saveexec_b64 s[0:1], vcc
	s_cbranch_execnz .LBB3_525
.LBB3_509:
	s_or_b64 exec, exec, s[0:1]
	v_cmp_gt_i32_e32 vcc, s8, v0
	s_and_saveexec_b64 s[0:1], vcc
	s_cbranch_execnz .LBB3_526
.LBB3_510:
	s_or_b64 exec, exec, s[0:1]
	v_cmp_gt_i32_e32 vcc, s8, v0
	s_and_saveexec_b64 s[0:1], vcc
	s_cbranch_execnz .LBB3_527
.LBB3_511:
	s_or_b64 exec, exec, s[0:1]
	v_cmp_gt_i32_e32 vcc, s8, v0
	s_and_saveexec_b64 s[0:1], vcc
	s_cbranch_execnz .LBB3_528
.LBB3_512:
	s_or_b64 exec, exec, s[0:1]
	v_cmp_gt_i32_e32 vcc, s8, v0
	s_and_saveexec_b64 s[0:1], vcc
	s_cbranch_execnz .LBB3_529
.LBB3_513:
	s_or_b64 exec, exec, s[0:1]
	v_cmp_gt_i32_e32 vcc, s8, v0
	s_and_saveexec_b64 s[0:1], vcc
	s_cbranch_execnz .LBB3_530
.LBB3_514:
	s_or_b64 exec, exec, s[0:1]
	v_cmp_gt_i32_e32 vcc, s8, v0
	s_and_saveexec_b64 s[0:1], vcc
	s_cbranch_execnz .LBB3_531
.LBB3_515:
	s_or_b64 exec, exec, s[0:1]
	v_cmp_gt_i32_e32 vcc, s8, v0
	s_and_saveexec_b64 s[0:1], vcc
	s_cbranch_execnz .LBB3_532
.LBB3_516:
	s_or_b64 exec, exec, s[0:1]
	v_cmp_gt_i32_e32 vcc, s8, v0
	s_and_saveexec_b64 s[0:1], vcc
	s_cbranch_execnz .LBB3_533
.LBB3_517:
	s_or_b64 exec, exec, s[0:1]
	v_cmp_gt_i32_e32 vcc, s8, v0
	s_and_saveexec_b64 s[0:1], vcc
	s_cbranch_execz .LBB3_519
.LBB3_518:
	v_lshrrev_b32_e32 v1, 24, v1
	v_add_u32_e32 v0, s11, v0
	global_store_byte v0, v1, s[12:13]
.LBB3_519:
	s_endpgm
.LBB3_520:
	v_lshrrev_b32_e32 v3, 8, v4
	v_add_u32_e32 v5, s11, v0
	v_add_u32_e32 v0, 0x100, v0
	global_store_byte v5, v3, s[12:13]
	s_or_b64 exec, exec, s[0:1]
	v_cmp_gt_i32_e32 vcc, s8, v0
	s_and_saveexec_b64 s[0:1], vcc
	s_cbranch_execz .LBB3_505
.LBB3_521:
	v_add_u32_e32 v3, s11, v0
	v_add_u32_e32 v0, 0x100, v0
	global_store_byte_d16_hi v3, v4, s[12:13]
	s_or_b64 exec, exec, s[0:1]
	v_cmp_gt_i32_e32 vcc, s8, v0
	s_and_saveexec_b64 s[0:1], vcc
	s_cbranch_execz .LBB3_506
.LBB3_522:
	v_lshrrev_b32_e32 v3, 24, v4
	v_add_u32_e32 v4, s11, v0
	v_add_u32_e32 v0, 0x100, v0
	global_store_byte v4, v3, s[12:13]
	s_or_b64 exec, exec, s[0:1]
	v_cmp_gt_i32_e32 vcc, s8, v0
	s_and_saveexec_b64 s[0:1], vcc
	s_cbranch_execz .LBB3_507
.LBB3_523:
	v_add_u32_e32 v3, s11, v0
	v_add_u32_e32 v0, 0x100, v0
	global_store_byte v3, v8, s[12:13]
	s_or_b64 exec, exec, s[0:1]
	v_cmp_gt_i32_e32 vcc, s8, v0
	s_and_saveexec_b64 s[0:1], vcc
	s_cbranch_execz .LBB3_508
.LBB3_524:
	v_lshrrev_b32_e32 v3, 8, v8
	v_add_u32_e32 v4, s11, v0
	v_add_u32_e32 v0, 0x100, v0
	global_store_byte v4, v3, s[12:13]
	s_or_b64 exec, exec, s[0:1]
	v_cmp_gt_i32_e32 vcc, s8, v0
	s_and_saveexec_b64 s[0:1], vcc
	s_cbranch_execz .LBB3_509
.LBB3_525:
	v_add_u32_e32 v3, s11, v0
	v_add_u32_e32 v0, 0x100, v0
	global_store_byte_d16_hi v3, v8, s[12:13]
	s_or_b64 exec, exec, s[0:1]
	v_cmp_gt_i32_e32 vcc, s8, v0
	s_and_saveexec_b64 s[0:1], vcc
	s_cbranch_execz .LBB3_510
.LBB3_526:
	v_lshrrev_b32_e32 v3, 24, v8
	v_add_u32_e32 v4, s11, v0
	v_add_u32_e32 v0, 0x100, v0
	global_store_byte v4, v3, s[12:13]
	s_or_b64 exec, exec, s[0:1]
	v_cmp_gt_i32_e32 vcc, s8, v0
	s_and_saveexec_b64 s[0:1], vcc
	s_cbranch_execz .LBB3_511
.LBB3_527:
	v_add_u32_e32 v3, s11, v0
	v_add_u32_e32 v0, 0x100, v0
	global_store_byte v3, v2, s[12:13]
	s_or_b64 exec, exec, s[0:1]
	v_cmp_gt_i32_e32 vcc, s8, v0
	s_and_saveexec_b64 s[0:1], vcc
	s_cbranch_execz .LBB3_512
.LBB3_528:
	v_lshrrev_b32_e32 v3, 8, v2
	v_add_u32_e32 v4, s11, v0
	v_add_u32_e32 v0, 0x100, v0
	global_store_byte v4, v3, s[12:13]
	s_or_b64 exec, exec, s[0:1]
	v_cmp_gt_i32_e32 vcc, s8, v0
	s_and_saveexec_b64 s[0:1], vcc
	s_cbranch_execz .LBB3_513
.LBB3_529:
	v_add_u32_e32 v3, s11, v0
	v_add_u32_e32 v0, 0x100, v0
	global_store_byte_d16_hi v3, v2, s[12:13]
	s_or_b64 exec, exec, s[0:1]
	v_cmp_gt_i32_e32 vcc, s8, v0
	s_and_saveexec_b64 s[0:1], vcc
	s_cbranch_execz .LBB3_514
.LBB3_530:
	v_lshrrev_b32_e32 v2, 24, v2
	v_add_u32_e32 v3, s11, v0
	v_add_u32_e32 v0, 0x100, v0
	global_store_byte v3, v2, s[12:13]
	s_or_b64 exec, exec, s[0:1]
	v_cmp_gt_i32_e32 vcc, s8, v0
	s_and_saveexec_b64 s[0:1], vcc
	s_cbranch_execz .LBB3_515
.LBB3_531:
	v_add_u32_e32 v2, s11, v0
	v_add_u32_e32 v0, 0x100, v0
	global_store_byte v2, v1, s[12:13]
	s_or_b64 exec, exec, s[0:1]
	v_cmp_gt_i32_e32 vcc, s8, v0
	s_and_saveexec_b64 s[0:1], vcc
	s_cbranch_execz .LBB3_516
.LBB3_532:
	v_lshrrev_b32_e32 v2, 8, v1
	v_add_u32_e32 v3, s11, v0
	v_add_u32_e32 v0, 0x100, v0
	global_store_byte v3, v2, s[12:13]
	s_or_b64 exec, exec, s[0:1]
	v_cmp_gt_i32_e32 vcc, s8, v0
	s_and_saveexec_b64 s[0:1], vcc
	s_cbranch_execz .LBB3_517
.LBB3_533:
	v_add_u32_e32 v2, s11, v0
	v_add_u32_e32 v0, 0x100, v0
	global_store_byte_d16_hi v2, v1, s[12:13]
	s_or_b64 exec, exec, s[0:1]
	v_cmp_gt_i32_e32 vcc, s8, v0
	s_and_saveexec_b64 s[0:1], vcc
	s_cbranch_execnz .LBB3_518
	s_branch .LBB3_519
.LBB3_534:
	s_and_b32 s4, s10, 0xff
	v_cmp_lt_u16_sdwa s[14:15], v5, s4 src0_sel:BYTE_0 src1_sel:DWORD
	s_andn2_b64 s[6:7], s[6:7], exec
	s_and_b64 s[14:15], s[14:15], exec
	s_or_b64 s[6:7], s[6:7], s[14:15]
	s_cbranch_execz .LBB3_499
	s_branch .LBB3_500
.LBB3_535:
	s_mov_b64 s[14:15], -1
                                        ; implicit-def: $sgpr6_sgpr7
	s_branch .LBB3_285
.LBB3_536:
	s_mov_b64 s[14:15], -1
                                        ; implicit-def: $sgpr6_sgpr7
	s_branch .LBB3_300
.LBB3_537:
	s_mov_b64 s[14:15], -1
                                        ; implicit-def: $sgpr6_sgpr7
	s_branch .LBB3_315
.LBB3_538:
	s_mov_b64 s[14:15], -1
                                        ; implicit-def: $sgpr6_sgpr7
	s_branch .LBB3_330
.LBB3_539:
	s_mov_b64 s[14:15], -1
                                        ; implicit-def: $sgpr6_sgpr7
	s_branch .LBB3_345
.LBB3_540:
	s_mov_b64 s[14:15], -1
                                        ; implicit-def: $sgpr6_sgpr7
	s_branch .LBB3_360
.LBB3_541:
	s_mov_b64 s[14:15], -1
                                        ; implicit-def: $sgpr6_sgpr7
	s_branch .LBB3_375
.LBB3_542:
	s_mov_b64 s[14:15], -1
                                        ; implicit-def: $sgpr6_sgpr7
	s_branch .LBB3_390
.LBB3_543:
	s_mov_b64 s[14:15], -1
                                        ; implicit-def: $sgpr6_sgpr7
	s_branch .LBB3_405
.LBB3_544:
	s_mov_b64 s[14:15], -1
                                        ; implicit-def: $sgpr6_sgpr7
	s_branch .LBB3_420
.LBB3_545:
	s_mov_b64 s[14:15], -1
                                        ; implicit-def: $sgpr6_sgpr7
	s_branch .LBB3_435
.LBB3_546:
	s_mov_b64 s[14:15], -1
                                        ; implicit-def: $sgpr6_sgpr7
	s_branch .LBB3_450
.LBB3_547:
	s_mov_b64 s[14:15], -1
                                        ; implicit-def: $sgpr6_sgpr7
	s_branch .LBB3_465
.LBB3_548:
	s_mov_b64 s[14:15], -1
                                        ; implicit-def: $sgpr6_sgpr7
	s_branch .LBB3_480
.LBB3_549:
	s_mov_b64 s[14:15], -1
                                        ; implicit-def: $sgpr6_sgpr7
	s_branch .LBB3_495
	.section	.rodata,"a",@progbits
	.p2align	6, 0x0
	.amdhsa_kernel _ZN2at6native29vectorized_elementwise_kernelILi2EZNS0_21compare_scalar_kernelIhEEvRNS_18TensorIteratorBaseENS0_12_GLOBAL__N_16OpTypeET_EUlhE_St5arrayIPcLm2EEEEviT0_T1_
		.amdhsa_group_segment_fixed_size 0
		.amdhsa_private_segment_fixed_size 0
		.amdhsa_kernarg_size 32
		.amdhsa_user_sgpr_count 6
		.amdhsa_user_sgpr_private_segment_buffer 1
		.amdhsa_user_sgpr_dispatch_ptr 0
		.amdhsa_user_sgpr_queue_ptr 0
		.amdhsa_user_sgpr_kernarg_segment_ptr 1
		.amdhsa_user_sgpr_dispatch_id 0
		.amdhsa_user_sgpr_flat_scratch_init 0
		.amdhsa_user_sgpr_private_segment_size 0
		.amdhsa_uses_dynamic_stack 0
		.amdhsa_system_sgpr_private_segment_wavefront_offset 0
		.amdhsa_system_sgpr_workgroup_id_x 1
		.amdhsa_system_sgpr_workgroup_id_y 0
		.amdhsa_system_sgpr_workgroup_id_z 0
		.amdhsa_system_sgpr_workgroup_info 0
		.amdhsa_system_vgpr_workitem_id 0
		.amdhsa_next_free_vgpr 22
		.amdhsa_next_free_sgpr 48
		.amdhsa_reserve_vcc 1
		.amdhsa_reserve_flat_scratch 0
		.amdhsa_float_round_mode_32 0
		.amdhsa_float_round_mode_16_64 0
		.amdhsa_float_denorm_mode_32 3
		.amdhsa_float_denorm_mode_16_64 3
		.amdhsa_dx10_clamp 1
		.amdhsa_ieee_mode 1
		.amdhsa_fp16_overflow 0
		.amdhsa_exception_fp_ieee_invalid_op 0
		.amdhsa_exception_fp_denorm_src 0
		.amdhsa_exception_fp_ieee_div_zero 0
		.amdhsa_exception_fp_ieee_overflow 0
		.amdhsa_exception_fp_ieee_underflow 0
		.amdhsa_exception_fp_ieee_inexact 0
		.amdhsa_exception_int_div_zero 0
	.end_amdhsa_kernel
	.section	.text._ZN2at6native29vectorized_elementwise_kernelILi2EZNS0_21compare_scalar_kernelIhEEvRNS_18TensorIteratorBaseENS0_12_GLOBAL__N_16OpTypeET_EUlhE_St5arrayIPcLm2EEEEviT0_T1_,"axG",@progbits,_ZN2at6native29vectorized_elementwise_kernelILi2EZNS0_21compare_scalar_kernelIhEEvRNS_18TensorIteratorBaseENS0_12_GLOBAL__N_16OpTypeET_EUlhE_St5arrayIPcLm2EEEEviT0_T1_,comdat
.Lfunc_end3:
	.size	_ZN2at6native29vectorized_elementwise_kernelILi2EZNS0_21compare_scalar_kernelIhEEvRNS_18TensorIteratorBaseENS0_12_GLOBAL__N_16OpTypeET_EUlhE_St5arrayIPcLm2EEEEviT0_T1_, .Lfunc_end3-_ZN2at6native29vectorized_elementwise_kernelILi2EZNS0_21compare_scalar_kernelIhEEvRNS_18TensorIteratorBaseENS0_12_GLOBAL__N_16OpTypeET_EUlhE_St5arrayIPcLm2EEEEviT0_T1_
                                        ; -- End function
	.set _ZN2at6native29vectorized_elementwise_kernelILi2EZNS0_21compare_scalar_kernelIhEEvRNS_18TensorIteratorBaseENS0_12_GLOBAL__N_16OpTypeET_EUlhE_St5arrayIPcLm2EEEEviT0_T1_.num_vgpr, 22
	.set _ZN2at6native29vectorized_elementwise_kernelILi2EZNS0_21compare_scalar_kernelIhEEvRNS_18TensorIteratorBaseENS0_12_GLOBAL__N_16OpTypeET_EUlhE_St5arrayIPcLm2EEEEviT0_T1_.num_agpr, 0
	.set _ZN2at6native29vectorized_elementwise_kernelILi2EZNS0_21compare_scalar_kernelIhEEvRNS_18TensorIteratorBaseENS0_12_GLOBAL__N_16OpTypeET_EUlhE_St5arrayIPcLm2EEEEviT0_T1_.numbered_sgpr, 48
	.set _ZN2at6native29vectorized_elementwise_kernelILi2EZNS0_21compare_scalar_kernelIhEEvRNS_18TensorIteratorBaseENS0_12_GLOBAL__N_16OpTypeET_EUlhE_St5arrayIPcLm2EEEEviT0_T1_.num_named_barrier, 0
	.set _ZN2at6native29vectorized_elementwise_kernelILi2EZNS0_21compare_scalar_kernelIhEEvRNS_18TensorIteratorBaseENS0_12_GLOBAL__N_16OpTypeET_EUlhE_St5arrayIPcLm2EEEEviT0_T1_.private_seg_size, 0
	.set _ZN2at6native29vectorized_elementwise_kernelILi2EZNS0_21compare_scalar_kernelIhEEvRNS_18TensorIteratorBaseENS0_12_GLOBAL__N_16OpTypeET_EUlhE_St5arrayIPcLm2EEEEviT0_T1_.uses_vcc, 1
	.set _ZN2at6native29vectorized_elementwise_kernelILi2EZNS0_21compare_scalar_kernelIhEEvRNS_18TensorIteratorBaseENS0_12_GLOBAL__N_16OpTypeET_EUlhE_St5arrayIPcLm2EEEEviT0_T1_.uses_flat_scratch, 0
	.set _ZN2at6native29vectorized_elementwise_kernelILi2EZNS0_21compare_scalar_kernelIhEEvRNS_18TensorIteratorBaseENS0_12_GLOBAL__N_16OpTypeET_EUlhE_St5arrayIPcLm2EEEEviT0_T1_.has_dyn_sized_stack, 0
	.set _ZN2at6native29vectorized_elementwise_kernelILi2EZNS0_21compare_scalar_kernelIhEEvRNS_18TensorIteratorBaseENS0_12_GLOBAL__N_16OpTypeET_EUlhE_St5arrayIPcLm2EEEEviT0_T1_.has_recursion, 0
	.set _ZN2at6native29vectorized_elementwise_kernelILi2EZNS0_21compare_scalar_kernelIhEEvRNS_18TensorIteratorBaseENS0_12_GLOBAL__N_16OpTypeET_EUlhE_St5arrayIPcLm2EEEEviT0_T1_.has_indirect_call, 0
	.section	.AMDGPU.csdata,"",@progbits
; Kernel info:
; codeLenInByte = 10308
; TotalNumSgprs: 52
; NumVgprs: 22
; ScratchSize: 0
; MemoryBound: 0
; FloatMode: 240
; IeeeMode: 1
; LDSByteSize: 0 bytes/workgroup (compile time only)
; SGPRBlocks: 6
; VGPRBlocks: 5
; NumSGPRsForWavesPerEU: 52
; NumVGPRsForWavesPerEU: 22
; Occupancy: 10
; WaveLimiterHint : 1
; COMPUTE_PGM_RSRC2:SCRATCH_EN: 0
; COMPUTE_PGM_RSRC2:USER_SGPR: 6
; COMPUTE_PGM_RSRC2:TRAP_HANDLER: 0
; COMPUTE_PGM_RSRC2:TGID_X_EN: 1
; COMPUTE_PGM_RSRC2:TGID_Y_EN: 0
; COMPUTE_PGM_RSRC2:TGID_Z_EN: 0
; COMPUTE_PGM_RSRC2:TIDIG_COMP_CNT: 0
	.section	.text._ZN2at6native27unrolled_elementwise_kernelIZNS0_21compare_scalar_kernelIhEEvRNS_18TensorIteratorBaseENS0_12_GLOBAL__N_16OpTypeET_EUlhE_St5arrayIPcLm2EELi4E23TrivialOffsetCalculatorILi1EjESD_NS0_6memory15LoadWithoutCastENSE_16StoreWithoutCastEEEviS7_T0_T2_T3_T4_T5_,"axG",@progbits,_ZN2at6native27unrolled_elementwise_kernelIZNS0_21compare_scalar_kernelIhEEvRNS_18TensorIteratorBaseENS0_12_GLOBAL__N_16OpTypeET_EUlhE_St5arrayIPcLm2EELi4E23TrivialOffsetCalculatorILi1EjESD_NS0_6memory15LoadWithoutCastENSE_16StoreWithoutCastEEEviS7_T0_T2_T3_T4_T5_,comdat
	.globl	_ZN2at6native27unrolled_elementwise_kernelIZNS0_21compare_scalar_kernelIhEEvRNS_18TensorIteratorBaseENS0_12_GLOBAL__N_16OpTypeET_EUlhE_St5arrayIPcLm2EELi4E23TrivialOffsetCalculatorILi1EjESD_NS0_6memory15LoadWithoutCastENSE_16StoreWithoutCastEEEviS7_T0_T2_T3_T4_T5_ ; -- Begin function _ZN2at6native27unrolled_elementwise_kernelIZNS0_21compare_scalar_kernelIhEEvRNS_18TensorIteratorBaseENS0_12_GLOBAL__N_16OpTypeET_EUlhE_St5arrayIPcLm2EELi4E23TrivialOffsetCalculatorILi1EjESD_NS0_6memory15LoadWithoutCastENSE_16StoreWithoutCastEEEviS7_T0_T2_T3_T4_T5_
	.p2align	8
	.type	_ZN2at6native27unrolled_elementwise_kernelIZNS0_21compare_scalar_kernelIhEEvRNS_18TensorIteratorBaseENS0_12_GLOBAL__N_16OpTypeET_EUlhE_St5arrayIPcLm2EELi4E23TrivialOffsetCalculatorILi1EjESD_NS0_6memory15LoadWithoutCastENSE_16StoreWithoutCastEEEviS7_T0_T2_T3_T4_T5_,@function
_ZN2at6native27unrolled_elementwise_kernelIZNS0_21compare_scalar_kernelIhEEvRNS_18TensorIteratorBaseENS0_12_GLOBAL__N_16OpTypeET_EUlhE_St5arrayIPcLm2EELi4E23TrivialOffsetCalculatorILi1EjESD_NS0_6memory15LoadWithoutCastENSE_16StoreWithoutCastEEEviS7_T0_T2_T3_T4_T5_: ; @_ZN2at6native27unrolled_elementwise_kernelIZNS0_21compare_scalar_kernelIhEEvRNS_18TensorIteratorBaseENS0_12_GLOBAL__N_16OpTypeET_EUlhE_St5arrayIPcLm2EELi4E23TrivialOffsetCalculatorILi1EjESD_NS0_6memory15LoadWithoutCastENSE_16StoreWithoutCastEEEviS7_T0_T2_T3_T4_T5_
; %bb.0:
	s_load_dwordx8 s[8:15], s[4:5], 0x0
	s_waitcnt lgkmcnt(0)
	s_lshl_b32 s11, s6, 10
	v_mov_b32_e32 v3, 0
	v_or_b32_e32 v1, s11, v0
	v_mov_b32_e32 v2, 0
	s_sub_i32 s8, s8, s11
	v_cmp_gt_i32_e64 s[0:1], s8, v0
	v_mov_b32_e32 v4, 0
	v_mov_b32_e32 v6, 0
	;; [unrolled: 1-line block ×3, first 2 shown]
	s_and_saveexec_b64 s[2:3], s[0:1]
	s_cbranch_execz .LBB4_8
; %bb.1:
	global_load_ubyte v5, v1, s[14:15]
	v_or_b32_e32 v7, 0x100, v0
	v_cmp_gt_u32_e32 vcc, s8, v7
	v_mov_b32_e32 v6, 0
	v_mov_b32_e32 v4, 0
	;; [unrolled: 1-line block ×3, first 2 shown]
	s_and_saveexec_b64 s[4:5], vcc
	s_cbranch_execz .LBB4_7
; %bb.2:
	v_add_u32_e32 v2, s11, v7
	global_load_ubyte v6, v2, s[14:15]
	v_or_b32_e32 v7, 0x200, v0
	v_cmp_gt_u32_e32 vcc, s8, v7
	v_mov_b32_e32 v4, 0
	v_mov_b32_e32 v2, 0
	s_and_saveexec_b64 s[6:7], vcc
	s_cbranch_execz .LBB4_6
; %bb.3:
	v_add_u32_e32 v2, s11, v7
	global_load_ubyte v4, v2, s[14:15]
	v_or_b32_e32 v7, 0x300, v0
	v_cmp_gt_u32_e32 vcc, s8, v7
	v_mov_b32_e32 v2, 0
	s_and_saveexec_b64 s[16:17], vcc
	s_cbranch_execz .LBB4_5
; %bb.4:
	v_add_u32_e32 v2, s11, v7
	global_load_ubyte v2, v2, s[14:15]
.LBB4_5:
	s_or_b64 exec, exec, s[16:17]
.LBB4_6:
	s_or_b64 exec, exec, s[6:7]
.LBB4_7:
	s_or_b64 exec, exec, s[4:5]
.LBB4_8:
	s_or_b64 exec, exec, s[2:3]
	s_and_saveexec_b64 s[2:3], s[0:1]
	s_cbranch_execz .LBB4_24
; %bb.9:
	s_cmp_lt_i32 s9, 1
	s_mov_b64 s[4:5], 0
	s_cbranch_scc1 .LBB4_13
; %bb.10:
	s_cmp_gt_i32 s9, 1
	s_cbranch_scc0 .LBB4_14
; %bb.11:
	s_cmp_eq_u32 s9, 2
	s_cbranch_scc0 .LBB4_15
; %bb.12:
	s_and_b32 s6, s10, 0xff
	s_waitcnt vmcnt(0)
	v_cmp_le_u16_sdwa s[6:7], v5, s6 src0_sel:BYTE_0 src1_sel:DWORD
	s_mov_b64 s[14:15], 0
	s_branch .LBB4_16
.LBB4_13:
                                        ; implicit-def: $sgpr6_sgpr7
	s_mov_b64 s[14:15], 0
	s_cbranch_execnz .LBB4_19
	s_branch .LBB4_20
.LBB4_14:
	s_mov_b64 s[14:15], 0
                                        ; implicit-def: $sgpr6_sgpr7
	s_cbranch_execnz .LBB4_17
	s_branch .LBB4_18
.LBB4_15:
	s_mov_b64 s[14:15], -1
                                        ; implicit-def: $sgpr6_sgpr7
.LBB4_16:
	s_branch .LBB4_18
.LBB4_17:
	s_and_b32 s16, s10, 0xff
	s_waitcnt vmcnt(0)
	v_cmp_gt_u16_sdwa s[16:17], v5, s16 src0_sel:BYTE_0 src1_sel:DWORD
	s_andn2_b64 s[6:7], s[6:7], exec
	s_and_b64 s[16:17], s[16:17], exec
	s_or_b64 s[6:7], s[6:7], s[16:17]
.LBB4_18:
	s_branch .LBB4_20
.LBB4_19:
	s_cmp_lg_u32 s9, 0
	s_mov_b64 s[4:5], -1
	s_cselect_b64 s[14:15], -1, 0
.LBB4_20:
	s_andn2_b64 vcc, exec, s[14:15]
	s_cbranch_vccz .LBB4_29
; %bb.21:
	s_andn2_b64 vcc, exec, s[4:5]
	s_cbranch_vccnz .LBB4_23
.LBB4_22:
	s_and_b32 s4, s10, 0xff
	s_waitcnt vmcnt(0)
	v_cmp_ge_u16_sdwa s[4:5], v5, s4 src0_sel:BYTE_0 src1_sel:DWORD
	s_andn2_b64 s[6:7], s[6:7], exec
	s_and_b64 s[4:5], s[4:5], exec
	s_or_b64 s[6:7], s[6:7], s[4:5]
.LBB4_23:
	v_cndmask_b32_e64 v3, 0, 1, s[6:7]
.LBB4_24:
	s_or_b64 exec, exec, s[2:3]
	s_waitcnt vmcnt(0)
	v_or_b32_e32 v5, 0x100, v0
	v_cmp_gt_i32_e32 vcc, s8, v5
	s_and_saveexec_b64 s[2:3], vcc
	s_cbranch_execz .LBB4_39
; %bb.25:
	s_cmp_lt_i32 s9, 1
	s_mov_b64 s[4:5], 0
	s_cbranch_scc1 .LBB4_30
; %bb.26:
	s_cmp_gt_i32 s9, 1
	s_cbranch_scc0 .LBB4_31
; %bb.27:
	s_cmp_eq_u32 s9, 2
	s_cbranch_scc0 .LBB4_79
; %bb.28:
	s_and_b32 s6, s10, 0xff
	v_cmp_le_u16_sdwa s[6:7], v6, s6 src0_sel:BYTE_0 src1_sel:DWORD
	s_mov_b64 s[14:15], 0
	s_branch .LBB4_33
.LBB4_29:
	s_and_b32 s4, s10, 0xff
	s_waitcnt vmcnt(0)
	v_cmp_lt_u16_sdwa s[14:15], v5, s4 src0_sel:BYTE_0 src1_sel:DWORD
	s_andn2_b64 s[6:7], s[6:7], exec
	s_and_b64 s[14:15], s[14:15], exec
	s_or_b64 s[6:7], s[6:7], s[14:15]
	s_cbranch_execz .LBB4_22
	s_branch .LBB4_23
.LBB4_30:
                                        ; implicit-def: $sgpr6_sgpr7
	s_mov_b64 s[14:15], 0
	s_cbranch_execnz .LBB4_34
	s_branch .LBB4_35
.LBB4_31:
	s_mov_b64 s[14:15], 0
                                        ; implicit-def: $sgpr6_sgpr7
	s_cbranch_execz .LBB4_33
; %bb.32:
	s_and_b32 s16, s10, 0xff
	v_cmp_gt_u16_sdwa s[16:17], v6, s16 src0_sel:BYTE_0 src1_sel:DWORD
	s_andn2_b64 s[6:7], s[6:7], exec
	s_and_b64 s[16:17], s[16:17], exec
	s_or_b64 s[6:7], s[6:7], s[16:17]
.LBB4_33:
	s_branch .LBB4_35
.LBB4_34:
	s_cmp_lg_u32 s9, 0
	s_mov_b64 s[4:5], -1
	s_cselect_b64 s[14:15], -1, 0
.LBB4_35:
	s_andn2_b64 vcc, exec, s[14:15]
	s_cbranch_vccz .LBB4_44
; %bb.36:
	s_andn2_b64 vcc, exec, s[4:5]
	s_cbranch_vccnz .LBB4_38
.LBB4_37:
	s_and_b32 s4, s10, 0xff
	v_cmp_ge_u16_sdwa s[4:5], v6, s4 src0_sel:BYTE_0 src1_sel:DWORD
	s_andn2_b64 s[6:7], s[6:7], exec
	s_and_b64 s[4:5], s[4:5], exec
	s_or_b64 s[6:7], s[6:7], s[4:5]
.LBB4_38:
	v_cndmask_b32_e64 v6, 0, 1, s[6:7]
	v_lshlrev_b16_e32 v6, 8, v6
	v_or_b32_e32 v3, v3, v6
	v_and_b32_e32 v3, 0xffff, v3
.LBB4_39:
	s_or_b64 exec, exec, s[2:3]
	v_or_b32_e32 v6, 0x200, v0
	v_cmp_gt_i32_e32 vcc, s8, v6
	s_and_saveexec_b64 s[2:3], vcc
	s_cbranch_execz .LBB4_54
; %bb.40:
	s_cmp_lt_i32 s9, 1
	s_mov_b64 s[4:5], 0
	s_cbranch_scc1 .LBB4_45
; %bb.41:
	s_cmp_gt_i32 s9, 1
	s_cbranch_scc0 .LBB4_46
; %bb.42:
	s_cmp_eq_u32 s9, 2
	s_cbranch_scc0 .LBB4_80
; %bb.43:
	s_and_b32 s6, s10, 0xff
	v_cmp_le_u16_sdwa s[6:7], v4, s6 src0_sel:BYTE_0 src1_sel:DWORD
	s_mov_b64 s[14:15], 0
	s_branch .LBB4_48
.LBB4_44:
	s_and_b32 s4, s10, 0xff
	v_cmp_lt_u16_sdwa s[14:15], v6, s4 src0_sel:BYTE_0 src1_sel:DWORD
	s_andn2_b64 s[6:7], s[6:7], exec
	s_and_b64 s[14:15], s[14:15], exec
	s_or_b64 s[6:7], s[6:7], s[14:15]
	s_cbranch_execz .LBB4_37
	s_branch .LBB4_38
.LBB4_45:
                                        ; implicit-def: $sgpr6_sgpr7
	s_mov_b64 s[14:15], 0
	s_cbranch_execnz .LBB4_49
	s_branch .LBB4_50
.LBB4_46:
	s_mov_b64 s[14:15], 0
                                        ; implicit-def: $sgpr6_sgpr7
	s_cbranch_execz .LBB4_48
; %bb.47:
	s_and_b32 s16, s10, 0xff
	v_cmp_gt_u16_sdwa s[16:17], v4, s16 src0_sel:BYTE_0 src1_sel:DWORD
	s_andn2_b64 s[6:7], s[6:7], exec
	s_and_b64 s[16:17], s[16:17], exec
	s_or_b64 s[6:7], s[6:7], s[16:17]
.LBB4_48:
	s_branch .LBB4_50
.LBB4_49:
	s_cmp_lg_u32 s9, 0
	s_mov_b64 s[4:5], -1
	s_cselect_b64 s[14:15], -1, 0
.LBB4_50:
	s_andn2_b64 vcc, exec, s[14:15]
	s_cbranch_vccz .LBB4_59
; %bb.51:
	s_andn2_b64 vcc, exec, s[4:5]
	s_cbranch_vccnz .LBB4_53
.LBB4_52:
	s_and_b32 s4, s10, 0xff
	v_cmp_ge_u16_sdwa s[4:5], v4, s4 src0_sel:BYTE_0 src1_sel:DWORD
	s_andn2_b64 s[6:7], s[6:7], exec
	s_and_b64 s[4:5], s[4:5], exec
	s_or_b64 s[6:7], s[6:7], s[4:5]
.LBB4_53:
	v_cndmask_b32_e64 v4, 0, 1, s[6:7]
	v_lshl_or_b32 v3, v4, 16, v3
.LBB4_54:
	s_or_b64 exec, exec, s[2:3]
	v_or_b32_e32 v4, 0x300, v0
	v_cmp_gt_i32_e32 vcc, s8, v4
	s_and_saveexec_b64 s[2:3], vcc
	s_cbranch_execz .LBB4_69
; %bb.55:
	s_cmp_lt_i32 s9, 1
	s_mov_b64 s[4:5], 0
	s_cbranch_scc1 .LBB4_60
; %bb.56:
	s_cmp_gt_i32 s9, 1
	s_cbranch_scc0 .LBB4_61
; %bb.57:
	s_cmp_eq_u32 s9, 2
	s_cbranch_scc0 .LBB4_81
; %bb.58:
	s_and_b32 s6, s10, 0xff
	v_cmp_le_u16_sdwa s[6:7], v2, s6 src0_sel:BYTE_0 src1_sel:DWORD
	s_mov_b64 s[14:15], 0
	s_branch .LBB4_63
.LBB4_59:
	s_and_b32 s4, s10, 0xff
	v_cmp_lt_u16_sdwa s[14:15], v4, s4 src0_sel:BYTE_0 src1_sel:DWORD
	s_andn2_b64 s[6:7], s[6:7], exec
	s_and_b64 s[14:15], s[14:15], exec
	s_or_b64 s[6:7], s[6:7], s[14:15]
	s_cbranch_execz .LBB4_52
	s_branch .LBB4_53
.LBB4_60:
                                        ; implicit-def: $sgpr6_sgpr7
	s_mov_b64 s[14:15], 0
	s_cbranch_execnz .LBB4_64
	s_branch .LBB4_65
.LBB4_61:
	s_mov_b64 s[14:15], 0
                                        ; implicit-def: $sgpr6_sgpr7
	s_cbranch_execz .LBB4_63
; %bb.62:
	s_and_b32 s16, s10, 0xff
	v_cmp_gt_u16_sdwa s[16:17], v2, s16 src0_sel:BYTE_0 src1_sel:DWORD
	s_andn2_b64 s[6:7], s[6:7], exec
	s_and_b64 s[16:17], s[16:17], exec
	s_or_b64 s[6:7], s[6:7], s[16:17]
.LBB4_63:
	s_branch .LBB4_65
.LBB4_64:
	s_cmp_lg_u32 s9, 0
	s_mov_b64 s[4:5], -1
	s_cselect_b64 s[14:15], -1, 0
.LBB4_65:
	s_andn2_b64 vcc, exec, s[14:15]
	s_cbranch_vccz .LBB4_78
; %bb.66:
	s_andn2_b64 vcc, exec, s[4:5]
	s_cbranch_vccnz .LBB4_68
.LBB4_67:
	s_and_b32 s4, s10, 0xff
	v_cmp_ge_u16_sdwa s[4:5], v2, s4 src0_sel:BYTE_0 src1_sel:DWORD
	s_andn2_b64 s[6:7], s[6:7], exec
	s_and_b64 s[4:5], s[4:5], exec
	s_or_b64 s[6:7], s[6:7], s[4:5]
.LBB4_68:
	v_cndmask_b32_e64 v2, 0, 1, s[6:7]
	v_lshlrev_b16_e32 v2, 8, v2
	v_or_b32_sdwa v2, v3, v2 dst_sel:WORD_1 dst_unused:UNUSED_PAD src0_sel:WORD_1 src1_sel:DWORD
	s_mov_b32 s4, 0xffff
	v_and_or_b32 v3, v3, s4, v2
.LBB4_69:
	s_or_b64 exec, exec, s[2:3]
	s_and_saveexec_b64 s[2:3], s[0:1]
	s_xor_b64 s[0:1], exec, s[2:3]
	s_cbranch_execz .LBB4_71
; %bb.70:
	v_mov_b32_e32 v0, v5
	global_store_byte v1, v3, s[12:13]
.LBB4_71:
	s_or_b64 exec, exec, s[0:1]
	v_cmp_gt_i32_e32 vcc, s8, v0
	s_and_saveexec_b64 s[0:1], vcc
	s_cbranch_execnz .LBB4_75
; %bb.72:
	s_or_b64 exec, exec, s[0:1]
	v_cmp_gt_i32_e32 vcc, s8, v0
	s_and_saveexec_b64 s[0:1], vcc
	s_cbranch_execnz .LBB4_76
.LBB4_73:
	s_or_b64 exec, exec, s[0:1]
	v_cmp_gt_i32_e32 vcc, s8, v0
	s_and_saveexec_b64 s[0:1], vcc
	s_cbranch_execnz .LBB4_77
.LBB4_74:
	s_endpgm
.LBB4_75:
	v_add_u32_e32 v1, 0x100, v0
	v_add_u32_e32 v0, s11, v0
	v_lshrrev_b32_e32 v2, 8, v3
	global_store_byte v0, v2, s[12:13]
	v_mov_b32_e32 v0, v1
	s_or_b64 exec, exec, s[0:1]
	v_cmp_gt_i32_e32 vcc, s8, v0
	s_and_saveexec_b64 s[0:1], vcc
	s_cbranch_execz .LBB4_73
.LBB4_76:
	v_add_u32_e32 v1, 0x100, v0
	v_add_u32_e32 v0, s11, v0
	global_store_byte_d16_hi v0, v3, s[12:13]
	v_mov_b32_e32 v0, v1
	s_or_b64 exec, exec, s[0:1]
	v_cmp_gt_i32_e32 vcc, s8, v0
	s_and_saveexec_b64 s[0:1], vcc
	s_cbranch_execz .LBB4_74
.LBB4_77:
	v_add_u32_e32 v0, s11, v0
	v_lshrrev_b32_e32 v1, 24, v3
	global_store_byte v0, v1, s[12:13]
	s_endpgm
.LBB4_78:
	s_and_b32 s4, s10, 0xff
	v_cmp_lt_u16_sdwa s[14:15], v2, s4 src0_sel:BYTE_0 src1_sel:DWORD
	s_andn2_b64 s[6:7], s[6:7], exec
	s_and_b64 s[14:15], s[14:15], exec
	s_or_b64 s[6:7], s[6:7], s[14:15]
	s_cbranch_execz .LBB4_67
	s_branch .LBB4_68
.LBB4_79:
	s_mov_b64 s[14:15], -1
                                        ; implicit-def: $sgpr6_sgpr7
	s_branch .LBB4_33
.LBB4_80:
	s_mov_b64 s[14:15], -1
                                        ; implicit-def: $sgpr6_sgpr7
	s_branch .LBB4_48
.LBB4_81:
	s_mov_b64 s[14:15], -1
                                        ; implicit-def: $sgpr6_sgpr7
	s_branch .LBB4_63
	.section	.rodata,"a",@progbits
	.p2align	6, 0x0
	.amdhsa_kernel _ZN2at6native27unrolled_elementwise_kernelIZNS0_21compare_scalar_kernelIhEEvRNS_18TensorIteratorBaseENS0_12_GLOBAL__N_16OpTypeET_EUlhE_St5arrayIPcLm2EELi4E23TrivialOffsetCalculatorILi1EjESD_NS0_6memory15LoadWithoutCastENSE_16StoreWithoutCastEEEviS7_T0_T2_T3_T4_T5_
		.amdhsa_group_segment_fixed_size 0
		.amdhsa_private_segment_fixed_size 0
		.amdhsa_kernarg_size 36
		.amdhsa_user_sgpr_count 6
		.amdhsa_user_sgpr_private_segment_buffer 1
		.amdhsa_user_sgpr_dispatch_ptr 0
		.amdhsa_user_sgpr_queue_ptr 0
		.amdhsa_user_sgpr_kernarg_segment_ptr 1
		.amdhsa_user_sgpr_dispatch_id 0
		.amdhsa_user_sgpr_flat_scratch_init 0
		.amdhsa_user_sgpr_private_segment_size 0
		.amdhsa_uses_dynamic_stack 0
		.amdhsa_system_sgpr_private_segment_wavefront_offset 0
		.amdhsa_system_sgpr_workgroup_id_x 1
		.amdhsa_system_sgpr_workgroup_id_y 0
		.amdhsa_system_sgpr_workgroup_id_z 0
		.amdhsa_system_sgpr_workgroup_info 0
		.amdhsa_system_vgpr_workitem_id 0
		.amdhsa_next_free_vgpr 8
		.amdhsa_next_free_sgpr 18
		.amdhsa_reserve_vcc 1
		.amdhsa_reserve_flat_scratch 0
		.amdhsa_float_round_mode_32 0
		.amdhsa_float_round_mode_16_64 0
		.amdhsa_float_denorm_mode_32 3
		.amdhsa_float_denorm_mode_16_64 3
		.amdhsa_dx10_clamp 1
		.amdhsa_ieee_mode 1
		.amdhsa_fp16_overflow 0
		.amdhsa_exception_fp_ieee_invalid_op 0
		.amdhsa_exception_fp_denorm_src 0
		.amdhsa_exception_fp_ieee_div_zero 0
		.amdhsa_exception_fp_ieee_overflow 0
		.amdhsa_exception_fp_ieee_underflow 0
		.amdhsa_exception_fp_ieee_inexact 0
		.amdhsa_exception_int_div_zero 0
	.end_amdhsa_kernel
	.section	.text._ZN2at6native27unrolled_elementwise_kernelIZNS0_21compare_scalar_kernelIhEEvRNS_18TensorIteratorBaseENS0_12_GLOBAL__N_16OpTypeET_EUlhE_St5arrayIPcLm2EELi4E23TrivialOffsetCalculatorILi1EjESD_NS0_6memory15LoadWithoutCastENSE_16StoreWithoutCastEEEviS7_T0_T2_T3_T4_T5_,"axG",@progbits,_ZN2at6native27unrolled_elementwise_kernelIZNS0_21compare_scalar_kernelIhEEvRNS_18TensorIteratorBaseENS0_12_GLOBAL__N_16OpTypeET_EUlhE_St5arrayIPcLm2EELi4E23TrivialOffsetCalculatorILi1EjESD_NS0_6memory15LoadWithoutCastENSE_16StoreWithoutCastEEEviS7_T0_T2_T3_T4_T5_,comdat
.Lfunc_end4:
	.size	_ZN2at6native27unrolled_elementwise_kernelIZNS0_21compare_scalar_kernelIhEEvRNS_18TensorIteratorBaseENS0_12_GLOBAL__N_16OpTypeET_EUlhE_St5arrayIPcLm2EELi4E23TrivialOffsetCalculatorILi1EjESD_NS0_6memory15LoadWithoutCastENSE_16StoreWithoutCastEEEviS7_T0_T2_T3_T4_T5_, .Lfunc_end4-_ZN2at6native27unrolled_elementwise_kernelIZNS0_21compare_scalar_kernelIhEEvRNS_18TensorIteratorBaseENS0_12_GLOBAL__N_16OpTypeET_EUlhE_St5arrayIPcLm2EELi4E23TrivialOffsetCalculatorILi1EjESD_NS0_6memory15LoadWithoutCastENSE_16StoreWithoutCastEEEviS7_T0_T2_T3_T4_T5_
                                        ; -- End function
	.set _ZN2at6native27unrolled_elementwise_kernelIZNS0_21compare_scalar_kernelIhEEvRNS_18TensorIteratorBaseENS0_12_GLOBAL__N_16OpTypeET_EUlhE_St5arrayIPcLm2EELi4E23TrivialOffsetCalculatorILi1EjESD_NS0_6memory15LoadWithoutCastENSE_16StoreWithoutCastEEEviS7_T0_T2_T3_T4_T5_.num_vgpr, 8
	.set _ZN2at6native27unrolled_elementwise_kernelIZNS0_21compare_scalar_kernelIhEEvRNS_18TensorIteratorBaseENS0_12_GLOBAL__N_16OpTypeET_EUlhE_St5arrayIPcLm2EELi4E23TrivialOffsetCalculatorILi1EjESD_NS0_6memory15LoadWithoutCastENSE_16StoreWithoutCastEEEviS7_T0_T2_T3_T4_T5_.num_agpr, 0
	.set _ZN2at6native27unrolled_elementwise_kernelIZNS0_21compare_scalar_kernelIhEEvRNS_18TensorIteratorBaseENS0_12_GLOBAL__N_16OpTypeET_EUlhE_St5arrayIPcLm2EELi4E23TrivialOffsetCalculatorILi1EjESD_NS0_6memory15LoadWithoutCastENSE_16StoreWithoutCastEEEviS7_T0_T2_T3_T4_T5_.numbered_sgpr, 18
	.set _ZN2at6native27unrolled_elementwise_kernelIZNS0_21compare_scalar_kernelIhEEvRNS_18TensorIteratorBaseENS0_12_GLOBAL__N_16OpTypeET_EUlhE_St5arrayIPcLm2EELi4E23TrivialOffsetCalculatorILi1EjESD_NS0_6memory15LoadWithoutCastENSE_16StoreWithoutCastEEEviS7_T0_T2_T3_T4_T5_.num_named_barrier, 0
	.set _ZN2at6native27unrolled_elementwise_kernelIZNS0_21compare_scalar_kernelIhEEvRNS_18TensorIteratorBaseENS0_12_GLOBAL__N_16OpTypeET_EUlhE_St5arrayIPcLm2EELi4E23TrivialOffsetCalculatorILi1EjESD_NS0_6memory15LoadWithoutCastENSE_16StoreWithoutCastEEEviS7_T0_T2_T3_T4_T5_.private_seg_size, 0
	.set _ZN2at6native27unrolled_elementwise_kernelIZNS0_21compare_scalar_kernelIhEEvRNS_18TensorIteratorBaseENS0_12_GLOBAL__N_16OpTypeET_EUlhE_St5arrayIPcLm2EELi4E23TrivialOffsetCalculatorILi1EjESD_NS0_6memory15LoadWithoutCastENSE_16StoreWithoutCastEEEviS7_T0_T2_T3_T4_T5_.uses_vcc, 1
	.set _ZN2at6native27unrolled_elementwise_kernelIZNS0_21compare_scalar_kernelIhEEvRNS_18TensorIteratorBaseENS0_12_GLOBAL__N_16OpTypeET_EUlhE_St5arrayIPcLm2EELi4E23TrivialOffsetCalculatorILi1EjESD_NS0_6memory15LoadWithoutCastENSE_16StoreWithoutCastEEEviS7_T0_T2_T3_T4_T5_.uses_flat_scratch, 0
	.set _ZN2at6native27unrolled_elementwise_kernelIZNS0_21compare_scalar_kernelIhEEvRNS_18TensorIteratorBaseENS0_12_GLOBAL__N_16OpTypeET_EUlhE_St5arrayIPcLm2EELi4E23TrivialOffsetCalculatorILi1EjESD_NS0_6memory15LoadWithoutCastENSE_16StoreWithoutCastEEEviS7_T0_T2_T3_T4_T5_.has_dyn_sized_stack, 0
	.set _ZN2at6native27unrolled_elementwise_kernelIZNS0_21compare_scalar_kernelIhEEvRNS_18TensorIteratorBaseENS0_12_GLOBAL__N_16OpTypeET_EUlhE_St5arrayIPcLm2EELi4E23TrivialOffsetCalculatorILi1EjESD_NS0_6memory15LoadWithoutCastENSE_16StoreWithoutCastEEEviS7_T0_T2_T3_T4_T5_.has_recursion, 0
	.set _ZN2at6native27unrolled_elementwise_kernelIZNS0_21compare_scalar_kernelIhEEvRNS_18TensorIteratorBaseENS0_12_GLOBAL__N_16OpTypeET_EUlhE_St5arrayIPcLm2EELi4E23TrivialOffsetCalculatorILi1EjESD_NS0_6memory15LoadWithoutCastENSE_16StoreWithoutCastEEEviS7_T0_T2_T3_T4_T5_.has_indirect_call, 0
	.section	.AMDGPU.csdata,"",@progbits
; Kernel info:
; codeLenInByte = 1392
; TotalNumSgprs: 22
; NumVgprs: 8
; ScratchSize: 0
; MemoryBound: 0
; FloatMode: 240
; IeeeMode: 1
; LDSByteSize: 0 bytes/workgroup (compile time only)
; SGPRBlocks: 2
; VGPRBlocks: 1
; NumSGPRsForWavesPerEU: 22
; NumVGPRsForWavesPerEU: 8
; Occupancy: 10
; WaveLimiterHint : 0
; COMPUTE_PGM_RSRC2:SCRATCH_EN: 0
; COMPUTE_PGM_RSRC2:USER_SGPR: 6
; COMPUTE_PGM_RSRC2:TRAP_HANDLER: 0
; COMPUTE_PGM_RSRC2:TGID_X_EN: 1
; COMPUTE_PGM_RSRC2:TGID_Y_EN: 0
; COMPUTE_PGM_RSRC2:TGID_Z_EN: 0
; COMPUTE_PGM_RSRC2:TIDIG_COMP_CNT: 0
	.section	.text._ZN2at6native32elementwise_kernel_manual_unrollILi128ELi8EZNS0_22gpu_kernel_impl_nocastIZNS0_21compare_scalar_kernelIhEEvRNS_18TensorIteratorBaseENS0_12_GLOBAL__N_16OpTypeET_EUlhE_EEvS5_RKS8_EUlibE_EEviT1_,"axG",@progbits,_ZN2at6native32elementwise_kernel_manual_unrollILi128ELi8EZNS0_22gpu_kernel_impl_nocastIZNS0_21compare_scalar_kernelIhEEvRNS_18TensorIteratorBaseENS0_12_GLOBAL__N_16OpTypeET_EUlhE_EEvS5_RKS8_EUlibE_EEviT1_,comdat
	.globl	_ZN2at6native32elementwise_kernel_manual_unrollILi128ELi8EZNS0_22gpu_kernel_impl_nocastIZNS0_21compare_scalar_kernelIhEEvRNS_18TensorIteratorBaseENS0_12_GLOBAL__N_16OpTypeET_EUlhE_EEvS5_RKS8_EUlibE_EEviT1_ ; -- Begin function _ZN2at6native32elementwise_kernel_manual_unrollILi128ELi8EZNS0_22gpu_kernel_impl_nocastIZNS0_21compare_scalar_kernelIhEEvRNS_18TensorIteratorBaseENS0_12_GLOBAL__N_16OpTypeET_EUlhE_EEvS5_RKS8_EUlibE_EEviT1_
	.p2align	8
	.type	_ZN2at6native32elementwise_kernel_manual_unrollILi128ELi8EZNS0_22gpu_kernel_impl_nocastIZNS0_21compare_scalar_kernelIhEEvRNS_18TensorIteratorBaseENS0_12_GLOBAL__N_16OpTypeET_EUlhE_EEvS5_RKS8_EUlibE_EEviT1_,@function
_ZN2at6native32elementwise_kernel_manual_unrollILi128ELi8EZNS0_22gpu_kernel_impl_nocastIZNS0_21compare_scalar_kernelIhEEvRNS_18TensorIteratorBaseENS0_12_GLOBAL__N_16OpTypeET_EUlhE_EEvS5_RKS8_EUlibE_EEviT1_: ; @_ZN2at6native32elementwise_kernel_manual_unrollILi128ELi8EZNS0_22gpu_kernel_impl_nocastIZNS0_21compare_scalar_kernelIhEEvRNS_18TensorIteratorBaseENS0_12_GLOBAL__N_16OpTypeET_EUlhE_EEvS5_RKS8_EUlibE_EEviT1_
; %bb.0:
	s_load_dword s57, s[4:5], 0x0
	s_load_dword s33, s[4:5], 0x8
	s_add_u32 s34, s4, 8
	s_addc_u32 s35, s5, 0
	v_lshl_or_b32 v15, s6, 10, v0
	v_or_b32_e32 v22, 0x380, v15
	s_waitcnt lgkmcnt(0)
	s_add_i32 s56, s33, -1
	s_cmp_gt_u32 s56, 1
	v_cmp_le_i32_e32 vcc, s57, v22
	s_cselect_b64 s[36:37], -1, 0
	s_and_saveexec_b64 s[0:1], vcc
	s_xor_b64 s[38:39], exec, s[0:1]
	s_cbranch_execz .LBB5_235
; %bb.1:
	s_load_dwordx4 s[24:27], s[34:35], 0x4
	s_load_dwordx2 s[42:43], s[34:35], 0x14
	s_load_dwordx4 s[20:23], s[34:35], 0xc4
	s_load_dwordx4 s[16:19], s[34:35], 0x148
	s_load_dwordx2 s[40:41], s[34:35], 0x158
	s_cmp_lg_u32 s33, 0
	s_cselect_b64 s[48:49], -1, 0
	s_add_u32 s46, s34, 0xc4
	s_addc_u32 s47, s35, 0
	s_min_u32 s58, s56, 15
	s_cmp_gt_u32 s33, 1
	s_cselect_b64 s[44:45], -1, 0
	v_cmp_gt_i32_e32 vcc, s57, v15
	s_and_saveexec_b64 s[50:51], vcc
	s_cbranch_execnz .LBB5_9
; %bb.2:
	s_or_b64 exec, exec, s[50:51]
	v_cmp_gt_i32_e32 vcc, s57, v15
	s_and_saveexec_b64 s[50:51], vcc
	s_cbranch_execnz .LBB5_38
.LBB5_3:
	s_or_b64 exec, exec, s[50:51]
	v_cmp_gt_i32_e32 vcc, s57, v15
	s_and_saveexec_b64 s[50:51], vcc
	s_cbranch_execnz .LBB5_66
.LBB5_4:
	s_or_b64 exec, exec, s[50:51]
	v_cmp_gt_i32_e32 vcc, s57, v15
	s_and_saveexec_b64 s[50:51], vcc
	s_cbranch_execnz .LBB5_94
.LBB5_5:
	s_or_b64 exec, exec, s[50:51]
	v_cmp_gt_i32_e32 vcc, s57, v15
	s_and_saveexec_b64 s[50:51], vcc
	s_cbranch_execnz .LBB5_122
.LBB5_6:
	s_or_b64 exec, exec, s[50:51]
	v_cmp_gt_i32_e32 vcc, s57, v15
	s_and_saveexec_b64 s[50:51], vcc
	s_cbranch_execnz .LBB5_150
.LBB5_7:
	s_or_b64 exec, exec, s[50:51]
	v_cmp_gt_i32_e32 vcc, s57, v15
	s_and_saveexec_b64 s[50:51], vcc
	s_cbranch_execnz .LBB5_178
.LBB5_8:
	s_or_b64 exec, exec, s[50:51]
	v_cmp_gt_i32_e32 vcc, s57, v15
	s_and_saveexec_b64 s[50:51], vcc
	s_cbranch_execnz .LBB5_206
	s_branch .LBB5_234
.LBB5_9:
	s_andn2_b64 vcc, exec, s[36:37]
	s_cbranch_vccnz .LBB5_14
; %bb.10:
	s_andn2_b64 vcc, exec, s[48:49]
	s_cbranch_vccnz .LBB5_15
; %bb.11:
	s_add_i32 s60, s58, 1
	s_cmp_eq_u32 s56, 2
	s_cbranch_scc1 .LBB5_16
; %bb.12:
	s_and_b32 s59, s60, 28
	v_mov_b32_e32 v2, 0
	s_mov_b32 s61, 0
	s_mov_b64 s[52:53], s[34:35]
	s_mov_b64 s[54:55], s[46:47]
	v_mov_b32_e32 v0, 0
	v_mov_b32_e32 v1, v15
.LBB5_13:                               ; =>This Inner Loop Header: Depth=1
	s_load_dwordx8 s[8:15], s[52:53], 0x4
	s_load_dwordx4 s[28:31], s[52:53], 0x24
	s_load_dwordx8 s[0:7], s[54:55], 0x0
	s_add_u32 s52, s52, 48
	s_addc_u32 s53, s53, 0
	s_waitcnt lgkmcnt(0)
	v_mul_hi_u32 v3, s9, v1
	s_add_i32 s61, s61, 4
	s_add_u32 s54, s54, 32
	s_addc_u32 s55, s55, 0
	v_add_u32_e32 v3, v1, v3
	v_lshrrev_b32_e32 v3, s10, v3
	v_mul_lo_u32 v4, v3, s8
	v_mul_hi_u32 v5, s12, v3
	s_cmp_lg_u32 s59, s61
	v_sub_u32_e32 v1, v1, v4
	v_add_u32_e32 v4, v3, v5
	v_mul_lo_u32 v5, v1, s0
	v_mul_lo_u32 v6, v1, s1
	v_lshrrev_b32_e32 v1, s13, v4
	v_mul_lo_u32 v4, v1, s11
	v_mul_hi_u32 v7, s15, v1
	v_sub_u32_e32 v3, v3, v4
	v_add_u32_e32 v4, v1, v7
	v_lshrrev_b32_e32 v4, s28, v4
	v_mul_hi_u32 v8, s30, v4
	v_mul_lo_u32 v9, v4, s14
	v_mul_lo_u32 v7, v3, s2
	;; [unrolled: 1-line block ×3, first 2 shown]
	v_sub_u32_e32 v9, v1, v9
	v_add_u32_e32 v1, v4, v8
	v_lshrrev_b32_e32 v1, s31, v1
	v_mul_lo_u32 v8, v1, s29
	v_mul_lo_u32 v10, v9, s4
	;; [unrolled: 1-line block ×3, first 2 shown]
	v_add3_u32 v0, v5, v0, v7
	v_sub_u32_e32 v4, v4, v8
	v_mul_lo_u32 v8, v4, s6
	v_mul_lo_u32 v4, v4, s7
	v_add3_u32 v2, v6, v2, v3
	v_add3_u32 v0, v10, v0, v8
	;; [unrolled: 1-line block ×3, first 2 shown]
	s_cbranch_scc1 .LBB5_13
	s_branch .LBB5_17
.LBB5_14:
                                        ; implicit-def: $vgpr0
                                        ; implicit-def: $vgpr2
	s_branch .LBB5_21
.LBB5_15:
	v_mov_b32_e32 v0, 0
	v_mov_b32_e32 v2, 0
	s_branch .LBB5_20
.LBB5_16:
	s_mov_b32 s59, 0
	v_mov_b32_e32 v0, 0
	v_mov_b32_e32 v2, 0
	;; [unrolled: 1-line block ×3, first 2 shown]
.LBB5_17:
	s_and_b32 s4, s60, 3
	s_cmp_eq_u32 s4, 0
	s_cbranch_scc1 .LBB5_20
; %bb.18:
	s_lshl_b32 s0, s59, 3
	s_add_u32 s0, s34, s0
	s_addc_u32 s1, s35, 0
	s_add_u32 s0, s0, 0xc4
	s_addc_u32 s1, s1, 0
	s_mul_i32 s2, s59, 12
	s_add_u32 s2, s34, s2
	s_addc_u32 s3, s35, 0
.LBB5_19:                               ; =>This Inner Loop Header: Depth=1
	s_load_dwordx2 s[6:7], s[2:3], 0x4
	s_load_dword s5, s[2:3], 0xc
	s_load_dwordx2 s[8:9], s[0:1], 0x0
	s_add_u32 s2, s2, 12
	s_addc_u32 s3, s3, 0
	s_waitcnt lgkmcnt(0)
	v_mul_hi_u32 v3, s7, v1
	s_add_u32 s0, s0, 8
	s_addc_u32 s1, s1, 0
	s_add_i32 s4, s4, -1
	v_add_u32_e32 v3, v1, v3
	v_lshrrev_b32_e32 v4, s5, v3
	v_mul_lo_u32 v3, v4, s6
	s_cmp_lg_u32 s4, 0
	v_sub_u32_e32 v3, v1, v3
	v_mad_u64_u32 v[0:1], s[6:7], v3, s8, v[0:1]
	v_mad_u64_u32 v[2:3], s[6:7], v3, s9, v[2:3]
	v_mov_b32_e32 v1, v4
	s_cbranch_scc1 .LBB5_19
.LBB5_20:
	s_cbranch_execnz .LBB5_23
.LBB5_21:
	s_waitcnt lgkmcnt(0)
	v_mul_hi_u32 v0, s25, v15
	s_andn2_b64 vcc, exec, s[44:45]
	v_add_u32_e32 v0, v15, v0
	v_lshrrev_b32_e32 v1, s26, v0
	v_mul_lo_u32 v0, v1, s24
	v_sub_u32_e32 v2, v15, v0
	v_mul_lo_u32 v0, v2, s20
	v_mul_lo_u32 v2, v2, s21
	s_cbranch_vccnz .LBB5_23
; %bb.22:
	v_mul_hi_u32 v3, s42, v1
	v_add_u32_e32 v3, v1, v3
	v_lshrrev_b32_e32 v3, s43, v3
	v_mul_lo_u32 v3, v3, s27
	v_sub_u32_e32 v3, v1, v3
	v_mad_u64_u32 v[0:1], s[0:1], v3, s22, v[0:1]
	v_mad_u64_u32 v[2:3], s[0:1], v3, s23, v[2:3]
.LBB5_23:
	s_waitcnt lgkmcnt(0)
	global_load_ubyte v1, v2, s[18:19]
	s_cmp_lt_i32 s40, 1
	s_mov_b64 s[0:1], 0
	s_cbranch_scc1 .LBB5_27
; %bb.24:
	s_cmp_gt_i32 s40, 1
	s_cbranch_scc0 .LBB5_28
; %bb.25:
	s_cmp_eq_u32 s40, 2
	s_cbranch_scc0 .LBB5_29
; %bb.26:
	s_and_b32 s2, s41, 0xff
	s_waitcnt vmcnt(0)
	v_cmp_le_u16_sdwa s[2:3], v1, s2 src0_sel:BYTE_0 src1_sel:DWORD
	s_mov_b64 s[4:5], 0
	s_branch .LBB5_30
.LBB5_27:
                                        ; implicit-def: $sgpr2_sgpr3
	s_mov_b64 s[4:5], 0
	s_cbranch_execnz .LBB5_33
	s_branch .LBB5_34
.LBB5_28:
	s_mov_b64 s[4:5], 0
                                        ; implicit-def: $sgpr2_sgpr3
	s_cbranch_execnz .LBB5_31
	s_branch .LBB5_32
.LBB5_29:
	s_mov_b64 s[4:5], -1
                                        ; implicit-def: $sgpr2_sgpr3
.LBB5_30:
	s_branch .LBB5_32
.LBB5_31:
	s_and_b32 s6, s41, 0xff
	s_waitcnt vmcnt(0)
	v_cmp_gt_u16_sdwa s[6:7], v1, s6 src0_sel:BYTE_0 src1_sel:DWORD
	s_andn2_b64 s[2:3], s[2:3], exec
	s_and_b64 s[6:7], s[6:7], exec
	s_or_b64 s[2:3], s[2:3], s[6:7]
.LBB5_32:
	s_branch .LBB5_34
.LBB5_33:
	s_cmp_lg_u32 s40, 0
	s_mov_b64 s[0:1], -1
	s_cselect_b64 s[4:5], -1, 0
.LBB5_34:
	s_andn2_b64 vcc, exec, s[4:5]
	s_cbranch_vccz .LBB5_43
; %bb.35:
	s_andn2_b64 vcc, exec, s[0:1]
	s_cbranch_vccnz .LBB5_37
.LBB5_36:
	s_and_b32 s0, s41, 0xff
	s_waitcnt vmcnt(0)
	v_cmp_ge_u16_sdwa s[0:1], v1, s0 src0_sel:BYTE_0 src1_sel:DWORD
	s_andn2_b64 s[2:3], s[2:3], exec
	s_and_b64 s[0:1], s[0:1], exec
	s_or_b64 s[2:3], s[2:3], s[0:1]
.LBB5_37:
	s_waitcnt vmcnt(0)
	v_cndmask_b32_e64 v1, 0, 1, s[2:3]
	v_add_u32_e32 v15, 0x80, v15
	global_store_byte v0, v1, s[16:17]
	s_or_b64 exec, exec, s[50:51]
	v_cmp_gt_i32_e32 vcc, s57, v15
	s_and_saveexec_b64 s[50:51], vcc
	s_cbranch_execz .LBB5_3
.LBB5_38:
	s_andn2_b64 vcc, exec, s[36:37]
	s_cbranch_vccnz .LBB5_44
; %bb.39:
	s_andn2_b64 vcc, exec, s[48:49]
	s_cbranch_vccnz .LBB5_45
; %bb.40:
	s_add_i32 s60, s58, 1
	s_cmp_eq_u32 s56, 2
	s_cbranch_scc1 .LBB5_46
; %bb.41:
	s_and_b32 s59, s60, 28
	v_mov_b32_e32 v2, 0
	s_mov_b32 s61, 0
	s_mov_b64 s[52:53], s[34:35]
	s_mov_b64 s[54:55], s[46:47]
	v_mov_b32_e32 v0, 0
	v_mov_b32_e32 v1, v15
.LBB5_42:                               ; =>This Inner Loop Header: Depth=1
	s_load_dwordx8 s[8:15], s[52:53], 0x4
	s_load_dwordx4 s[28:31], s[52:53], 0x24
	s_load_dwordx8 s[0:7], s[54:55], 0x0
	s_add_u32 s52, s52, 48
	s_addc_u32 s53, s53, 0
	s_waitcnt lgkmcnt(0)
	v_mul_hi_u32 v3, s9, v1
	s_add_i32 s61, s61, 4
	s_add_u32 s54, s54, 32
	s_addc_u32 s55, s55, 0
	v_add_u32_e32 v3, v1, v3
	v_lshrrev_b32_e32 v3, s10, v3
	v_mul_lo_u32 v4, v3, s8
	v_mul_hi_u32 v5, s12, v3
	s_cmp_eq_u32 s59, s61
	v_sub_u32_e32 v1, v1, v4
	v_add_u32_e32 v4, v3, v5
	v_mul_lo_u32 v5, v1, s0
	v_mul_lo_u32 v6, v1, s1
	v_lshrrev_b32_e32 v1, s13, v4
	v_mul_lo_u32 v4, v1, s11
	v_mul_hi_u32 v7, s15, v1
	v_sub_u32_e32 v3, v3, v4
	v_add_u32_e32 v4, v1, v7
	v_lshrrev_b32_e32 v4, s28, v4
	v_mul_hi_u32 v8, s30, v4
	v_mul_lo_u32 v9, v4, s14
	v_mul_lo_u32 v7, v3, s2
	;; [unrolled: 1-line block ×3, first 2 shown]
	v_sub_u32_e32 v9, v1, v9
	v_add_u32_e32 v1, v4, v8
	v_lshrrev_b32_e32 v1, s31, v1
	v_mul_lo_u32 v8, v1, s29
	v_mul_lo_u32 v10, v9, s4
	;; [unrolled: 1-line block ×3, first 2 shown]
	v_add3_u32 v0, v5, v0, v7
	v_sub_u32_e32 v4, v4, v8
	v_mul_lo_u32 v8, v4, s6
	v_mul_lo_u32 v4, v4, s7
	v_add3_u32 v2, v6, v2, v3
	v_add3_u32 v0, v10, v0, v8
	;; [unrolled: 1-line block ×3, first 2 shown]
	s_cbranch_scc0 .LBB5_42
	s_branch .LBB5_47
.LBB5_43:
	s_and_b32 s0, s41, 0xff
	s_waitcnt vmcnt(0)
	v_cmp_lt_u16_sdwa s[4:5], v1, s0 src0_sel:BYTE_0 src1_sel:DWORD
	s_andn2_b64 s[2:3], s[2:3], exec
	s_and_b64 s[4:5], s[4:5], exec
	s_or_b64 s[2:3], s[2:3], s[4:5]
	s_cbranch_execz .LBB5_36
	s_branch .LBB5_37
.LBB5_44:
                                        ; implicit-def: $vgpr0
                                        ; implicit-def: $vgpr2
	s_branch .LBB5_51
.LBB5_45:
	v_mov_b32_e32 v0, 0
	v_mov_b32_e32 v2, 0
	s_branch .LBB5_50
.LBB5_46:
	s_mov_b32 s59, 0
	v_mov_b32_e32 v0, 0
	v_mov_b32_e32 v2, 0
	;; [unrolled: 1-line block ×3, first 2 shown]
.LBB5_47:
	s_and_b32 s4, s60, 3
	s_cmp_eq_u32 s4, 0
	s_cbranch_scc1 .LBB5_50
; %bb.48:
	s_lshl_b32 s0, s59, 3
	s_add_u32 s0, s34, s0
	s_addc_u32 s1, s35, 0
	s_add_u32 s0, s0, 0xc4
	s_addc_u32 s1, s1, 0
	s_mul_i32 s2, s59, 12
	s_add_u32 s2, s34, s2
	s_addc_u32 s3, s35, 0
.LBB5_49:                               ; =>This Inner Loop Header: Depth=1
	s_load_dwordx2 s[6:7], s[2:3], 0x4
	s_load_dword s5, s[2:3], 0xc
	s_load_dwordx2 s[8:9], s[0:1], 0x0
	s_add_u32 s2, s2, 12
	s_addc_u32 s3, s3, 0
	s_waitcnt lgkmcnt(0)
	v_mul_hi_u32 v3, s7, v1
	s_add_u32 s0, s0, 8
	s_addc_u32 s1, s1, 0
	s_add_i32 s4, s4, -1
	v_add_u32_e32 v3, v1, v3
	v_lshrrev_b32_e32 v4, s5, v3
	v_mul_lo_u32 v3, v4, s6
	s_cmp_lg_u32 s4, 0
	v_sub_u32_e32 v3, v1, v3
	v_mad_u64_u32 v[0:1], s[6:7], v3, s8, v[0:1]
	v_mad_u64_u32 v[2:3], s[6:7], v3, s9, v[2:3]
	v_mov_b32_e32 v1, v4
	s_cbranch_scc1 .LBB5_49
.LBB5_50:
	s_cbranch_execnz .LBB5_53
.LBB5_51:
	s_waitcnt lgkmcnt(0)
	v_mul_hi_u32 v0, s25, v15
	s_andn2_b64 vcc, exec, s[44:45]
	v_add_u32_e32 v0, v15, v0
	v_lshrrev_b32_e32 v1, s26, v0
	v_mul_lo_u32 v0, v1, s24
	v_sub_u32_e32 v2, v15, v0
	v_mul_lo_u32 v0, v2, s20
	v_mul_lo_u32 v2, v2, s21
	s_cbranch_vccnz .LBB5_53
; %bb.52:
	v_mul_hi_u32 v3, s42, v1
	v_add_u32_e32 v3, v1, v3
	v_lshrrev_b32_e32 v3, s43, v3
	v_mul_lo_u32 v3, v3, s27
	v_sub_u32_e32 v3, v1, v3
	v_mad_u64_u32 v[0:1], s[0:1], v3, s22, v[0:1]
	v_mad_u64_u32 v[2:3], s[0:1], v3, s23, v[2:3]
.LBB5_53:
	s_waitcnt lgkmcnt(0)
	global_load_ubyte v1, v2, s[18:19]
	s_cmp_lt_i32 s40, 1
	s_mov_b64 s[0:1], 0
	s_cbranch_scc1 .LBB5_57
; %bb.54:
	s_cmp_gt_i32 s40, 1
	s_cbranch_scc0 .LBB5_58
; %bb.55:
	s_cmp_eq_u32 s40, 2
	s_cbranch_scc0 .LBB5_471
; %bb.56:
	s_and_b32 s2, s41, 0xff
	s_waitcnt vmcnt(0)
	v_cmp_le_u16_sdwa s[2:3], v1, s2 src0_sel:BYTE_0 src1_sel:DWORD
	s_mov_b64 s[4:5], 0
	s_branch .LBB5_60
.LBB5_57:
                                        ; implicit-def: $sgpr2_sgpr3
	s_mov_b64 s[4:5], 0
	s_cbranch_execnz .LBB5_61
	s_branch .LBB5_62
.LBB5_58:
	s_mov_b64 s[4:5], 0
                                        ; implicit-def: $sgpr2_sgpr3
	s_cbranch_execz .LBB5_60
; %bb.59:
	s_and_b32 s6, s41, 0xff
	s_waitcnt vmcnt(0)
	v_cmp_gt_u16_sdwa s[6:7], v1, s6 src0_sel:BYTE_0 src1_sel:DWORD
	s_andn2_b64 s[2:3], s[2:3], exec
	s_and_b64 s[6:7], s[6:7], exec
	s_or_b64 s[2:3], s[2:3], s[6:7]
.LBB5_60:
	s_branch .LBB5_62
.LBB5_61:
	s_cmp_lg_u32 s40, 0
	s_mov_b64 s[0:1], -1
	s_cselect_b64 s[4:5], -1, 0
.LBB5_62:
	s_andn2_b64 vcc, exec, s[4:5]
	s_cbranch_vccz .LBB5_71
; %bb.63:
	s_andn2_b64 vcc, exec, s[0:1]
	s_cbranch_vccnz .LBB5_65
.LBB5_64:
	s_and_b32 s0, s41, 0xff
	s_waitcnt vmcnt(0)
	v_cmp_ge_u16_sdwa s[0:1], v1, s0 src0_sel:BYTE_0 src1_sel:DWORD
	s_andn2_b64 s[2:3], s[2:3], exec
	s_and_b64 s[0:1], s[0:1], exec
	s_or_b64 s[2:3], s[2:3], s[0:1]
.LBB5_65:
	s_waitcnt vmcnt(0)
	v_cndmask_b32_e64 v1, 0, 1, s[2:3]
	v_add_u32_e32 v15, 0x80, v15
	global_store_byte v0, v1, s[16:17]
	s_or_b64 exec, exec, s[50:51]
	v_cmp_gt_i32_e32 vcc, s57, v15
	s_and_saveexec_b64 s[50:51], vcc
	s_cbranch_execz .LBB5_4
.LBB5_66:
	s_andn2_b64 vcc, exec, s[36:37]
	s_cbranch_vccnz .LBB5_72
; %bb.67:
	s_andn2_b64 vcc, exec, s[48:49]
	s_cbranch_vccnz .LBB5_73
; %bb.68:
	s_add_i32 s60, s58, 1
	s_cmp_eq_u32 s56, 2
	s_cbranch_scc1 .LBB5_74
; %bb.69:
	s_and_b32 s59, s60, 28
	v_mov_b32_e32 v2, 0
	s_mov_b32 s61, 0
	s_mov_b64 s[52:53], s[34:35]
	s_mov_b64 s[54:55], s[46:47]
	v_mov_b32_e32 v0, 0
	v_mov_b32_e32 v1, v15
.LBB5_70:                               ; =>This Inner Loop Header: Depth=1
	s_load_dwordx8 s[8:15], s[52:53], 0x4
	s_load_dwordx4 s[28:31], s[52:53], 0x24
	s_load_dwordx8 s[0:7], s[54:55], 0x0
	s_add_u32 s52, s52, 48
	s_addc_u32 s53, s53, 0
	s_waitcnt lgkmcnt(0)
	v_mul_hi_u32 v3, s9, v1
	s_add_i32 s61, s61, 4
	s_add_u32 s54, s54, 32
	s_addc_u32 s55, s55, 0
	v_add_u32_e32 v3, v1, v3
	v_lshrrev_b32_e32 v3, s10, v3
	v_mul_lo_u32 v4, v3, s8
	v_mul_hi_u32 v5, s12, v3
	s_cmp_eq_u32 s59, s61
	v_sub_u32_e32 v1, v1, v4
	v_add_u32_e32 v4, v3, v5
	v_mul_lo_u32 v5, v1, s0
	v_mul_lo_u32 v6, v1, s1
	v_lshrrev_b32_e32 v1, s13, v4
	v_mul_lo_u32 v4, v1, s11
	v_mul_hi_u32 v7, s15, v1
	v_sub_u32_e32 v3, v3, v4
	v_add_u32_e32 v4, v1, v7
	v_lshrrev_b32_e32 v4, s28, v4
	v_mul_hi_u32 v8, s30, v4
	v_mul_lo_u32 v9, v4, s14
	v_mul_lo_u32 v7, v3, s2
	;; [unrolled: 1-line block ×3, first 2 shown]
	v_sub_u32_e32 v9, v1, v9
	v_add_u32_e32 v1, v4, v8
	v_lshrrev_b32_e32 v1, s31, v1
	v_mul_lo_u32 v8, v1, s29
	v_mul_lo_u32 v10, v9, s4
	v_mul_lo_u32 v9, v9, s5
	v_add3_u32 v0, v5, v0, v7
	v_sub_u32_e32 v4, v4, v8
	v_mul_lo_u32 v8, v4, s6
	v_mul_lo_u32 v4, v4, s7
	v_add3_u32 v2, v6, v2, v3
	v_add3_u32 v0, v10, v0, v8
	;; [unrolled: 1-line block ×3, first 2 shown]
	s_cbranch_scc0 .LBB5_70
	s_branch .LBB5_75
.LBB5_71:
	s_and_b32 s0, s41, 0xff
	s_waitcnt vmcnt(0)
	v_cmp_lt_u16_sdwa s[4:5], v1, s0 src0_sel:BYTE_0 src1_sel:DWORD
	s_andn2_b64 s[2:3], s[2:3], exec
	s_and_b64 s[4:5], s[4:5], exec
	s_or_b64 s[2:3], s[2:3], s[4:5]
	s_cbranch_execz .LBB5_64
	s_branch .LBB5_65
.LBB5_72:
                                        ; implicit-def: $vgpr0
                                        ; implicit-def: $vgpr2
	s_branch .LBB5_79
.LBB5_73:
	v_mov_b32_e32 v0, 0
	v_mov_b32_e32 v2, 0
	s_branch .LBB5_78
.LBB5_74:
	s_mov_b32 s59, 0
	v_mov_b32_e32 v0, 0
	v_mov_b32_e32 v2, 0
	;; [unrolled: 1-line block ×3, first 2 shown]
.LBB5_75:
	s_and_b32 s4, s60, 3
	s_cmp_eq_u32 s4, 0
	s_cbranch_scc1 .LBB5_78
; %bb.76:
	s_lshl_b32 s0, s59, 3
	s_add_u32 s0, s34, s0
	s_addc_u32 s1, s35, 0
	s_add_u32 s0, s0, 0xc4
	s_addc_u32 s1, s1, 0
	s_mul_i32 s2, s59, 12
	s_add_u32 s2, s34, s2
	s_addc_u32 s3, s35, 0
.LBB5_77:                               ; =>This Inner Loop Header: Depth=1
	s_load_dwordx2 s[6:7], s[2:3], 0x4
	s_load_dword s5, s[2:3], 0xc
	s_load_dwordx2 s[8:9], s[0:1], 0x0
	s_add_u32 s2, s2, 12
	s_addc_u32 s3, s3, 0
	s_waitcnt lgkmcnt(0)
	v_mul_hi_u32 v3, s7, v1
	s_add_u32 s0, s0, 8
	s_addc_u32 s1, s1, 0
	s_add_i32 s4, s4, -1
	v_add_u32_e32 v3, v1, v3
	v_lshrrev_b32_e32 v4, s5, v3
	v_mul_lo_u32 v3, v4, s6
	s_cmp_lg_u32 s4, 0
	v_sub_u32_e32 v3, v1, v3
	v_mad_u64_u32 v[0:1], s[6:7], v3, s8, v[0:1]
	v_mad_u64_u32 v[2:3], s[6:7], v3, s9, v[2:3]
	v_mov_b32_e32 v1, v4
	s_cbranch_scc1 .LBB5_77
.LBB5_78:
	s_cbranch_execnz .LBB5_81
.LBB5_79:
	s_waitcnt lgkmcnt(0)
	v_mul_hi_u32 v0, s25, v15
	s_andn2_b64 vcc, exec, s[44:45]
	v_add_u32_e32 v0, v15, v0
	v_lshrrev_b32_e32 v1, s26, v0
	v_mul_lo_u32 v0, v1, s24
	v_sub_u32_e32 v2, v15, v0
	v_mul_lo_u32 v0, v2, s20
	v_mul_lo_u32 v2, v2, s21
	s_cbranch_vccnz .LBB5_81
; %bb.80:
	v_mul_hi_u32 v3, s42, v1
	v_add_u32_e32 v3, v1, v3
	v_lshrrev_b32_e32 v3, s43, v3
	v_mul_lo_u32 v3, v3, s27
	v_sub_u32_e32 v3, v1, v3
	v_mad_u64_u32 v[0:1], s[0:1], v3, s22, v[0:1]
	v_mad_u64_u32 v[2:3], s[0:1], v3, s23, v[2:3]
.LBB5_81:
	s_waitcnt lgkmcnt(0)
	global_load_ubyte v1, v2, s[18:19]
	s_cmp_lt_i32 s40, 1
	s_mov_b64 s[0:1], 0
	s_cbranch_scc1 .LBB5_85
; %bb.82:
	s_cmp_gt_i32 s40, 1
	s_cbranch_scc0 .LBB5_86
; %bb.83:
	s_cmp_eq_u32 s40, 2
	s_cbranch_scc0 .LBB5_472
; %bb.84:
	s_and_b32 s2, s41, 0xff
	s_waitcnt vmcnt(0)
	v_cmp_le_u16_sdwa s[2:3], v1, s2 src0_sel:BYTE_0 src1_sel:DWORD
	s_mov_b64 s[4:5], 0
	s_branch .LBB5_88
.LBB5_85:
                                        ; implicit-def: $sgpr2_sgpr3
	s_mov_b64 s[4:5], 0
	s_cbranch_execnz .LBB5_89
	s_branch .LBB5_90
.LBB5_86:
	s_mov_b64 s[4:5], 0
                                        ; implicit-def: $sgpr2_sgpr3
	s_cbranch_execz .LBB5_88
; %bb.87:
	s_and_b32 s6, s41, 0xff
	s_waitcnt vmcnt(0)
	v_cmp_gt_u16_sdwa s[6:7], v1, s6 src0_sel:BYTE_0 src1_sel:DWORD
	s_andn2_b64 s[2:3], s[2:3], exec
	s_and_b64 s[6:7], s[6:7], exec
	s_or_b64 s[2:3], s[2:3], s[6:7]
.LBB5_88:
	s_branch .LBB5_90
.LBB5_89:
	s_cmp_lg_u32 s40, 0
	s_mov_b64 s[0:1], -1
	s_cselect_b64 s[4:5], -1, 0
.LBB5_90:
	s_andn2_b64 vcc, exec, s[4:5]
	s_cbranch_vccz .LBB5_99
; %bb.91:
	s_andn2_b64 vcc, exec, s[0:1]
	s_cbranch_vccnz .LBB5_93
.LBB5_92:
	s_and_b32 s0, s41, 0xff
	s_waitcnt vmcnt(0)
	v_cmp_ge_u16_sdwa s[0:1], v1, s0 src0_sel:BYTE_0 src1_sel:DWORD
	s_andn2_b64 s[2:3], s[2:3], exec
	s_and_b64 s[0:1], s[0:1], exec
	s_or_b64 s[2:3], s[2:3], s[0:1]
.LBB5_93:
	s_waitcnt vmcnt(0)
	v_cndmask_b32_e64 v1, 0, 1, s[2:3]
	v_add_u32_e32 v15, 0x80, v15
	global_store_byte v0, v1, s[16:17]
	s_or_b64 exec, exec, s[50:51]
	v_cmp_gt_i32_e32 vcc, s57, v15
	s_and_saveexec_b64 s[50:51], vcc
	s_cbranch_execz .LBB5_5
.LBB5_94:
	s_andn2_b64 vcc, exec, s[36:37]
	s_cbranch_vccnz .LBB5_100
; %bb.95:
	s_andn2_b64 vcc, exec, s[48:49]
	s_cbranch_vccnz .LBB5_101
; %bb.96:
	s_add_i32 s60, s58, 1
	s_cmp_eq_u32 s56, 2
	s_cbranch_scc1 .LBB5_102
; %bb.97:
	s_and_b32 s59, s60, 28
	v_mov_b32_e32 v2, 0
	s_mov_b32 s61, 0
	s_mov_b64 s[52:53], s[34:35]
	s_mov_b64 s[54:55], s[46:47]
	v_mov_b32_e32 v0, 0
	v_mov_b32_e32 v1, v15
.LBB5_98:                               ; =>This Inner Loop Header: Depth=1
	s_load_dwordx8 s[8:15], s[52:53], 0x4
	s_load_dwordx4 s[28:31], s[52:53], 0x24
	s_load_dwordx8 s[0:7], s[54:55], 0x0
	s_add_u32 s52, s52, 48
	s_addc_u32 s53, s53, 0
	s_waitcnt lgkmcnt(0)
	v_mul_hi_u32 v3, s9, v1
	s_add_i32 s61, s61, 4
	s_add_u32 s54, s54, 32
	s_addc_u32 s55, s55, 0
	v_add_u32_e32 v3, v1, v3
	v_lshrrev_b32_e32 v3, s10, v3
	v_mul_lo_u32 v4, v3, s8
	v_mul_hi_u32 v5, s12, v3
	s_cmp_eq_u32 s59, s61
	v_sub_u32_e32 v1, v1, v4
	v_add_u32_e32 v4, v3, v5
	v_mul_lo_u32 v5, v1, s0
	v_mul_lo_u32 v6, v1, s1
	v_lshrrev_b32_e32 v1, s13, v4
	v_mul_lo_u32 v4, v1, s11
	v_mul_hi_u32 v7, s15, v1
	v_sub_u32_e32 v3, v3, v4
	v_add_u32_e32 v4, v1, v7
	v_lshrrev_b32_e32 v4, s28, v4
	v_mul_hi_u32 v8, s30, v4
	v_mul_lo_u32 v9, v4, s14
	v_mul_lo_u32 v7, v3, s2
	;; [unrolled: 1-line block ×3, first 2 shown]
	v_sub_u32_e32 v9, v1, v9
	v_add_u32_e32 v1, v4, v8
	v_lshrrev_b32_e32 v1, s31, v1
	v_mul_lo_u32 v8, v1, s29
	v_mul_lo_u32 v10, v9, s4
	;; [unrolled: 1-line block ×3, first 2 shown]
	v_add3_u32 v0, v5, v0, v7
	v_sub_u32_e32 v4, v4, v8
	v_mul_lo_u32 v8, v4, s6
	v_mul_lo_u32 v4, v4, s7
	v_add3_u32 v2, v6, v2, v3
	v_add3_u32 v0, v10, v0, v8
	;; [unrolled: 1-line block ×3, first 2 shown]
	s_cbranch_scc0 .LBB5_98
	s_branch .LBB5_103
.LBB5_99:
	s_and_b32 s0, s41, 0xff
	s_waitcnt vmcnt(0)
	v_cmp_lt_u16_sdwa s[4:5], v1, s0 src0_sel:BYTE_0 src1_sel:DWORD
	s_andn2_b64 s[2:3], s[2:3], exec
	s_and_b64 s[4:5], s[4:5], exec
	s_or_b64 s[2:3], s[2:3], s[4:5]
	s_cbranch_execz .LBB5_92
	s_branch .LBB5_93
.LBB5_100:
                                        ; implicit-def: $vgpr0
                                        ; implicit-def: $vgpr2
	s_branch .LBB5_107
.LBB5_101:
	v_mov_b32_e32 v0, 0
	v_mov_b32_e32 v2, 0
	s_branch .LBB5_106
.LBB5_102:
	s_mov_b32 s59, 0
	v_mov_b32_e32 v0, 0
	v_mov_b32_e32 v2, 0
	;; [unrolled: 1-line block ×3, first 2 shown]
.LBB5_103:
	s_and_b32 s4, s60, 3
	s_cmp_eq_u32 s4, 0
	s_cbranch_scc1 .LBB5_106
; %bb.104:
	s_lshl_b32 s0, s59, 3
	s_add_u32 s0, s34, s0
	s_addc_u32 s1, s35, 0
	s_add_u32 s0, s0, 0xc4
	s_addc_u32 s1, s1, 0
	s_mul_i32 s2, s59, 12
	s_add_u32 s2, s34, s2
	s_addc_u32 s3, s35, 0
.LBB5_105:                              ; =>This Inner Loop Header: Depth=1
	s_load_dwordx2 s[6:7], s[2:3], 0x4
	s_load_dword s5, s[2:3], 0xc
	s_load_dwordx2 s[8:9], s[0:1], 0x0
	s_add_u32 s2, s2, 12
	s_addc_u32 s3, s3, 0
	s_waitcnt lgkmcnt(0)
	v_mul_hi_u32 v3, s7, v1
	s_add_u32 s0, s0, 8
	s_addc_u32 s1, s1, 0
	s_add_i32 s4, s4, -1
	v_add_u32_e32 v3, v1, v3
	v_lshrrev_b32_e32 v4, s5, v3
	v_mul_lo_u32 v3, v4, s6
	s_cmp_lg_u32 s4, 0
	v_sub_u32_e32 v3, v1, v3
	v_mad_u64_u32 v[0:1], s[6:7], v3, s8, v[0:1]
	v_mad_u64_u32 v[2:3], s[6:7], v3, s9, v[2:3]
	v_mov_b32_e32 v1, v4
	s_cbranch_scc1 .LBB5_105
.LBB5_106:
	s_cbranch_execnz .LBB5_109
.LBB5_107:
	s_waitcnt lgkmcnt(0)
	v_mul_hi_u32 v0, s25, v15
	s_andn2_b64 vcc, exec, s[44:45]
	v_add_u32_e32 v0, v15, v0
	v_lshrrev_b32_e32 v1, s26, v0
	v_mul_lo_u32 v0, v1, s24
	v_sub_u32_e32 v2, v15, v0
	v_mul_lo_u32 v0, v2, s20
	v_mul_lo_u32 v2, v2, s21
	s_cbranch_vccnz .LBB5_109
; %bb.108:
	v_mul_hi_u32 v3, s42, v1
	v_add_u32_e32 v3, v1, v3
	v_lshrrev_b32_e32 v3, s43, v3
	v_mul_lo_u32 v3, v3, s27
	v_sub_u32_e32 v3, v1, v3
	v_mad_u64_u32 v[0:1], s[0:1], v3, s22, v[0:1]
	v_mad_u64_u32 v[2:3], s[0:1], v3, s23, v[2:3]
.LBB5_109:
	s_waitcnt lgkmcnt(0)
	global_load_ubyte v1, v2, s[18:19]
	s_cmp_lt_i32 s40, 1
	s_mov_b64 s[0:1], 0
	s_cbranch_scc1 .LBB5_113
; %bb.110:
	s_cmp_gt_i32 s40, 1
	s_cbranch_scc0 .LBB5_114
; %bb.111:
	s_cmp_eq_u32 s40, 2
	s_cbranch_scc0 .LBB5_473
; %bb.112:
	s_and_b32 s2, s41, 0xff
	s_waitcnt vmcnt(0)
	v_cmp_le_u16_sdwa s[2:3], v1, s2 src0_sel:BYTE_0 src1_sel:DWORD
	s_mov_b64 s[4:5], 0
	s_branch .LBB5_116
.LBB5_113:
                                        ; implicit-def: $sgpr2_sgpr3
	s_mov_b64 s[4:5], 0
	s_cbranch_execnz .LBB5_117
	s_branch .LBB5_118
.LBB5_114:
	s_mov_b64 s[4:5], 0
                                        ; implicit-def: $sgpr2_sgpr3
	s_cbranch_execz .LBB5_116
; %bb.115:
	s_and_b32 s6, s41, 0xff
	s_waitcnt vmcnt(0)
	v_cmp_gt_u16_sdwa s[6:7], v1, s6 src0_sel:BYTE_0 src1_sel:DWORD
	s_andn2_b64 s[2:3], s[2:3], exec
	s_and_b64 s[6:7], s[6:7], exec
	s_or_b64 s[2:3], s[2:3], s[6:7]
.LBB5_116:
	s_branch .LBB5_118
.LBB5_117:
	s_cmp_lg_u32 s40, 0
	s_mov_b64 s[0:1], -1
	s_cselect_b64 s[4:5], -1, 0
.LBB5_118:
	s_andn2_b64 vcc, exec, s[4:5]
	s_cbranch_vccz .LBB5_127
; %bb.119:
	s_andn2_b64 vcc, exec, s[0:1]
	s_cbranch_vccnz .LBB5_121
.LBB5_120:
	s_and_b32 s0, s41, 0xff
	s_waitcnt vmcnt(0)
	v_cmp_ge_u16_sdwa s[0:1], v1, s0 src0_sel:BYTE_0 src1_sel:DWORD
	s_andn2_b64 s[2:3], s[2:3], exec
	s_and_b64 s[0:1], s[0:1], exec
	s_or_b64 s[2:3], s[2:3], s[0:1]
.LBB5_121:
	s_waitcnt vmcnt(0)
	v_cndmask_b32_e64 v1, 0, 1, s[2:3]
	v_add_u32_e32 v15, 0x80, v15
	global_store_byte v0, v1, s[16:17]
	s_or_b64 exec, exec, s[50:51]
	v_cmp_gt_i32_e32 vcc, s57, v15
	s_and_saveexec_b64 s[50:51], vcc
	s_cbranch_execz .LBB5_6
.LBB5_122:
	s_andn2_b64 vcc, exec, s[36:37]
	s_cbranch_vccnz .LBB5_128
; %bb.123:
	s_andn2_b64 vcc, exec, s[48:49]
	s_cbranch_vccnz .LBB5_129
; %bb.124:
	s_add_i32 s60, s58, 1
	s_cmp_eq_u32 s56, 2
	s_cbranch_scc1 .LBB5_130
; %bb.125:
	s_and_b32 s59, s60, 28
	v_mov_b32_e32 v2, 0
	s_mov_b32 s61, 0
	s_mov_b64 s[52:53], s[34:35]
	s_mov_b64 s[54:55], s[46:47]
	v_mov_b32_e32 v0, 0
	v_mov_b32_e32 v1, v15
.LBB5_126:                              ; =>This Inner Loop Header: Depth=1
	s_load_dwordx8 s[8:15], s[52:53], 0x4
	s_load_dwordx4 s[28:31], s[52:53], 0x24
	s_load_dwordx8 s[0:7], s[54:55], 0x0
	s_add_u32 s52, s52, 48
	s_addc_u32 s53, s53, 0
	s_waitcnt lgkmcnt(0)
	v_mul_hi_u32 v3, s9, v1
	s_add_i32 s61, s61, 4
	s_add_u32 s54, s54, 32
	s_addc_u32 s55, s55, 0
	v_add_u32_e32 v3, v1, v3
	v_lshrrev_b32_e32 v3, s10, v3
	v_mul_lo_u32 v4, v3, s8
	v_mul_hi_u32 v5, s12, v3
	s_cmp_eq_u32 s59, s61
	v_sub_u32_e32 v1, v1, v4
	v_add_u32_e32 v4, v3, v5
	v_mul_lo_u32 v5, v1, s0
	v_mul_lo_u32 v6, v1, s1
	v_lshrrev_b32_e32 v1, s13, v4
	v_mul_lo_u32 v4, v1, s11
	v_mul_hi_u32 v7, s15, v1
	v_sub_u32_e32 v3, v3, v4
	v_add_u32_e32 v4, v1, v7
	v_lshrrev_b32_e32 v4, s28, v4
	v_mul_hi_u32 v8, s30, v4
	v_mul_lo_u32 v9, v4, s14
	v_mul_lo_u32 v7, v3, s2
	;; [unrolled: 1-line block ×3, first 2 shown]
	v_sub_u32_e32 v9, v1, v9
	v_add_u32_e32 v1, v4, v8
	v_lshrrev_b32_e32 v1, s31, v1
	v_mul_lo_u32 v8, v1, s29
	v_mul_lo_u32 v10, v9, s4
	;; [unrolled: 1-line block ×3, first 2 shown]
	v_add3_u32 v0, v5, v0, v7
	v_sub_u32_e32 v4, v4, v8
	v_mul_lo_u32 v8, v4, s6
	v_mul_lo_u32 v4, v4, s7
	v_add3_u32 v2, v6, v2, v3
	v_add3_u32 v0, v10, v0, v8
	;; [unrolled: 1-line block ×3, first 2 shown]
	s_cbranch_scc0 .LBB5_126
	s_branch .LBB5_131
.LBB5_127:
	s_and_b32 s0, s41, 0xff
	s_waitcnt vmcnt(0)
	v_cmp_lt_u16_sdwa s[4:5], v1, s0 src0_sel:BYTE_0 src1_sel:DWORD
	s_andn2_b64 s[2:3], s[2:3], exec
	s_and_b64 s[4:5], s[4:5], exec
	s_or_b64 s[2:3], s[2:3], s[4:5]
	s_cbranch_execz .LBB5_120
	s_branch .LBB5_121
.LBB5_128:
                                        ; implicit-def: $vgpr0
                                        ; implicit-def: $vgpr2
	s_branch .LBB5_135
.LBB5_129:
	v_mov_b32_e32 v0, 0
	v_mov_b32_e32 v2, 0
	s_branch .LBB5_134
.LBB5_130:
	s_mov_b32 s59, 0
	v_mov_b32_e32 v0, 0
	v_mov_b32_e32 v2, 0
	v_mov_b32_e32 v1, v15
.LBB5_131:
	s_and_b32 s4, s60, 3
	s_cmp_eq_u32 s4, 0
	s_cbranch_scc1 .LBB5_134
; %bb.132:
	s_lshl_b32 s0, s59, 3
	s_add_u32 s0, s34, s0
	s_addc_u32 s1, s35, 0
	s_add_u32 s0, s0, 0xc4
	s_addc_u32 s1, s1, 0
	s_mul_i32 s2, s59, 12
	s_add_u32 s2, s34, s2
	s_addc_u32 s3, s35, 0
.LBB5_133:                              ; =>This Inner Loop Header: Depth=1
	s_load_dwordx2 s[6:7], s[2:3], 0x4
	s_load_dword s5, s[2:3], 0xc
	s_load_dwordx2 s[8:9], s[0:1], 0x0
	s_add_u32 s2, s2, 12
	s_addc_u32 s3, s3, 0
	s_waitcnt lgkmcnt(0)
	v_mul_hi_u32 v3, s7, v1
	s_add_u32 s0, s0, 8
	s_addc_u32 s1, s1, 0
	s_add_i32 s4, s4, -1
	v_add_u32_e32 v3, v1, v3
	v_lshrrev_b32_e32 v4, s5, v3
	v_mul_lo_u32 v3, v4, s6
	s_cmp_lg_u32 s4, 0
	v_sub_u32_e32 v3, v1, v3
	v_mad_u64_u32 v[0:1], s[6:7], v3, s8, v[0:1]
	v_mad_u64_u32 v[2:3], s[6:7], v3, s9, v[2:3]
	v_mov_b32_e32 v1, v4
	s_cbranch_scc1 .LBB5_133
.LBB5_134:
	s_cbranch_execnz .LBB5_137
.LBB5_135:
	s_waitcnt lgkmcnt(0)
	v_mul_hi_u32 v0, s25, v15
	s_andn2_b64 vcc, exec, s[44:45]
	v_add_u32_e32 v0, v15, v0
	v_lshrrev_b32_e32 v1, s26, v0
	v_mul_lo_u32 v0, v1, s24
	v_sub_u32_e32 v2, v15, v0
	v_mul_lo_u32 v0, v2, s20
	v_mul_lo_u32 v2, v2, s21
	s_cbranch_vccnz .LBB5_137
; %bb.136:
	v_mul_hi_u32 v3, s42, v1
	v_add_u32_e32 v3, v1, v3
	v_lshrrev_b32_e32 v3, s43, v3
	v_mul_lo_u32 v3, v3, s27
	v_sub_u32_e32 v3, v1, v3
	v_mad_u64_u32 v[0:1], s[0:1], v3, s22, v[0:1]
	v_mad_u64_u32 v[2:3], s[0:1], v3, s23, v[2:3]
.LBB5_137:
	s_waitcnt lgkmcnt(0)
	global_load_ubyte v1, v2, s[18:19]
	s_cmp_lt_i32 s40, 1
	s_mov_b64 s[0:1], 0
	s_cbranch_scc1 .LBB5_141
; %bb.138:
	s_cmp_gt_i32 s40, 1
	s_cbranch_scc0 .LBB5_142
; %bb.139:
	s_cmp_eq_u32 s40, 2
	s_cbranch_scc0 .LBB5_474
; %bb.140:
	s_and_b32 s2, s41, 0xff
	s_waitcnt vmcnt(0)
	v_cmp_le_u16_sdwa s[2:3], v1, s2 src0_sel:BYTE_0 src1_sel:DWORD
	s_mov_b64 s[4:5], 0
	s_branch .LBB5_144
.LBB5_141:
                                        ; implicit-def: $sgpr2_sgpr3
	s_mov_b64 s[4:5], 0
	s_cbranch_execnz .LBB5_145
	s_branch .LBB5_146
.LBB5_142:
	s_mov_b64 s[4:5], 0
                                        ; implicit-def: $sgpr2_sgpr3
	s_cbranch_execz .LBB5_144
; %bb.143:
	s_and_b32 s6, s41, 0xff
	s_waitcnt vmcnt(0)
	v_cmp_gt_u16_sdwa s[6:7], v1, s6 src0_sel:BYTE_0 src1_sel:DWORD
	s_andn2_b64 s[2:3], s[2:3], exec
	s_and_b64 s[6:7], s[6:7], exec
	s_or_b64 s[2:3], s[2:3], s[6:7]
.LBB5_144:
	s_branch .LBB5_146
.LBB5_145:
	s_cmp_lg_u32 s40, 0
	s_mov_b64 s[0:1], -1
	s_cselect_b64 s[4:5], -1, 0
.LBB5_146:
	s_andn2_b64 vcc, exec, s[4:5]
	s_cbranch_vccz .LBB5_155
; %bb.147:
	s_andn2_b64 vcc, exec, s[0:1]
	s_cbranch_vccnz .LBB5_149
.LBB5_148:
	s_and_b32 s0, s41, 0xff
	s_waitcnt vmcnt(0)
	v_cmp_ge_u16_sdwa s[0:1], v1, s0 src0_sel:BYTE_0 src1_sel:DWORD
	s_andn2_b64 s[2:3], s[2:3], exec
	s_and_b64 s[0:1], s[0:1], exec
	s_or_b64 s[2:3], s[2:3], s[0:1]
.LBB5_149:
	s_waitcnt vmcnt(0)
	v_cndmask_b32_e64 v1, 0, 1, s[2:3]
	v_add_u32_e32 v15, 0x80, v15
	global_store_byte v0, v1, s[16:17]
	s_or_b64 exec, exec, s[50:51]
	v_cmp_gt_i32_e32 vcc, s57, v15
	s_and_saveexec_b64 s[50:51], vcc
	s_cbranch_execz .LBB5_7
.LBB5_150:
	s_andn2_b64 vcc, exec, s[36:37]
	s_cbranch_vccnz .LBB5_156
; %bb.151:
	s_andn2_b64 vcc, exec, s[48:49]
	s_cbranch_vccnz .LBB5_157
; %bb.152:
	s_add_i32 s60, s58, 1
	s_cmp_eq_u32 s56, 2
	s_cbranch_scc1 .LBB5_158
; %bb.153:
	s_and_b32 s59, s60, 28
	v_mov_b32_e32 v2, 0
	s_mov_b32 s61, 0
	s_mov_b64 s[52:53], s[34:35]
	s_mov_b64 s[54:55], s[46:47]
	v_mov_b32_e32 v0, 0
	v_mov_b32_e32 v1, v15
.LBB5_154:                              ; =>This Inner Loop Header: Depth=1
	s_load_dwordx8 s[8:15], s[52:53], 0x4
	s_load_dwordx4 s[28:31], s[52:53], 0x24
	s_load_dwordx8 s[0:7], s[54:55], 0x0
	s_add_u32 s52, s52, 48
	s_addc_u32 s53, s53, 0
	s_waitcnt lgkmcnt(0)
	v_mul_hi_u32 v3, s9, v1
	s_add_i32 s61, s61, 4
	s_add_u32 s54, s54, 32
	s_addc_u32 s55, s55, 0
	v_add_u32_e32 v3, v1, v3
	v_lshrrev_b32_e32 v3, s10, v3
	v_mul_lo_u32 v4, v3, s8
	v_mul_hi_u32 v5, s12, v3
	s_cmp_eq_u32 s59, s61
	v_sub_u32_e32 v1, v1, v4
	v_add_u32_e32 v4, v3, v5
	v_mul_lo_u32 v5, v1, s0
	v_mul_lo_u32 v6, v1, s1
	v_lshrrev_b32_e32 v1, s13, v4
	v_mul_lo_u32 v4, v1, s11
	v_mul_hi_u32 v7, s15, v1
	v_sub_u32_e32 v3, v3, v4
	v_add_u32_e32 v4, v1, v7
	v_lshrrev_b32_e32 v4, s28, v4
	v_mul_hi_u32 v8, s30, v4
	v_mul_lo_u32 v9, v4, s14
	v_mul_lo_u32 v7, v3, s2
	;; [unrolled: 1-line block ×3, first 2 shown]
	v_sub_u32_e32 v9, v1, v9
	v_add_u32_e32 v1, v4, v8
	v_lshrrev_b32_e32 v1, s31, v1
	v_mul_lo_u32 v8, v1, s29
	v_mul_lo_u32 v10, v9, s4
	;; [unrolled: 1-line block ×3, first 2 shown]
	v_add3_u32 v0, v5, v0, v7
	v_sub_u32_e32 v4, v4, v8
	v_mul_lo_u32 v8, v4, s6
	v_mul_lo_u32 v4, v4, s7
	v_add3_u32 v2, v6, v2, v3
	v_add3_u32 v0, v10, v0, v8
	;; [unrolled: 1-line block ×3, first 2 shown]
	s_cbranch_scc0 .LBB5_154
	s_branch .LBB5_159
.LBB5_155:
	s_and_b32 s0, s41, 0xff
	s_waitcnt vmcnt(0)
	v_cmp_lt_u16_sdwa s[4:5], v1, s0 src0_sel:BYTE_0 src1_sel:DWORD
	s_andn2_b64 s[2:3], s[2:3], exec
	s_and_b64 s[4:5], s[4:5], exec
	s_or_b64 s[2:3], s[2:3], s[4:5]
	s_cbranch_execz .LBB5_148
	s_branch .LBB5_149
.LBB5_156:
                                        ; implicit-def: $vgpr0
                                        ; implicit-def: $vgpr2
	s_branch .LBB5_163
.LBB5_157:
	v_mov_b32_e32 v0, 0
	v_mov_b32_e32 v2, 0
	s_branch .LBB5_162
.LBB5_158:
	s_mov_b32 s59, 0
	v_mov_b32_e32 v0, 0
	v_mov_b32_e32 v2, 0
	;; [unrolled: 1-line block ×3, first 2 shown]
.LBB5_159:
	s_and_b32 s4, s60, 3
	s_cmp_eq_u32 s4, 0
	s_cbranch_scc1 .LBB5_162
; %bb.160:
	s_lshl_b32 s0, s59, 3
	s_add_u32 s0, s34, s0
	s_addc_u32 s1, s35, 0
	s_add_u32 s0, s0, 0xc4
	s_addc_u32 s1, s1, 0
	s_mul_i32 s2, s59, 12
	s_add_u32 s2, s34, s2
	s_addc_u32 s3, s35, 0
.LBB5_161:                              ; =>This Inner Loop Header: Depth=1
	s_load_dwordx2 s[6:7], s[2:3], 0x4
	s_load_dword s5, s[2:3], 0xc
	s_load_dwordx2 s[8:9], s[0:1], 0x0
	s_add_u32 s2, s2, 12
	s_addc_u32 s3, s3, 0
	s_waitcnt lgkmcnt(0)
	v_mul_hi_u32 v3, s7, v1
	s_add_u32 s0, s0, 8
	s_addc_u32 s1, s1, 0
	s_add_i32 s4, s4, -1
	v_add_u32_e32 v3, v1, v3
	v_lshrrev_b32_e32 v4, s5, v3
	v_mul_lo_u32 v3, v4, s6
	s_cmp_lg_u32 s4, 0
	v_sub_u32_e32 v3, v1, v3
	v_mad_u64_u32 v[0:1], s[6:7], v3, s8, v[0:1]
	v_mad_u64_u32 v[2:3], s[6:7], v3, s9, v[2:3]
	v_mov_b32_e32 v1, v4
	s_cbranch_scc1 .LBB5_161
.LBB5_162:
	s_cbranch_execnz .LBB5_165
.LBB5_163:
	s_waitcnt lgkmcnt(0)
	v_mul_hi_u32 v0, s25, v15
	s_andn2_b64 vcc, exec, s[44:45]
	v_add_u32_e32 v0, v15, v0
	v_lshrrev_b32_e32 v1, s26, v0
	v_mul_lo_u32 v0, v1, s24
	v_sub_u32_e32 v2, v15, v0
	v_mul_lo_u32 v0, v2, s20
	v_mul_lo_u32 v2, v2, s21
	s_cbranch_vccnz .LBB5_165
; %bb.164:
	v_mul_hi_u32 v3, s42, v1
	v_add_u32_e32 v3, v1, v3
	v_lshrrev_b32_e32 v3, s43, v3
	v_mul_lo_u32 v3, v3, s27
	v_sub_u32_e32 v3, v1, v3
	v_mad_u64_u32 v[0:1], s[0:1], v3, s22, v[0:1]
	v_mad_u64_u32 v[2:3], s[0:1], v3, s23, v[2:3]
.LBB5_165:
	s_waitcnt lgkmcnt(0)
	global_load_ubyte v1, v2, s[18:19]
	s_cmp_lt_i32 s40, 1
	s_mov_b64 s[0:1], 0
	s_cbranch_scc1 .LBB5_169
; %bb.166:
	s_cmp_gt_i32 s40, 1
	s_cbranch_scc0 .LBB5_170
; %bb.167:
	s_cmp_eq_u32 s40, 2
	s_cbranch_scc0 .LBB5_475
; %bb.168:
	s_and_b32 s2, s41, 0xff
	s_waitcnt vmcnt(0)
	v_cmp_le_u16_sdwa s[2:3], v1, s2 src0_sel:BYTE_0 src1_sel:DWORD
	s_mov_b64 s[4:5], 0
	s_branch .LBB5_172
.LBB5_169:
                                        ; implicit-def: $sgpr2_sgpr3
	s_mov_b64 s[4:5], 0
	s_cbranch_execnz .LBB5_173
	s_branch .LBB5_174
.LBB5_170:
	s_mov_b64 s[4:5], 0
                                        ; implicit-def: $sgpr2_sgpr3
	s_cbranch_execz .LBB5_172
; %bb.171:
	s_and_b32 s6, s41, 0xff
	s_waitcnt vmcnt(0)
	v_cmp_gt_u16_sdwa s[6:7], v1, s6 src0_sel:BYTE_0 src1_sel:DWORD
	s_andn2_b64 s[2:3], s[2:3], exec
	s_and_b64 s[6:7], s[6:7], exec
	s_or_b64 s[2:3], s[2:3], s[6:7]
.LBB5_172:
	s_branch .LBB5_174
.LBB5_173:
	s_cmp_lg_u32 s40, 0
	s_mov_b64 s[0:1], -1
	s_cselect_b64 s[4:5], -1, 0
.LBB5_174:
	s_andn2_b64 vcc, exec, s[4:5]
	s_cbranch_vccz .LBB5_183
; %bb.175:
	s_andn2_b64 vcc, exec, s[0:1]
	s_cbranch_vccnz .LBB5_177
.LBB5_176:
	s_and_b32 s0, s41, 0xff
	s_waitcnt vmcnt(0)
	v_cmp_ge_u16_sdwa s[0:1], v1, s0 src0_sel:BYTE_0 src1_sel:DWORD
	s_andn2_b64 s[2:3], s[2:3], exec
	s_and_b64 s[0:1], s[0:1], exec
	s_or_b64 s[2:3], s[2:3], s[0:1]
.LBB5_177:
	s_waitcnt vmcnt(0)
	v_cndmask_b32_e64 v1, 0, 1, s[2:3]
	v_add_u32_e32 v15, 0x80, v15
	global_store_byte v0, v1, s[16:17]
	s_or_b64 exec, exec, s[50:51]
	v_cmp_gt_i32_e32 vcc, s57, v15
	s_and_saveexec_b64 s[50:51], vcc
	s_cbranch_execz .LBB5_8
.LBB5_178:
	s_andn2_b64 vcc, exec, s[36:37]
	s_cbranch_vccnz .LBB5_184
; %bb.179:
	s_andn2_b64 vcc, exec, s[48:49]
	s_cbranch_vccnz .LBB5_185
; %bb.180:
	s_add_i32 s60, s58, 1
	s_cmp_eq_u32 s56, 2
	s_cbranch_scc1 .LBB5_186
; %bb.181:
	s_and_b32 s59, s60, 28
	v_mov_b32_e32 v2, 0
	s_mov_b32 s61, 0
	s_mov_b64 s[52:53], s[34:35]
	s_mov_b64 s[54:55], s[46:47]
	v_mov_b32_e32 v0, 0
	v_mov_b32_e32 v1, v15
.LBB5_182:                              ; =>This Inner Loop Header: Depth=1
	s_load_dwordx8 s[8:15], s[52:53], 0x4
	s_load_dwordx4 s[28:31], s[52:53], 0x24
	s_load_dwordx8 s[0:7], s[54:55], 0x0
	s_add_u32 s52, s52, 48
	s_addc_u32 s53, s53, 0
	s_waitcnt lgkmcnt(0)
	v_mul_hi_u32 v3, s9, v1
	s_add_i32 s61, s61, 4
	s_add_u32 s54, s54, 32
	s_addc_u32 s55, s55, 0
	v_add_u32_e32 v3, v1, v3
	v_lshrrev_b32_e32 v3, s10, v3
	v_mul_lo_u32 v4, v3, s8
	v_mul_hi_u32 v5, s12, v3
	s_cmp_eq_u32 s59, s61
	v_sub_u32_e32 v1, v1, v4
	v_add_u32_e32 v4, v3, v5
	v_mul_lo_u32 v5, v1, s0
	v_mul_lo_u32 v6, v1, s1
	v_lshrrev_b32_e32 v1, s13, v4
	v_mul_lo_u32 v4, v1, s11
	v_mul_hi_u32 v7, s15, v1
	v_sub_u32_e32 v3, v3, v4
	v_add_u32_e32 v4, v1, v7
	v_lshrrev_b32_e32 v4, s28, v4
	v_mul_hi_u32 v8, s30, v4
	v_mul_lo_u32 v9, v4, s14
	v_mul_lo_u32 v7, v3, s2
	;; [unrolled: 1-line block ×3, first 2 shown]
	v_sub_u32_e32 v9, v1, v9
	v_add_u32_e32 v1, v4, v8
	v_lshrrev_b32_e32 v1, s31, v1
	v_mul_lo_u32 v8, v1, s29
	v_mul_lo_u32 v10, v9, s4
	;; [unrolled: 1-line block ×3, first 2 shown]
	v_add3_u32 v0, v5, v0, v7
	v_sub_u32_e32 v4, v4, v8
	v_mul_lo_u32 v8, v4, s6
	v_mul_lo_u32 v4, v4, s7
	v_add3_u32 v2, v6, v2, v3
	v_add3_u32 v0, v10, v0, v8
	;; [unrolled: 1-line block ×3, first 2 shown]
	s_cbranch_scc0 .LBB5_182
	s_branch .LBB5_187
.LBB5_183:
	s_and_b32 s0, s41, 0xff
	s_waitcnt vmcnt(0)
	v_cmp_lt_u16_sdwa s[4:5], v1, s0 src0_sel:BYTE_0 src1_sel:DWORD
	s_andn2_b64 s[2:3], s[2:3], exec
	s_and_b64 s[4:5], s[4:5], exec
	s_or_b64 s[2:3], s[2:3], s[4:5]
	s_cbranch_execz .LBB5_176
	s_branch .LBB5_177
.LBB5_184:
                                        ; implicit-def: $vgpr0
                                        ; implicit-def: $vgpr2
	s_branch .LBB5_191
.LBB5_185:
	v_mov_b32_e32 v0, 0
	v_mov_b32_e32 v2, 0
	s_branch .LBB5_190
.LBB5_186:
	s_mov_b32 s59, 0
	v_mov_b32_e32 v0, 0
	v_mov_b32_e32 v2, 0
	;; [unrolled: 1-line block ×3, first 2 shown]
.LBB5_187:
	s_and_b32 s4, s60, 3
	s_cmp_eq_u32 s4, 0
	s_cbranch_scc1 .LBB5_190
; %bb.188:
	s_lshl_b32 s0, s59, 3
	s_add_u32 s0, s34, s0
	s_addc_u32 s1, s35, 0
	s_add_u32 s0, s0, 0xc4
	s_addc_u32 s1, s1, 0
	s_mul_i32 s2, s59, 12
	s_add_u32 s2, s34, s2
	s_addc_u32 s3, s35, 0
.LBB5_189:                              ; =>This Inner Loop Header: Depth=1
	s_load_dwordx2 s[6:7], s[2:3], 0x4
	s_load_dword s5, s[2:3], 0xc
	s_load_dwordx2 s[8:9], s[0:1], 0x0
	s_add_u32 s2, s2, 12
	s_addc_u32 s3, s3, 0
	s_waitcnt lgkmcnt(0)
	v_mul_hi_u32 v3, s7, v1
	s_add_u32 s0, s0, 8
	s_addc_u32 s1, s1, 0
	s_add_i32 s4, s4, -1
	v_add_u32_e32 v3, v1, v3
	v_lshrrev_b32_e32 v4, s5, v3
	v_mul_lo_u32 v3, v4, s6
	s_cmp_lg_u32 s4, 0
	v_sub_u32_e32 v3, v1, v3
	v_mad_u64_u32 v[0:1], s[6:7], v3, s8, v[0:1]
	v_mad_u64_u32 v[2:3], s[6:7], v3, s9, v[2:3]
	v_mov_b32_e32 v1, v4
	s_cbranch_scc1 .LBB5_189
.LBB5_190:
	s_cbranch_execnz .LBB5_193
.LBB5_191:
	s_waitcnt lgkmcnt(0)
	v_mul_hi_u32 v0, s25, v15
	s_andn2_b64 vcc, exec, s[44:45]
	v_add_u32_e32 v0, v15, v0
	v_lshrrev_b32_e32 v1, s26, v0
	v_mul_lo_u32 v0, v1, s24
	v_sub_u32_e32 v2, v15, v0
	v_mul_lo_u32 v0, v2, s20
	v_mul_lo_u32 v2, v2, s21
	s_cbranch_vccnz .LBB5_193
; %bb.192:
	v_mul_hi_u32 v3, s42, v1
	v_add_u32_e32 v3, v1, v3
	v_lshrrev_b32_e32 v3, s43, v3
	v_mul_lo_u32 v3, v3, s27
	v_sub_u32_e32 v3, v1, v3
	v_mad_u64_u32 v[0:1], s[0:1], v3, s22, v[0:1]
	v_mad_u64_u32 v[2:3], s[0:1], v3, s23, v[2:3]
.LBB5_193:
	s_waitcnt lgkmcnt(0)
	global_load_ubyte v1, v2, s[18:19]
	s_cmp_lt_i32 s40, 1
	s_mov_b64 s[0:1], 0
	s_cbranch_scc1 .LBB5_197
; %bb.194:
	s_cmp_gt_i32 s40, 1
	s_cbranch_scc0 .LBB5_198
; %bb.195:
	s_cmp_eq_u32 s40, 2
	s_cbranch_scc0 .LBB5_476
; %bb.196:
	s_and_b32 s2, s41, 0xff
	s_waitcnt vmcnt(0)
	v_cmp_le_u16_sdwa s[2:3], v1, s2 src0_sel:BYTE_0 src1_sel:DWORD
	s_mov_b64 s[4:5], 0
	s_branch .LBB5_200
.LBB5_197:
                                        ; implicit-def: $sgpr2_sgpr3
	s_mov_b64 s[4:5], 0
	s_cbranch_execnz .LBB5_201
	s_branch .LBB5_202
.LBB5_198:
	s_mov_b64 s[4:5], 0
                                        ; implicit-def: $sgpr2_sgpr3
	s_cbranch_execz .LBB5_200
; %bb.199:
	s_and_b32 s6, s41, 0xff
	s_waitcnt vmcnt(0)
	v_cmp_gt_u16_sdwa s[6:7], v1, s6 src0_sel:BYTE_0 src1_sel:DWORD
	s_andn2_b64 s[2:3], s[2:3], exec
	s_and_b64 s[6:7], s[6:7], exec
	s_or_b64 s[2:3], s[2:3], s[6:7]
.LBB5_200:
	s_branch .LBB5_202
.LBB5_201:
	s_cmp_lg_u32 s40, 0
	s_mov_b64 s[0:1], -1
	s_cselect_b64 s[4:5], -1, 0
.LBB5_202:
	s_andn2_b64 vcc, exec, s[4:5]
	s_cbranch_vccz .LBB5_211
; %bb.203:
	s_andn2_b64 vcc, exec, s[0:1]
	s_cbranch_vccnz .LBB5_205
.LBB5_204:
	s_and_b32 s0, s41, 0xff
	s_waitcnt vmcnt(0)
	v_cmp_ge_u16_sdwa s[0:1], v1, s0 src0_sel:BYTE_0 src1_sel:DWORD
	s_andn2_b64 s[2:3], s[2:3], exec
	s_and_b64 s[0:1], s[0:1], exec
	s_or_b64 s[2:3], s[2:3], s[0:1]
.LBB5_205:
	s_waitcnt vmcnt(0)
	v_cndmask_b32_e64 v1, 0, 1, s[2:3]
	v_add_u32_e32 v15, 0x80, v15
	global_store_byte v0, v1, s[16:17]
	s_or_b64 exec, exec, s[50:51]
	v_cmp_gt_i32_e32 vcc, s57, v15
	s_and_saveexec_b64 s[50:51], vcc
	s_cbranch_execz .LBB5_234
.LBB5_206:
	s_andn2_b64 vcc, exec, s[36:37]
	s_cbranch_vccnz .LBB5_212
; %bb.207:
	s_andn2_b64 vcc, exec, s[48:49]
	s_cbranch_vccnz .LBB5_213
; %bb.208:
	s_add_i32 s58, s58, 1
	s_cmp_eq_u32 s56, 2
	s_cbranch_scc1 .LBB5_214
; %bb.209:
	s_and_b32 s52, s58, 28
	v_mov_b32_e32 v2, 0
	s_mov_b32 s53, 0
	s_mov_b64 s[48:49], s[34:35]
	v_mov_b32_e32 v0, 0
	v_mov_b32_e32 v1, v15
.LBB5_210:                              ; =>This Inner Loop Header: Depth=1
	s_load_dwordx8 s[8:15], s[48:49], 0x4
	s_load_dwordx4 s[28:31], s[48:49], 0x24
	s_load_dwordx8 s[0:7], s[46:47], 0x0
	s_add_u32 s48, s48, 48
	s_addc_u32 s49, s49, 0
	s_waitcnt lgkmcnt(0)
	v_mul_hi_u32 v3, s9, v1
	s_add_i32 s53, s53, 4
	s_add_u32 s46, s46, 32
	s_addc_u32 s47, s47, 0
	v_add_u32_e32 v3, v1, v3
	v_lshrrev_b32_e32 v3, s10, v3
	v_mul_lo_u32 v4, v3, s8
	v_mul_hi_u32 v5, s12, v3
	s_cmp_eq_u32 s52, s53
	v_sub_u32_e32 v1, v1, v4
	v_add_u32_e32 v4, v3, v5
	v_mul_lo_u32 v5, v1, s0
	v_mul_lo_u32 v6, v1, s1
	v_lshrrev_b32_e32 v1, s13, v4
	v_mul_lo_u32 v4, v1, s11
	v_mul_hi_u32 v7, s15, v1
	v_sub_u32_e32 v3, v3, v4
	v_add_u32_e32 v4, v1, v7
	v_lshrrev_b32_e32 v4, s28, v4
	v_mul_hi_u32 v8, s30, v4
	v_mul_lo_u32 v9, v4, s14
	v_mul_lo_u32 v7, v3, s2
	;; [unrolled: 1-line block ×3, first 2 shown]
	v_sub_u32_e32 v9, v1, v9
	v_add_u32_e32 v1, v4, v8
	v_lshrrev_b32_e32 v1, s31, v1
	v_mul_lo_u32 v8, v1, s29
	v_mul_lo_u32 v10, v9, s4
	;; [unrolled: 1-line block ×3, first 2 shown]
	v_add3_u32 v0, v5, v0, v7
	v_sub_u32_e32 v4, v4, v8
	v_mul_lo_u32 v8, v4, s6
	v_mul_lo_u32 v4, v4, s7
	v_add3_u32 v2, v6, v2, v3
	v_add3_u32 v0, v10, v0, v8
	;; [unrolled: 1-line block ×3, first 2 shown]
	s_cbranch_scc0 .LBB5_210
	s_branch .LBB5_215
.LBB5_211:
	s_and_b32 s0, s41, 0xff
	s_waitcnt vmcnt(0)
	v_cmp_lt_u16_sdwa s[4:5], v1, s0 src0_sel:BYTE_0 src1_sel:DWORD
	s_andn2_b64 s[2:3], s[2:3], exec
	s_and_b64 s[4:5], s[4:5], exec
	s_or_b64 s[2:3], s[2:3], s[4:5]
	s_cbranch_execz .LBB5_204
	s_branch .LBB5_205
.LBB5_212:
                                        ; implicit-def: $vgpr0
                                        ; implicit-def: $vgpr2
	s_branch .LBB5_219
.LBB5_213:
	v_mov_b32_e32 v0, 0
	v_mov_b32_e32 v2, 0
	s_branch .LBB5_218
.LBB5_214:
	s_mov_b32 s52, 0
	v_mov_b32_e32 v0, 0
	v_mov_b32_e32 v2, 0
	;; [unrolled: 1-line block ×3, first 2 shown]
.LBB5_215:
	s_and_b32 s4, s58, 3
	s_cmp_eq_u32 s4, 0
	s_cbranch_scc1 .LBB5_218
; %bb.216:
	s_lshl_b32 s0, s52, 3
	s_add_u32 s0, s34, s0
	s_addc_u32 s1, s35, 0
	s_add_u32 s0, s0, 0xc4
	s_addc_u32 s1, s1, 0
	s_mul_i32 s2, s52, 12
	s_add_u32 s2, s34, s2
	s_addc_u32 s3, s35, 0
.LBB5_217:                              ; =>This Inner Loop Header: Depth=1
	s_load_dwordx2 s[6:7], s[2:3], 0x4
	s_load_dword s5, s[2:3], 0xc
	s_load_dwordx2 s[8:9], s[0:1], 0x0
	s_add_u32 s2, s2, 12
	s_addc_u32 s3, s3, 0
	s_waitcnt lgkmcnt(0)
	v_mul_hi_u32 v3, s7, v1
	s_add_u32 s0, s0, 8
	s_addc_u32 s1, s1, 0
	s_add_i32 s4, s4, -1
	v_add_u32_e32 v3, v1, v3
	v_lshrrev_b32_e32 v4, s5, v3
	v_mul_lo_u32 v3, v4, s6
	s_cmp_lg_u32 s4, 0
	v_sub_u32_e32 v3, v1, v3
	v_mad_u64_u32 v[0:1], s[6:7], v3, s8, v[0:1]
	v_mad_u64_u32 v[2:3], s[6:7], v3, s9, v[2:3]
	v_mov_b32_e32 v1, v4
	s_cbranch_scc1 .LBB5_217
.LBB5_218:
	s_cbranch_execnz .LBB5_221
.LBB5_219:
	s_waitcnt lgkmcnt(0)
	v_mul_hi_u32 v0, s25, v15
	s_andn2_b64 vcc, exec, s[44:45]
	v_add_u32_e32 v0, v15, v0
	v_lshrrev_b32_e32 v1, s26, v0
	v_mul_lo_u32 v0, v1, s24
	v_sub_u32_e32 v2, v15, v0
	v_mul_lo_u32 v0, v2, s20
	v_mul_lo_u32 v2, v2, s21
	s_cbranch_vccnz .LBB5_221
; %bb.220:
	v_mul_hi_u32 v3, s42, v1
	v_add_u32_e32 v3, v1, v3
	v_lshrrev_b32_e32 v3, s43, v3
	v_mul_lo_u32 v3, v3, s27
	v_sub_u32_e32 v3, v1, v3
	v_mad_u64_u32 v[0:1], s[0:1], v3, s22, v[0:1]
	v_mad_u64_u32 v[2:3], s[0:1], v3, s23, v[2:3]
.LBB5_221:
	s_waitcnt lgkmcnt(0)
	global_load_ubyte v1, v2, s[18:19]
	s_cmp_lt_i32 s40, 1
	s_mov_b64 s[0:1], 0
	s_cbranch_scc1 .LBB5_225
; %bb.222:
	s_cmp_gt_i32 s40, 1
	s_cbranch_scc0 .LBB5_226
; %bb.223:
	s_cmp_eq_u32 s40, 2
	s_cbranch_scc0 .LBB5_477
; %bb.224:
	s_and_b32 s2, s41, 0xff
	s_waitcnt vmcnt(0)
	v_cmp_le_u16_sdwa s[2:3], v1, s2 src0_sel:BYTE_0 src1_sel:DWORD
	s_mov_b64 s[4:5], 0
	s_branch .LBB5_228
.LBB5_225:
                                        ; implicit-def: $sgpr2_sgpr3
	s_mov_b64 s[4:5], 0
	s_cbranch_execnz .LBB5_229
	s_branch .LBB5_230
.LBB5_226:
	s_mov_b64 s[4:5], 0
                                        ; implicit-def: $sgpr2_sgpr3
	s_cbranch_execz .LBB5_228
; %bb.227:
	s_and_b32 s6, s41, 0xff
	s_waitcnt vmcnt(0)
	v_cmp_gt_u16_sdwa s[6:7], v1, s6 src0_sel:BYTE_0 src1_sel:DWORD
	s_andn2_b64 s[2:3], s[2:3], exec
	s_and_b64 s[6:7], s[6:7], exec
	s_or_b64 s[2:3], s[2:3], s[6:7]
.LBB5_228:
	s_branch .LBB5_230
.LBB5_229:
	s_cmp_lg_u32 s40, 0
	s_mov_b64 s[0:1], -1
	s_cselect_b64 s[4:5], -1, 0
.LBB5_230:
	s_andn2_b64 vcc, exec, s[4:5]
	s_cbranch_vccz .LBB5_244
; %bb.231:
	s_andn2_b64 vcc, exec, s[0:1]
	s_cbranch_vccnz .LBB5_233
.LBB5_232:
	s_and_b32 s0, s41, 0xff
	s_waitcnt vmcnt(0)
	v_cmp_ge_u16_sdwa s[0:1], v1, s0 src0_sel:BYTE_0 src1_sel:DWORD
	s_andn2_b64 s[2:3], s[2:3], exec
	s_and_b64 s[0:1], s[0:1], exec
	s_or_b64 s[2:3], s[2:3], s[0:1]
.LBB5_233:
	s_waitcnt vmcnt(0)
	v_cndmask_b32_e64 v1, 0, 1, s[2:3]
	global_store_byte v0, v1, s[16:17]
.LBB5_234:
	s_or_b64 exec, exec, s[50:51]
                                        ; implicit-def: $vgpr22
                                        ; implicit-def: $vgpr15
.LBB5_235:
	s_andn2_saveexec_b64 s[0:1], s[38:39]
	s_cbranch_execz .LBB5_242
; %bb.236:
	v_cndmask_b32_e64 v0, 0, 1, s[36:37]
	v_cmp_ne_u32_e64 s[0:1], 1, v0
	s_andn2_b64 vcc, exec, s[36:37]
	s_cbranch_vccnz .LBB5_243
; %bb.237:
	s_cmp_lg_u32 s33, 0
	s_waitcnt lgkmcnt(0)
	s_mov_b32 s26, 0
	s_cbranch_scc0 .LBB5_245
; %bb.238:
	s_min_u32 s27, s56, 15
	s_add_i32 s27, s27, 1
	s_cmp_eq_u32 s56, 2
	s_cbranch_scc1 .LBB5_246
; %bb.239:
	s_and_b32 s26, s27, 28
	s_add_u32 s2, s34, 0xc4
	s_addc_u32 s3, s35, 0
	v_mov_b32_e32 v5, 0
	s_mov_b32 s28, 0
	s_mov_b64 s[24:25], s[34:35]
	v_mov_b32_e32 v0, 0
	v_mov_b32_e32 v1, v15
.LBB5_240:                              ; =>This Inner Loop Header: Depth=1
	s_load_dwordx8 s[12:19], s[24:25], 0x4
	s_load_dwordx4 s[20:23], s[24:25], 0x24
	s_load_dwordx8 s[4:11], s[2:3], 0x0
	s_add_u32 s24, s24, 48
	s_addc_u32 s25, s25, 0
	s_waitcnt lgkmcnt(0)
	v_mul_hi_u32 v2, s13, v1
	s_add_i32 s28, s28, 4
	s_add_u32 s2, s2, 32
	s_addc_u32 s3, s3, 0
	v_add_u32_e32 v2, v1, v2
	v_lshrrev_b32_e32 v2, s14, v2
	v_mul_lo_u32 v3, v2, s12
	v_mul_hi_u32 v4, s16, v2
	s_cmp_lg_u32 s26, s28
	v_sub_u32_e32 v1, v1, v3
	v_add_u32_e32 v3, v2, v4
	v_mul_lo_u32 v4, v1, s4
	v_mul_lo_u32 v6, v1, s5
	v_lshrrev_b32_e32 v1, s17, v3
	v_mul_lo_u32 v3, v1, s15
	v_mul_hi_u32 v7, s19, v1
	v_sub_u32_e32 v2, v2, v3
	v_add_u32_e32 v3, v1, v7
	v_lshrrev_b32_e32 v3, s20, v3
	v_mul_hi_u32 v8, s22, v3
	v_mul_lo_u32 v9, v3, s18
	v_mul_lo_u32 v7, v2, s6
	;; [unrolled: 1-line block ×3, first 2 shown]
	v_sub_u32_e32 v9, v1, v9
	v_add_u32_e32 v1, v3, v8
	v_lshrrev_b32_e32 v1, s23, v1
	v_mul_lo_u32 v8, v1, s21
	v_mul_lo_u32 v10, v9, s8
	;; [unrolled: 1-line block ×3, first 2 shown]
	v_add3_u32 v0, v4, v0, v7
	v_sub_u32_e32 v3, v3, v8
	v_mul_lo_u32 v8, v3, s10
	v_mul_lo_u32 v3, v3, s11
	v_add3_u32 v2, v6, v5, v2
	v_add3_u32 v0, v10, v0, v8
	;; [unrolled: 1-line block ×3, first 2 shown]
	s_cbranch_scc1 .LBB5_240
; %bb.241:
	s_and_b32 s6, s27, 3
	s_cmp_eq_u32 s6, 0
	s_cbranch_scc0 .LBB5_247
	s_branch .LBB5_249
.LBB5_242:
	s_endpgm
.LBB5_243:
                                        ; implicit-def: $vgpr0
                                        ; implicit-def: $vgpr5
	s_branch .LBB5_250
.LBB5_244:
	s_and_b32 s0, s41, 0xff
	s_waitcnt vmcnt(0)
	v_cmp_lt_u16_sdwa s[4:5], v1, s0 src0_sel:BYTE_0 src1_sel:DWORD
	s_andn2_b64 s[2:3], s[2:3], exec
	s_and_b64 s[4:5], s[4:5], exec
	s_or_b64 s[2:3], s[2:3], s[4:5]
	s_cbranch_execz .LBB5_232
	s_branch .LBB5_233
.LBB5_245:
	v_mov_b32_e32 v0, 0
	v_mov_b32_e32 v5, 0
	s_branch .LBB5_249
.LBB5_246:
	v_mov_b32_e32 v0, 0
	v_mov_b32_e32 v5, 0
	;; [unrolled: 1-line block ×3, first 2 shown]
	s_and_b32 s6, s27, 3
	s_cmp_eq_u32 s6, 0
	s_cbranch_scc1 .LBB5_249
.LBB5_247:
	s_lshl_b32 s2, s26, 3
	s_add_u32 s2, s34, s2
	s_addc_u32 s3, s35, 0
	s_add_u32 s2, s2, 0xc4
	s_addc_u32 s3, s3, 0
	s_mul_i32 s4, s26, 12
	s_add_u32 s4, s34, s4
	s_addc_u32 s5, s35, 0
.LBB5_248:                              ; =>This Inner Loop Header: Depth=1
	s_load_dwordx2 s[8:9], s[4:5], 0x4
	s_load_dword s7, s[4:5], 0xc
	s_load_dwordx2 s[10:11], s[2:3], 0x0
	s_add_u32 s4, s4, 12
	s_addc_u32 s5, s5, 0
	s_waitcnt lgkmcnt(0)
	v_mul_hi_u32 v2, s9, v1
	s_add_u32 s2, s2, 8
	s_addc_u32 s3, s3, 0
	s_add_i32 s6, s6, -1
	v_add_u32_e32 v2, v1, v2
	v_lshrrev_b32_e32 v2, s7, v2
	v_mul_lo_u32 v3, v2, s8
	s_cmp_lg_u32 s6, 0
	v_sub_u32_e32 v3, v1, v3
	v_mad_u64_u32 v[0:1], s[8:9], v3, s10, v[0:1]
	v_mad_u64_u32 v[5:6], s[8:9], v3, s11, v[5:6]
	v_mov_b32_e32 v1, v2
	s_cbranch_scc1 .LBB5_248
.LBB5_249:
	s_cbranch_execnz .LBB5_252
.LBB5_250:
	s_load_dwordx4 s[4:7], s[34:35], 0x4
	s_load_dwordx2 s[2:3], s[34:35], 0xc4
	s_cmp_lt_u32 s33, 2
	s_waitcnt lgkmcnt(0)
	v_mul_hi_u32 v0, s5, v15
	v_add_u32_e32 v0, v15, v0
	v_lshrrev_b32_e32 v1, s6, v0
	v_mul_lo_u32 v0, v1, s4
	v_sub_u32_e32 v2, v15, v0
	v_mul_lo_u32 v0, v2, s2
	v_mul_lo_u32 v5, v2, s3
	s_cbranch_scc1 .LBB5_252
; %bb.251:
	s_load_dwordx4 s[4:7], s[34:35], 0x10
	s_load_dwordx2 s[2:3], s[34:35], 0xcc
	s_waitcnt lgkmcnt(0)
	v_mul_hi_u32 v2, s5, v1
	v_add_u32_e32 v2, v1, v2
	v_lshrrev_b32_e32 v2, s6, v2
	v_mul_lo_u32 v2, v2, s4
	v_sub_u32_e32 v2, v1, v2
	v_mad_u64_u32 v[0:1], s[4:5], v2, s2, v[0:1]
	v_mad_u64_u32 v[5:6], s[2:3], v2, s3, v[5:6]
.LBB5_252:
	s_and_b64 vcc, exec, s[0:1]
	v_add_u32_e32 v3, 0x80, v15
	s_cbranch_vccnz .LBB5_258
; %bb.253:
	s_cmp_lg_u32 s33, 0
	s_waitcnt lgkmcnt(0)
	s_mov_b32 s26, 0
	s_cbranch_scc0 .LBB5_259
; %bb.254:
	s_min_u32 s27, s56, 15
	s_add_i32 s27, s27, 1
	s_cmp_eq_u32 s56, 2
	s_cbranch_scc1 .LBB5_260
; %bb.255:
	s_and_b32 s26, s27, 28
	s_add_u32 s2, s34, 0xc4
	s_addc_u32 s3, s35, 0
	v_mov_b32_e32 v6, 0
	s_mov_b32 s28, 0
	s_mov_b64 s[24:25], s[34:35]
	v_mov_b32_e32 v1, 0
	v_mov_b32_e32 v2, v3
.LBB5_256:                              ; =>This Inner Loop Header: Depth=1
	s_load_dwordx8 s[12:19], s[24:25], 0x4
	s_load_dwordx4 s[20:23], s[24:25], 0x24
	s_load_dwordx8 s[4:11], s[2:3], 0x0
	s_add_u32 s24, s24, 48
	s_addc_u32 s25, s25, 0
	s_waitcnt lgkmcnt(0)
	v_mul_hi_u32 v4, s13, v2
	s_add_i32 s28, s28, 4
	s_add_u32 s2, s2, 32
	s_addc_u32 s3, s3, 0
	v_add_u32_e32 v4, v2, v4
	v_lshrrev_b32_e32 v4, s14, v4
	v_mul_lo_u32 v7, v4, s12
	v_mul_hi_u32 v8, s16, v4
	s_cmp_lg_u32 s26, s28
	v_sub_u32_e32 v2, v2, v7
	v_add_u32_e32 v7, v4, v8
	v_mul_lo_u32 v8, v2, s4
	v_mul_lo_u32 v9, v2, s5
	v_lshrrev_b32_e32 v2, s17, v7
	v_mul_lo_u32 v7, v2, s15
	v_mul_hi_u32 v10, s19, v2
	v_sub_u32_e32 v4, v4, v7
	v_add_u32_e32 v7, v2, v10
	v_lshrrev_b32_e32 v7, s20, v7
	v_mul_hi_u32 v11, s22, v7
	v_mul_lo_u32 v12, v7, s18
	v_mul_lo_u32 v10, v4, s6
	;; [unrolled: 1-line block ×3, first 2 shown]
	v_sub_u32_e32 v12, v2, v12
	v_add_u32_e32 v2, v7, v11
	v_lshrrev_b32_e32 v2, s23, v2
	v_mul_lo_u32 v11, v2, s21
	v_mul_lo_u32 v13, v12, s8
	;; [unrolled: 1-line block ×3, first 2 shown]
	v_add3_u32 v1, v8, v1, v10
	v_sub_u32_e32 v7, v7, v11
	v_mul_lo_u32 v11, v7, s10
	v_mul_lo_u32 v7, v7, s11
	v_add3_u32 v4, v9, v6, v4
	v_add3_u32 v1, v13, v1, v11
	;; [unrolled: 1-line block ×3, first 2 shown]
	s_cbranch_scc1 .LBB5_256
; %bb.257:
	s_and_b32 s6, s27, 3
	s_cmp_eq_u32 s6, 0
	s_cbranch_scc0 .LBB5_261
	s_branch .LBB5_263
.LBB5_258:
                                        ; implicit-def: $vgpr1
                                        ; implicit-def: $vgpr6
	s_branch .LBB5_264
.LBB5_259:
	v_mov_b32_e32 v1, 0
	v_mov_b32_e32 v6, 0
	s_branch .LBB5_263
.LBB5_260:
	v_mov_b32_e32 v1, 0
	v_mov_b32_e32 v6, 0
	;; [unrolled: 1-line block ×3, first 2 shown]
	s_and_b32 s6, s27, 3
	s_cmp_eq_u32 s6, 0
	s_cbranch_scc1 .LBB5_263
.LBB5_261:
	s_lshl_b32 s2, s26, 3
	s_add_u32 s2, s34, s2
	s_addc_u32 s3, s35, 0
	s_add_u32 s2, s2, 0xc4
	s_addc_u32 s3, s3, 0
	s_mul_i32 s4, s26, 12
	s_add_u32 s4, s34, s4
	s_addc_u32 s5, s35, 0
.LBB5_262:                              ; =>This Inner Loop Header: Depth=1
	s_load_dwordx2 s[8:9], s[4:5], 0x4
	s_load_dword s7, s[4:5], 0xc
	s_load_dwordx2 s[10:11], s[2:3], 0x0
	s_add_u32 s4, s4, 12
	s_addc_u32 s5, s5, 0
	s_waitcnt lgkmcnt(0)
	v_mul_hi_u32 v4, s9, v2
	s_add_u32 s2, s2, 8
	s_addc_u32 s3, s3, 0
	s_add_i32 s6, s6, -1
	v_add_u32_e32 v4, v2, v4
	v_lshrrev_b32_e32 v4, s7, v4
	v_mul_lo_u32 v7, v4, s8
	s_cmp_lg_u32 s6, 0
	v_sub_u32_e32 v7, v2, v7
	v_mad_u64_u32 v[1:2], s[8:9], v7, s10, v[1:2]
	v_mad_u64_u32 v[6:7], s[8:9], v7, s11, v[6:7]
	v_mov_b32_e32 v2, v4
	s_cbranch_scc1 .LBB5_262
.LBB5_263:
	s_cbranch_execnz .LBB5_266
.LBB5_264:
	s_load_dwordx4 s[4:7], s[34:35], 0x4
	s_load_dwordx2 s[2:3], s[34:35], 0xc4
	s_cmp_lt_u32 s33, 2
	s_waitcnt lgkmcnt(0)
	v_mul_hi_u32 v1, s5, v3
	v_add_u32_e32 v1, v3, v1
	v_lshrrev_b32_e32 v2, s6, v1
	v_mul_lo_u32 v1, v2, s4
	v_sub_u32_e32 v3, v3, v1
	v_mul_lo_u32 v1, v3, s2
	v_mul_lo_u32 v6, v3, s3
	s_cbranch_scc1 .LBB5_266
; %bb.265:
	s_load_dwordx4 s[4:7], s[34:35], 0x10
	s_load_dwordx2 s[2:3], s[34:35], 0xcc
	s_waitcnt lgkmcnt(0)
	v_mul_hi_u32 v3, s5, v2
	v_add_u32_e32 v3, v2, v3
	v_lshrrev_b32_e32 v3, s6, v3
	v_mul_lo_u32 v3, v3, s4
	v_sub_u32_e32 v3, v2, v3
	v_mad_u64_u32 v[1:2], s[4:5], v3, s2, v[1:2]
	v_mad_u64_u32 v[6:7], s[2:3], v3, s3, v[6:7]
.LBB5_266:
	s_and_b64 vcc, exec, s[0:1]
	v_add_u32_e32 v4, 0x100, v15
	s_cbranch_vccnz .LBB5_272
; %bb.267:
	s_cmp_lg_u32 s33, 0
	s_waitcnt lgkmcnt(0)
	s_mov_b32 s26, 0
	s_cbranch_scc0 .LBB5_273
; %bb.268:
	s_min_u32 s27, s56, 15
	s_add_i32 s27, s27, 1
	s_cmp_eq_u32 s56, 2
	s_cbranch_scc1 .LBB5_274
; %bb.269:
	s_and_b32 s26, s27, 28
	s_add_u32 s2, s34, 0xc4
	s_addc_u32 s3, s35, 0
	v_mov_b32_e32 v9, 0
	s_mov_b32 s28, 0
	s_mov_b64 s[24:25], s[34:35]
	v_mov_b32_e32 v2, 0
	v_mov_b32_e32 v3, v4
.LBB5_270:                              ; =>This Inner Loop Header: Depth=1
	s_load_dwordx8 s[12:19], s[24:25], 0x4
	s_load_dwordx4 s[20:23], s[24:25], 0x24
	s_load_dwordx8 s[4:11], s[2:3], 0x0
	s_add_u32 s24, s24, 48
	s_addc_u32 s25, s25, 0
	s_waitcnt lgkmcnt(0)
	v_mul_hi_u32 v7, s13, v3
	s_add_i32 s28, s28, 4
	s_add_u32 s2, s2, 32
	s_addc_u32 s3, s3, 0
	v_add_u32_e32 v7, v3, v7
	v_lshrrev_b32_e32 v7, s14, v7
	v_mul_lo_u32 v8, v7, s12
	v_mul_hi_u32 v10, s16, v7
	s_cmp_lg_u32 s26, s28
	v_sub_u32_e32 v3, v3, v8
	v_add_u32_e32 v8, v7, v10
	v_mul_lo_u32 v10, v3, s4
	v_mul_lo_u32 v11, v3, s5
	v_lshrrev_b32_e32 v3, s17, v8
	v_mul_lo_u32 v8, v3, s15
	v_mul_hi_u32 v12, s19, v3
	v_sub_u32_e32 v7, v7, v8
	v_add_u32_e32 v8, v3, v12
	v_lshrrev_b32_e32 v8, s20, v8
	v_mul_hi_u32 v13, s22, v8
	v_mul_lo_u32 v14, v8, s18
	v_mul_lo_u32 v12, v7, s6
	v_mul_lo_u32 v7, v7, s7
	v_sub_u32_e32 v14, v3, v14
	v_add_u32_e32 v3, v8, v13
	v_lshrrev_b32_e32 v3, s23, v3
	v_mul_lo_u32 v13, v3, s21
	v_mul_lo_u32 v16, v14, s8
	;; [unrolled: 1-line block ×3, first 2 shown]
	v_add3_u32 v2, v10, v2, v12
	v_sub_u32_e32 v8, v8, v13
	v_mul_lo_u32 v13, v8, s10
	v_mul_lo_u32 v8, v8, s11
	v_add3_u32 v7, v11, v9, v7
	v_add3_u32 v2, v16, v2, v13
	;; [unrolled: 1-line block ×3, first 2 shown]
	s_cbranch_scc1 .LBB5_270
; %bb.271:
	s_and_b32 s6, s27, 3
	s_cmp_eq_u32 s6, 0
	s_cbranch_scc0 .LBB5_275
	s_branch .LBB5_277
.LBB5_272:
                                        ; implicit-def: $vgpr2
                                        ; implicit-def: $vgpr9
	s_branch .LBB5_278
.LBB5_273:
	v_mov_b32_e32 v2, 0
	v_mov_b32_e32 v9, 0
	s_branch .LBB5_277
.LBB5_274:
	v_mov_b32_e32 v2, 0
	v_mov_b32_e32 v9, 0
	;; [unrolled: 1-line block ×3, first 2 shown]
	s_and_b32 s6, s27, 3
	s_cmp_eq_u32 s6, 0
	s_cbranch_scc1 .LBB5_277
.LBB5_275:
	s_lshl_b32 s2, s26, 3
	s_add_u32 s2, s34, s2
	s_addc_u32 s3, s35, 0
	s_add_u32 s2, s2, 0xc4
	s_addc_u32 s3, s3, 0
	s_mul_i32 s4, s26, 12
	s_add_u32 s4, s34, s4
	s_addc_u32 s5, s35, 0
.LBB5_276:                              ; =>This Inner Loop Header: Depth=1
	s_load_dwordx2 s[8:9], s[4:5], 0x4
	s_load_dword s7, s[4:5], 0xc
	s_load_dwordx2 s[10:11], s[2:3], 0x0
	s_add_u32 s4, s4, 12
	s_addc_u32 s5, s5, 0
	s_waitcnt lgkmcnt(0)
	v_mul_hi_u32 v7, s9, v3
	s_add_u32 s2, s2, 8
	s_addc_u32 s3, s3, 0
	s_add_i32 s6, s6, -1
	v_add_u32_e32 v7, v3, v7
	v_lshrrev_b32_e32 v7, s7, v7
	v_mul_lo_u32 v8, v7, s8
	s_cmp_lg_u32 s6, 0
	v_sub_u32_e32 v8, v3, v8
	v_mad_u64_u32 v[2:3], s[8:9], v8, s10, v[2:3]
	v_mad_u64_u32 v[9:10], s[8:9], v8, s11, v[9:10]
	v_mov_b32_e32 v3, v7
	s_cbranch_scc1 .LBB5_276
.LBB5_277:
	s_cbranch_execnz .LBB5_280
.LBB5_278:
	s_load_dwordx4 s[4:7], s[34:35], 0x4
	s_load_dwordx2 s[2:3], s[34:35], 0xc4
	s_cmp_lt_u32 s33, 2
	s_waitcnt lgkmcnt(0)
	v_mul_hi_u32 v2, s5, v4
	v_add_u32_e32 v2, v4, v2
	v_lshrrev_b32_e32 v3, s6, v2
	v_mul_lo_u32 v2, v3, s4
	v_sub_u32_e32 v4, v4, v2
	v_mul_lo_u32 v2, v4, s2
	v_mul_lo_u32 v9, v4, s3
	s_cbranch_scc1 .LBB5_280
; %bb.279:
	s_load_dwordx4 s[4:7], s[34:35], 0x10
	s_load_dwordx2 s[2:3], s[34:35], 0xcc
	s_waitcnt lgkmcnt(0)
	v_mul_hi_u32 v4, s5, v3
	v_add_u32_e32 v4, v3, v4
	v_lshrrev_b32_e32 v4, s6, v4
	v_mul_lo_u32 v4, v4, s4
	v_sub_u32_e32 v4, v3, v4
	v_mad_u64_u32 v[2:3], s[4:5], v4, s2, v[2:3]
	v_mad_u64_u32 v[9:10], s[2:3], v4, s3, v[9:10]
.LBB5_280:
	s_and_b64 vcc, exec, s[0:1]
	v_add_u32_e32 v7, 0x180, v15
	s_cbranch_vccnz .LBB5_286
; %bb.281:
	s_cmp_lg_u32 s33, 0
	s_waitcnt lgkmcnt(0)
	s_mov_b32 s26, 0
	s_cbranch_scc0 .LBB5_287
; %bb.282:
	s_min_u32 s27, s56, 15
	s_add_i32 s27, s27, 1
	s_cmp_eq_u32 s56, 2
	s_cbranch_scc1 .LBB5_288
; %bb.283:
	s_and_b32 s26, s27, 28
	s_add_u32 s2, s34, 0xc4
	s_addc_u32 s3, s35, 0
	v_mov_b32_e32 v12, 0
	s_mov_b32 s28, 0
	s_mov_b64 s[24:25], s[34:35]
	v_mov_b32_e32 v3, 0
	v_mov_b32_e32 v4, v7
.LBB5_284:                              ; =>This Inner Loop Header: Depth=1
	s_load_dwordx8 s[12:19], s[24:25], 0x4
	s_load_dwordx4 s[20:23], s[24:25], 0x24
	s_load_dwordx8 s[4:11], s[2:3], 0x0
	s_add_u32 s24, s24, 48
	s_addc_u32 s25, s25, 0
	s_waitcnt lgkmcnt(0)
	v_mul_hi_u32 v8, s13, v4
	s_add_i32 s28, s28, 4
	s_add_u32 s2, s2, 32
	s_addc_u32 s3, s3, 0
	v_add_u32_e32 v8, v4, v8
	v_lshrrev_b32_e32 v8, s14, v8
	v_mul_lo_u32 v10, v8, s12
	v_mul_hi_u32 v11, s16, v8
	s_cmp_lg_u32 s26, s28
	v_sub_u32_e32 v4, v4, v10
	v_add_u32_e32 v10, v8, v11
	v_mul_lo_u32 v11, v4, s4
	v_mul_lo_u32 v13, v4, s5
	v_lshrrev_b32_e32 v4, s17, v10
	v_mul_lo_u32 v10, v4, s15
	v_mul_hi_u32 v14, s19, v4
	v_sub_u32_e32 v8, v8, v10
	v_add_u32_e32 v10, v4, v14
	v_lshrrev_b32_e32 v10, s20, v10
	v_mul_hi_u32 v16, s22, v10
	v_mul_lo_u32 v17, v10, s18
	v_mul_lo_u32 v14, v8, s6
	;; [unrolled: 1-line block ×3, first 2 shown]
	v_sub_u32_e32 v17, v4, v17
	v_add_u32_e32 v4, v10, v16
	v_lshrrev_b32_e32 v4, s23, v4
	v_mul_lo_u32 v16, v4, s21
	v_mul_lo_u32 v18, v17, s8
	;; [unrolled: 1-line block ×3, first 2 shown]
	v_add3_u32 v3, v11, v3, v14
	v_sub_u32_e32 v10, v10, v16
	v_mul_lo_u32 v16, v10, s10
	v_mul_lo_u32 v10, v10, s11
	v_add3_u32 v8, v13, v12, v8
	v_add3_u32 v3, v18, v3, v16
	;; [unrolled: 1-line block ×3, first 2 shown]
	s_cbranch_scc1 .LBB5_284
; %bb.285:
	s_and_b32 s6, s27, 3
	s_cmp_eq_u32 s6, 0
	s_cbranch_scc0 .LBB5_289
	s_branch .LBB5_291
.LBB5_286:
                                        ; implicit-def: $vgpr3
                                        ; implicit-def: $vgpr12
	s_branch .LBB5_292
.LBB5_287:
	v_mov_b32_e32 v3, 0
	v_mov_b32_e32 v12, 0
	s_branch .LBB5_291
.LBB5_288:
	v_mov_b32_e32 v3, 0
	v_mov_b32_e32 v12, 0
	;; [unrolled: 1-line block ×3, first 2 shown]
	s_and_b32 s6, s27, 3
	s_cmp_eq_u32 s6, 0
	s_cbranch_scc1 .LBB5_291
.LBB5_289:
	s_lshl_b32 s2, s26, 3
	s_add_u32 s2, s34, s2
	s_addc_u32 s3, s35, 0
	s_add_u32 s2, s2, 0xc4
	s_addc_u32 s3, s3, 0
	s_mul_i32 s4, s26, 12
	s_add_u32 s4, s34, s4
	s_addc_u32 s5, s35, 0
.LBB5_290:                              ; =>This Inner Loop Header: Depth=1
	s_load_dwordx2 s[8:9], s[4:5], 0x4
	s_load_dword s7, s[4:5], 0xc
	s_load_dwordx2 s[10:11], s[2:3], 0x0
	s_add_u32 s4, s4, 12
	s_addc_u32 s5, s5, 0
	s_waitcnt lgkmcnt(0)
	v_mul_hi_u32 v8, s9, v4
	s_add_u32 s2, s2, 8
	s_addc_u32 s3, s3, 0
	s_add_i32 s6, s6, -1
	v_add_u32_e32 v8, v4, v8
	v_lshrrev_b32_e32 v8, s7, v8
	v_mul_lo_u32 v10, v8, s8
	s_cmp_lg_u32 s6, 0
	v_sub_u32_e32 v10, v4, v10
	v_mad_u64_u32 v[3:4], s[8:9], v10, s10, v[3:4]
	v_mad_u64_u32 v[12:13], s[8:9], v10, s11, v[12:13]
	v_mov_b32_e32 v4, v8
	s_cbranch_scc1 .LBB5_290
.LBB5_291:
	s_cbranch_execnz .LBB5_294
.LBB5_292:
	s_load_dwordx4 s[4:7], s[34:35], 0x4
	s_load_dwordx2 s[2:3], s[34:35], 0xc4
	s_cmp_lt_u32 s33, 2
	s_waitcnt lgkmcnt(0)
	v_mul_hi_u32 v3, s5, v7
	v_add_u32_e32 v3, v7, v3
	v_lshrrev_b32_e32 v4, s6, v3
	v_mul_lo_u32 v3, v4, s4
	v_sub_u32_e32 v7, v7, v3
	v_mul_lo_u32 v3, v7, s2
	v_mul_lo_u32 v12, v7, s3
	s_cbranch_scc1 .LBB5_294
; %bb.293:
	s_load_dwordx4 s[4:7], s[34:35], 0x10
	s_load_dwordx2 s[2:3], s[34:35], 0xcc
	s_waitcnt lgkmcnt(0)
	v_mul_hi_u32 v7, s5, v4
	v_add_u32_e32 v7, v4, v7
	v_lshrrev_b32_e32 v7, s6, v7
	v_mul_lo_u32 v7, v7, s4
	v_sub_u32_e32 v7, v4, v7
	v_mad_u64_u32 v[3:4], s[4:5], v7, s2, v[3:4]
	v_mad_u64_u32 v[12:13], s[2:3], v7, s3, v[12:13]
.LBB5_294:
	s_and_b64 vcc, exec, s[0:1]
	v_add_u32_e32 v4, 0x200, v15
	s_cbranch_vccnz .LBB5_300
; %bb.295:
	s_cmp_lg_u32 s33, 0
	s_waitcnt lgkmcnt(0)
	s_mov_b32 s26, 0
	s_cbranch_scc0 .LBB5_301
; %bb.296:
	s_min_u32 s27, s56, 15
	s_add_i32 s27, s27, 1
	s_cmp_eq_u32 s56, 2
	s_cbranch_scc1 .LBB5_302
; %bb.297:
	s_and_b32 s26, s27, 28
	s_add_u32 s2, s34, 0xc4
	s_addc_u32 s3, s35, 0
	v_mov_b32_e32 v13, 0
	s_mov_b32 s28, 0
	s_mov_b64 s[24:25], s[34:35]
	v_mov_b32_e32 v7, 0
	v_mov_b32_e32 v8, v4
.LBB5_298:                              ; =>This Inner Loop Header: Depth=1
	s_load_dwordx8 s[12:19], s[24:25], 0x4
	s_load_dwordx4 s[20:23], s[24:25], 0x24
	s_load_dwordx8 s[4:11], s[2:3], 0x0
	s_add_u32 s24, s24, 48
	s_addc_u32 s25, s25, 0
	s_waitcnt lgkmcnt(0)
	v_mul_hi_u32 v10, s13, v8
	s_add_i32 s28, s28, 4
	s_add_u32 s2, s2, 32
	s_addc_u32 s3, s3, 0
	v_add_u32_e32 v10, v8, v10
	v_lshrrev_b32_e32 v10, s14, v10
	v_mul_lo_u32 v11, v10, s12
	v_mul_hi_u32 v14, s16, v10
	s_cmp_lg_u32 s26, s28
	v_sub_u32_e32 v8, v8, v11
	v_add_u32_e32 v11, v10, v14
	v_mul_lo_u32 v14, v8, s4
	v_mul_lo_u32 v16, v8, s5
	v_lshrrev_b32_e32 v8, s17, v11
	v_mul_lo_u32 v11, v8, s15
	v_mul_hi_u32 v17, s19, v8
	v_sub_u32_e32 v10, v10, v11
	v_add_u32_e32 v11, v8, v17
	v_lshrrev_b32_e32 v11, s20, v11
	v_mul_hi_u32 v18, s22, v11
	v_mul_lo_u32 v19, v11, s18
	v_mul_lo_u32 v17, v10, s6
	;; [unrolled: 1-line block ×3, first 2 shown]
	v_sub_u32_e32 v19, v8, v19
	v_add_u32_e32 v8, v11, v18
	v_lshrrev_b32_e32 v8, s23, v8
	v_mul_lo_u32 v18, v8, s21
	v_mul_lo_u32 v20, v19, s8
	;; [unrolled: 1-line block ×3, first 2 shown]
	v_add3_u32 v7, v14, v7, v17
	v_sub_u32_e32 v11, v11, v18
	v_mul_lo_u32 v18, v11, s10
	v_mul_lo_u32 v11, v11, s11
	v_add3_u32 v10, v16, v13, v10
	v_add3_u32 v7, v20, v7, v18
	;; [unrolled: 1-line block ×3, first 2 shown]
	s_cbranch_scc1 .LBB5_298
; %bb.299:
	s_and_b32 s6, s27, 3
	s_cmp_eq_u32 s6, 0
	s_cbranch_scc0 .LBB5_303
	s_branch .LBB5_305
.LBB5_300:
                                        ; implicit-def: $vgpr7
                                        ; implicit-def: $vgpr13
	s_branch .LBB5_306
.LBB5_301:
	v_mov_b32_e32 v7, 0
	v_mov_b32_e32 v13, 0
	s_branch .LBB5_305
.LBB5_302:
	v_mov_b32_e32 v7, 0
	v_mov_b32_e32 v13, 0
	;; [unrolled: 1-line block ×3, first 2 shown]
	s_and_b32 s6, s27, 3
	s_cmp_eq_u32 s6, 0
	s_cbranch_scc1 .LBB5_305
.LBB5_303:
	s_lshl_b32 s2, s26, 3
	s_add_u32 s2, s34, s2
	s_addc_u32 s3, s35, 0
	s_add_u32 s2, s2, 0xc4
	s_addc_u32 s3, s3, 0
	s_mul_i32 s4, s26, 12
	s_add_u32 s4, s34, s4
	s_addc_u32 s5, s35, 0
.LBB5_304:                              ; =>This Inner Loop Header: Depth=1
	s_load_dwordx2 s[8:9], s[4:5], 0x4
	s_load_dword s7, s[4:5], 0xc
	s_load_dwordx2 s[10:11], s[2:3], 0x0
	s_add_u32 s4, s4, 12
	s_addc_u32 s5, s5, 0
	s_waitcnt lgkmcnt(0)
	v_mul_hi_u32 v10, s9, v8
	s_add_u32 s2, s2, 8
	s_addc_u32 s3, s3, 0
	s_add_i32 s6, s6, -1
	v_add_u32_e32 v10, v8, v10
	v_lshrrev_b32_e32 v10, s7, v10
	v_mul_lo_u32 v11, v10, s8
	s_cmp_lg_u32 s6, 0
	v_sub_u32_e32 v11, v8, v11
	v_mad_u64_u32 v[7:8], s[8:9], v11, s10, v[7:8]
	v_mad_u64_u32 v[13:14], s[8:9], v11, s11, v[13:14]
	v_mov_b32_e32 v8, v10
	s_cbranch_scc1 .LBB5_304
.LBB5_305:
	s_cbranch_execnz .LBB5_308
.LBB5_306:
	s_load_dwordx4 s[4:7], s[34:35], 0x4
	s_load_dwordx2 s[2:3], s[34:35], 0xc4
	s_cmp_lt_u32 s33, 2
	s_waitcnt lgkmcnt(0)
	v_mul_hi_u32 v7, s5, v4
	v_add_u32_e32 v7, v4, v7
	v_lshrrev_b32_e32 v8, s6, v7
	v_mul_lo_u32 v7, v8, s4
	v_sub_u32_e32 v4, v4, v7
	v_mul_lo_u32 v7, v4, s2
	v_mul_lo_u32 v13, v4, s3
	s_cbranch_scc1 .LBB5_308
; %bb.307:
	s_load_dwordx4 s[4:7], s[34:35], 0x10
	s_load_dwordx2 s[2:3], s[34:35], 0xcc
	s_waitcnt lgkmcnt(0)
	v_mul_hi_u32 v4, s5, v8
	v_add_u32_e32 v4, v8, v4
	v_lshrrev_b32_e32 v4, s6, v4
	v_mul_lo_u32 v4, v4, s4
	v_sub_u32_e32 v4, v8, v4
	v_mad_u64_u32 v[7:8], s[4:5], v4, s2, v[7:8]
	v_mad_u64_u32 v[13:14], s[2:3], v4, s3, v[13:14]
.LBB5_308:
	s_and_b64 vcc, exec, s[0:1]
	v_add_u32_e32 v4, 0x280, v15
	s_cbranch_vccnz .LBB5_314
; %bb.309:
	s_cmp_lg_u32 s33, 0
	s_waitcnt lgkmcnt(0)
	s_mov_b32 s26, 0
	s_cbranch_scc0 .LBB5_315
; %bb.310:
	s_min_u32 s27, s56, 15
	s_add_i32 s27, s27, 1
	s_cmp_eq_u32 s56, 2
	s_cbranch_scc1 .LBB5_316
; %bb.311:
	s_and_b32 s26, s27, 28
	s_add_u32 s2, s34, 0xc4
	s_addc_u32 s3, s35, 0
	v_mov_b32_e32 v16, 0
	s_mov_b32 s28, 0
	s_mov_b64 s[24:25], s[34:35]
	v_mov_b32_e32 v10, 0
	v_mov_b32_e32 v8, v4
.LBB5_312:                              ; =>This Inner Loop Header: Depth=1
	s_load_dwordx8 s[12:19], s[24:25], 0x4
	s_load_dwordx4 s[20:23], s[24:25], 0x24
	s_load_dwordx8 s[4:11], s[2:3], 0x0
	s_add_u32 s24, s24, 48
	s_addc_u32 s25, s25, 0
	s_waitcnt lgkmcnt(0)
	v_mul_hi_u32 v11, s13, v8
	s_add_i32 s28, s28, 4
	s_add_u32 s2, s2, 32
	s_addc_u32 s3, s3, 0
	v_add_u32_e32 v11, v8, v11
	v_lshrrev_b32_e32 v11, s14, v11
	v_mul_lo_u32 v14, v11, s12
	v_mul_hi_u32 v17, s16, v11
	s_cmp_lg_u32 s26, s28
	v_sub_u32_e32 v8, v8, v14
	v_add_u32_e32 v14, v11, v17
	v_mul_lo_u32 v17, v8, s4
	v_mul_lo_u32 v18, v8, s5
	v_lshrrev_b32_e32 v8, s17, v14
	v_mul_lo_u32 v14, v8, s15
	v_mul_hi_u32 v19, s19, v8
	v_sub_u32_e32 v11, v11, v14
	v_add_u32_e32 v14, v8, v19
	v_lshrrev_b32_e32 v14, s20, v14
	v_mul_hi_u32 v20, s22, v14
	v_mul_lo_u32 v21, v14, s18
	v_mul_lo_u32 v19, v11, s6
	;; [unrolled: 1-line block ×3, first 2 shown]
	v_sub_u32_e32 v21, v8, v21
	v_add_u32_e32 v8, v14, v20
	v_lshrrev_b32_e32 v8, s23, v8
	v_mul_lo_u32 v20, v8, s21
	v_mul_lo_u32 v23, v21, s8
	;; [unrolled: 1-line block ×3, first 2 shown]
	v_add3_u32 v10, v17, v10, v19
	v_sub_u32_e32 v14, v14, v20
	v_mul_lo_u32 v20, v14, s10
	v_mul_lo_u32 v14, v14, s11
	v_add3_u32 v11, v18, v16, v11
	v_add3_u32 v10, v23, v10, v20
	;; [unrolled: 1-line block ×3, first 2 shown]
	s_cbranch_scc1 .LBB5_312
; %bb.313:
	s_and_b32 s6, s27, 3
	s_cmp_eq_u32 s6, 0
	s_cbranch_scc0 .LBB5_317
	s_branch .LBB5_319
.LBB5_314:
                                        ; implicit-def: $vgpr10
                                        ; implicit-def: $vgpr16
	s_branch .LBB5_320
.LBB5_315:
	v_mov_b32_e32 v10, 0
	v_mov_b32_e32 v16, 0
	s_branch .LBB5_319
.LBB5_316:
	v_mov_b32_e32 v10, 0
	v_mov_b32_e32 v16, 0
	;; [unrolled: 1-line block ×3, first 2 shown]
	s_and_b32 s6, s27, 3
	s_cmp_eq_u32 s6, 0
	s_cbranch_scc1 .LBB5_319
.LBB5_317:
	s_lshl_b32 s2, s26, 3
	s_add_u32 s2, s34, s2
	s_addc_u32 s3, s35, 0
	s_add_u32 s2, s2, 0xc4
	s_addc_u32 s3, s3, 0
	s_mul_i32 s4, s26, 12
	s_add_u32 s4, s34, s4
	s_addc_u32 s5, s35, 0
.LBB5_318:                              ; =>This Inner Loop Header: Depth=1
	s_load_dwordx2 s[8:9], s[4:5], 0x4
	s_load_dword s7, s[4:5], 0xc
	s_load_dwordx2 s[10:11], s[2:3], 0x0
	s_add_u32 s4, s4, 12
	s_addc_u32 s5, s5, 0
	s_waitcnt lgkmcnt(0)
	v_mul_hi_u32 v11, s9, v8
	s_add_u32 s2, s2, 8
	s_addc_u32 s3, s3, 0
	s_add_i32 s6, s6, -1
	v_add_u32_e32 v11, v8, v11
	v_lshrrev_b32_e32 v14, s7, v11
	v_mul_lo_u32 v11, v14, s8
	s_cmp_lg_u32 s6, 0
	v_sub_u32_e32 v8, v8, v11
	v_mad_u64_u32 v[10:11], s[8:9], v8, s10, v[10:11]
	v_mad_u64_u32 v[16:17], s[8:9], v8, s11, v[16:17]
	v_mov_b32_e32 v8, v14
	s_cbranch_scc1 .LBB5_318
.LBB5_319:
	s_cbranch_execnz .LBB5_322
.LBB5_320:
	s_load_dwordx4 s[4:7], s[34:35], 0x4
	s_load_dwordx2 s[2:3], s[34:35], 0xc4
	s_cmp_lt_u32 s33, 2
	s_waitcnt lgkmcnt(0)
	v_mul_hi_u32 v8, s5, v4
	v_add_u32_e32 v8, v4, v8
	v_lshrrev_b32_e32 v8, s6, v8
	v_mul_lo_u32 v10, v8, s4
	v_sub_u32_e32 v4, v4, v10
	v_mul_lo_u32 v10, v4, s2
	v_mul_lo_u32 v16, v4, s3
	s_cbranch_scc1 .LBB5_322
; %bb.321:
	s_load_dwordx4 s[4:7], s[34:35], 0x10
	s_load_dwordx2 s[2:3], s[34:35], 0xcc
	s_waitcnt lgkmcnt(0)
	v_mul_hi_u32 v4, s5, v8
	v_add_u32_e32 v4, v8, v4
	v_lshrrev_b32_e32 v4, s6, v4
	v_mul_lo_u32 v4, v4, s4
	v_sub_u32_e32 v4, v8, v4
	v_mad_u64_u32 v[10:11], s[4:5], v4, s2, v[10:11]
	v_mad_u64_u32 v[16:17], s[2:3], v4, s3, v[16:17]
.LBB5_322:
	s_and_b64 vcc, exec, s[0:1]
	v_add_u32_e32 v4, 0x300, v15
	s_cbranch_vccnz .LBB5_328
; %bb.323:
	s_cmp_lg_u32 s33, 0
	s_waitcnt lgkmcnt(0)
	s_mov_b32 s26, 0
	s_cbranch_scc0 .LBB5_329
; %bb.324:
	s_min_u32 s27, s56, 15
	s_add_i32 s27, s27, 1
	s_cmp_eq_u32 s56, 2
	s_cbranch_scc1 .LBB5_330
; %bb.325:
	s_and_b32 s26, s27, 28
	s_add_u32 s2, s34, 0xc4
	s_addc_u32 s3, s35, 0
	v_mov_b32_e32 v17, 0
	s_mov_b32 s28, 0
	s_mov_b64 s[24:25], s[34:35]
	v_mov_b32_e32 v14, 0
	v_mov_b32_e32 v8, v4
.LBB5_326:                              ; =>This Inner Loop Header: Depth=1
	s_load_dwordx8 s[12:19], s[24:25], 0x4
	s_load_dwordx4 s[20:23], s[24:25], 0x24
	s_load_dwordx8 s[4:11], s[2:3], 0x0
	s_add_u32 s24, s24, 48
	s_addc_u32 s25, s25, 0
	s_waitcnt lgkmcnt(0)
	v_mul_hi_u32 v11, s13, v8
	s_add_i32 s28, s28, 4
	s_add_u32 s2, s2, 32
	s_addc_u32 s3, s3, 0
	v_add_u32_e32 v11, v8, v11
	v_lshrrev_b32_e32 v11, s14, v11
	v_mul_lo_u32 v15, v11, s12
	v_mul_hi_u32 v18, s16, v11
	s_cmp_lg_u32 s26, s28
	v_sub_u32_e32 v8, v8, v15
	v_add_u32_e32 v15, v11, v18
	v_mul_lo_u32 v18, v8, s4
	v_mul_lo_u32 v19, v8, s5
	v_lshrrev_b32_e32 v8, s17, v15
	v_mul_lo_u32 v15, v8, s15
	v_mul_hi_u32 v20, s19, v8
	v_sub_u32_e32 v11, v11, v15
	v_add_u32_e32 v15, v8, v20
	v_lshrrev_b32_e32 v15, s20, v15
	v_mul_hi_u32 v21, s22, v15
	v_mul_lo_u32 v23, v15, s18
	v_mul_lo_u32 v20, v11, s6
	;; [unrolled: 1-line block ×3, first 2 shown]
	v_sub_u32_e32 v23, v8, v23
	v_add_u32_e32 v8, v15, v21
	v_lshrrev_b32_e32 v8, s23, v8
	v_mul_lo_u32 v21, v8, s21
	v_mul_lo_u32 v24, v23, s8
	;; [unrolled: 1-line block ×3, first 2 shown]
	v_add3_u32 v14, v18, v14, v20
	v_sub_u32_e32 v15, v15, v21
	v_mul_lo_u32 v21, v15, s10
	v_mul_lo_u32 v15, v15, s11
	v_add3_u32 v11, v19, v17, v11
	v_add3_u32 v14, v24, v14, v21
	;; [unrolled: 1-line block ×3, first 2 shown]
	s_cbranch_scc1 .LBB5_326
; %bb.327:
	s_and_b32 s6, s27, 3
	s_cmp_eq_u32 s6, 0
	s_cbranch_scc0 .LBB5_331
	s_branch .LBB5_333
.LBB5_328:
                                        ; implicit-def: $vgpr14
                                        ; implicit-def: $vgpr17
	s_branch .LBB5_334
.LBB5_329:
	v_mov_b32_e32 v14, 0
	v_mov_b32_e32 v17, 0
	s_branch .LBB5_333
.LBB5_330:
	v_mov_b32_e32 v14, 0
	v_mov_b32_e32 v17, 0
	;; [unrolled: 1-line block ×3, first 2 shown]
	s_and_b32 s6, s27, 3
	s_cmp_eq_u32 s6, 0
	s_cbranch_scc1 .LBB5_333
.LBB5_331:
	s_lshl_b32 s2, s26, 3
	s_add_u32 s2, s34, s2
	s_addc_u32 s3, s35, 0
	s_add_u32 s2, s2, 0xc4
	s_addc_u32 s3, s3, 0
	s_mul_i32 s4, s26, 12
	s_add_u32 s4, s34, s4
	s_addc_u32 s5, s35, 0
.LBB5_332:                              ; =>This Inner Loop Header: Depth=1
	s_load_dwordx2 s[8:9], s[4:5], 0x4
	s_load_dword s7, s[4:5], 0xc
	s_load_dwordx2 s[10:11], s[2:3], 0x0
	s_add_u32 s4, s4, 12
	s_addc_u32 s5, s5, 0
	s_waitcnt lgkmcnt(0)
	v_mul_hi_u32 v11, s9, v8
	s_add_u32 s2, s2, 8
	s_addc_u32 s3, s3, 0
	s_add_i32 s6, s6, -1
	v_add_u32_e32 v11, v8, v11
	v_lshrrev_b32_e32 v11, s7, v11
	v_mul_lo_u32 v15, v11, s8
	s_cmp_lg_u32 s6, 0
	v_sub_u32_e32 v8, v8, v15
	v_mad_u64_u32 v[14:15], s[8:9], v8, s10, v[14:15]
	v_mad_u64_u32 v[17:18], s[8:9], v8, s11, v[17:18]
	v_mov_b32_e32 v8, v11
	s_cbranch_scc1 .LBB5_332
.LBB5_333:
	s_cbranch_execnz .LBB5_336
.LBB5_334:
	s_load_dwordx4 s[4:7], s[34:35], 0x4
	s_load_dwordx2 s[2:3], s[34:35], 0xc4
	s_cmp_lt_u32 s33, 2
	s_waitcnt lgkmcnt(0)
	v_mul_hi_u32 v8, s5, v4
	v_add_u32_e32 v8, v4, v8
	v_lshrrev_b32_e32 v8, s6, v8
	v_mul_lo_u32 v11, v8, s4
	v_sub_u32_e32 v4, v4, v11
	v_mul_lo_u32 v14, v4, s2
	v_mul_lo_u32 v17, v4, s3
	s_cbranch_scc1 .LBB5_336
; %bb.335:
	s_load_dwordx4 s[4:7], s[34:35], 0x10
	s_load_dwordx2 s[2:3], s[34:35], 0xcc
	s_waitcnt lgkmcnt(0)
	v_mul_hi_u32 v4, s5, v8
	v_add_u32_e32 v4, v8, v4
	v_lshrrev_b32_e32 v4, s6, v4
	v_mul_lo_u32 v4, v4, s4
	v_sub_u32_e32 v4, v8, v4
	v_mad_u64_u32 v[14:15], s[4:5], v4, s2, v[14:15]
	v_mad_u64_u32 v[17:18], s[2:3], v4, s3, v[17:18]
.LBB5_336:
	s_and_b64 vcc, exec, s[0:1]
	s_cbranch_vccnz .LBB5_342
; %bb.337:
	s_cmp_lg_u32 s33, 0
	s_waitcnt lgkmcnt(0)
	s_mov_b32 s24, 0
	s_cbranch_scc0 .LBB5_343
; %bb.338:
	s_min_u32 s25, s56, 15
	s_add_i32 s25, s25, 1
	s_cmp_eq_u32 s56, 2
	s_cbranch_scc1 .LBB5_344
; %bb.339:
	s_and_b32 s24, s25, 28
	s_add_u32 s20, s34, 0xc4
	s_addc_u32 s21, s35, 0
	v_mov_b32_e32 v20, 0
	s_mov_b32 s26, 0
	s_mov_b64 s[22:23], s[34:35]
	v_mov_b32_e32 v18, 0
	v_mov_b32_e32 v4, v22
.LBB5_340:                              ; =>This Inner Loop Header: Depth=1
	s_load_dwordx8 s[8:15], s[22:23], 0x4
	s_load_dwordx4 s[16:19], s[22:23], 0x24
	s_load_dwordx8 s[0:7], s[20:21], 0x0
	s_add_u32 s22, s22, 48
	s_addc_u32 s23, s23, 0
	s_waitcnt lgkmcnt(0)
	v_mul_hi_u32 v8, s9, v4
	s_add_i32 s26, s26, 4
	s_add_u32 s20, s20, 32
	s_addc_u32 s21, s21, 0
	v_add_u32_e32 v8, v4, v8
	v_lshrrev_b32_e32 v8, s10, v8
	v_mul_lo_u32 v11, v8, s8
	v_mul_hi_u32 v15, s12, v8
	s_cmp_lg_u32 s24, s26
	v_sub_u32_e32 v4, v4, v11
	v_add_u32_e32 v11, v8, v15
	v_mul_lo_u32 v15, v4, s0
	v_mul_lo_u32 v19, v4, s1
	v_lshrrev_b32_e32 v4, s13, v11
	v_mul_lo_u32 v11, v4, s11
	v_mul_hi_u32 v21, s15, v4
	v_sub_u32_e32 v8, v8, v11
	v_add_u32_e32 v11, v4, v21
	v_lshrrev_b32_e32 v11, s16, v11
	v_mul_hi_u32 v23, s18, v11
	v_mul_lo_u32 v24, v11, s14
	v_mul_lo_u32 v21, v8, s2
	;; [unrolled: 1-line block ×3, first 2 shown]
	v_sub_u32_e32 v24, v4, v24
	v_add_u32_e32 v4, v11, v23
	v_lshrrev_b32_e32 v4, s19, v4
	v_mul_lo_u32 v23, v4, s17
	v_mul_lo_u32 v25, v24, s4
	;; [unrolled: 1-line block ×3, first 2 shown]
	v_add3_u32 v15, v15, v18, v21
	v_sub_u32_e32 v11, v11, v23
	v_mul_lo_u32 v23, v11, s6
	v_mul_lo_u32 v11, v11, s7
	v_add3_u32 v8, v19, v20, v8
	v_add3_u32 v18, v25, v15, v23
	;; [unrolled: 1-line block ×3, first 2 shown]
	s_cbranch_scc1 .LBB5_340
; %bb.341:
	s_and_b32 s4, s25, 3
	s_cmp_eq_u32 s4, 0
	s_cbranch_scc0 .LBB5_345
	s_branch .LBB5_347
.LBB5_342:
                                        ; implicit-def: $vgpr18
                                        ; implicit-def: $vgpr20
	s_branch .LBB5_348
.LBB5_343:
	v_mov_b32_e32 v18, 0
	v_mov_b32_e32 v20, 0
	s_branch .LBB5_347
.LBB5_344:
	v_mov_b32_e32 v18, 0
	v_mov_b32_e32 v20, 0
	;; [unrolled: 1-line block ×3, first 2 shown]
	s_and_b32 s4, s25, 3
	s_cmp_eq_u32 s4, 0
	s_cbranch_scc1 .LBB5_347
.LBB5_345:
	s_lshl_b32 s0, s24, 3
	s_add_u32 s0, s34, s0
	s_addc_u32 s1, s35, 0
	s_add_u32 s0, s0, 0xc4
	s_addc_u32 s1, s1, 0
	s_mul_i32 s2, s24, 12
	s_add_u32 s2, s34, s2
	s_addc_u32 s3, s35, 0
.LBB5_346:                              ; =>This Inner Loop Header: Depth=1
	s_load_dwordx2 s[6:7], s[2:3], 0x4
	s_load_dword s5, s[2:3], 0xc
	s_load_dwordx2 s[8:9], s[0:1], 0x0
	s_add_u32 s2, s2, 12
	s_addc_u32 s3, s3, 0
	s_waitcnt lgkmcnt(0)
	v_mul_hi_u32 v8, s7, v4
	s_add_u32 s0, s0, 8
	s_addc_u32 s1, s1, 0
	s_add_i32 s4, s4, -1
	v_add_u32_e32 v8, v4, v8
	v_lshrrev_b32_e32 v8, s5, v8
	v_mul_lo_u32 v11, v8, s6
	s_cmp_lg_u32 s4, 0
	v_sub_u32_e32 v4, v4, v11
	v_mad_u64_u32 v[18:19], s[6:7], v4, s8, v[18:19]
	v_mad_u64_u32 v[20:21], s[6:7], v4, s9, v[20:21]
	v_mov_b32_e32 v4, v8
	s_cbranch_scc1 .LBB5_346
.LBB5_347:
	s_cbranch_execnz .LBB5_350
.LBB5_348:
	s_load_dwordx4 s[0:3], s[34:35], 0x4
	s_load_dwordx2 s[4:5], s[34:35], 0xc4
	s_cmp_lt_u32 s33, 2
	s_waitcnt lgkmcnt(0)
	v_mul_hi_u32 v4, s1, v22
	v_add_u32_e32 v4, v22, v4
	v_lshrrev_b32_e32 v4, s2, v4
	v_mul_lo_u32 v8, v4, s0
	v_sub_u32_e32 v8, v22, v8
	v_mul_lo_u32 v18, v8, s4
	v_mul_lo_u32 v20, v8, s5
	s_cbranch_scc1 .LBB5_350
; %bb.349:
	s_load_dwordx4 s[0:3], s[34:35], 0x10
	s_load_dwordx2 s[4:5], s[34:35], 0xcc
	s_waitcnt lgkmcnt(0)
	v_mul_hi_u32 v8, s1, v4
	v_add_u32_e32 v8, v4, v8
	v_lshrrev_b32_e32 v8, s2, v8
	v_mul_lo_u32 v8, v8, s0
	v_sub_u32_e32 v4, v4, v8
	v_mad_u64_u32 v[18:19], s[0:1], v4, s4, v[18:19]
	v_mad_u64_u32 v[20:21], s[0:1], v4, s5, v[20:21]
.LBB5_350:
	s_load_dwordx4 s[0:3], s[34:35], 0x148
	s_load_dwordx2 s[4:5], s[34:35], 0x158
	s_mov_b64 s[8:9], 0
	s_waitcnt lgkmcnt(0)
	global_load_ubyte v4, v5, s[2:3]
	s_cmp_lt_i32 s4, 1
	s_cbranch_scc1 .LBB5_354
; %bb.351:
	s_cmp_gt_i32 s4, 1
	s_cbranch_scc0 .LBB5_355
; %bb.352:
	s_cmp_eq_u32 s4, 2
	s_cbranch_scc0 .LBB5_356
; %bb.353:
	s_and_b32 s6, s5, 0xff
	s_waitcnt vmcnt(0)
	v_cmp_le_u16_sdwa s[6:7], v4, s6 src0_sel:BYTE_0 src1_sel:DWORD
	s_mov_b64 s[10:11], 0
	s_branch .LBB5_357
.LBB5_354:
                                        ; implicit-def: $sgpr6_sgpr7
	s_mov_b64 s[10:11], 0
	s_cbranch_execnz .LBB5_360
	s_branch .LBB5_361
.LBB5_355:
	s_mov_b64 s[10:11], 0
                                        ; implicit-def: $sgpr6_sgpr7
	s_cbranch_execnz .LBB5_358
	s_branch .LBB5_359
.LBB5_356:
	s_mov_b64 s[10:11], -1
                                        ; implicit-def: $sgpr6_sgpr7
.LBB5_357:
	s_branch .LBB5_359
.LBB5_358:
	s_and_b32 s12, s5, 0xff
	s_waitcnt vmcnt(0)
	v_cmp_gt_u16_sdwa s[12:13], v4, s12 src0_sel:BYTE_0 src1_sel:DWORD
	s_andn2_b64 s[6:7], s[6:7], exec
	s_and_b64 s[12:13], s[12:13], exec
	s_or_b64 s[6:7], s[6:7], s[12:13]
.LBB5_359:
	s_branch .LBB5_361
.LBB5_360:
	s_cmp_lg_u32 s4, 0
	s_mov_b64 s[8:9], -1
	s_cselect_b64 s[10:11], -1, 0
.LBB5_361:
	s_andn2_b64 vcc, exec, s[10:11]
	s_cbranch_vccz .LBB5_367
; %bb.362:
	s_andn2_b64 vcc, exec, s[8:9]
	s_cbranch_vccz .LBB5_368
.LBB5_363:
	global_load_ubyte v4, v6, s[2:3]
	s_cmp_lt_i32 s4, 1
	s_mov_b64 s[10:11], 0
	s_cbranch_scc1 .LBB5_369
.LBB5_364:
	s_cmp_gt_i32 s4, 1
	s_cbranch_scc0 .LBB5_370
; %bb.365:
	s_cmp_eq_u32 s4, 2
	s_cbranch_scc0 .LBB5_371
; %bb.366:
	s_and_b32 s8, s5, 0xff
	s_waitcnt vmcnt(0)
	v_cmp_le_u16_sdwa s[8:9], v4, s8 src0_sel:BYTE_0 src1_sel:DWORD
	s_mov_b64 s[12:13], 0
	s_branch .LBB5_372
.LBB5_367:
	s_and_b32 s8, s5, 0xff
	s_waitcnt vmcnt(0)
	v_cmp_lt_u16_sdwa s[10:11], v4, s8 src0_sel:BYTE_0 src1_sel:DWORD
	s_andn2_b64 s[6:7], s[6:7], exec
	s_and_b64 s[10:11], s[10:11], exec
	s_or_b64 s[6:7], s[6:7], s[10:11]
	s_cbranch_execnz .LBB5_363
.LBB5_368:
	s_and_b32 s8, s5, 0xff
	s_waitcnt vmcnt(0)
	v_cmp_ge_u16_sdwa s[8:9], v4, s8 src0_sel:BYTE_0 src1_sel:DWORD
	s_andn2_b64 s[6:7], s[6:7], exec
	s_and_b64 s[8:9], s[8:9], exec
	s_or_b64 s[6:7], s[6:7], s[8:9]
	global_load_ubyte v4, v6, s[2:3]
	s_cmp_lt_i32 s4, 1
	s_mov_b64 s[10:11], 0
	s_cbranch_scc0 .LBB5_364
.LBB5_369:
                                        ; implicit-def: $sgpr8_sgpr9
	s_mov_b64 s[12:13], 0
	s_cbranch_execnz .LBB5_375
	s_branch .LBB5_376
.LBB5_370:
	s_mov_b64 s[12:13], 0
                                        ; implicit-def: $sgpr8_sgpr9
	s_cbranch_execnz .LBB5_373
	s_branch .LBB5_374
.LBB5_371:
	s_mov_b64 s[12:13], -1
                                        ; implicit-def: $sgpr8_sgpr9
.LBB5_372:
	s_branch .LBB5_374
.LBB5_373:
	s_and_b32 s14, s5, 0xff
	s_waitcnt vmcnt(0)
	v_cmp_gt_u16_sdwa s[14:15], v4, s14 src0_sel:BYTE_0 src1_sel:DWORD
	s_andn2_b64 s[8:9], s[8:9], exec
	s_and_b64 s[14:15], s[14:15], exec
	s_or_b64 s[8:9], s[8:9], s[14:15]
.LBB5_374:
	s_branch .LBB5_376
.LBB5_375:
	s_cmp_lg_u32 s4, 0
	s_mov_b64 s[10:11], -1
	s_cselect_b64 s[12:13], -1, 0
.LBB5_376:
	s_andn2_b64 vcc, exec, s[12:13]
	s_cbranch_vccz .LBB5_382
; %bb.377:
	s_andn2_b64 vcc, exec, s[10:11]
	s_cbranch_vccz .LBB5_383
.LBB5_378:
	global_load_ubyte v4, v9, s[2:3]
	s_cmp_lt_i32 s4, 1
	s_mov_b64 s[12:13], 0
	s_cbranch_scc1 .LBB5_384
.LBB5_379:
	s_cmp_gt_i32 s4, 1
	s_cbranch_scc0 .LBB5_385
; %bb.380:
	s_cmp_eq_u32 s4, 2
	s_cbranch_scc0 .LBB5_386
; %bb.381:
	s_and_b32 s10, s5, 0xff
	s_waitcnt vmcnt(0)
	v_cmp_le_u16_sdwa s[10:11], v4, s10 src0_sel:BYTE_0 src1_sel:DWORD
	s_mov_b64 s[14:15], 0
	s_branch .LBB5_387
.LBB5_382:
	s_and_b32 s10, s5, 0xff
	s_waitcnt vmcnt(0)
	v_cmp_lt_u16_sdwa s[12:13], v4, s10 src0_sel:BYTE_0 src1_sel:DWORD
	s_andn2_b64 s[8:9], s[8:9], exec
	s_and_b64 s[12:13], s[12:13], exec
	s_or_b64 s[8:9], s[8:9], s[12:13]
	s_cbranch_execnz .LBB5_378
.LBB5_383:
	s_and_b32 s10, s5, 0xff
	s_waitcnt vmcnt(0)
	v_cmp_ge_u16_sdwa s[10:11], v4, s10 src0_sel:BYTE_0 src1_sel:DWORD
	s_andn2_b64 s[8:9], s[8:9], exec
	s_and_b64 s[10:11], s[10:11], exec
	s_or_b64 s[8:9], s[8:9], s[10:11]
	global_load_ubyte v4, v9, s[2:3]
	s_cmp_lt_i32 s4, 1
	s_mov_b64 s[12:13], 0
	s_cbranch_scc0 .LBB5_379
.LBB5_384:
                                        ; implicit-def: $sgpr10_sgpr11
	s_mov_b64 s[14:15], 0
	s_cbranch_execnz .LBB5_390
	s_branch .LBB5_391
.LBB5_385:
	s_mov_b64 s[14:15], 0
                                        ; implicit-def: $sgpr10_sgpr11
	s_cbranch_execnz .LBB5_388
	s_branch .LBB5_389
.LBB5_386:
	s_mov_b64 s[14:15], -1
                                        ; implicit-def: $sgpr10_sgpr11
.LBB5_387:
	s_branch .LBB5_389
.LBB5_388:
	s_and_b32 s16, s5, 0xff
	s_waitcnt vmcnt(0)
	v_cmp_gt_u16_sdwa s[16:17], v4, s16 src0_sel:BYTE_0 src1_sel:DWORD
	s_andn2_b64 s[10:11], s[10:11], exec
	s_and_b64 s[16:17], s[16:17], exec
	s_or_b64 s[10:11], s[10:11], s[16:17]
.LBB5_389:
	s_branch .LBB5_391
.LBB5_390:
	s_cmp_lg_u32 s4, 0
	s_mov_b64 s[12:13], -1
	s_cselect_b64 s[14:15], -1, 0
.LBB5_391:
	s_andn2_b64 vcc, exec, s[14:15]
	s_cbranch_vccz .LBB5_397
; %bb.392:
	s_andn2_b64 vcc, exec, s[12:13]
	s_cbranch_vccz .LBB5_398
.LBB5_393:
	global_load_ubyte v4, v12, s[2:3]
	s_cmp_lt_i32 s4, 1
	s_mov_b64 s[14:15], 0
	s_cbranch_scc1 .LBB5_399
.LBB5_394:
	s_cmp_gt_i32 s4, 1
	s_cbranch_scc0 .LBB5_400
; %bb.395:
	s_cmp_eq_u32 s4, 2
	s_cbranch_scc0 .LBB5_401
; %bb.396:
	s_and_b32 s12, s5, 0xff
	s_waitcnt vmcnt(0)
	v_cmp_le_u16_sdwa s[12:13], v4, s12 src0_sel:BYTE_0 src1_sel:DWORD
	s_mov_b64 s[16:17], 0
	s_branch .LBB5_402
.LBB5_397:
	s_and_b32 s12, s5, 0xff
	s_waitcnt vmcnt(0)
	v_cmp_lt_u16_sdwa s[14:15], v4, s12 src0_sel:BYTE_0 src1_sel:DWORD
	s_andn2_b64 s[10:11], s[10:11], exec
	s_and_b64 s[14:15], s[14:15], exec
	s_or_b64 s[10:11], s[10:11], s[14:15]
	s_cbranch_execnz .LBB5_393
.LBB5_398:
	s_and_b32 s12, s5, 0xff
	s_waitcnt vmcnt(0)
	v_cmp_ge_u16_sdwa s[12:13], v4, s12 src0_sel:BYTE_0 src1_sel:DWORD
	s_andn2_b64 s[10:11], s[10:11], exec
	s_and_b64 s[12:13], s[12:13], exec
	s_or_b64 s[10:11], s[10:11], s[12:13]
	global_load_ubyte v4, v12, s[2:3]
	s_cmp_lt_i32 s4, 1
	s_mov_b64 s[14:15], 0
	s_cbranch_scc0 .LBB5_394
.LBB5_399:
                                        ; implicit-def: $sgpr12_sgpr13
	s_mov_b64 s[16:17], 0
	s_cbranch_execnz .LBB5_405
	s_branch .LBB5_406
.LBB5_400:
	s_mov_b64 s[16:17], 0
                                        ; implicit-def: $sgpr12_sgpr13
	s_cbranch_execnz .LBB5_403
	s_branch .LBB5_404
.LBB5_401:
	s_mov_b64 s[16:17], -1
                                        ; implicit-def: $sgpr12_sgpr13
.LBB5_402:
	s_branch .LBB5_404
.LBB5_403:
	s_and_b32 s18, s5, 0xff
	s_waitcnt vmcnt(0)
	v_cmp_gt_u16_sdwa s[18:19], v4, s18 src0_sel:BYTE_0 src1_sel:DWORD
	s_andn2_b64 s[12:13], s[12:13], exec
	s_and_b64 s[18:19], s[18:19], exec
	s_or_b64 s[12:13], s[12:13], s[18:19]
.LBB5_404:
	s_branch .LBB5_406
.LBB5_405:
	s_cmp_lg_u32 s4, 0
	s_mov_b64 s[14:15], -1
	s_cselect_b64 s[16:17], -1, 0
.LBB5_406:
	s_andn2_b64 vcc, exec, s[16:17]
	s_cbranch_vccz .LBB5_412
; %bb.407:
	s_andn2_b64 vcc, exec, s[14:15]
	s_cbranch_vccz .LBB5_413
.LBB5_408:
	global_load_ubyte v4, v13, s[2:3]
	s_cmp_lt_i32 s4, 1
	s_mov_b64 s[16:17], 0
	s_cbranch_scc1 .LBB5_414
.LBB5_409:
	s_cmp_gt_i32 s4, 1
	s_cbranch_scc0 .LBB5_415
; %bb.410:
	s_cmp_eq_u32 s4, 2
	s_cbranch_scc0 .LBB5_416
; %bb.411:
	s_and_b32 s14, s5, 0xff
	s_waitcnt vmcnt(0)
	v_cmp_le_u16_sdwa s[14:15], v4, s14 src0_sel:BYTE_0 src1_sel:DWORD
	s_mov_b64 s[18:19], 0
	s_branch .LBB5_417
.LBB5_412:
	s_and_b32 s14, s5, 0xff
	s_waitcnt vmcnt(0)
	v_cmp_lt_u16_sdwa s[16:17], v4, s14 src0_sel:BYTE_0 src1_sel:DWORD
	s_andn2_b64 s[12:13], s[12:13], exec
	s_and_b64 s[16:17], s[16:17], exec
	s_or_b64 s[12:13], s[12:13], s[16:17]
	s_cbranch_execnz .LBB5_408
.LBB5_413:
	s_and_b32 s14, s5, 0xff
	s_waitcnt vmcnt(0)
	v_cmp_ge_u16_sdwa s[14:15], v4, s14 src0_sel:BYTE_0 src1_sel:DWORD
	s_andn2_b64 s[12:13], s[12:13], exec
	s_and_b64 s[14:15], s[14:15], exec
	s_or_b64 s[12:13], s[12:13], s[14:15]
	global_load_ubyte v4, v13, s[2:3]
	s_cmp_lt_i32 s4, 1
	s_mov_b64 s[16:17], 0
	s_cbranch_scc0 .LBB5_409
.LBB5_414:
                                        ; implicit-def: $sgpr14_sgpr15
	s_mov_b64 s[18:19], 0
	s_cbranch_execnz .LBB5_420
	s_branch .LBB5_421
.LBB5_415:
	s_mov_b64 s[18:19], 0
                                        ; implicit-def: $sgpr14_sgpr15
	s_cbranch_execnz .LBB5_418
	s_branch .LBB5_419
.LBB5_416:
	s_mov_b64 s[18:19], -1
                                        ; implicit-def: $sgpr14_sgpr15
.LBB5_417:
	s_branch .LBB5_419
.LBB5_418:
	s_and_b32 s20, s5, 0xff
	s_waitcnt vmcnt(0)
	v_cmp_gt_u16_sdwa s[20:21], v4, s20 src0_sel:BYTE_0 src1_sel:DWORD
	s_andn2_b64 s[14:15], s[14:15], exec
	s_and_b64 s[20:21], s[20:21], exec
	s_or_b64 s[14:15], s[14:15], s[20:21]
.LBB5_419:
	s_branch .LBB5_421
.LBB5_420:
	s_cmp_lg_u32 s4, 0
	s_mov_b64 s[16:17], -1
	s_cselect_b64 s[18:19], -1, 0
.LBB5_421:
	s_andn2_b64 vcc, exec, s[18:19]
	s_cbranch_vccz .LBB5_427
; %bb.422:
	s_andn2_b64 vcc, exec, s[16:17]
	s_cbranch_vccz .LBB5_428
.LBB5_423:
	global_load_ubyte v4, v16, s[2:3]
	s_cmp_lt_i32 s4, 1
	s_mov_b64 s[18:19], 0
	s_cbranch_scc1 .LBB5_429
.LBB5_424:
	s_cmp_gt_i32 s4, 1
	s_cbranch_scc0 .LBB5_430
; %bb.425:
	s_cmp_eq_u32 s4, 2
	s_cbranch_scc0 .LBB5_431
; %bb.426:
	s_and_b32 s16, s5, 0xff
	s_waitcnt vmcnt(0)
	v_cmp_le_u16_sdwa s[16:17], v4, s16 src0_sel:BYTE_0 src1_sel:DWORD
	s_mov_b64 s[20:21], 0
	s_branch .LBB5_432
.LBB5_427:
	s_and_b32 s16, s5, 0xff
	s_waitcnt vmcnt(0)
	v_cmp_lt_u16_sdwa s[18:19], v4, s16 src0_sel:BYTE_0 src1_sel:DWORD
	s_andn2_b64 s[14:15], s[14:15], exec
	s_and_b64 s[18:19], s[18:19], exec
	s_or_b64 s[14:15], s[14:15], s[18:19]
	s_cbranch_execnz .LBB5_423
.LBB5_428:
	s_and_b32 s16, s5, 0xff
	s_waitcnt vmcnt(0)
	v_cmp_ge_u16_sdwa s[16:17], v4, s16 src0_sel:BYTE_0 src1_sel:DWORD
	s_andn2_b64 s[14:15], s[14:15], exec
	s_and_b64 s[16:17], s[16:17], exec
	s_or_b64 s[14:15], s[14:15], s[16:17]
	global_load_ubyte v4, v16, s[2:3]
	s_cmp_lt_i32 s4, 1
	s_mov_b64 s[18:19], 0
	s_cbranch_scc0 .LBB5_424
.LBB5_429:
                                        ; implicit-def: $sgpr16_sgpr17
	s_mov_b64 s[20:21], 0
	s_cbranch_execnz .LBB5_435
	s_branch .LBB5_436
.LBB5_430:
	s_mov_b64 s[20:21], 0
                                        ; implicit-def: $sgpr16_sgpr17
	s_cbranch_execnz .LBB5_433
	s_branch .LBB5_434
.LBB5_431:
	s_mov_b64 s[20:21], -1
                                        ; implicit-def: $sgpr16_sgpr17
.LBB5_432:
	s_branch .LBB5_434
.LBB5_433:
	s_and_b32 s22, s5, 0xff
	s_waitcnt vmcnt(0)
	v_cmp_gt_u16_sdwa s[22:23], v4, s22 src0_sel:BYTE_0 src1_sel:DWORD
	s_andn2_b64 s[16:17], s[16:17], exec
	s_and_b64 s[22:23], s[22:23], exec
	s_or_b64 s[16:17], s[16:17], s[22:23]
.LBB5_434:
	s_branch .LBB5_436
.LBB5_435:
	s_cmp_lg_u32 s4, 0
	s_mov_b64 s[18:19], -1
	s_cselect_b64 s[20:21], -1, 0
.LBB5_436:
	s_andn2_b64 vcc, exec, s[20:21]
	s_cbranch_vccz .LBB5_442
; %bb.437:
	s_andn2_b64 vcc, exec, s[18:19]
	s_cbranch_vccz .LBB5_443
.LBB5_438:
	global_load_ubyte v4, v17, s[2:3]
	s_cmp_lt_i32 s4, 1
	s_mov_b64 s[20:21], 0
	s_cbranch_scc1 .LBB5_444
.LBB5_439:
	s_cmp_gt_i32 s4, 1
	s_cbranch_scc0 .LBB5_445
; %bb.440:
	s_cmp_eq_u32 s4, 2
	s_cbranch_scc0 .LBB5_446
; %bb.441:
	s_and_b32 s18, s5, 0xff
	s_waitcnt vmcnt(0)
	v_cmp_le_u16_sdwa s[18:19], v4, s18 src0_sel:BYTE_0 src1_sel:DWORD
	s_mov_b64 s[22:23], 0
	s_branch .LBB5_447
.LBB5_442:
	s_and_b32 s18, s5, 0xff
	s_waitcnt vmcnt(0)
	v_cmp_lt_u16_sdwa s[20:21], v4, s18 src0_sel:BYTE_0 src1_sel:DWORD
	s_andn2_b64 s[16:17], s[16:17], exec
	s_and_b64 s[20:21], s[20:21], exec
	s_or_b64 s[16:17], s[16:17], s[20:21]
	s_cbranch_execnz .LBB5_438
.LBB5_443:
	s_and_b32 s18, s5, 0xff
	s_waitcnt vmcnt(0)
	v_cmp_ge_u16_sdwa s[18:19], v4, s18 src0_sel:BYTE_0 src1_sel:DWORD
	s_andn2_b64 s[16:17], s[16:17], exec
	s_and_b64 s[18:19], s[18:19], exec
	s_or_b64 s[16:17], s[16:17], s[18:19]
	global_load_ubyte v4, v17, s[2:3]
	s_cmp_lt_i32 s4, 1
	s_mov_b64 s[20:21], 0
	s_cbranch_scc0 .LBB5_439
.LBB5_444:
                                        ; implicit-def: $sgpr18_sgpr19
	s_mov_b64 s[22:23], 0
	s_cbranch_execnz .LBB5_450
	s_branch .LBB5_451
.LBB5_445:
	s_mov_b64 s[22:23], 0
                                        ; implicit-def: $sgpr18_sgpr19
	s_cbranch_execnz .LBB5_448
	s_branch .LBB5_449
.LBB5_446:
	s_mov_b64 s[22:23], -1
                                        ; implicit-def: $sgpr18_sgpr19
.LBB5_447:
	s_branch .LBB5_449
.LBB5_448:
	s_and_b32 s24, s5, 0xff
	s_waitcnt vmcnt(0)
	v_cmp_gt_u16_sdwa s[24:25], v4, s24 src0_sel:BYTE_0 src1_sel:DWORD
	s_andn2_b64 s[18:19], s[18:19], exec
	s_and_b64 s[24:25], s[24:25], exec
	s_or_b64 s[18:19], s[18:19], s[24:25]
.LBB5_449:
	s_branch .LBB5_451
.LBB5_450:
	s_cmp_lg_u32 s4, 0
	s_mov_b64 s[20:21], -1
	s_cselect_b64 s[22:23], -1, 0
.LBB5_451:
	s_andn2_b64 vcc, exec, s[22:23]
	s_cbranch_vccz .LBB5_457
; %bb.452:
	s_andn2_b64 vcc, exec, s[20:21]
	s_cbranch_vccz .LBB5_458
.LBB5_453:
	global_load_ubyte v4, v20, s[2:3]
	s_cmp_lt_i32 s4, 1
	s_mov_b64 s[20:21], 0
	s_cbranch_scc1 .LBB5_459
.LBB5_454:
	s_cmp_gt_i32 s4, 1
	s_cbranch_scc0 .LBB5_460
; %bb.455:
	s_cmp_eq_u32 s4, 2
	s_cbranch_scc0 .LBB5_461
; %bb.456:
	s_and_b32 s2, s5, 0xff
	s_waitcnt vmcnt(0)
	v_cmp_le_u16_sdwa s[2:3], v4, s2 src0_sel:BYTE_0 src1_sel:DWORD
	s_mov_b64 s[22:23], 0
	s_branch .LBB5_462
.LBB5_457:
	s_and_b32 s20, s5, 0xff
	s_waitcnt vmcnt(0)
	v_cmp_lt_u16_sdwa s[22:23], v4, s20 src0_sel:BYTE_0 src1_sel:DWORD
	s_andn2_b64 s[18:19], s[18:19], exec
	s_and_b64 s[22:23], s[22:23], exec
	s_or_b64 s[18:19], s[18:19], s[22:23]
	s_cbranch_execnz .LBB5_453
.LBB5_458:
	s_and_b32 s20, s5, 0xff
	s_waitcnt vmcnt(0)
	v_cmp_ge_u16_sdwa s[20:21], v4, s20 src0_sel:BYTE_0 src1_sel:DWORD
	s_andn2_b64 s[18:19], s[18:19], exec
	s_and_b64 s[20:21], s[20:21], exec
	s_or_b64 s[18:19], s[18:19], s[20:21]
	global_load_ubyte v4, v20, s[2:3]
	s_cmp_lt_i32 s4, 1
	s_mov_b64 s[20:21], 0
	s_cbranch_scc0 .LBB5_454
.LBB5_459:
                                        ; implicit-def: $sgpr2_sgpr3
	s_mov_b64 s[22:23], 0
	s_cbranch_execnz .LBB5_465
	s_branch .LBB5_466
.LBB5_460:
	s_mov_b64 s[22:23], 0
                                        ; implicit-def: $sgpr2_sgpr3
	s_cbranch_execnz .LBB5_463
	s_branch .LBB5_464
.LBB5_461:
	s_mov_b64 s[22:23], -1
                                        ; implicit-def: $sgpr2_sgpr3
.LBB5_462:
	s_branch .LBB5_464
.LBB5_463:
	s_and_b32 s24, s5, 0xff
	s_waitcnt vmcnt(0)
	v_cmp_gt_u16_sdwa s[24:25], v4, s24 src0_sel:BYTE_0 src1_sel:DWORD
	s_andn2_b64 s[2:3], s[2:3], exec
	s_and_b64 s[24:25], s[24:25], exec
	s_or_b64 s[2:3], s[2:3], s[24:25]
.LBB5_464:
	s_branch .LBB5_466
.LBB5_465:
	s_cmp_lg_u32 s4, 0
	s_mov_b64 s[20:21], -1
	s_cselect_b64 s[22:23], -1, 0
.LBB5_466:
	s_andn2_b64 vcc, exec, s[22:23]
	s_cbranch_vccz .LBB5_470
; %bb.467:
	s_andn2_b64 vcc, exec, s[20:21]
	s_cbranch_vccnz .LBB5_469
.LBB5_468:
	s_and_b32 s4, s5, 0xff
	s_waitcnt vmcnt(0)
	v_cmp_ge_u16_sdwa s[4:5], v4, s4 src0_sel:BYTE_0 src1_sel:DWORD
	s_andn2_b64 s[2:3], s[2:3], exec
	s_and_b64 s[4:5], s[4:5], exec
	s_or_b64 s[2:3], s[2:3], s[4:5]
.LBB5_469:
	v_cndmask_b32_e64 v12, 0, 1, s[6:7]
	s_waitcnt vmcnt(0)
	v_cndmask_b32_e64 v4, 0, 1, s[18:19]
	v_cndmask_b32_e64 v5, 0, 1, s[16:17]
	;; [unrolled: 1-line block ×7, first 2 shown]
	global_store_byte v0, v12, s[0:1]
	global_store_byte v1, v11, s[0:1]
	;; [unrolled: 1-line block ×8, first 2 shown]
	s_endpgm
.LBB5_470:
	s_and_b32 s4, s5, 0xff
	s_waitcnt vmcnt(0)
	v_cmp_lt_u16_sdwa s[22:23], v4, s4 src0_sel:BYTE_0 src1_sel:DWORD
	s_andn2_b64 s[2:3], s[2:3], exec
	s_and_b64 s[22:23], s[22:23], exec
	s_or_b64 s[2:3], s[2:3], s[22:23]
	s_cbranch_execz .LBB5_468
	s_branch .LBB5_469
.LBB5_471:
	s_mov_b64 s[4:5], -1
                                        ; implicit-def: $sgpr2_sgpr3
	s_branch .LBB5_60
.LBB5_472:
	s_mov_b64 s[4:5], -1
                                        ; implicit-def: $sgpr2_sgpr3
	s_branch .LBB5_88
.LBB5_473:
	s_mov_b64 s[4:5], -1
                                        ; implicit-def: $sgpr2_sgpr3
	s_branch .LBB5_116
.LBB5_474:
	s_mov_b64 s[4:5], -1
                                        ; implicit-def: $sgpr2_sgpr3
	s_branch .LBB5_144
.LBB5_475:
	s_mov_b64 s[4:5], -1
                                        ; implicit-def: $sgpr2_sgpr3
	s_branch .LBB5_172
.LBB5_476:
	s_mov_b64 s[4:5], -1
                                        ; implicit-def: $sgpr2_sgpr3
	s_branch .LBB5_200
.LBB5_477:
	s_mov_b64 s[4:5], -1
                                        ; implicit-def: $sgpr2_sgpr3
	s_branch .LBB5_228
	.section	.rodata,"a",@progbits
	.p2align	6, 0x0
	.amdhsa_kernel _ZN2at6native32elementwise_kernel_manual_unrollILi128ELi8EZNS0_22gpu_kernel_impl_nocastIZNS0_21compare_scalar_kernelIhEEvRNS_18TensorIteratorBaseENS0_12_GLOBAL__N_16OpTypeET_EUlhE_EEvS5_RKS8_EUlibE_EEviT1_
		.amdhsa_group_segment_fixed_size 0
		.amdhsa_private_segment_fixed_size 0
		.amdhsa_kernarg_size 360
		.amdhsa_user_sgpr_count 6
		.amdhsa_user_sgpr_private_segment_buffer 1
		.amdhsa_user_sgpr_dispatch_ptr 0
		.amdhsa_user_sgpr_queue_ptr 0
		.amdhsa_user_sgpr_kernarg_segment_ptr 1
		.amdhsa_user_sgpr_dispatch_id 0
		.amdhsa_user_sgpr_flat_scratch_init 0
		.amdhsa_user_sgpr_private_segment_size 0
		.amdhsa_uses_dynamic_stack 0
		.amdhsa_system_sgpr_private_segment_wavefront_offset 0
		.amdhsa_system_sgpr_workgroup_id_x 1
		.amdhsa_system_sgpr_workgroup_id_y 0
		.amdhsa_system_sgpr_workgroup_id_z 0
		.amdhsa_system_sgpr_workgroup_info 0
		.amdhsa_system_vgpr_workitem_id 0
		.amdhsa_next_free_vgpr 26
		.amdhsa_next_free_sgpr 62
		.amdhsa_reserve_vcc 1
		.amdhsa_reserve_flat_scratch 0
		.amdhsa_float_round_mode_32 0
		.amdhsa_float_round_mode_16_64 0
		.amdhsa_float_denorm_mode_32 3
		.amdhsa_float_denorm_mode_16_64 3
		.amdhsa_dx10_clamp 1
		.amdhsa_ieee_mode 1
		.amdhsa_fp16_overflow 0
		.amdhsa_exception_fp_ieee_invalid_op 0
		.amdhsa_exception_fp_denorm_src 0
		.amdhsa_exception_fp_ieee_div_zero 0
		.amdhsa_exception_fp_ieee_overflow 0
		.amdhsa_exception_fp_ieee_underflow 0
		.amdhsa_exception_fp_ieee_inexact 0
		.amdhsa_exception_int_div_zero 0
	.end_amdhsa_kernel
	.section	.text._ZN2at6native32elementwise_kernel_manual_unrollILi128ELi8EZNS0_22gpu_kernel_impl_nocastIZNS0_21compare_scalar_kernelIhEEvRNS_18TensorIteratorBaseENS0_12_GLOBAL__N_16OpTypeET_EUlhE_EEvS5_RKS8_EUlibE_EEviT1_,"axG",@progbits,_ZN2at6native32elementwise_kernel_manual_unrollILi128ELi8EZNS0_22gpu_kernel_impl_nocastIZNS0_21compare_scalar_kernelIhEEvRNS_18TensorIteratorBaseENS0_12_GLOBAL__N_16OpTypeET_EUlhE_EEvS5_RKS8_EUlibE_EEviT1_,comdat
.Lfunc_end5:
	.size	_ZN2at6native32elementwise_kernel_manual_unrollILi128ELi8EZNS0_22gpu_kernel_impl_nocastIZNS0_21compare_scalar_kernelIhEEvRNS_18TensorIteratorBaseENS0_12_GLOBAL__N_16OpTypeET_EUlhE_EEvS5_RKS8_EUlibE_EEviT1_, .Lfunc_end5-_ZN2at6native32elementwise_kernel_manual_unrollILi128ELi8EZNS0_22gpu_kernel_impl_nocastIZNS0_21compare_scalar_kernelIhEEvRNS_18TensorIteratorBaseENS0_12_GLOBAL__N_16OpTypeET_EUlhE_EEvS5_RKS8_EUlibE_EEviT1_
                                        ; -- End function
	.set _ZN2at6native32elementwise_kernel_manual_unrollILi128ELi8EZNS0_22gpu_kernel_impl_nocastIZNS0_21compare_scalar_kernelIhEEvRNS_18TensorIteratorBaseENS0_12_GLOBAL__N_16OpTypeET_EUlhE_EEvS5_RKS8_EUlibE_EEviT1_.num_vgpr, 26
	.set _ZN2at6native32elementwise_kernel_manual_unrollILi128ELi8EZNS0_22gpu_kernel_impl_nocastIZNS0_21compare_scalar_kernelIhEEvRNS_18TensorIteratorBaseENS0_12_GLOBAL__N_16OpTypeET_EUlhE_EEvS5_RKS8_EUlibE_EEviT1_.num_agpr, 0
	.set _ZN2at6native32elementwise_kernel_manual_unrollILi128ELi8EZNS0_22gpu_kernel_impl_nocastIZNS0_21compare_scalar_kernelIhEEvRNS_18TensorIteratorBaseENS0_12_GLOBAL__N_16OpTypeET_EUlhE_EEvS5_RKS8_EUlibE_EEviT1_.numbered_sgpr, 62
	.set _ZN2at6native32elementwise_kernel_manual_unrollILi128ELi8EZNS0_22gpu_kernel_impl_nocastIZNS0_21compare_scalar_kernelIhEEvRNS_18TensorIteratorBaseENS0_12_GLOBAL__N_16OpTypeET_EUlhE_EEvS5_RKS8_EUlibE_EEviT1_.num_named_barrier, 0
	.set _ZN2at6native32elementwise_kernel_manual_unrollILi128ELi8EZNS0_22gpu_kernel_impl_nocastIZNS0_21compare_scalar_kernelIhEEvRNS_18TensorIteratorBaseENS0_12_GLOBAL__N_16OpTypeET_EUlhE_EEvS5_RKS8_EUlibE_EEviT1_.private_seg_size, 0
	.set _ZN2at6native32elementwise_kernel_manual_unrollILi128ELi8EZNS0_22gpu_kernel_impl_nocastIZNS0_21compare_scalar_kernelIhEEvRNS_18TensorIteratorBaseENS0_12_GLOBAL__N_16OpTypeET_EUlhE_EEvS5_RKS8_EUlibE_EEviT1_.uses_vcc, 1
	.set _ZN2at6native32elementwise_kernel_manual_unrollILi128ELi8EZNS0_22gpu_kernel_impl_nocastIZNS0_21compare_scalar_kernelIhEEvRNS_18TensorIteratorBaseENS0_12_GLOBAL__N_16OpTypeET_EUlhE_EEvS5_RKS8_EUlibE_EEviT1_.uses_flat_scratch, 0
	.set _ZN2at6native32elementwise_kernel_manual_unrollILi128ELi8EZNS0_22gpu_kernel_impl_nocastIZNS0_21compare_scalar_kernelIhEEvRNS_18TensorIteratorBaseENS0_12_GLOBAL__N_16OpTypeET_EUlhE_EEvS5_RKS8_EUlibE_EEviT1_.has_dyn_sized_stack, 0
	.set _ZN2at6native32elementwise_kernel_manual_unrollILi128ELi8EZNS0_22gpu_kernel_impl_nocastIZNS0_21compare_scalar_kernelIhEEvRNS_18TensorIteratorBaseENS0_12_GLOBAL__N_16OpTypeET_EUlhE_EEvS5_RKS8_EUlibE_EEviT1_.has_recursion, 0
	.set _ZN2at6native32elementwise_kernel_manual_unrollILi128ELi8EZNS0_22gpu_kernel_impl_nocastIZNS0_21compare_scalar_kernelIhEEvRNS_18TensorIteratorBaseENS0_12_GLOBAL__N_16OpTypeET_EUlhE_EEvS5_RKS8_EUlibE_EEviT1_.has_indirect_call, 0
	.section	.AMDGPU.csdata,"",@progbits
; Kernel info:
; codeLenInByte = 14964
; TotalNumSgprs: 66
; NumVgprs: 26
; ScratchSize: 0
; MemoryBound: 0
; FloatMode: 240
; IeeeMode: 1
; LDSByteSize: 0 bytes/workgroup (compile time only)
; SGPRBlocks: 8
; VGPRBlocks: 6
; NumSGPRsForWavesPerEU: 66
; NumVGPRsForWavesPerEU: 26
; Occupancy: 9
; WaveLimiterHint : 1
; COMPUTE_PGM_RSRC2:SCRATCH_EN: 0
; COMPUTE_PGM_RSRC2:USER_SGPR: 6
; COMPUTE_PGM_RSRC2:TRAP_HANDLER: 0
; COMPUTE_PGM_RSRC2:TGID_X_EN: 1
; COMPUTE_PGM_RSRC2:TGID_Y_EN: 0
; COMPUTE_PGM_RSRC2:TGID_Z_EN: 0
; COMPUTE_PGM_RSRC2:TIDIG_COMP_CNT: 0
	.section	.text._ZN2at6native32elementwise_kernel_manual_unrollILi128ELi4EZNS0_15gpu_kernel_implIZNS0_21compare_scalar_kernelIhEEvRNS_18TensorIteratorBaseENS0_12_GLOBAL__N_16OpTypeET_EUlhE_EEvS5_RKS8_EUlibE_EEviT1_,"axG",@progbits,_ZN2at6native32elementwise_kernel_manual_unrollILi128ELi4EZNS0_15gpu_kernel_implIZNS0_21compare_scalar_kernelIhEEvRNS_18TensorIteratorBaseENS0_12_GLOBAL__N_16OpTypeET_EUlhE_EEvS5_RKS8_EUlibE_EEviT1_,comdat
	.globl	_ZN2at6native32elementwise_kernel_manual_unrollILi128ELi4EZNS0_15gpu_kernel_implIZNS0_21compare_scalar_kernelIhEEvRNS_18TensorIteratorBaseENS0_12_GLOBAL__N_16OpTypeET_EUlhE_EEvS5_RKS8_EUlibE_EEviT1_ ; -- Begin function _ZN2at6native32elementwise_kernel_manual_unrollILi128ELi4EZNS0_15gpu_kernel_implIZNS0_21compare_scalar_kernelIhEEvRNS_18TensorIteratorBaseENS0_12_GLOBAL__N_16OpTypeET_EUlhE_EEvS5_RKS8_EUlibE_EEviT1_
	.p2align	8
	.type	_ZN2at6native32elementwise_kernel_manual_unrollILi128ELi4EZNS0_15gpu_kernel_implIZNS0_21compare_scalar_kernelIhEEvRNS_18TensorIteratorBaseENS0_12_GLOBAL__N_16OpTypeET_EUlhE_EEvS5_RKS8_EUlibE_EEviT1_,@function
_ZN2at6native32elementwise_kernel_manual_unrollILi128ELi4EZNS0_15gpu_kernel_implIZNS0_21compare_scalar_kernelIhEEvRNS_18TensorIteratorBaseENS0_12_GLOBAL__N_16OpTypeET_EUlhE_EEvS5_RKS8_EUlibE_EEviT1_: ; @_ZN2at6native32elementwise_kernel_manual_unrollILi128ELi4EZNS0_15gpu_kernel_implIZNS0_21compare_scalar_kernelIhEEvRNS_18TensorIteratorBaseENS0_12_GLOBAL__N_16OpTypeET_EUlhE_EEvS5_RKS8_EUlibE_EEviT1_
; %bb.0:
	s_load_dwordx2 s[2:3], s[4:5], 0x24
	s_load_dword s33, s[4:5], 0x0
	s_load_dwordx8 s[8:15], s[4:5], 0x8
	v_lshl_or_b32 v4, s6, 9, v0
	v_or_b32_e32 v0, 0x180, v4
	s_waitcnt lgkmcnt(0)
	s_bfe_u32 s15, s3, 0x80008
	v_cmp_le_i32_e32 vcc, s33, v0
	s_mov_b64 s[4:5], 0
	s_mov_b64 s[16:17], 0
	s_and_saveexec_b64 s[0:1], vcc
	s_xor_b64 s[6:7], exec, s[0:1]
	s_cbranch_execz .LBB6_1076
; %bb.1:
	v_cmp_gt_i32_e32 vcc, s33, v4
	s_mov_b64 s[22:23], -1
	s_mov_b64 s[24:25], 0
	s_mov_b64 s[18:19], 0
	s_and_saveexec_b64 s[20:21], vcc
	s_cbranch_execz .LBB6_264
; %bb.2:
	v_mul_lo_u32 v0, v4, s13
	v_mov_b32_e32 v1, s11
	s_and_b32 s22, 0xffff, s15
	s_cmp_lt_i32 s22, 11
	v_ashrrev_i32_e32 v2, 31, v0
	v_add_co_u32_e32 v0, vcc, s10, v0
	v_addc_co_u32_e32 v1, vcc, v1, v2, vcc
	s_cbranch_scc1 .LBB6_9
; %bb.3:
	s_cmp_gt_i32 s22, 25
	s_cbranch_scc0 .LBB6_15
; %bb.4:
	s_cmp_gt_i32 s22, 28
	s_cbranch_scc0 .LBB6_17
	;; [unrolled: 3-line block ×4, first 2 shown]
; %bb.7:
	s_cmp_eq_u32 s22, 46
	s_cbranch_scc0 .LBB6_44
; %bb.8:
	global_load_dword v2, v[0:1], off
	s_mov_b32 s0, 0x2f800000
	s_mov_b32 s1, 0xcf800000
	s_waitcnt vmcnt(0)
	v_lshlrev_b32_e32 v2, 16, v2
	v_trunc_f32_e32 v2, v2
	v_mul_f32_e64 v3, |v2|, s0
	v_floor_f32_e32 v3, v3
	v_fma_f32 v3, v3, s1, |v2|
	v_cvt_u32_f32_e32 v3, v3
	v_ashrrev_i32_e32 v2, 31, v2
	s_mov_b64 s[0:1], -1
	v_xor_b32_e32 v3, v3, v2
	v_sub_u32_e32 v2, v3, v2
	s_branch .LBB6_46
.LBB6_9:
                                        ; implicit-def: $vgpr2
	s_mov_b64 s[0:1], 0
	s_cbranch_execnz .LBB6_215
.LBB6_10:
	s_andn2_b64 vcc, exec, s[0:1]
	s_cbranch_vccnz .LBB6_262
.LBB6_11:
	s_cmp_lt_i32 s14, 1
	s_mov_b64 s[0:1], 0
	s_cbranch_scc1 .LBB6_16
; %bb.12:
	s_cmp_gt_i32 s14, 1
	s_cbranch_scc0 .LBB6_18
; %bb.13:
	s_cmp_eq_u32 s14, 2
	s_cbranch_scc0 .LBB6_20
; %bb.14:
	s_and_b32 s16, s2, 0xff
	s_waitcnt vmcnt(0)
	v_cmp_le_u16_sdwa s[16:17], v2, s16 src0_sel:BYTE_0 src1_sel:DWORD
	s_mov_b64 s[22:23], 0
	s_branch .LBB6_21
.LBB6_15:
	s_mov_b64 s[0:1], 0
                                        ; implicit-def: $vgpr2
	s_cbranch_execnz .LBB6_182
	s_branch .LBB6_214
.LBB6_16:
                                        ; implicit-def: $sgpr16_sgpr17
	s_mov_b64 s[22:23], 0
	s_cbranch_execnz .LBB6_25
	s_branch .LBB6_26
.LBB6_17:
	s_mov_b64 s[16:17], -1
	s_mov_b64 s[0:1], 0
                                        ; implicit-def: $vgpr2
	s_branch .LBB6_165
.LBB6_18:
	s_mov_b64 s[26:27], -1
	s_mov_b64 s[22:23], 0
                                        ; implicit-def: $sgpr16_sgpr17
	s_branch .LBB6_22
.LBB6_19:
	s_mov_b64 s[16:17], -1
	s_mov_b64 s[0:1], 0
                                        ; implicit-def: $vgpr2
	s_branch .LBB6_160
.LBB6_20:
	s_mov_b64 s[22:23], -1
                                        ; implicit-def: $sgpr16_sgpr17
.LBB6_21:
	s_mov_b64 s[26:27], 0
.LBB6_22:
	s_and_b64 vcc, exec, s[26:27]
	s_cbranch_vccz .LBB6_24
; %bb.23:
	s_and_b32 s26, s2, 0xff
	s_waitcnt vmcnt(0)
	v_cmp_gt_u16_sdwa s[26:27], v2, s26 src0_sel:BYTE_0 src1_sel:DWORD
	s_andn2_b64 s[16:17], s[16:17], exec
	s_and_b64 s[26:27], s[26:27], exec
	s_or_b64 s[16:17], s[16:17], s[26:27]
.LBB6_24:
	s_branch .LBB6_26
.LBB6_25:
	s_cmp_lg_u32 s14, 0
	s_mov_b64 s[0:1], -1
	s_cselect_b64 s[22:23], -1, 0
.LBB6_26:
	s_andn2_b64 vcc, exec, s[22:23]
	s_cbranch_vccnz .LBB6_28
; %bb.27:
	s_and_b32 s0, s2, 0xff
	s_waitcnt vmcnt(0)
	v_cmp_lt_u16_sdwa s[22:23], v2, s0 src0_sel:BYTE_0 src1_sel:DWORD
	s_andn2_b64 s[16:17], s[16:17], exec
	s_and_b64 s[22:23], s[22:23], exec
	s_or_b64 s[16:17], s[16:17], s[22:23]
	s_cbranch_execz .LBB6_29
	s_branch .LBB6_30
.LBB6_28:
	s_andn2_b64 vcc, exec, s[0:1]
	s_cbranch_vccnz .LBB6_30
.LBB6_29:
	s_and_b32 s0, s2, 0xff
	s_waitcnt vmcnt(0)
	v_cmp_ge_u16_sdwa s[0:1], v2, s0 src0_sel:BYTE_0 src1_sel:DWORD
	s_andn2_b64 s[16:17], s[16:17], exec
	s_and_b64 s[0:1], s[0:1], exec
	s_or_b64 s[16:17], s[16:17], s[0:1]
.LBB6_30:
	v_mul_lo_u32 v0, v4, s12
	v_mov_b32_e32 v1, s9
	s_and_b32 s30, s3, 0xff
	s_cmp_lt_i32 s30, 11
	s_waitcnt vmcnt(0)
	v_ashrrev_i32_e32 v2, 31, v0
	v_add_co_u32_e32 v0, vcc, s8, v0
	v_addc_co_u32_e32 v1, vcc, v1, v2, vcc
	s_cbranch_scc1 .LBB6_37
; %bb.31:
	s_and_b32 s31, 0xffff, s30
	s_cmp_gt_i32 s31, 25
	s_cbranch_scc0 .LBB6_40
; %bb.32:
	s_cmp_gt_i32 s31, 28
	s_cbranch_scc0 .LBB6_41
; %bb.33:
	;; [unrolled: 3-line block ×4, first 2 shown]
	s_mov_b64 s[26:27], 0
	s_mov_b64 s[0:1], -1
	s_cmp_eq_u32 s31, 46
	s_mov_b64 s[22:23], 0
	s_cbranch_scc0 .LBB6_50
; %bb.36:
	v_cndmask_b32_e64 v2, 0, 1.0, s[16:17]
	v_bfe_u32 v3, v2, 16, 1
	s_movk_i32 s0, 0x7fff
	v_add3_u32 v2, v2, v3, s0
	v_lshrrev_b32_e32 v2, 16, v2
	global_store_dword v[0:1], v2, off
	s_mov_b64 s[22:23], -1
	s_mov_b64 s[0:1], 0
	s_branch .LBB6_50
.LBB6_37:
	s_mov_b64 s[0:1], 0
	s_mov_b64 s[22:23], 0
	s_cbranch_execnz .LBB6_119
.LBB6_38:
	s_andn2_b64 vcc, exec, s[22:23]
	s_cbranch_vccnz .LBB6_157
.LBB6_39:
	v_add_u32_e32 v4, 0x80, v4
	s_mov_b64 s[22:23], -1
	s_branch .LBB6_263
.LBB6_40:
	s_mov_b64 s[26:27], -1
	s_mov_b64 s[0:1], 0
	s_mov_b64 s[22:23], 0
	s_branch .LBB6_77
.LBB6_41:
	s_mov_b64 s[26:27], -1
	s_mov_b64 s[0:1], 0
	s_mov_b64 s[22:23], 0
	s_branch .LBB6_60
.LBB6_42:
	s_mov_b64 s[16:17], -1
	s_branch .LBB6_45
.LBB6_43:
	s_mov_b64 s[26:27], -1
	s_mov_b64 s[0:1], 0
	s_mov_b64 s[22:23], 0
	s_branch .LBB6_56
.LBB6_44:
	s_mov_b64 s[18:19], -1
.LBB6_45:
	s_mov_b64 s[0:1], 0
                                        ; implicit-def: $vgpr2
.LBB6_46:
	s_and_b64 vcc, exec, s[16:17]
	s_cbranch_vccz .LBB6_159
; %bb.47:
	s_cmp_eq_u32 s22, 44
	s_cbranch_scc0 .LBB6_158
; %bb.48:
	global_load_ubyte v2, v[0:1], off
	s_mov_b32 s0, 0x2f800000
	s_mov_b32 s1, 0xcf800000
	s_mov_b64 s[18:19], 0
	s_waitcnt vmcnt(0)
	v_lshlrev_b32_e32 v3, 23, v2
	v_trunc_f32_e32 v3, v3
	v_mul_f32_e64 v5, |v3|, s0
	v_floor_f32_e32 v5, v5
	v_fma_f32 v5, v5, s1, |v3|
	v_cvt_u32_f32_e32 v5, v5
	v_ashrrev_i32_e32 v3, 31, v3
	v_cmp_ne_u32_e32 vcc, 0, v2
	s_mov_b64 s[0:1], -1
	v_xor_b32_e32 v5, v5, v3
	v_sub_u32_e32 v3, v5, v3
	v_cndmask_b32_e32 v2, 0, v3, vcc
	s_branch .LBB6_159
.LBB6_49:
	s_mov_b64 s[26:27], -1
	s_mov_b64 s[0:1], 0
	s_mov_b64 s[22:23], 0
.LBB6_50:
	s_and_b64 vcc, exec, s[26:27]
	s_cbranch_vccz .LBB6_55
; %bb.51:
	s_cmp_eq_u32 s31, 44
	s_mov_b64 s[0:1], -1
	s_cbranch_scc0 .LBB6_55
; %bb.52:
	v_cndmask_b32_e64 v3, 0, 1.0, s[16:17]
	v_lshrrev_b32_e32 v2, 23, v3
	s_movk_i32 s0, 0xff
	v_cmp_ne_u32_e32 vcc, s0, v2
	v_mov_b32_e32 v5, 0xff
	s_and_saveexec_b64 s[22:23], vcc
; %bb.53:
	s_mov_b32 s0, 0x3fffff
	v_and_b32_e32 v5, 0x400000, v3
	v_and_or_b32 v3, v3, s0, v2
	v_cmp_ne_u32_e32 vcc, 0, v5
	v_cmp_ne_u32_e64 s[0:1], 0, v3
	s_and_b64 s[0:1], vcc, s[0:1]
	v_cndmask_b32_e64 v3, 0, 1, s[0:1]
	v_add_u32_e32 v5, v2, v3
; %bb.54:
	s_or_b64 exec, exec, s[22:23]
	s_mov_b64 s[22:23], -1
	s_mov_b64 s[0:1], 0
	global_store_byte v[0:1], v5, off
.LBB6_55:
	s_mov_b64 s[26:27], 0
.LBB6_56:
	s_and_b64 vcc, exec, s[26:27]
	s_cbranch_vccz .LBB6_59
; %bb.57:
	s_cmp_eq_u32 s31, 29
	s_mov_b64 s[0:1], -1
	s_cbranch_scc0 .LBB6_59
; %bb.58:
	s_mov_b32 s0, 0
	v_cndmask_b32_e64 v2, 0, 1, s[16:17]
	v_mov_b32_e32 v3, s0
	global_store_dwordx2 v[0:1], v[2:3], off
	s_mov_b64 s[22:23], -1
	s_mov_b64 s[0:1], 0
.LBB6_59:
	s_mov_b64 s[26:27], 0
.LBB6_60:
	s_and_b64 vcc, exec, s[26:27]
	s_cbranch_vccz .LBB6_76
; %bb.61:
	s_cmp_lt_i32 s31, 27
	s_mov_b64 s[22:23], -1
	s_cbranch_scc1 .LBB6_67
; %bb.62:
	s_cmp_gt_i32 s31, 27
	s_cbranch_scc0 .LBB6_64
; %bb.63:
	v_cndmask_b32_e64 v2, 0, 1, s[16:17]
	s_mov_b64 s[22:23], 0
	global_store_dword v[0:1], v2, off
.LBB6_64:
	s_andn2_b64 vcc, exec, s[22:23]
	s_cbranch_vccnz .LBB6_66
; %bb.65:
	v_cndmask_b32_e64 v2, 0, 1, s[16:17]
	global_store_short v[0:1], v2, off
.LBB6_66:
	s_mov_b64 s[22:23], 0
.LBB6_67:
	s_andn2_b64 vcc, exec, s[22:23]
	s_cbranch_vccnz .LBB6_75
; %bb.68:
	v_cndmask_b32_e64 v3, 0, 1.0, s[16:17]
	s_mov_b32 s22, 0x43800000
	v_cmp_gt_u32_e32 vcc, s22, v3
	v_mov_b32_e32 v5, 0x80
	s_and_saveexec_b64 s[22:23], vcc
	s_cbranch_execz .LBB6_74
; %bb.69:
	s_mov_b32 s26, 0x3bffffff
	v_cmp_lt_u32_e32 vcc, s26, v3
	s_mov_b64 s[26:27], 0
                                        ; implicit-def: $vgpr2
	s_and_saveexec_b64 s[28:29], vcc
	s_xor_b64 s[28:29], exec, s[28:29]
	s_cbranch_execz .LBB6_307
; %bb.70:
	v_bfe_u32 v2, v3, 20, 1
	s_mov_b32 s34, 0x487ffff
	v_add3_u32 v2, v3, v2, s34
	s_mov_b64 s[26:27], exec
	v_lshrrev_b32_e32 v2, 20, v2
                                        ; implicit-def: $vgpr3
	s_andn2_saveexec_b64 s[28:29], s[28:29]
	s_cbranch_execnz .LBB6_308
.LBB6_71:
	s_or_b64 exec, exec, s[28:29]
	v_mov_b32_e32 v5, 0
	s_and_saveexec_b64 s[28:29], s[26:27]
.LBB6_72:
	v_mov_b32_e32 v5, v2
.LBB6_73:
	s_or_b64 exec, exec, s[28:29]
.LBB6_74:
	s_or_b64 exec, exec, s[22:23]
	global_store_byte v[0:1], v5, off
.LBB6_75:
	s_mov_b64 s[22:23], -1
.LBB6_76:
	s_mov_b64 s[26:27], 0
.LBB6_77:
	s_and_b64 vcc, exec, s[26:27]
	s_cbranch_vccz .LBB6_118
; %bb.78:
	s_cmp_gt_i32 s31, 22
	s_mov_b64 s[26:27], -1
	s_cbranch_scc0 .LBB6_110
; %bb.79:
	s_cmp_lt_i32 s31, 24
	s_mov_b64 s[22:23], -1
	s_cbranch_scc1 .LBB6_99
; %bb.80:
	s_cmp_gt_i32 s31, 24
	s_cbranch_scc0 .LBB6_88
; %bb.81:
	v_cndmask_b32_e64 v3, 0, 1.0, s[16:17]
	s_mov_b32 s22, 0x47800000
	v_cmp_gt_u32_e32 vcc, s22, v3
	v_mov_b32_e32 v5, 0x80
	s_and_saveexec_b64 s[22:23], vcc
	s_cbranch_execz .LBB6_87
; %bb.82:
	s_mov_b32 s26, 0x37ffffff
	v_cmp_lt_u32_e32 vcc, s26, v3
	s_mov_b64 s[26:27], 0
                                        ; implicit-def: $vgpr2
	s_and_saveexec_b64 s[28:29], vcc
	s_xor_b64 s[28:29], exec, s[28:29]
	s_cbranch_execz .LBB6_311
; %bb.83:
	v_bfe_u32 v2, v3, 21, 1
	s_mov_b32 s34, 0x88fffff
	v_add3_u32 v2, v3, v2, s34
	s_mov_b64 s[26:27], exec
	v_lshrrev_b32_e32 v2, 21, v2
                                        ; implicit-def: $vgpr3
	s_andn2_saveexec_b64 s[28:29], s[28:29]
	s_cbranch_execnz .LBB6_312
.LBB6_84:
	s_or_b64 exec, exec, s[28:29]
	v_mov_b32_e32 v5, 0
	s_and_saveexec_b64 s[28:29], s[26:27]
.LBB6_85:
	v_mov_b32_e32 v5, v2
.LBB6_86:
	s_or_b64 exec, exec, s[28:29]
.LBB6_87:
	s_or_b64 exec, exec, s[22:23]
	s_mov_b64 s[22:23], 0
	global_store_byte v[0:1], v5, off
.LBB6_88:
	s_and_b64 vcc, exec, s[22:23]
	s_cbranch_vccz .LBB6_98
; %bb.89:
	v_cndmask_b32_e64 v2, 0, 1.0, s[16:17]
	s_mov_b32 s22, 0x43f00000
	v_cmp_gt_u32_e32 vcc, s22, v2
                                        ; implicit-def: $vgpr3
	s_and_saveexec_b64 s[22:23], vcc
	s_xor_b64 s[22:23], exec, s[22:23]
	s_cbranch_execz .LBB6_95
; %bb.90:
	s_mov_b32 s26, 0x3c7fffff
	v_cmp_lt_u32_e32 vcc, s26, v2
                                        ; implicit-def: $vgpr3
	s_and_saveexec_b64 s[26:27], vcc
	s_xor_b64 s[26:27], exec, s[26:27]
; %bb.91:
	v_bfe_u32 v3, v2, 20, 1
	s_mov_b32 s28, 0x407ffff
	v_add3_u32 v2, v2, v3, s28
	v_lshrrev_b32_e32 v3, 20, v2
	v_and_b32_e32 v2, 0xff00000, v2
	s_mov_b32 s28, 0x7f00000
	v_mov_b32_e32 v5, 0x7e
	v_cmp_ne_u32_e32 vcc, s28, v2
	v_cndmask_b32_e32 v3, v5, v3, vcc
                                        ; implicit-def: $vgpr2
; %bb.92:
	s_andn2_saveexec_b64 s[26:27], s[26:27]
; %bb.93:
	v_add_f32_e32 v3, 0x46800000, v2
; %bb.94:
	s_or_b64 exec, exec, s[26:27]
                                        ; implicit-def: $vgpr2
.LBB6_95:
	s_andn2_saveexec_b64 s[22:23], s[22:23]
; %bb.96:
	s_mov_b32 s26, 0x7f800000
	v_mov_b32_e32 v3, 0x7e
	v_mov_b32_e32 v5, 0x7f
	v_cmp_lt_u32_e32 vcc, s26, v2
	v_cndmask_b32_e32 v3, v3, v5, vcc
; %bb.97:
	s_or_b64 exec, exec, s[22:23]
	global_store_byte v[0:1], v3, off
.LBB6_98:
	s_mov_b64 s[22:23], 0
.LBB6_99:
	s_andn2_b64 vcc, exec, s[22:23]
	s_cbranch_vccnz .LBB6_109
; %bb.100:
	v_cndmask_b32_e64 v2, 0, 1.0, s[16:17]
	s_mov_b32 s22, 0x47800000
	v_cmp_gt_u32_e32 vcc, s22, v2
                                        ; implicit-def: $vgpr3
	s_and_saveexec_b64 s[22:23], vcc
	s_xor_b64 s[22:23], exec, s[22:23]
	s_cbranch_execz .LBB6_106
; %bb.101:
	s_mov_b32 s26, 0x387fffff
	v_cmp_lt_u32_e32 vcc, s26, v2
                                        ; implicit-def: $vgpr3
	s_and_saveexec_b64 s[26:27], vcc
	s_xor_b64 s[26:27], exec, s[26:27]
; %bb.102:
	v_bfe_u32 v3, v2, 21, 1
	s_mov_b32 s28, 0x80fffff
	v_add3_u32 v2, v2, v3, s28
	v_lshrrev_b32_e32 v3, 21, v2
                                        ; implicit-def: $vgpr2
; %bb.103:
	s_andn2_saveexec_b64 s[26:27], s[26:27]
; %bb.104:
	v_add_f32_e32 v3, 0x43000000, v2
; %bb.105:
	s_or_b64 exec, exec, s[26:27]
                                        ; implicit-def: $vgpr2
.LBB6_106:
	s_andn2_saveexec_b64 s[22:23], s[22:23]
; %bb.107:
	s_mov_b32 s26, 0x7f800000
	v_mov_b32_e32 v3, 0x7c
	v_mov_b32_e32 v5, 0x7f
	v_cmp_lt_u32_e32 vcc, s26, v2
	v_cndmask_b32_e32 v3, v3, v5, vcc
; %bb.108:
	s_or_b64 exec, exec, s[22:23]
	global_store_byte v[0:1], v3, off
.LBB6_109:
	s_mov_b64 s[26:27], 0
	s_mov_b64 s[22:23], -1
.LBB6_110:
	s_andn2_b64 vcc, exec, s[26:27]
	s_cbranch_vccnz .LBB6_118
; %bb.111:
	s_cmp_gt_i32 s31, 14
	s_mov_b64 s[26:27], -1
	s_cbranch_scc0 .LBB6_115
; %bb.112:
	s_cmp_eq_u32 s31, 15
	s_mov_b64 s[0:1], -1
	s_cbranch_scc0 .LBB6_114
; %bb.113:
	v_cndmask_b32_e64 v2, 0, 1.0, s[16:17]
	v_bfe_u32 v3, v2, 16, 1
	s_movk_i32 s0, 0x7fff
	v_add3_u32 v2, v2, v3, s0
	global_store_short_d16_hi v[0:1], v2, off
	s_mov_b64 s[22:23], -1
	s_mov_b64 s[0:1], 0
.LBB6_114:
	s_mov_b64 s[26:27], 0
.LBB6_115:
	s_and_b64 vcc, exec, s[26:27]
	s_cbranch_vccz .LBB6_118
; %bb.116:
	s_cmp_eq_u32 s31, 11
	s_mov_b64 s[0:1], -1
	s_cbranch_scc0 .LBB6_118
; %bb.117:
	v_cndmask_b32_e64 v2, 0, 1, s[16:17]
	s_mov_b64 s[22:23], -1
	s_mov_b64 s[0:1], 0
	global_store_byte v[0:1], v2, off
.LBB6_118:
	s_branch .LBB6_38
.LBB6_119:
	s_and_b32 s26, 0xffff, s30
	s_cmp_lt_i32 s26, 5
	s_mov_b64 s[22:23], -1
	s_cbranch_scc1 .LBB6_140
; %bb.120:
	s_cmp_lt_i32 s26, 8
	s_cbranch_scc1 .LBB6_130
; %bb.121:
	s_cmp_lt_i32 s26, 9
	s_cbranch_scc1 .LBB6_127
; %bb.122:
	s_cmp_gt_i32 s26, 9
	s_cbranch_scc0 .LBB6_124
; %bb.123:
	v_cndmask_b32_e64 v2, 0, 1, s[16:17]
	v_cvt_f64_u32_e32 v[5:6], v2
	v_mov_b32_e32 v7, 0
	v_mov_b32_e32 v8, v7
	s_mov_b64 s[22:23], 0
	global_store_dwordx4 v[0:1], v[5:8], off
.LBB6_124:
	s_andn2_b64 vcc, exec, s[22:23]
	s_cbranch_vccnz .LBB6_126
; %bb.125:
	v_cndmask_b32_e64 v2, 0, 1.0, s[16:17]
	v_mov_b32_e32 v3, 0
	global_store_dwordx2 v[0:1], v[2:3], off
.LBB6_126:
	s_mov_b64 s[22:23], 0
.LBB6_127:
	s_andn2_b64 vcc, exec, s[22:23]
	s_cbranch_vccnz .LBB6_129
; %bb.128:
	v_cndmask_b32_e64 v2, 0, 1.0, s[16:17]
	v_cvt_f16_f32_e32 v2, v2
	global_store_dword v[0:1], v2, off
.LBB6_129:
	s_mov_b64 s[22:23], 0
.LBB6_130:
	s_andn2_b64 vcc, exec, s[22:23]
	s_cbranch_vccnz .LBB6_139
; %bb.131:
	s_cmp_lt_i32 s26, 6
	s_mov_b64 s[22:23], -1
	s_cbranch_scc1 .LBB6_137
; %bb.132:
	s_cmp_gt_i32 s26, 6
	s_cbranch_scc0 .LBB6_134
; %bb.133:
	v_cndmask_b32_e64 v2, 0, 1, s[16:17]
	v_cvt_f64_u32_e32 v[2:3], v2
	s_mov_b64 s[22:23], 0
	global_store_dwordx2 v[0:1], v[2:3], off
.LBB6_134:
	s_andn2_b64 vcc, exec, s[22:23]
	s_cbranch_vccnz .LBB6_136
; %bb.135:
	v_cndmask_b32_e64 v2, 0, 1.0, s[16:17]
	global_store_dword v[0:1], v2, off
.LBB6_136:
	s_mov_b64 s[22:23], 0
.LBB6_137:
	s_andn2_b64 vcc, exec, s[22:23]
	s_cbranch_vccnz .LBB6_139
; %bb.138:
	v_cndmask_b32_e64 v2, 0, 1.0, s[16:17]
	v_cvt_f16_f32_e32 v2, v2
	global_store_short v[0:1], v2, off
.LBB6_139:
	s_mov_b64 s[22:23], 0
.LBB6_140:
	s_andn2_b64 vcc, exec, s[22:23]
	s_cbranch_vccnz .LBB6_156
; %bb.141:
	s_cmp_lt_i32 s26, 2
	s_mov_b64 s[22:23], -1
	s_cbranch_scc1 .LBB6_151
; %bb.142:
	s_cmp_lt_i32 s26, 3
	s_cbranch_scc1 .LBB6_148
; %bb.143:
	s_cmp_gt_i32 s26, 3
	s_cbranch_scc0 .LBB6_145
; %bb.144:
	s_mov_b32 s22, 0
	v_cndmask_b32_e64 v2, 0, 1, s[16:17]
	v_mov_b32_e32 v3, s22
	global_store_dwordx2 v[0:1], v[2:3], off
	s_mov_b64 s[22:23], 0
.LBB6_145:
	s_andn2_b64 vcc, exec, s[22:23]
	s_cbranch_vccnz .LBB6_147
; %bb.146:
	v_cndmask_b32_e64 v2, 0, 1, s[16:17]
	global_store_dword v[0:1], v2, off
.LBB6_147:
	s_mov_b64 s[22:23], 0
.LBB6_148:
	s_andn2_b64 vcc, exec, s[22:23]
	s_cbranch_vccnz .LBB6_150
; %bb.149:
	v_cndmask_b32_e64 v2, 0, 1, s[16:17]
	global_store_short v[0:1], v2, off
.LBB6_150:
	s_mov_b64 s[22:23], 0
.LBB6_151:
	s_andn2_b64 vcc, exec, s[22:23]
	s_cbranch_vccnz .LBB6_156
; %bb.152:
	s_mov_b64 s[22:23], -1
	s_cmp_gt_i32 s26, 0
	v_cndmask_b32_e64 v2, 0, 1, s[16:17]
	s_cbranch_scc0 .LBB6_154
; %bb.153:
	global_store_byte v[0:1], v2, off
	s_mov_b64 s[22:23], 0
.LBB6_154:
	s_andn2_b64 vcc, exec, s[22:23]
	s_cbranch_vccnz .LBB6_156
; %bb.155:
	global_store_byte v[0:1], v2, off
.LBB6_156:
	s_branch .LBB6_39
.LBB6_157:
	s_mov_b64 s[22:23], 0
                                        ; implicit-def: $vgpr4
	s_branch .LBB6_263
.LBB6_158:
	s_mov_b64 s[18:19], -1
                                        ; implicit-def: $vgpr2
.LBB6_159:
	s_mov_b64 s[16:17], 0
.LBB6_160:
	s_and_b64 vcc, exec, s[16:17]
	s_cbranch_vccz .LBB6_164
; %bb.161:
	s_cmp_eq_u32 s22, 29
	s_cbranch_scc0 .LBB6_163
; %bb.162:
	global_load_dwordx2 v[2:3], v[0:1], off
	s_mov_b64 s[0:1], -1
	s_mov_b64 s[18:19], 0
	s_branch .LBB6_164
.LBB6_163:
	s_mov_b64 s[18:19], -1
                                        ; implicit-def: $vgpr2
.LBB6_164:
	s_mov_b64 s[16:17], 0
.LBB6_165:
	s_and_b64 vcc, exec, s[16:17]
	s_cbranch_vccz .LBB6_181
; %bb.166:
	s_cmp_lt_i32 s22, 27
	s_cbranch_scc1 .LBB6_169
; %bb.167:
	s_cmp_gt_i32 s22, 27
	s_cbranch_scc0 .LBB6_170
; %bb.168:
	global_load_dword v2, v[0:1], off
	s_mov_b64 s[0:1], 0
	s_branch .LBB6_171
.LBB6_169:
	s_mov_b64 s[0:1], -1
                                        ; implicit-def: $vgpr2
	s_branch .LBB6_174
.LBB6_170:
	s_mov_b64 s[0:1], -1
                                        ; implicit-def: $vgpr2
.LBB6_171:
	s_andn2_b64 vcc, exec, s[0:1]
	s_cbranch_vccnz .LBB6_173
; %bb.172:
	global_load_ushort v2, v[0:1], off
.LBB6_173:
	s_mov_b64 s[0:1], 0
.LBB6_174:
	s_andn2_b64 vcc, exec, s[0:1]
	s_cbranch_vccnz .LBB6_180
; %bb.175:
	global_load_ubyte v3, v[0:1], off
	s_movk_i32 s0, 0x7f
	s_mov_b64 s[16:17], 0
	s_waitcnt vmcnt(0)
	v_cmp_lt_i16_e32 vcc, s0, v3
	s_and_saveexec_b64 s[0:1], vcc
	s_xor_b64 s[0:1], exec, s[0:1]
	s_cbranch_execz .LBB6_191
; %bb.176:
	s_movk_i32 s16, 0x80
	v_cmp_ne_u16_e32 vcc, s16, v3
	s_and_b64 s[16:17], vcc, exec
	s_andn2_saveexec_b64 s[0:1], s[0:1]
	s_cbranch_execnz .LBB6_192
.LBB6_177:
	s_or_b64 exec, exec, s[0:1]
	v_mov_b32_e32 v2, 0
	s_and_saveexec_b64 s[0:1], s[16:17]
	s_cbranch_execz .LBB6_179
.LBB6_178:
	v_lshlrev_b32_e32 v2, 24, v3
	v_and_b32_e32 v3, 0xffff, v3
	v_and_b32_e32 v5, 7, v3
	v_ffbh_u32_e32 v7, v5
	v_min_u32_e32 v7, 32, v7
	v_subrev_u32_e32 v8, 28, v7
	v_bfe_u32 v6, v3, 3, 4
	v_lshlrev_b32_e32 v3, v8, v3
	v_sub_u32_e32 v7, 29, v7
	v_and_b32_e32 v3, 7, v3
	v_cmp_eq_u32_e32 vcc, 0, v6
	v_cndmask_b32_e32 v6, v6, v7, vcc
	v_cndmask_b32_e32 v3, v5, v3, vcc
	v_mov_b32_e32 v5, 0x3b800000
	v_lshlrev_b32_e32 v3, 20, v3
	v_and_b32_e32 v2, 0x80000000, v2
	v_lshl_add_u32 v5, v6, 23, v5
	v_or3_b32 v2, v2, v5, v3
	v_trunc_f32_e32 v2, v2
	s_mov_b32 s16, 0x2f800000
	v_mul_f32_e64 v3, |v2|, s16
	v_floor_f32_e32 v3, v3
	s_mov_b32 s16, 0xcf800000
	v_fma_f32 v3, v3, s16, |v2|
	v_cvt_u32_f32_e32 v3, v3
	v_ashrrev_i32_e32 v2, 31, v2
	v_xor_b32_e32 v3, v3, v2
	v_sub_u32_e32 v2, v3, v2
.LBB6_179:
	s_or_b64 exec, exec, s[0:1]
.LBB6_180:
	s_mov_b64 s[0:1], -1
.LBB6_181:
	s_branch .LBB6_214
.LBB6_182:
	s_cmp_gt_i32 s22, 22
	s_cbranch_scc0 .LBB6_190
; %bb.183:
	s_cmp_lt_i32 s22, 24
	s_cbranch_scc1 .LBB6_193
; %bb.184:
	s_cmp_gt_i32 s22, 24
	s_cbranch_scc0 .LBB6_194
; %bb.185:
	global_load_ubyte v3, v[0:1], off
	s_movk_i32 s0, 0x7f
	s_mov_b64 s[16:17], 0
	s_waitcnt vmcnt(0)
	v_cmp_lt_i16_e32 vcc, s0, v3
	s_and_saveexec_b64 s[0:1], vcc
	s_xor_b64 s[0:1], exec, s[0:1]
	s_cbranch_execz .LBB6_206
; %bb.186:
	s_movk_i32 s16, 0x80
	v_cmp_ne_u16_e32 vcc, s16, v3
	s_and_b64 s[16:17], vcc, exec
	s_andn2_saveexec_b64 s[0:1], s[0:1]
	s_cbranch_execnz .LBB6_207
.LBB6_187:
	s_or_b64 exec, exec, s[0:1]
	v_mov_b32_e32 v2, 0
	s_and_saveexec_b64 s[0:1], s[16:17]
	s_cbranch_execz .LBB6_189
.LBB6_188:
	v_lshlrev_b32_e32 v2, 24, v3
	v_and_b32_e32 v3, 0xffff, v3
	v_and_b32_e32 v5, 3, v3
	v_ffbh_u32_e32 v7, v5
	v_min_u32_e32 v7, 32, v7
	v_subrev_u32_e32 v8, 29, v7
	v_bfe_u32 v6, v3, 2, 5
	v_lshlrev_b32_e32 v3, v8, v3
	v_sub_u32_e32 v7, 30, v7
	v_and_b32_e32 v3, 3, v3
	v_cmp_eq_u32_e32 vcc, 0, v6
	v_cndmask_b32_e32 v6, v6, v7, vcc
	v_cndmask_b32_e32 v3, v5, v3, vcc
	v_mov_b32_e32 v5, 0x37800000
	v_lshlrev_b32_e32 v3, 21, v3
	v_and_b32_e32 v2, 0x80000000, v2
	v_lshl_add_u32 v5, v6, 23, v5
	v_or3_b32 v2, v2, v5, v3
	v_trunc_f32_e32 v2, v2
	s_mov_b32 s16, 0x2f800000
	v_mul_f32_e64 v3, |v2|, s16
	v_floor_f32_e32 v3, v3
	s_mov_b32 s16, 0xcf800000
	v_fma_f32 v3, v3, s16, |v2|
	v_cvt_u32_f32_e32 v3, v3
	v_ashrrev_i32_e32 v2, 31, v2
	v_xor_b32_e32 v3, v3, v2
	v_sub_u32_e32 v2, v3, v2
.LBB6_189:
	s_or_b64 exec, exec, s[0:1]
	s_mov_b64 s[0:1], 0
	s_branch .LBB6_195
.LBB6_190:
	s_mov_b64 s[16:17], -1
                                        ; implicit-def: $vgpr2
	s_branch .LBB6_201
.LBB6_191:
	s_andn2_saveexec_b64 s[0:1], s[0:1]
	s_cbranch_execz .LBB6_177
.LBB6_192:
	v_cmp_ne_u16_e32 vcc, 0, v3
	s_andn2_b64 s[16:17], s[16:17], exec
	s_and_b64 s[26:27], vcc, exec
	s_or_b64 s[16:17], s[16:17], s[26:27]
	s_or_b64 exec, exec, s[0:1]
	v_mov_b32_e32 v2, 0
	s_and_saveexec_b64 s[0:1], s[16:17]
	s_cbranch_execnz .LBB6_178
	s_branch .LBB6_179
.LBB6_193:
	s_mov_b64 s[0:1], -1
                                        ; implicit-def: $vgpr2
	s_branch .LBB6_198
.LBB6_194:
	s_mov_b64 s[0:1], -1
                                        ; implicit-def: $vgpr2
.LBB6_195:
	s_and_b64 vcc, exec, s[0:1]
	s_cbranch_vccz .LBB6_197
; %bb.196:
	global_load_ubyte v2, v[0:1], off
	s_mov_b32 s0, 0x7f800000
	s_brev_b32 s1, 1
	s_mov_b32 s16, 0x2f800000
	s_waitcnt vmcnt(0)
	v_lshlrev_b32_e32 v2, 24, v2
	v_and_b32_e32 v3, 0x7f000000, v2
	v_ffbh_u32_e32 v5, v3
	v_min_u32_e32 v5, 32, v5
	v_sub_u32_e64 v5, v5, 4 clamp
	v_lshlrev_b32_e32 v7, v5, v3
	v_lshlrev_b32_e32 v5, 23, v5
	v_lshrrev_b32_e32 v7, 4, v7
	v_add_u32_e32 v6, 0x1000000, v3
	v_sub_u32_e32 v5, v7, v5
	v_ashrrev_i32_e32 v6, 8, v6
	v_add_u32_e32 v5, 0x3c000000, v5
	v_and_or_b32 v5, v6, s0, v5
	v_cmp_ne_u32_e32 vcc, 0, v3
	v_cndmask_b32_e32 v3, 0, v5, vcc
	v_and_or_b32 v2, v2, s1, v3
	v_trunc_f32_e32 v2, v2
	v_mul_f32_e64 v3, |v2|, s16
	v_floor_f32_e32 v3, v3
	s_mov_b32 s0, 0xcf800000
	v_fma_f32 v3, v3, s0, |v2|
	v_cvt_u32_f32_e32 v3, v3
	v_ashrrev_i32_e32 v2, 31, v2
	v_xor_b32_e32 v3, v3, v2
	v_sub_u32_e32 v2, v3, v2
.LBB6_197:
	s_mov_b64 s[0:1], 0
.LBB6_198:
	s_andn2_b64 vcc, exec, s[0:1]
	s_cbranch_vccnz .LBB6_200
; %bb.199:
	global_load_ubyte v2, v[0:1], off
	s_movk_i32 s0, 0x7f00
	s_brev_b32 s1, 16
	s_brev_b32 s16, 1
	s_mov_b32 s17, 0x2f800000
	s_waitcnt vmcnt(0)
	v_lshlrev_b16_e32 v3, 8, v2
	v_lshlrev_b32_e32 v2, 25, v2
	v_lshrrev_b32_e32 v5, 4, v2
	v_and_or_b32 v6, v3, s0, 0.5
	v_or_b32_e32 v5, 0x70000000, v5
	v_add_f32_e32 v6, -0.5, v6
	v_mul_f32_e32 v5, 0x7800000, v5
	v_cmp_gt_u32_e32 vcc, s1, v2
	v_bfe_i32 v3, v3, 0, 16
	v_cndmask_b32_e32 v2, v5, v6, vcc
	v_and_or_b32 v2, v3, s16, v2
	v_trunc_f32_e32 v2, v2
	v_mul_f32_e64 v3, |v2|, s17
	v_floor_f32_e32 v3, v3
	s_mov_b32 s0, 0xcf800000
	v_fma_f32 v3, v3, s0, |v2|
	v_cvt_u32_f32_e32 v3, v3
	v_ashrrev_i32_e32 v2, 31, v2
	v_xor_b32_e32 v3, v3, v2
	v_sub_u32_e32 v2, v3, v2
.LBB6_200:
	s_mov_b64 s[16:17], 0
	s_mov_b64 s[0:1], -1
.LBB6_201:
	s_andn2_b64 vcc, exec, s[16:17]
	s_cbranch_vccnz .LBB6_214
; %bb.202:
	s_cmp_gt_i32 s22, 14
	s_cbranch_scc0 .LBB6_205
; %bb.203:
	s_cmp_eq_u32 s22, 15
	s_cbranch_scc0 .LBB6_208
; %bb.204:
	global_load_ushort v2, v[0:1], off
	s_mov_b32 s0, 0x2f800000
	s_mov_b32 s1, 0xcf800000
	s_mov_b64 s[18:19], 0
	s_waitcnt vmcnt(0)
	v_lshlrev_b32_e32 v2, 16, v2
	v_trunc_f32_e32 v2, v2
	v_mul_f32_e64 v3, |v2|, s0
	v_floor_f32_e32 v3, v3
	v_fma_f32 v3, v3, s1, |v2|
	v_cvt_u32_f32_e32 v3, v3
	v_ashrrev_i32_e32 v2, 31, v2
	s_mov_b64 s[0:1], -1
	v_xor_b32_e32 v3, v3, v2
	v_sub_u32_e32 v2, v3, v2
	s_branch .LBB6_209
.LBB6_205:
	s_mov_b64 s[16:17], -1
                                        ; implicit-def: $vgpr2
	s_branch .LBB6_210
.LBB6_206:
	s_andn2_saveexec_b64 s[0:1], s[0:1]
	s_cbranch_execz .LBB6_187
.LBB6_207:
	v_cmp_ne_u16_e32 vcc, 0, v3
	s_andn2_b64 s[16:17], s[16:17], exec
	s_and_b64 s[26:27], vcc, exec
	s_or_b64 s[16:17], s[16:17], s[26:27]
	s_or_b64 exec, exec, s[0:1]
	v_mov_b32_e32 v2, 0
	s_and_saveexec_b64 s[0:1], s[16:17]
	s_cbranch_execnz .LBB6_188
	s_branch .LBB6_189
.LBB6_208:
	s_mov_b64 s[18:19], -1
                                        ; implicit-def: $vgpr2
.LBB6_209:
	s_mov_b64 s[16:17], 0
.LBB6_210:
	s_and_b64 vcc, exec, s[16:17]
	s_cbranch_vccz .LBB6_214
; %bb.211:
	s_cmp_eq_u32 s22, 11
	s_cbranch_scc0 .LBB6_213
; %bb.212:
	global_load_ubyte v2, v[0:1], off
	s_mov_b64 s[0:1], -1
	s_mov_b64 s[18:19], 0
	s_waitcnt vmcnt(0)
	v_cmp_ne_u16_e32 vcc, 0, v2
	v_cndmask_b32_e64 v2, 0, 1, vcc
	s_branch .LBB6_214
.LBB6_213:
	s_mov_b64 s[18:19], -1
                                        ; implicit-def: $vgpr2
.LBB6_214:
	s_branch .LBB6_10
.LBB6_215:
	s_cmp_lt_i32 s22, 5
	s_cbranch_scc1 .LBB6_220
; %bb.216:
	s_cmp_lt_i32 s22, 8
	s_cbranch_scc1 .LBB6_221
; %bb.217:
	;; [unrolled: 3-line block ×3, first 2 shown]
	s_cmp_gt_i32 s22, 9
	s_cbranch_scc0 .LBB6_223
; %bb.219:
	global_load_dwordx2 v[2:3], v[0:1], off
	s_movk_i32 s0, 0xffe0
	s_waitcnt vmcnt(0)
	v_trunc_f64_e32 v[2:3], v[2:3]
	v_ldexp_f64 v[5:6], v[2:3], s0
	s_mov_b32 s0, 0
	s_mov_b32 s1, 0xc1f00000
	v_floor_f64_e32 v[5:6], v[5:6]
	v_fma_f64 v[2:3], v[5:6], s[0:1], v[2:3]
	s_mov_b64 s[0:1], 0
	v_cvt_u32_f64_e32 v2, v[2:3]
	s_branch .LBB6_224
.LBB6_220:
                                        ; implicit-def: $vgpr2
	s_branch .LBB6_242
.LBB6_221:
	s_mov_b64 s[0:1], -1
                                        ; implicit-def: $vgpr2
	s_branch .LBB6_230
.LBB6_222:
	s_mov_b64 s[0:1], -1
                                        ; implicit-def: $vgpr2
	s_branch .LBB6_227
.LBB6_223:
	s_mov_b64 s[0:1], -1
                                        ; implicit-def: $vgpr2
.LBB6_224:
	s_andn2_b64 vcc, exec, s[0:1]
	s_cbranch_vccnz .LBB6_226
; %bb.225:
	global_load_dword v2, v[0:1], off
	s_mov_b32 s0, 0x2f800000
	s_waitcnt vmcnt(0)
	v_trunc_f32_e32 v2, v2
	v_mul_f32_e64 v3, |v2|, s0
	v_floor_f32_e32 v3, v3
	s_mov_b32 s0, 0xcf800000
	v_fma_f32 v3, v3, s0, |v2|
	v_cvt_u32_f32_e32 v3, v3
	v_ashrrev_i32_e32 v2, 31, v2
	v_xor_b32_e32 v3, v3, v2
	v_sub_u32_e32 v2, v3, v2
.LBB6_226:
	s_mov_b64 s[0:1], 0
.LBB6_227:
	s_andn2_b64 vcc, exec, s[0:1]
	s_cbranch_vccnz .LBB6_229
; %bb.228:
	global_load_dword v2, v[0:1], off
	s_waitcnt vmcnt(0)
	v_cvt_f32_f16_e32 v2, v2
	v_cvt_i32_f32_e32 v2, v2
.LBB6_229:
	s_mov_b64 s[0:1], 0
.LBB6_230:
	s_andn2_b64 vcc, exec, s[0:1]
	s_cbranch_vccnz .LBB6_241
; %bb.231:
	s_cmp_lt_i32 s22, 6
	s_cbranch_scc1 .LBB6_234
; %bb.232:
	s_cmp_gt_i32 s22, 6
	s_cbranch_scc0 .LBB6_235
; %bb.233:
	global_load_dwordx2 v[2:3], v[0:1], off
	s_movk_i32 s0, 0xffe0
	s_waitcnt vmcnt(0)
	v_trunc_f64_e32 v[2:3], v[2:3]
	v_ldexp_f64 v[5:6], v[2:3], s0
	s_mov_b32 s0, 0
	s_mov_b32 s1, 0xc1f00000
	v_floor_f64_e32 v[5:6], v[5:6]
	v_fma_f64 v[2:3], v[5:6], s[0:1], v[2:3]
	s_mov_b64 s[0:1], 0
	v_cvt_u32_f64_e32 v2, v[2:3]
	s_branch .LBB6_236
.LBB6_234:
	s_mov_b64 s[0:1], -1
                                        ; implicit-def: $vgpr2
	s_branch .LBB6_239
.LBB6_235:
	s_mov_b64 s[0:1], -1
                                        ; implicit-def: $vgpr2
.LBB6_236:
	s_andn2_b64 vcc, exec, s[0:1]
	s_cbranch_vccnz .LBB6_238
; %bb.237:
	global_load_dword v2, v[0:1], off
	s_mov_b32 s0, 0x2f800000
	s_waitcnt vmcnt(0)
	v_trunc_f32_e32 v2, v2
	v_mul_f32_e64 v3, |v2|, s0
	v_floor_f32_e32 v3, v3
	s_mov_b32 s0, 0xcf800000
	v_fma_f32 v3, v3, s0, |v2|
	v_cvt_u32_f32_e32 v3, v3
	v_ashrrev_i32_e32 v2, 31, v2
	v_xor_b32_e32 v3, v3, v2
	v_sub_u32_e32 v2, v3, v2
.LBB6_238:
	s_mov_b64 s[0:1], 0
.LBB6_239:
	s_andn2_b64 vcc, exec, s[0:1]
	s_cbranch_vccnz .LBB6_241
; %bb.240:
	global_load_ushort v2, v[0:1], off
	s_waitcnt vmcnt(0)
	v_cvt_f32_f16_e32 v2, v2
	v_cvt_i32_f32_e32 v2, v2
.LBB6_241:
	s_cbranch_execnz .LBB6_261
.LBB6_242:
	s_cmp_lt_i32 s22, 2
	s_cbranch_scc1 .LBB6_246
; %bb.243:
	s_cmp_lt_i32 s22, 3
	s_cbranch_scc1 .LBB6_247
; %bb.244:
	s_cmp_gt_i32 s22, 3
	s_cbranch_scc0 .LBB6_248
; %bb.245:
	global_load_dwordx2 v[2:3], v[0:1], off
	s_mov_b64 s[0:1], 0
	s_branch .LBB6_249
.LBB6_246:
	s_mov_b64 s[0:1], -1
                                        ; implicit-def: $vgpr2
	s_branch .LBB6_255
.LBB6_247:
	s_mov_b64 s[0:1], -1
                                        ; implicit-def: $vgpr2
	s_branch .LBB6_252
.LBB6_248:
	s_mov_b64 s[0:1], -1
                                        ; implicit-def: $vgpr2
.LBB6_249:
	s_andn2_b64 vcc, exec, s[0:1]
	s_cbranch_vccnz .LBB6_251
; %bb.250:
	global_load_dword v2, v[0:1], off
.LBB6_251:
	s_mov_b64 s[0:1], 0
.LBB6_252:
	s_andn2_b64 vcc, exec, s[0:1]
	s_cbranch_vccnz .LBB6_254
; %bb.253:
	global_load_ushort v2, v[0:1], off
.LBB6_254:
	s_mov_b64 s[0:1], 0
.LBB6_255:
	s_andn2_b64 vcc, exec, s[0:1]
	s_cbranch_vccnz .LBB6_261
; %bb.256:
	s_cmp_gt_i32 s22, 0
	s_cbranch_scc0 .LBB6_258
; %bb.257:
	global_load_ubyte v2, v[0:1], off
	s_mov_b64 s[0:1], 0
	s_branch .LBB6_259
.LBB6_258:
	s_mov_b64 s[0:1], -1
                                        ; implicit-def: $vgpr2
.LBB6_259:
	s_andn2_b64 vcc, exec, s[0:1]
	s_cbranch_vccnz .LBB6_261
; %bb.260:
	global_load_ubyte v2, v[0:1], off
.LBB6_261:
	s_branch .LBB6_11
.LBB6_262:
	s_mov_b64 s[0:1], 0
                                        ; implicit-def: $vgpr4
	s_mov_b64 s[22:23], 0
.LBB6_263:
	s_and_b64 s[16:17], s[0:1], exec
	s_and_b64 s[18:19], s[18:19], exec
	s_orn2_b64 s[22:23], s[22:23], exec
.LBB6_264:
	s_or_b64 exec, exec, s[20:21]
	s_mov_b64 s[26:27], 0
	s_mov_b64 s[0:1], 0
                                        ; implicit-def: $vgpr0_vgpr1
                                        ; implicit-def: $vgpr2
	s_and_saveexec_b64 s[20:21], s[22:23]
	s_cbranch_execz .LBB6_273
; %bb.265:
	v_cmp_gt_i32_e32 vcc, s33, v4
	s_mov_b64 s[0:1], -1
	s_mov_b64 s[22:23], s[18:19]
	s_mov_b64 s[24:25], s[16:17]
	s_and_saveexec_b64 s[26:27], vcc
	s_cbranch_execz .LBB6_537
; %bb.266:
	v_mul_lo_u32 v0, v4, s13
	v_mov_b32_e32 v1, s11
	s_and_b32 s28, 0xffff, s15
	s_cmp_lt_i32 s28, 11
	s_waitcnt vmcnt(0)
	v_ashrrev_i32_e32 v2, 31, v0
	v_add_co_u32_e32 v0, vcc, s10, v0
	v_addc_co_u32_e32 v1, vcc, v1, v2, vcc
	s_cbranch_scc1 .LBB6_276
; %bb.267:
	s_cmp_gt_i32 s28, 25
	s_cbranch_scc0 .LBB6_282
; %bb.268:
	s_cmp_gt_i32 s28, 28
	s_cbranch_scc0 .LBB6_286
	;; [unrolled: 3-line block ×4, first 2 shown]
; %bb.271:
	s_cmp_eq_u32 s28, 46
	s_mov_b64 s[24:25], 0
	s_cbranch_scc0 .LBB6_313
; %bb.272:
	global_load_dword v2, v[0:1], off
	s_mov_b32 s0, 0x2f800000
	s_mov_b32 s1, 0xcf800000
	s_mov_b64 s[22:23], 0
	s_waitcnt vmcnt(0)
	v_lshlrev_b32_e32 v2, 16, v2
	v_trunc_f32_e32 v2, v2
	v_mul_f32_e64 v3, |v2|, s0
	v_floor_f32_e32 v3, v3
	v_fma_f32 v3, v3, s1, |v2|
	v_cvt_u32_f32_e32 v3, v3
	v_ashrrev_i32_e32 v2, 31, v2
	s_mov_b64 s[0:1], -1
	v_xor_b32_e32 v3, v3, v2
	v_sub_u32_e32 v2, v3, v2
	s_branch .LBB6_314
.LBB6_273:
	s_or_b64 exec, exec, s[20:21]
	s_mov_b64 s[20:21], 0
	s_and_saveexec_b64 s[22:23], s[18:19]
	s_cbranch_execnz .LBB6_892
.LBB6_274:
	s_or_b64 exec, exec, s[22:23]
	s_and_saveexec_b64 s[18:19], s[24:25]
	s_xor_b64 s[18:19], exec, s[18:19]
	s_cbranch_execz .LBB6_893
.LBB6_275:
	global_load_ubyte v2, v[0:1], off
	s_or_b64 s[0:1], s[0:1], exec
	s_waitcnt vmcnt(0)
	v_cmp_ne_u16_e32 vcc, 0, v2
	v_cndmask_b32_e64 v2, 0, 1, vcc
	s_or_b64 exec, exec, s[18:19]
	s_and_saveexec_b64 s[18:19], s[26:27]
	s_cbranch_execz .LBB6_939
	s_branch .LBB6_894
.LBB6_276:
	s_mov_b64 s[0:1], 0
                                        ; implicit-def: $vgpr2
	s_mov_b64 s[22:23], s[18:19]
	s_cbranch_execnz .LBB6_487
.LBB6_277:
	s_andn2_b64 vcc, exec, s[0:1]
	s_cbranch_vccnz .LBB6_535
.LBB6_278:
	s_cmp_lt_i32 s14, 1
	s_mov_b64 s[0:1], 0
	s_cbranch_scc1 .LBB6_283
; %bb.279:
	s_cmp_gt_i32 s14, 1
	s_cbranch_scc0 .LBB6_287
; %bb.280:
	s_cmp_eq_u32 s14, 2
	s_cbranch_scc0 .LBB6_289
; %bb.281:
	s_and_b32 s24, s2, 0xff
	s_waitcnt vmcnt(0)
	v_cmp_le_u16_sdwa s[24:25], v2, s24 src0_sel:BYTE_0 src1_sel:DWORD
	s_mov_b64 s[28:29], 0
	s_branch .LBB6_290
.LBB6_282:
	s_mov_b64 s[24:25], -1
	s_mov_b64 s[0:1], 0
	s_mov_b64 s[22:23], s[18:19]
                                        ; implicit-def: $vgpr2
	s_branch .LBB6_453
.LBB6_283:
                                        ; implicit-def: $sgpr24_sgpr25
	s_mov_b64 s[28:29], 0
	s_cbranch_execnz .LBB6_294
.LBB6_284:
	s_andn2_b64 vcc, exec, s[28:29]
	s_cbranch_vccnz .LBB6_295
.LBB6_285:
	s_and_b32 s0, s2, 0xff
	s_waitcnt vmcnt(0)
	v_cmp_lt_u16_sdwa s[28:29], v2, s0 src0_sel:BYTE_0 src1_sel:DWORD
	s_andn2_b64 s[24:25], s[24:25], exec
	s_and_b64 s[28:29], s[28:29], exec
	s_or_b64 s[24:25], s[24:25], s[28:29]
	s_cbranch_execz .LBB6_296
	s_branch .LBB6_297
.LBB6_286:
	s_mov_b64 s[24:25], -1
	s_mov_b64 s[0:1], 0
	s_mov_b64 s[22:23], s[18:19]
                                        ; implicit-def: $vgpr2
	s_branch .LBB6_436
.LBB6_287:
	s_mov_b64 s[30:31], -1
	s_mov_b64 s[28:29], 0
                                        ; implicit-def: $sgpr24_sgpr25
	s_branch .LBB6_291
.LBB6_288:
	s_mov_b64 s[24:25], -1
	s_mov_b64 s[0:1], 0
	s_mov_b64 s[22:23], s[18:19]
                                        ; implicit-def: $vgpr2
	s_branch .LBB6_431
.LBB6_289:
	s_mov_b64 s[28:29], -1
                                        ; implicit-def: $sgpr24_sgpr25
.LBB6_290:
	s_mov_b64 s[30:31], 0
.LBB6_291:
	s_and_b64 vcc, exec, s[30:31]
	s_cbranch_vccz .LBB6_293
; %bb.292:
	s_and_b32 s30, s2, 0xff
	s_waitcnt vmcnt(0)
	v_cmp_gt_u16_sdwa s[30:31], v2, s30 src0_sel:BYTE_0 src1_sel:DWORD
	s_andn2_b64 s[24:25], s[24:25], exec
	s_and_b64 s[30:31], s[30:31], exec
	s_or_b64 s[24:25], s[24:25], s[30:31]
.LBB6_293:
	s_branch .LBB6_284
.LBB6_294:
	s_cmp_lg_u32 s14, 0
	s_mov_b64 s[0:1], -1
	s_cselect_b64 s[28:29], -1, 0
	s_andn2_b64 vcc, exec, s[28:29]
	s_cbranch_vccz .LBB6_285
.LBB6_295:
	s_andn2_b64 vcc, exec, s[0:1]
	s_cbranch_vccnz .LBB6_297
.LBB6_296:
	s_and_b32 s0, s2, 0xff
	s_waitcnt vmcnt(0)
	v_cmp_ge_u16_sdwa s[0:1], v2, s0 src0_sel:BYTE_0 src1_sel:DWORD
	s_andn2_b64 s[24:25], s[24:25], exec
	s_and_b64 s[0:1], s[0:1], exec
	s_or_b64 s[24:25], s[24:25], s[0:1]
.LBB6_297:
	v_mul_lo_u32 v0, v4, s12
	v_mov_b32_e32 v1, s9
	s_and_b32 s36, s3, 0xff
	s_cmp_lt_i32 s36, 11
	s_waitcnt vmcnt(0)
	v_ashrrev_i32_e32 v2, 31, v0
	v_add_co_u32_e32 v0, vcc, s8, v0
	v_addc_co_u32_e32 v1, vcc, v1, v2, vcc
	s_cbranch_scc1 .LBB6_304
; %bb.298:
	s_and_b32 s37, 0xffff, s36
	s_cmp_gt_i32 s37, 25
	s_cbranch_scc0 .LBB6_305
; %bb.299:
	s_cmp_gt_i32 s37, 28
	s_cbranch_scc0 .LBB6_306
; %bb.300:
	s_cmp_gt_i32 s37, 43
	s_cbranch_scc0 .LBB6_310
; %bb.301:
	s_cmp_gt_i32 s37, 45
	s_cbranch_scc0 .LBB6_317
; %bb.302:
	s_mov_b64 s[30:31], 0
	s_mov_b64 s[0:1], -1
	s_cmp_eq_u32 s37, 46
	s_mov_b64 s[28:29], 0
	s_cbranch_scc0 .LBB6_318
; %bb.303:
	v_cndmask_b32_e64 v2, 0, 1.0, s[24:25]
	v_bfe_u32 v3, v2, 16, 1
	s_movk_i32 s0, 0x7fff
	v_add3_u32 v2, v2, v3, s0
	v_lshrrev_b32_e32 v2, 16, v2
	global_store_dword v[0:1], v2, off
	s_mov_b64 s[28:29], -1
	s_mov_b64 s[0:1], 0
	s_branch .LBB6_318
.LBB6_304:
	s_mov_b64 s[30:31], -1
	s_mov_b64 s[28:29], 0
	s_mov_b64 s[0:1], s[16:17]
	s_branch .LBB6_387
.LBB6_305:
	s_mov_b64 s[30:31], -1
	s_mov_b64 s[28:29], 0
	s_mov_b64 s[0:1], s[16:17]
	s_branch .LBB6_345
.LBB6_306:
	s_mov_b64 s[30:31], -1
	s_mov_b64 s[28:29], 0
	s_mov_b64 s[0:1], s[16:17]
	s_branch .LBB6_328
.LBB6_307:
	s_andn2_saveexec_b64 s[28:29], s[28:29]
	s_cbranch_execz .LBB6_71
.LBB6_308:
	v_add_f32_e32 v2, 0x46000000, v3
	v_and_b32_e32 v2, 0xff, v2
	v_cmp_ne_u32_e32 vcc, 0, v2
	s_andn2_b64 s[26:27], s[26:27], exec
	s_and_b64 s[34:35], vcc, exec
	s_or_b64 s[26:27], s[26:27], s[34:35]
	s_or_b64 exec, exec, s[28:29]
	v_mov_b32_e32 v5, 0
	s_and_saveexec_b64 s[28:29], s[26:27]
	s_cbranch_execnz .LBB6_72
	s_branch .LBB6_73
.LBB6_309:
	s_mov_b64 s[24:25], -1
	s_mov_b64 s[0:1], 0
	s_mov_b64 s[22:23], s[18:19]
                                        ; implicit-def: $vgpr2
	s_branch .LBB6_314
.LBB6_310:
	s_mov_b64 s[30:31], -1
	s_mov_b64 s[28:29], 0
	s_mov_b64 s[0:1], s[16:17]
	s_branch .LBB6_324
.LBB6_311:
	s_andn2_saveexec_b64 s[28:29], s[28:29]
	s_cbranch_execz .LBB6_84
.LBB6_312:
	v_add_f32_e32 v2, 0x42800000, v3
	v_and_b32_e32 v2, 0xff, v2
	v_cmp_ne_u32_e32 vcc, 0, v2
	s_andn2_b64 s[26:27], s[26:27], exec
	s_and_b64 s[34:35], vcc, exec
	s_or_b64 s[26:27], s[26:27], s[34:35]
	s_or_b64 exec, exec, s[28:29]
	v_mov_b32_e32 v5, 0
	s_and_saveexec_b64 s[28:29], s[26:27]
	s_cbranch_execnz .LBB6_85
	s_branch .LBB6_86
.LBB6_313:
	s_mov_b64 s[22:23], -1
                                        ; implicit-def: $vgpr2
	s_mov_b64 s[0:1], 0
.LBB6_314:
	s_and_b64 vcc, exec, s[24:25]
	s_cbranch_vccz .LBB6_430
; %bb.315:
	s_cmp_eq_u32 s28, 44
	s_cbranch_scc0 .LBB6_429
; %bb.316:
	global_load_ubyte v2, v[0:1], off
	s_mov_b32 s0, 0x2f800000
	s_mov_b32 s1, 0xcf800000
	s_mov_b64 s[22:23], 0
	s_waitcnt vmcnt(0)
	v_lshlrev_b32_e32 v3, 23, v2
	v_trunc_f32_e32 v3, v3
	v_mul_f32_e64 v5, |v3|, s0
	v_floor_f32_e32 v5, v5
	v_fma_f32 v5, v5, s1, |v3|
	v_cvt_u32_f32_e32 v5, v5
	v_ashrrev_i32_e32 v3, 31, v3
	v_cmp_ne_u32_e32 vcc, 0, v2
	s_mov_b64 s[0:1], -1
	v_xor_b32_e32 v5, v5, v3
	v_sub_u32_e32 v3, v5, v3
	v_cndmask_b32_e32 v2, 0, v3, vcc
	s_branch .LBB6_430
.LBB6_317:
	s_mov_b64 s[30:31], -1
	s_mov_b64 s[28:29], 0
	s_mov_b64 s[0:1], s[16:17]
.LBB6_318:
	s_and_b64 vcc, exec, s[30:31]
	s_cbranch_vccz .LBB6_323
; %bb.319:
	s_cmp_eq_u32 s37, 44
	s_mov_b64 s[0:1], -1
	s_cbranch_scc0 .LBB6_323
; %bb.320:
	v_cndmask_b32_e64 v3, 0, 1.0, s[24:25]
	v_lshrrev_b32_e32 v2, 23, v3
	s_movk_i32 s0, 0xff
	v_cmp_ne_u32_e32 vcc, s0, v2
	v_mov_b32_e32 v5, 0xff
	s_and_saveexec_b64 s[28:29], vcc
; %bb.321:
	s_mov_b32 s0, 0x3fffff
	v_and_b32_e32 v5, 0x400000, v3
	v_and_or_b32 v3, v3, s0, v2
	v_cmp_ne_u32_e32 vcc, 0, v5
	v_cmp_ne_u32_e64 s[0:1], 0, v3
	s_and_b64 s[0:1], vcc, s[0:1]
	v_cndmask_b32_e64 v3, 0, 1, s[0:1]
	v_add_u32_e32 v5, v2, v3
; %bb.322:
	s_or_b64 exec, exec, s[28:29]
	s_mov_b64 s[28:29], -1
	s_mov_b64 s[0:1], 0
	global_store_byte v[0:1], v5, off
.LBB6_323:
	s_mov_b64 s[30:31], 0
.LBB6_324:
	s_and_b64 vcc, exec, s[30:31]
	s_cbranch_vccz .LBB6_327
; %bb.325:
	s_cmp_eq_u32 s37, 29
	s_mov_b64 s[0:1], -1
	s_cbranch_scc0 .LBB6_327
; %bb.326:
	s_mov_b32 s0, 0
	v_cndmask_b32_e64 v2, 0, 1, s[24:25]
	v_mov_b32_e32 v3, s0
	global_store_dwordx2 v[0:1], v[2:3], off
	s_mov_b64 s[28:29], -1
	s_mov_b64 s[0:1], 0
.LBB6_327:
	s_mov_b64 s[30:31], 0
.LBB6_328:
	s_and_b64 vcc, exec, s[30:31]
	s_cbranch_vccz .LBB6_344
; %bb.329:
	s_cmp_lt_i32 s37, 27
	s_mov_b64 s[28:29], -1
	s_cbranch_scc1 .LBB6_335
; %bb.330:
	s_cmp_gt_i32 s37, 27
	s_cbranch_scc0 .LBB6_332
; %bb.331:
	v_cndmask_b32_e64 v2, 0, 1, s[24:25]
	s_mov_b64 s[28:29], 0
	global_store_dword v[0:1], v2, off
.LBB6_332:
	s_andn2_b64 vcc, exec, s[28:29]
	s_cbranch_vccnz .LBB6_334
; %bb.333:
	v_cndmask_b32_e64 v2, 0, 1, s[24:25]
	global_store_short v[0:1], v2, off
.LBB6_334:
	s_mov_b64 s[28:29], 0
.LBB6_335:
	s_andn2_b64 vcc, exec, s[28:29]
	s_cbranch_vccnz .LBB6_343
; %bb.336:
	v_cndmask_b32_e64 v3, 0, 1.0, s[24:25]
	s_mov_b32 s28, 0x43800000
	v_cmp_gt_u32_e32 vcc, s28, v3
	v_mov_b32_e32 v5, 0x80
	s_and_saveexec_b64 s[28:29], vcc
	s_cbranch_execz .LBB6_342
; %bb.337:
	s_mov_b32 s30, 0x3bffffff
	v_cmp_lt_u32_e32 vcc, s30, v3
	s_mov_b64 s[30:31], 0
                                        ; implicit-def: $vgpr2
	s_and_saveexec_b64 s[34:35], vcc
	s_xor_b64 s[34:35], exec, s[34:35]
	s_cbranch_execz .LBB6_550
; %bb.338:
	v_bfe_u32 v2, v3, 20, 1
	s_mov_b32 s38, 0x487ffff
	v_add3_u32 v2, v3, v2, s38
	s_mov_b64 s[30:31], exec
	v_lshrrev_b32_e32 v2, 20, v2
                                        ; implicit-def: $vgpr3
	s_andn2_saveexec_b64 s[34:35], s[34:35]
	s_cbranch_execnz .LBB6_551
.LBB6_339:
	s_or_b64 exec, exec, s[34:35]
	v_mov_b32_e32 v5, 0
	s_and_saveexec_b64 s[34:35], s[30:31]
.LBB6_340:
	v_mov_b32_e32 v5, v2
.LBB6_341:
	s_or_b64 exec, exec, s[34:35]
.LBB6_342:
	s_or_b64 exec, exec, s[28:29]
	global_store_byte v[0:1], v5, off
.LBB6_343:
	s_mov_b64 s[28:29], -1
.LBB6_344:
	s_mov_b64 s[30:31], 0
.LBB6_345:
	s_and_b64 vcc, exec, s[30:31]
	s_cbranch_vccz .LBB6_386
; %bb.346:
	s_cmp_gt_i32 s37, 22
	s_mov_b64 s[30:31], -1
	s_cbranch_scc0 .LBB6_378
; %bb.347:
	s_cmp_lt_i32 s37, 24
	s_mov_b64 s[28:29], -1
	s_cbranch_scc1 .LBB6_367
; %bb.348:
	s_cmp_gt_i32 s37, 24
	s_cbranch_scc0 .LBB6_356
; %bb.349:
	v_cndmask_b32_e64 v3, 0, 1.0, s[24:25]
	s_mov_b32 s28, 0x47800000
	v_cmp_gt_u32_e32 vcc, s28, v3
	v_mov_b32_e32 v5, 0x80
	s_and_saveexec_b64 s[28:29], vcc
	s_cbranch_execz .LBB6_355
; %bb.350:
	s_mov_b32 s30, 0x37ffffff
	v_cmp_lt_u32_e32 vcc, s30, v3
	s_mov_b64 s[30:31], 0
                                        ; implicit-def: $vgpr2
	s_and_saveexec_b64 s[34:35], vcc
	s_xor_b64 s[34:35], exec, s[34:35]
	s_cbranch_execz .LBB6_553
; %bb.351:
	v_bfe_u32 v2, v3, 21, 1
	s_mov_b32 s38, 0x88fffff
	v_add3_u32 v2, v3, v2, s38
	s_mov_b64 s[30:31], exec
	v_lshrrev_b32_e32 v2, 21, v2
                                        ; implicit-def: $vgpr3
	s_andn2_saveexec_b64 s[34:35], s[34:35]
	s_cbranch_execnz .LBB6_554
.LBB6_352:
	s_or_b64 exec, exec, s[34:35]
	v_mov_b32_e32 v5, 0
	s_and_saveexec_b64 s[34:35], s[30:31]
.LBB6_353:
	v_mov_b32_e32 v5, v2
.LBB6_354:
	s_or_b64 exec, exec, s[34:35]
.LBB6_355:
	s_or_b64 exec, exec, s[28:29]
	s_mov_b64 s[28:29], 0
	global_store_byte v[0:1], v5, off
.LBB6_356:
	s_and_b64 vcc, exec, s[28:29]
	s_cbranch_vccz .LBB6_366
; %bb.357:
	v_cndmask_b32_e64 v2, 0, 1.0, s[24:25]
	s_mov_b32 s28, 0x43f00000
	v_cmp_gt_u32_e32 vcc, s28, v2
                                        ; implicit-def: $vgpr3
	s_and_saveexec_b64 s[28:29], vcc
	s_xor_b64 s[28:29], exec, s[28:29]
	s_cbranch_execz .LBB6_363
; %bb.358:
	s_mov_b32 s30, 0x3c7fffff
	v_cmp_lt_u32_e32 vcc, s30, v2
                                        ; implicit-def: $vgpr3
	s_and_saveexec_b64 s[30:31], vcc
	s_xor_b64 s[30:31], exec, s[30:31]
; %bb.359:
	v_bfe_u32 v3, v2, 20, 1
	s_mov_b32 s34, 0x407ffff
	v_add3_u32 v2, v2, v3, s34
	v_lshrrev_b32_e32 v3, 20, v2
	v_and_b32_e32 v2, 0xff00000, v2
	s_mov_b32 s34, 0x7f00000
	v_mov_b32_e32 v5, 0x7e
	v_cmp_ne_u32_e32 vcc, s34, v2
	v_cndmask_b32_e32 v3, v5, v3, vcc
                                        ; implicit-def: $vgpr2
; %bb.360:
	s_andn2_saveexec_b64 s[30:31], s[30:31]
; %bb.361:
	v_add_f32_e32 v3, 0x46800000, v2
; %bb.362:
	s_or_b64 exec, exec, s[30:31]
                                        ; implicit-def: $vgpr2
.LBB6_363:
	s_andn2_saveexec_b64 s[28:29], s[28:29]
; %bb.364:
	s_mov_b32 s30, 0x7f800000
	v_mov_b32_e32 v3, 0x7e
	v_mov_b32_e32 v5, 0x7f
	v_cmp_lt_u32_e32 vcc, s30, v2
	v_cndmask_b32_e32 v3, v3, v5, vcc
; %bb.365:
	s_or_b64 exec, exec, s[28:29]
	global_store_byte v[0:1], v3, off
.LBB6_366:
	s_mov_b64 s[28:29], 0
.LBB6_367:
	s_andn2_b64 vcc, exec, s[28:29]
	s_cbranch_vccnz .LBB6_377
; %bb.368:
	v_cndmask_b32_e64 v2, 0, 1.0, s[24:25]
	s_mov_b32 s28, 0x47800000
	v_cmp_gt_u32_e32 vcc, s28, v2
                                        ; implicit-def: $vgpr3
	s_and_saveexec_b64 s[28:29], vcc
	s_xor_b64 s[28:29], exec, s[28:29]
	s_cbranch_execz .LBB6_374
; %bb.369:
	s_mov_b32 s30, 0x387fffff
	v_cmp_lt_u32_e32 vcc, s30, v2
                                        ; implicit-def: $vgpr3
	s_and_saveexec_b64 s[30:31], vcc
	s_xor_b64 s[30:31], exec, s[30:31]
; %bb.370:
	v_bfe_u32 v3, v2, 21, 1
	s_mov_b32 s34, 0x80fffff
	v_add3_u32 v2, v2, v3, s34
	v_lshrrev_b32_e32 v3, 21, v2
                                        ; implicit-def: $vgpr2
; %bb.371:
	s_andn2_saveexec_b64 s[30:31], s[30:31]
; %bb.372:
	v_add_f32_e32 v3, 0x43000000, v2
; %bb.373:
	s_or_b64 exec, exec, s[30:31]
                                        ; implicit-def: $vgpr2
.LBB6_374:
	s_andn2_saveexec_b64 s[28:29], s[28:29]
; %bb.375:
	s_mov_b32 s30, 0x7f800000
	v_mov_b32_e32 v3, 0x7c
	v_mov_b32_e32 v5, 0x7f
	v_cmp_lt_u32_e32 vcc, s30, v2
	v_cndmask_b32_e32 v3, v3, v5, vcc
; %bb.376:
	s_or_b64 exec, exec, s[28:29]
	global_store_byte v[0:1], v3, off
.LBB6_377:
	s_mov_b64 s[30:31], 0
	s_mov_b64 s[28:29], -1
.LBB6_378:
	s_andn2_b64 vcc, exec, s[30:31]
	s_cbranch_vccnz .LBB6_386
; %bb.379:
	s_cmp_gt_i32 s37, 14
	s_mov_b64 s[30:31], -1
	s_cbranch_scc0 .LBB6_383
; %bb.380:
	s_cmp_eq_u32 s37, 15
	s_mov_b64 s[0:1], -1
	s_cbranch_scc0 .LBB6_382
; %bb.381:
	v_cndmask_b32_e64 v2, 0, 1.0, s[24:25]
	v_bfe_u32 v3, v2, 16, 1
	s_movk_i32 s0, 0x7fff
	v_add3_u32 v2, v2, v3, s0
	global_store_short_d16_hi v[0:1], v2, off
	s_mov_b64 s[28:29], -1
	s_mov_b64 s[0:1], 0
.LBB6_382:
	s_mov_b64 s[30:31], 0
.LBB6_383:
	s_and_b64 vcc, exec, s[30:31]
	s_cbranch_vccz .LBB6_386
; %bb.384:
	s_cmp_eq_u32 s37, 11
	s_mov_b64 s[0:1], -1
	s_cbranch_scc0 .LBB6_386
; %bb.385:
	v_cndmask_b32_e64 v2, 0, 1, s[24:25]
	s_mov_b64 s[28:29], -1
	s_mov_b64 s[0:1], 0
	global_store_byte v[0:1], v2, off
.LBB6_386:
	s_mov_b64 s[30:31], 0
.LBB6_387:
	s_and_b64 vcc, exec, s[30:31]
	s_cbranch_vccz .LBB6_426
; %bb.388:
	s_and_b32 s30, 0xffff, s36
	s_cmp_lt_i32 s30, 5
	s_mov_b64 s[28:29], -1
	s_cbranch_scc1 .LBB6_409
; %bb.389:
	s_cmp_lt_i32 s30, 8
	s_cbranch_scc1 .LBB6_399
; %bb.390:
	s_cmp_lt_i32 s30, 9
	s_cbranch_scc1 .LBB6_396
; %bb.391:
	s_cmp_gt_i32 s30, 9
	s_cbranch_scc0 .LBB6_393
; %bb.392:
	v_cndmask_b32_e64 v2, 0, 1, s[24:25]
	v_cvt_f64_u32_e32 v[5:6], v2
	v_mov_b32_e32 v7, 0
	v_mov_b32_e32 v8, v7
	s_mov_b64 s[28:29], 0
	global_store_dwordx4 v[0:1], v[5:8], off
.LBB6_393:
	s_andn2_b64 vcc, exec, s[28:29]
	s_cbranch_vccnz .LBB6_395
; %bb.394:
	v_cndmask_b32_e64 v2, 0, 1.0, s[24:25]
	v_mov_b32_e32 v3, 0
	global_store_dwordx2 v[0:1], v[2:3], off
.LBB6_395:
	s_mov_b64 s[28:29], 0
.LBB6_396:
	s_andn2_b64 vcc, exec, s[28:29]
	s_cbranch_vccnz .LBB6_398
; %bb.397:
	v_cndmask_b32_e64 v2, 0, 1.0, s[24:25]
	v_cvt_f16_f32_e32 v2, v2
	global_store_dword v[0:1], v2, off
.LBB6_398:
	s_mov_b64 s[28:29], 0
.LBB6_399:
	s_andn2_b64 vcc, exec, s[28:29]
	s_cbranch_vccnz .LBB6_408
; %bb.400:
	s_cmp_lt_i32 s30, 6
	s_mov_b64 s[28:29], -1
	s_cbranch_scc1 .LBB6_406
; %bb.401:
	s_cmp_gt_i32 s30, 6
	s_cbranch_scc0 .LBB6_403
; %bb.402:
	v_cndmask_b32_e64 v2, 0, 1, s[24:25]
	v_cvt_f64_u32_e32 v[2:3], v2
	s_mov_b64 s[28:29], 0
	global_store_dwordx2 v[0:1], v[2:3], off
.LBB6_403:
	s_andn2_b64 vcc, exec, s[28:29]
	s_cbranch_vccnz .LBB6_405
; %bb.404:
	v_cndmask_b32_e64 v2, 0, 1.0, s[24:25]
	global_store_dword v[0:1], v2, off
.LBB6_405:
	s_mov_b64 s[28:29], 0
.LBB6_406:
	s_andn2_b64 vcc, exec, s[28:29]
	s_cbranch_vccnz .LBB6_408
; %bb.407:
	v_cndmask_b32_e64 v2, 0, 1.0, s[24:25]
	v_cvt_f16_f32_e32 v2, v2
	global_store_short v[0:1], v2, off
.LBB6_408:
	s_mov_b64 s[28:29], 0
.LBB6_409:
	s_andn2_b64 vcc, exec, s[28:29]
	s_cbranch_vccnz .LBB6_425
; %bb.410:
	s_cmp_lt_i32 s30, 2
	s_mov_b64 s[28:29], -1
	s_cbranch_scc1 .LBB6_420
; %bb.411:
	s_cmp_lt_i32 s30, 3
	s_cbranch_scc1 .LBB6_417
; %bb.412:
	s_cmp_gt_i32 s30, 3
	s_cbranch_scc0 .LBB6_414
; %bb.413:
	s_mov_b32 s28, 0
	v_cndmask_b32_e64 v2, 0, 1, s[24:25]
	v_mov_b32_e32 v3, s28
	s_mov_b64 s[28:29], 0
	global_store_dwordx2 v[0:1], v[2:3], off
.LBB6_414:
	s_andn2_b64 vcc, exec, s[28:29]
	s_cbranch_vccnz .LBB6_416
; %bb.415:
	v_cndmask_b32_e64 v2, 0, 1, s[24:25]
	global_store_dword v[0:1], v2, off
.LBB6_416:
	s_mov_b64 s[28:29], 0
.LBB6_417:
	s_andn2_b64 vcc, exec, s[28:29]
	s_cbranch_vccnz .LBB6_419
; %bb.418:
	v_cndmask_b32_e64 v2, 0, 1, s[24:25]
	global_store_short v[0:1], v2, off
.LBB6_419:
	s_mov_b64 s[28:29], 0
.LBB6_420:
	s_andn2_b64 vcc, exec, s[28:29]
	s_cbranch_vccnz .LBB6_425
; %bb.421:
	s_mov_b64 s[28:29], -1
	s_cmp_gt_i32 s30, 0
	v_cndmask_b32_e64 v2, 0, 1, s[24:25]
	s_cbranch_scc0 .LBB6_423
; %bb.422:
	s_mov_b64 s[28:29], 0
	global_store_byte v[0:1], v2, off
.LBB6_423:
	s_andn2_b64 vcc, exec, s[28:29]
	s_cbranch_vccnz .LBB6_425
; %bb.424:
	global_store_byte v[0:1], v2, off
.LBB6_425:
	s_mov_b64 s[28:29], -1
.LBB6_426:
	s_andn2_b64 vcc, exec, s[28:29]
	s_cbranch_vccnz .LBB6_428
; %bb.427:
	v_add_u32_e32 v4, 0x80, v4
	s_mov_b64 s[28:29], -1
	s_branch .LBB6_536
.LBB6_428:
	s_mov_b64 s[28:29], 0
                                        ; implicit-def: $vgpr4
	s_branch .LBB6_536
.LBB6_429:
	s_mov_b64 s[22:23], -1
                                        ; implicit-def: $vgpr2
.LBB6_430:
	s_mov_b64 s[24:25], 0
.LBB6_431:
	s_and_b64 vcc, exec, s[24:25]
	s_cbranch_vccz .LBB6_435
; %bb.432:
	s_cmp_eq_u32 s28, 29
	s_cbranch_scc0 .LBB6_434
; %bb.433:
	global_load_dwordx2 v[2:3], v[0:1], off
	s_mov_b64 s[0:1], -1
	s_mov_b64 s[22:23], 0
	s_branch .LBB6_435
.LBB6_434:
	s_mov_b64 s[22:23], -1
                                        ; implicit-def: $vgpr2
.LBB6_435:
	s_mov_b64 s[24:25], 0
.LBB6_436:
	s_and_b64 vcc, exec, s[24:25]
	s_cbranch_vccz .LBB6_452
; %bb.437:
	s_cmp_lt_i32 s28, 27
	s_cbranch_scc1 .LBB6_440
; %bb.438:
	s_cmp_gt_i32 s28, 27
	s_cbranch_scc0 .LBB6_441
; %bb.439:
	global_load_dword v2, v[0:1], off
	s_mov_b64 s[0:1], 0
	s_branch .LBB6_442
.LBB6_440:
	s_mov_b64 s[0:1], -1
                                        ; implicit-def: $vgpr2
	s_branch .LBB6_445
.LBB6_441:
	s_mov_b64 s[0:1], -1
                                        ; implicit-def: $vgpr2
.LBB6_442:
	s_andn2_b64 vcc, exec, s[0:1]
	s_cbranch_vccnz .LBB6_444
; %bb.443:
	global_load_ushort v2, v[0:1], off
.LBB6_444:
	s_mov_b64 s[0:1], 0
.LBB6_445:
	s_andn2_b64 vcc, exec, s[0:1]
	s_cbranch_vccnz .LBB6_451
; %bb.446:
	global_load_ubyte v3, v[0:1], off
	s_movk_i32 s0, 0x7f
	s_mov_b64 s[24:25], 0
	s_waitcnt vmcnt(0)
	v_cmp_lt_i16_e32 vcc, s0, v3
	s_and_saveexec_b64 s[0:1], vcc
	s_xor_b64 s[0:1], exec, s[0:1]
	s_cbranch_execz .LBB6_463
; %bb.447:
	s_movk_i32 s24, 0x80
	v_cmp_ne_u16_e32 vcc, s24, v3
	s_and_b64 s[24:25], vcc, exec
	s_andn2_saveexec_b64 s[0:1], s[0:1]
	s_cbranch_execnz .LBB6_464
.LBB6_448:
	s_or_b64 exec, exec, s[0:1]
	v_mov_b32_e32 v2, 0
	s_and_saveexec_b64 s[0:1], s[24:25]
	s_cbranch_execz .LBB6_450
.LBB6_449:
	v_lshlrev_b32_e32 v2, 24, v3
	v_and_b32_e32 v3, 0xffff, v3
	v_and_b32_e32 v5, 7, v3
	v_ffbh_u32_e32 v7, v5
	v_min_u32_e32 v7, 32, v7
	v_subrev_u32_e32 v8, 28, v7
	v_bfe_u32 v6, v3, 3, 4
	v_lshlrev_b32_e32 v3, v8, v3
	v_sub_u32_e32 v7, 29, v7
	v_and_b32_e32 v3, 7, v3
	v_cmp_eq_u32_e32 vcc, 0, v6
	v_cndmask_b32_e32 v6, v6, v7, vcc
	v_cndmask_b32_e32 v3, v5, v3, vcc
	v_mov_b32_e32 v5, 0x3b800000
	v_lshlrev_b32_e32 v3, 20, v3
	v_and_b32_e32 v2, 0x80000000, v2
	v_lshl_add_u32 v5, v6, 23, v5
	v_or3_b32 v2, v2, v5, v3
	v_trunc_f32_e32 v2, v2
	s_mov_b32 s24, 0x2f800000
	v_mul_f32_e64 v3, |v2|, s24
	v_floor_f32_e32 v3, v3
	s_mov_b32 s24, 0xcf800000
	v_fma_f32 v3, v3, s24, |v2|
	v_cvt_u32_f32_e32 v3, v3
	v_ashrrev_i32_e32 v2, 31, v2
	v_xor_b32_e32 v3, v3, v2
	v_sub_u32_e32 v2, v3, v2
.LBB6_450:
	s_or_b64 exec, exec, s[0:1]
.LBB6_451:
	s_mov_b64 s[0:1], -1
.LBB6_452:
	s_mov_b64 s[24:25], 0
.LBB6_453:
	s_and_b64 vcc, exec, s[24:25]
	s_cbranch_vccz .LBB6_486
; %bb.454:
	s_cmp_gt_i32 s28, 22
	s_cbranch_scc0 .LBB6_462
; %bb.455:
	s_cmp_lt_i32 s28, 24
	s_cbranch_scc1 .LBB6_465
; %bb.456:
	s_cmp_gt_i32 s28, 24
	s_cbranch_scc0 .LBB6_466
; %bb.457:
	global_load_ubyte v3, v[0:1], off
	s_movk_i32 s0, 0x7f
	s_mov_b64 s[24:25], 0
	s_waitcnt vmcnt(0)
	v_cmp_lt_i16_e32 vcc, s0, v3
	s_and_saveexec_b64 s[0:1], vcc
	s_xor_b64 s[0:1], exec, s[0:1]
	s_cbranch_execz .LBB6_478
; %bb.458:
	s_movk_i32 s24, 0x80
	v_cmp_ne_u16_e32 vcc, s24, v3
	s_and_b64 s[24:25], vcc, exec
	s_andn2_saveexec_b64 s[0:1], s[0:1]
	s_cbranch_execnz .LBB6_479
.LBB6_459:
	s_or_b64 exec, exec, s[0:1]
	v_mov_b32_e32 v2, 0
	s_and_saveexec_b64 s[0:1], s[24:25]
	s_cbranch_execz .LBB6_461
.LBB6_460:
	v_lshlrev_b32_e32 v2, 24, v3
	v_and_b32_e32 v3, 0xffff, v3
	v_and_b32_e32 v5, 3, v3
	v_ffbh_u32_e32 v7, v5
	v_min_u32_e32 v7, 32, v7
	v_subrev_u32_e32 v8, 29, v7
	v_bfe_u32 v6, v3, 2, 5
	v_lshlrev_b32_e32 v3, v8, v3
	v_sub_u32_e32 v7, 30, v7
	v_and_b32_e32 v3, 3, v3
	v_cmp_eq_u32_e32 vcc, 0, v6
	v_cndmask_b32_e32 v6, v6, v7, vcc
	v_cndmask_b32_e32 v3, v5, v3, vcc
	v_mov_b32_e32 v5, 0x37800000
	v_lshlrev_b32_e32 v3, 21, v3
	v_and_b32_e32 v2, 0x80000000, v2
	v_lshl_add_u32 v5, v6, 23, v5
	v_or3_b32 v2, v2, v5, v3
	v_trunc_f32_e32 v2, v2
	s_mov_b32 s24, 0x2f800000
	v_mul_f32_e64 v3, |v2|, s24
	v_floor_f32_e32 v3, v3
	s_mov_b32 s24, 0xcf800000
	v_fma_f32 v3, v3, s24, |v2|
	v_cvt_u32_f32_e32 v3, v3
	v_ashrrev_i32_e32 v2, 31, v2
	v_xor_b32_e32 v3, v3, v2
	v_sub_u32_e32 v2, v3, v2
.LBB6_461:
	s_or_b64 exec, exec, s[0:1]
	s_mov_b64 s[0:1], 0
	s_branch .LBB6_467
.LBB6_462:
	s_mov_b64 s[24:25], -1
                                        ; implicit-def: $vgpr2
	s_branch .LBB6_473
.LBB6_463:
	s_andn2_saveexec_b64 s[0:1], s[0:1]
	s_cbranch_execz .LBB6_448
.LBB6_464:
	v_cmp_ne_u16_e32 vcc, 0, v3
	s_andn2_b64 s[24:25], s[24:25], exec
	s_and_b64 s[30:31], vcc, exec
	s_or_b64 s[24:25], s[24:25], s[30:31]
	s_or_b64 exec, exec, s[0:1]
	v_mov_b32_e32 v2, 0
	s_and_saveexec_b64 s[0:1], s[24:25]
	s_cbranch_execnz .LBB6_449
	s_branch .LBB6_450
.LBB6_465:
	s_mov_b64 s[0:1], -1
                                        ; implicit-def: $vgpr2
	s_branch .LBB6_470
.LBB6_466:
	s_mov_b64 s[0:1], -1
                                        ; implicit-def: $vgpr2
.LBB6_467:
	s_and_b64 vcc, exec, s[0:1]
	s_cbranch_vccz .LBB6_469
; %bb.468:
	global_load_ubyte v2, v[0:1], off
	s_mov_b32 s0, 0x7f800000
	s_brev_b32 s1, 1
	s_mov_b32 s24, 0x2f800000
	s_waitcnt vmcnt(0)
	v_lshlrev_b32_e32 v2, 24, v2
	v_and_b32_e32 v3, 0x7f000000, v2
	v_ffbh_u32_e32 v5, v3
	v_min_u32_e32 v5, 32, v5
	v_sub_u32_e64 v5, v5, 4 clamp
	v_lshlrev_b32_e32 v7, v5, v3
	v_lshlrev_b32_e32 v5, 23, v5
	v_lshrrev_b32_e32 v7, 4, v7
	v_add_u32_e32 v6, 0x1000000, v3
	v_sub_u32_e32 v5, v7, v5
	v_ashrrev_i32_e32 v6, 8, v6
	v_add_u32_e32 v5, 0x3c000000, v5
	v_and_or_b32 v5, v6, s0, v5
	v_cmp_ne_u32_e32 vcc, 0, v3
	v_cndmask_b32_e32 v3, 0, v5, vcc
	v_and_or_b32 v2, v2, s1, v3
	v_trunc_f32_e32 v2, v2
	v_mul_f32_e64 v3, |v2|, s24
	v_floor_f32_e32 v3, v3
	s_mov_b32 s0, 0xcf800000
	v_fma_f32 v3, v3, s0, |v2|
	v_cvt_u32_f32_e32 v3, v3
	v_ashrrev_i32_e32 v2, 31, v2
	v_xor_b32_e32 v3, v3, v2
	v_sub_u32_e32 v2, v3, v2
.LBB6_469:
	s_mov_b64 s[0:1], 0
.LBB6_470:
	s_andn2_b64 vcc, exec, s[0:1]
	s_cbranch_vccnz .LBB6_472
; %bb.471:
	global_load_ubyte v2, v[0:1], off
	s_movk_i32 s0, 0x7f00
	s_brev_b32 s1, 16
	s_brev_b32 s24, 1
	s_mov_b32 s25, 0x2f800000
	s_waitcnt vmcnt(0)
	v_lshlrev_b16_e32 v3, 8, v2
	v_lshlrev_b32_e32 v2, 25, v2
	v_lshrrev_b32_e32 v5, 4, v2
	v_and_or_b32 v6, v3, s0, 0.5
	v_or_b32_e32 v5, 0x70000000, v5
	v_add_f32_e32 v6, -0.5, v6
	v_mul_f32_e32 v5, 0x7800000, v5
	v_cmp_gt_u32_e32 vcc, s1, v2
	v_bfe_i32 v3, v3, 0, 16
	v_cndmask_b32_e32 v2, v5, v6, vcc
	v_and_or_b32 v2, v3, s24, v2
	v_trunc_f32_e32 v2, v2
	v_mul_f32_e64 v3, |v2|, s25
	v_floor_f32_e32 v3, v3
	s_mov_b32 s0, 0xcf800000
	v_fma_f32 v3, v3, s0, |v2|
	v_cvt_u32_f32_e32 v3, v3
	v_ashrrev_i32_e32 v2, 31, v2
	v_xor_b32_e32 v3, v3, v2
	v_sub_u32_e32 v2, v3, v2
.LBB6_472:
	s_mov_b64 s[24:25], 0
	s_mov_b64 s[0:1], -1
.LBB6_473:
	s_andn2_b64 vcc, exec, s[24:25]
	s_cbranch_vccnz .LBB6_486
; %bb.474:
	s_cmp_gt_i32 s28, 14
	s_cbranch_scc0 .LBB6_477
; %bb.475:
	s_cmp_eq_u32 s28, 15
	s_cbranch_scc0 .LBB6_480
; %bb.476:
	global_load_ushort v2, v[0:1], off
	s_mov_b32 s0, 0x2f800000
	s_mov_b32 s1, 0xcf800000
	s_mov_b64 s[22:23], 0
	s_waitcnt vmcnt(0)
	v_lshlrev_b32_e32 v2, 16, v2
	v_trunc_f32_e32 v2, v2
	v_mul_f32_e64 v3, |v2|, s0
	v_floor_f32_e32 v3, v3
	v_fma_f32 v3, v3, s1, |v2|
	v_cvt_u32_f32_e32 v3, v3
	v_ashrrev_i32_e32 v2, 31, v2
	s_mov_b64 s[0:1], -1
	v_xor_b32_e32 v3, v3, v2
	v_sub_u32_e32 v2, v3, v2
	s_branch .LBB6_481
.LBB6_477:
	s_mov_b64 s[24:25], -1
                                        ; implicit-def: $vgpr2
	s_branch .LBB6_482
.LBB6_478:
	s_andn2_saveexec_b64 s[0:1], s[0:1]
	s_cbranch_execz .LBB6_459
.LBB6_479:
	v_cmp_ne_u16_e32 vcc, 0, v3
	s_andn2_b64 s[24:25], s[24:25], exec
	s_and_b64 s[30:31], vcc, exec
	s_or_b64 s[24:25], s[24:25], s[30:31]
	s_or_b64 exec, exec, s[0:1]
	v_mov_b32_e32 v2, 0
	s_and_saveexec_b64 s[0:1], s[24:25]
	s_cbranch_execnz .LBB6_460
	s_branch .LBB6_461
.LBB6_480:
	s_mov_b64 s[22:23], -1
                                        ; implicit-def: $vgpr2
.LBB6_481:
	s_mov_b64 s[24:25], 0
.LBB6_482:
	s_and_b64 vcc, exec, s[24:25]
	s_cbranch_vccz .LBB6_486
; %bb.483:
	s_cmp_eq_u32 s28, 11
	s_cbranch_scc0 .LBB6_485
; %bb.484:
	global_load_ubyte v2, v[0:1], off
	s_mov_b64 s[0:1], -1
	s_mov_b64 s[22:23], 0
	s_waitcnt vmcnt(0)
	v_cmp_ne_u16_e32 vcc, 0, v2
	v_cndmask_b32_e64 v2, 0, 1, vcc
	s_branch .LBB6_486
.LBB6_485:
	s_mov_b64 s[22:23], -1
                                        ; implicit-def: $vgpr2
.LBB6_486:
	s_branch .LBB6_277
.LBB6_487:
	s_cmp_lt_i32 s28, 5
	s_cbranch_scc1 .LBB6_492
; %bb.488:
	s_cmp_lt_i32 s28, 8
	s_cbranch_scc1 .LBB6_493
; %bb.489:
	;; [unrolled: 3-line block ×3, first 2 shown]
	s_cmp_gt_i32 s28, 9
	s_cbranch_scc0 .LBB6_495
; %bb.491:
	global_load_dwordx2 v[2:3], v[0:1], off
	s_movk_i32 s0, 0xffe0
	s_waitcnt vmcnt(0)
	v_trunc_f64_e32 v[2:3], v[2:3]
	v_ldexp_f64 v[5:6], v[2:3], s0
	s_mov_b32 s0, 0
	s_mov_b32 s1, 0xc1f00000
	v_floor_f64_e32 v[5:6], v[5:6]
	v_fma_f64 v[2:3], v[5:6], s[0:1], v[2:3]
	s_mov_b64 s[0:1], 0
	v_cvt_u32_f64_e32 v2, v[2:3]
	s_branch .LBB6_496
.LBB6_492:
	s_mov_b64 s[0:1], -1
                                        ; implicit-def: $vgpr2
	s_branch .LBB6_514
.LBB6_493:
	s_mov_b64 s[0:1], -1
                                        ; implicit-def: $vgpr2
	s_branch .LBB6_502
.LBB6_494:
	s_mov_b64 s[0:1], -1
                                        ; implicit-def: $vgpr2
	s_branch .LBB6_499
.LBB6_495:
	s_mov_b64 s[0:1], -1
                                        ; implicit-def: $vgpr2
.LBB6_496:
	s_andn2_b64 vcc, exec, s[0:1]
	s_cbranch_vccnz .LBB6_498
; %bb.497:
	global_load_dword v2, v[0:1], off
	s_mov_b32 s0, 0x2f800000
	s_waitcnt vmcnt(0)
	v_trunc_f32_e32 v2, v2
	v_mul_f32_e64 v3, |v2|, s0
	v_floor_f32_e32 v3, v3
	s_mov_b32 s0, 0xcf800000
	v_fma_f32 v3, v3, s0, |v2|
	v_cvt_u32_f32_e32 v3, v3
	v_ashrrev_i32_e32 v2, 31, v2
	v_xor_b32_e32 v3, v3, v2
	v_sub_u32_e32 v2, v3, v2
.LBB6_498:
	s_mov_b64 s[0:1], 0
.LBB6_499:
	s_andn2_b64 vcc, exec, s[0:1]
	s_cbranch_vccnz .LBB6_501
; %bb.500:
	global_load_dword v2, v[0:1], off
	s_waitcnt vmcnt(0)
	v_cvt_f32_f16_e32 v2, v2
	v_cvt_i32_f32_e32 v2, v2
.LBB6_501:
	s_mov_b64 s[0:1], 0
.LBB6_502:
	s_andn2_b64 vcc, exec, s[0:1]
	s_cbranch_vccnz .LBB6_513
; %bb.503:
	s_cmp_lt_i32 s28, 6
	s_cbranch_scc1 .LBB6_506
; %bb.504:
	s_cmp_gt_i32 s28, 6
	s_cbranch_scc0 .LBB6_507
; %bb.505:
	global_load_dwordx2 v[2:3], v[0:1], off
	s_movk_i32 s0, 0xffe0
	s_waitcnt vmcnt(0)
	v_trunc_f64_e32 v[2:3], v[2:3]
	v_ldexp_f64 v[5:6], v[2:3], s0
	s_mov_b32 s0, 0
	s_mov_b32 s1, 0xc1f00000
	v_floor_f64_e32 v[5:6], v[5:6]
	v_fma_f64 v[2:3], v[5:6], s[0:1], v[2:3]
	s_mov_b64 s[0:1], 0
	v_cvt_u32_f64_e32 v2, v[2:3]
	s_branch .LBB6_508
.LBB6_506:
	s_mov_b64 s[0:1], -1
                                        ; implicit-def: $vgpr2
	s_branch .LBB6_511
.LBB6_507:
	s_mov_b64 s[0:1], -1
                                        ; implicit-def: $vgpr2
.LBB6_508:
	s_andn2_b64 vcc, exec, s[0:1]
	s_cbranch_vccnz .LBB6_510
; %bb.509:
	global_load_dword v2, v[0:1], off
	s_mov_b32 s0, 0x2f800000
	s_waitcnt vmcnt(0)
	v_trunc_f32_e32 v2, v2
	v_mul_f32_e64 v3, |v2|, s0
	v_floor_f32_e32 v3, v3
	s_mov_b32 s0, 0xcf800000
	v_fma_f32 v3, v3, s0, |v2|
	v_cvt_u32_f32_e32 v3, v3
	v_ashrrev_i32_e32 v2, 31, v2
	v_xor_b32_e32 v3, v3, v2
	v_sub_u32_e32 v2, v3, v2
.LBB6_510:
	s_mov_b64 s[0:1], 0
.LBB6_511:
	s_andn2_b64 vcc, exec, s[0:1]
	s_cbranch_vccnz .LBB6_513
; %bb.512:
	global_load_ushort v2, v[0:1], off
	s_waitcnt vmcnt(0)
	v_cvt_f32_f16_e32 v2, v2
	v_cvt_i32_f32_e32 v2, v2
.LBB6_513:
	s_mov_b64 s[0:1], 0
.LBB6_514:
	s_andn2_b64 vcc, exec, s[0:1]
	s_cbranch_vccnz .LBB6_534
; %bb.515:
	s_cmp_lt_i32 s28, 2
	s_cbranch_scc1 .LBB6_519
; %bb.516:
	s_cmp_lt_i32 s28, 3
	s_cbranch_scc1 .LBB6_520
; %bb.517:
	s_cmp_gt_i32 s28, 3
	s_cbranch_scc0 .LBB6_521
; %bb.518:
	global_load_dwordx2 v[2:3], v[0:1], off
	s_mov_b64 s[0:1], 0
	s_branch .LBB6_522
.LBB6_519:
	s_mov_b64 s[0:1], -1
                                        ; implicit-def: $vgpr2
	s_branch .LBB6_528
.LBB6_520:
	s_mov_b64 s[0:1], -1
                                        ; implicit-def: $vgpr2
	s_branch .LBB6_525
.LBB6_521:
	s_mov_b64 s[0:1], -1
                                        ; implicit-def: $vgpr2
.LBB6_522:
	s_andn2_b64 vcc, exec, s[0:1]
	s_cbranch_vccnz .LBB6_524
; %bb.523:
	global_load_dword v2, v[0:1], off
.LBB6_524:
	s_mov_b64 s[0:1], 0
.LBB6_525:
	s_andn2_b64 vcc, exec, s[0:1]
	s_cbranch_vccnz .LBB6_527
; %bb.526:
	global_load_ushort v2, v[0:1], off
.LBB6_527:
	s_mov_b64 s[0:1], 0
.LBB6_528:
	s_andn2_b64 vcc, exec, s[0:1]
	s_cbranch_vccnz .LBB6_534
; %bb.529:
	s_cmp_gt_i32 s28, 0
	s_cbranch_scc0 .LBB6_531
; %bb.530:
	global_load_ubyte v2, v[0:1], off
	s_mov_b64 s[0:1], 0
	s_branch .LBB6_532
.LBB6_531:
	s_mov_b64 s[0:1], -1
                                        ; implicit-def: $vgpr2
.LBB6_532:
	s_andn2_b64 vcc, exec, s[0:1]
	s_cbranch_vccnz .LBB6_534
; %bb.533:
	global_load_ubyte v2, v[0:1], off
.LBB6_534:
	s_branch .LBB6_278
.LBB6_535:
	s_mov_b64 s[28:29], 0
                                        ; implicit-def: $vgpr4
	s_mov_b64 s[0:1], s[16:17]
.LBB6_536:
	s_andn2_b64 s[24:25], s[16:17], exec
	s_and_b64 s[0:1], s[0:1], exec
	s_or_b64 s[24:25], s[24:25], s[0:1]
	s_andn2_b64 s[0:1], s[18:19], exec
	s_and_b64 s[22:23], s[22:23], exec
	s_or_b64 s[22:23], s[0:1], s[22:23]
	s_orn2_b64 s[0:1], s[28:29], exec
.LBB6_537:
	s_or_b64 exec, exec, s[26:27]
	s_mov_b64 s[28:29], 0
	s_mov_b64 s[30:31], 0
	;; [unrolled: 1-line block ×3, first 2 shown]
                                        ; implicit-def: $vgpr0_vgpr1
                                        ; implicit-def: $vgpr2
	s_and_saveexec_b64 s[26:27], s[0:1]
	s_cbranch_execz .LBB6_891
; %bb.538:
	v_cmp_gt_i32_e32 vcc, s33, v4
	s_mov_b64 s[38:39], -1
	s_mov_b64 s[0:1], s[22:23]
	s_mov_b64 s[34:35], s[24:25]
	s_and_saveexec_b64 s[28:29], vcc
	s_cbranch_execz .LBB6_809
; %bb.539:
	v_mul_lo_u32 v0, v4, s13
	v_mov_b32_e32 v1, s11
	s_and_b32 s36, 0xffff, s15
	s_cmp_lt_i32 s36, 11
	s_waitcnt vmcnt(0)
	v_ashrrev_i32_e32 v2, 31, v0
	v_add_co_u32_e32 v0, vcc, s10, v0
	v_addc_co_u32_e32 v1, vcc, v1, v2, vcc
	s_cbranch_scc1 .LBB6_546
; %bb.540:
	s_cmp_gt_i32 s36, 25
	s_cbranch_scc0 .LBB6_547
; %bb.541:
	s_cmp_gt_i32 s36, 28
	s_cbranch_scc0 .LBB6_548
	;; [unrolled: 3-line block ×4, first 2 shown]
; %bb.544:
	s_cmp_eq_u32 s36, 46
	s_mov_b64 s[34:35], 0
	s_cbranch_scc0 .LBB6_555
; %bb.545:
	global_load_dword v2, v[0:1], off
	s_mov_b32 s0, 0x2f800000
	s_mov_b32 s1, 0xcf800000
	s_waitcnt vmcnt(0)
	v_lshlrev_b32_e32 v2, 16, v2
	v_trunc_f32_e32 v2, v2
	v_mul_f32_e64 v3, |v2|, s0
	v_floor_f32_e32 v3, v3
	v_fma_f32 v3, v3, s1, |v2|
	v_cvt_u32_f32_e32 v3, v3
	v_ashrrev_i32_e32 v2, 31, v2
	s_mov_b64 s[0:1], -1
	v_xor_b32_e32 v3, v3, v2
	v_sub_u32_e32 v2, v3, v2
	s_branch .LBB6_556
.LBB6_546:
	s_mov_b64 s[34:35], -1
	s_mov_b64 s[0:1], 0
                                        ; implicit-def: $vgpr2
	s_mov_b64 s[30:31], s[22:23]
	s_branch .LBB6_617
.LBB6_547:
	s_mov_b64 s[34:35], -1
	s_mov_b64 s[0:1], 0
	s_mov_b64 s[30:31], s[22:23]
                                        ; implicit-def: $vgpr2
	s_branch .LBB6_583
.LBB6_548:
	s_mov_b64 s[34:35], -1
	s_mov_b64 s[0:1], 0
	s_mov_b64 s[30:31], s[22:23]
                                        ; implicit-def: $vgpr2
	s_branch .LBB6_566
.LBB6_549:
	s_mov_b64 s[34:35], -1
	s_mov_b64 s[0:1], 0
	s_mov_b64 s[30:31], s[22:23]
                                        ; implicit-def: $vgpr2
	s_branch .LBB6_561
.LBB6_550:
	s_andn2_saveexec_b64 s[34:35], s[34:35]
	s_cbranch_execz .LBB6_339
.LBB6_551:
	v_add_f32_e32 v2, 0x46000000, v3
	v_and_b32_e32 v2, 0xff, v2
	v_cmp_ne_u32_e32 vcc, 0, v2
	s_andn2_b64 s[30:31], s[30:31], exec
	s_and_b64 s[38:39], vcc, exec
	s_or_b64 s[30:31], s[30:31], s[38:39]
	s_or_b64 exec, exec, s[34:35]
	v_mov_b32_e32 v5, 0
	s_and_saveexec_b64 s[34:35], s[30:31]
	s_cbranch_execnz .LBB6_340
	s_branch .LBB6_341
.LBB6_552:
	s_mov_b64 s[34:35], -1
	s_mov_b64 s[0:1], 0
	s_mov_b64 s[30:31], s[22:23]
                                        ; implicit-def: $vgpr2
	s_branch .LBB6_556
.LBB6_553:
	s_andn2_saveexec_b64 s[34:35], s[34:35]
	s_cbranch_execz .LBB6_352
.LBB6_554:
	v_add_f32_e32 v2, 0x42800000, v3
	v_and_b32_e32 v2, 0xff, v2
	v_cmp_ne_u32_e32 vcc, 0, v2
	s_andn2_b64 s[30:31], s[30:31], exec
	s_and_b64 s[38:39], vcc, exec
	s_or_b64 s[30:31], s[30:31], s[38:39]
	s_or_b64 exec, exec, s[34:35]
	v_mov_b32_e32 v5, 0
	s_and_saveexec_b64 s[34:35], s[30:31]
	s_cbranch_execnz .LBB6_353
	s_branch .LBB6_354
.LBB6_555:
	s_mov_b64 s[30:31], -1
                                        ; implicit-def: $vgpr2
	s_mov_b64 s[0:1], 0
.LBB6_556:
	s_and_b64 vcc, exec, s[34:35]
	s_cbranch_vccz .LBB6_560
; %bb.557:
	s_cmp_eq_u32 s36, 44
	s_cbranch_scc0 .LBB6_559
; %bb.558:
	global_load_ubyte v2, v[0:1], off
	s_mov_b32 s0, 0x2f800000
	s_mov_b32 s1, 0xcf800000
	s_mov_b64 s[30:31], 0
	s_waitcnt vmcnt(0)
	v_lshlrev_b32_e32 v3, 23, v2
	v_trunc_f32_e32 v3, v3
	v_mul_f32_e64 v5, |v3|, s0
	v_floor_f32_e32 v5, v5
	v_fma_f32 v5, v5, s1, |v3|
	v_cvt_u32_f32_e32 v5, v5
	v_ashrrev_i32_e32 v3, 31, v3
	v_cmp_ne_u32_e32 vcc, 0, v2
	s_mov_b64 s[0:1], -1
	v_xor_b32_e32 v5, v5, v3
	v_sub_u32_e32 v3, v5, v3
	v_cndmask_b32_e32 v2, 0, v3, vcc
	s_branch .LBB6_560
.LBB6_559:
	s_mov_b64 s[30:31], -1
                                        ; implicit-def: $vgpr2
.LBB6_560:
	s_mov_b64 s[34:35], 0
.LBB6_561:
	s_and_b64 vcc, exec, s[34:35]
	s_cbranch_vccz .LBB6_565
; %bb.562:
	s_cmp_eq_u32 s36, 29
	s_cbranch_scc0 .LBB6_564
; %bb.563:
	global_load_dwordx2 v[2:3], v[0:1], off
	s_mov_b64 s[0:1], -1
	s_mov_b64 s[30:31], 0
	s_branch .LBB6_565
.LBB6_564:
	s_mov_b64 s[30:31], -1
                                        ; implicit-def: $vgpr2
.LBB6_565:
	s_mov_b64 s[34:35], 0
.LBB6_566:
	s_and_b64 vcc, exec, s[34:35]
	s_cbranch_vccz .LBB6_582
; %bb.567:
	s_cmp_lt_i32 s36, 27
	s_cbranch_scc1 .LBB6_570
; %bb.568:
	s_cmp_gt_i32 s36, 27
	s_cbranch_scc0 .LBB6_571
; %bb.569:
	global_load_dword v2, v[0:1], off
	s_mov_b64 s[0:1], 0
	s_branch .LBB6_572
.LBB6_570:
	s_mov_b64 s[0:1], -1
                                        ; implicit-def: $vgpr2
	s_branch .LBB6_575
.LBB6_571:
	s_mov_b64 s[0:1], -1
                                        ; implicit-def: $vgpr2
.LBB6_572:
	s_andn2_b64 vcc, exec, s[0:1]
	s_cbranch_vccnz .LBB6_574
; %bb.573:
	global_load_ushort v2, v[0:1], off
.LBB6_574:
	s_mov_b64 s[0:1], 0
.LBB6_575:
	s_andn2_b64 vcc, exec, s[0:1]
	s_cbranch_vccnz .LBB6_581
; %bb.576:
	global_load_ubyte v3, v[0:1], off
	s_movk_i32 s0, 0x7f
	s_mov_b64 s[34:35], 0
	s_waitcnt vmcnt(0)
	v_cmp_lt_i16_e32 vcc, s0, v3
	s_and_saveexec_b64 s[0:1], vcc
	s_xor_b64 s[0:1], exec, s[0:1]
	s_cbranch_execz .LBB6_593
; %bb.577:
	s_movk_i32 s34, 0x80
	v_cmp_ne_u16_e32 vcc, s34, v3
	s_and_b64 s[34:35], vcc, exec
	s_andn2_saveexec_b64 s[0:1], s[0:1]
	s_cbranch_execnz .LBB6_594
.LBB6_578:
	s_or_b64 exec, exec, s[0:1]
	v_mov_b32_e32 v2, 0
	s_and_saveexec_b64 s[0:1], s[34:35]
	s_cbranch_execz .LBB6_580
.LBB6_579:
	v_lshlrev_b32_e32 v2, 24, v3
	v_and_b32_e32 v3, 0xffff, v3
	v_and_b32_e32 v5, 7, v3
	v_ffbh_u32_e32 v7, v5
	v_min_u32_e32 v7, 32, v7
	v_subrev_u32_e32 v8, 28, v7
	v_bfe_u32 v6, v3, 3, 4
	v_lshlrev_b32_e32 v3, v8, v3
	v_sub_u32_e32 v7, 29, v7
	v_and_b32_e32 v3, 7, v3
	v_cmp_eq_u32_e32 vcc, 0, v6
	v_cndmask_b32_e32 v6, v6, v7, vcc
	v_cndmask_b32_e32 v3, v5, v3, vcc
	v_mov_b32_e32 v5, 0x3b800000
	v_lshlrev_b32_e32 v3, 20, v3
	v_and_b32_e32 v2, 0x80000000, v2
	v_lshl_add_u32 v5, v6, 23, v5
	v_or3_b32 v2, v2, v5, v3
	v_trunc_f32_e32 v2, v2
	s_mov_b32 s34, 0x2f800000
	v_mul_f32_e64 v3, |v2|, s34
	v_floor_f32_e32 v3, v3
	s_mov_b32 s34, 0xcf800000
	v_fma_f32 v3, v3, s34, |v2|
	v_cvt_u32_f32_e32 v3, v3
	v_ashrrev_i32_e32 v2, 31, v2
	v_xor_b32_e32 v3, v3, v2
	v_sub_u32_e32 v2, v3, v2
.LBB6_580:
	s_or_b64 exec, exec, s[0:1]
.LBB6_581:
	s_mov_b64 s[0:1], -1
.LBB6_582:
	s_mov_b64 s[34:35], 0
.LBB6_583:
	s_and_b64 vcc, exec, s[34:35]
	s_cbranch_vccz .LBB6_616
; %bb.584:
	s_cmp_gt_i32 s36, 22
	s_cbranch_scc0 .LBB6_592
; %bb.585:
	s_cmp_lt_i32 s36, 24
	s_cbranch_scc1 .LBB6_595
; %bb.586:
	s_cmp_gt_i32 s36, 24
	s_cbranch_scc0 .LBB6_596
; %bb.587:
	global_load_ubyte v3, v[0:1], off
	s_movk_i32 s0, 0x7f
	s_mov_b64 s[34:35], 0
	s_waitcnt vmcnt(0)
	v_cmp_lt_i16_e32 vcc, s0, v3
	s_and_saveexec_b64 s[0:1], vcc
	s_xor_b64 s[0:1], exec, s[0:1]
	s_cbranch_execz .LBB6_608
; %bb.588:
	s_movk_i32 s34, 0x80
	v_cmp_ne_u16_e32 vcc, s34, v3
	s_and_b64 s[34:35], vcc, exec
	s_andn2_saveexec_b64 s[0:1], s[0:1]
	s_cbranch_execnz .LBB6_609
.LBB6_589:
	s_or_b64 exec, exec, s[0:1]
	v_mov_b32_e32 v2, 0
	s_and_saveexec_b64 s[0:1], s[34:35]
	s_cbranch_execz .LBB6_591
.LBB6_590:
	v_lshlrev_b32_e32 v2, 24, v3
	v_and_b32_e32 v3, 0xffff, v3
	v_and_b32_e32 v5, 3, v3
	v_ffbh_u32_e32 v7, v5
	v_min_u32_e32 v7, 32, v7
	v_subrev_u32_e32 v8, 29, v7
	v_bfe_u32 v6, v3, 2, 5
	v_lshlrev_b32_e32 v3, v8, v3
	v_sub_u32_e32 v7, 30, v7
	v_and_b32_e32 v3, 3, v3
	v_cmp_eq_u32_e32 vcc, 0, v6
	v_cndmask_b32_e32 v6, v6, v7, vcc
	v_cndmask_b32_e32 v3, v5, v3, vcc
	v_mov_b32_e32 v5, 0x37800000
	v_lshlrev_b32_e32 v3, 21, v3
	v_and_b32_e32 v2, 0x80000000, v2
	v_lshl_add_u32 v5, v6, 23, v5
	v_or3_b32 v2, v2, v5, v3
	v_trunc_f32_e32 v2, v2
	s_mov_b32 s34, 0x2f800000
	v_mul_f32_e64 v3, |v2|, s34
	v_floor_f32_e32 v3, v3
	s_mov_b32 s34, 0xcf800000
	v_fma_f32 v3, v3, s34, |v2|
	v_cvt_u32_f32_e32 v3, v3
	v_ashrrev_i32_e32 v2, 31, v2
	v_xor_b32_e32 v3, v3, v2
	v_sub_u32_e32 v2, v3, v2
.LBB6_591:
	s_or_b64 exec, exec, s[0:1]
	s_mov_b64 s[0:1], 0
	s_branch .LBB6_597
.LBB6_592:
	s_mov_b64 s[34:35], -1
                                        ; implicit-def: $vgpr2
	s_branch .LBB6_603
.LBB6_593:
	s_andn2_saveexec_b64 s[0:1], s[0:1]
	s_cbranch_execz .LBB6_578
.LBB6_594:
	v_cmp_ne_u16_e32 vcc, 0, v3
	s_andn2_b64 s[34:35], s[34:35], exec
	s_and_b64 s[38:39], vcc, exec
	s_or_b64 s[34:35], s[34:35], s[38:39]
	s_or_b64 exec, exec, s[0:1]
	v_mov_b32_e32 v2, 0
	s_and_saveexec_b64 s[0:1], s[34:35]
	s_cbranch_execnz .LBB6_579
	s_branch .LBB6_580
.LBB6_595:
	s_mov_b64 s[0:1], -1
                                        ; implicit-def: $vgpr2
	s_branch .LBB6_600
.LBB6_596:
	s_mov_b64 s[0:1], -1
                                        ; implicit-def: $vgpr2
.LBB6_597:
	s_and_b64 vcc, exec, s[0:1]
	s_cbranch_vccz .LBB6_599
; %bb.598:
	global_load_ubyte v2, v[0:1], off
	s_mov_b32 s0, 0x7f800000
	s_brev_b32 s1, 1
	s_mov_b32 s34, 0x2f800000
	s_waitcnt vmcnt(0)
	v_lshlrev_b32_e32 v2, 24, v2
	v_and_b32_e32 v3, 0x7f000000, v2
	v_ffbh_u32_e32 v5, v3
	v_min_u32_e32 v5, 32, v5
	v_sub_u32_e64 v5, v5, 4 clamp
	v_lshlrev_b32_e32 v7, v5, v3
	v_lshlrev_b32_e32 v5, 23, v5
	v_lshrrev_b32_e32 v7, 4, v7
	v_add_u32_e32 v6, 0x1000000, v3
	v_sub_u32_e32 v5, v7, v5
	v_ashrrev_i32_e32 v6, 8, v6
	v_add_u32_e32 v5, 0x3c000000, v5
	v_and_or_b32 v5, v6, s0, v5
	v_cmp_ne_u32_e32 vcc, 0, v3
	v_cndmask_b32_e32 v3, 0, v5, vcc
	v_and_or_b32 v2, v2, s1, v3
	v_trunc_f32_e32 v2, v2
	v_mul_f32_e64 v3, |v2|, s34
	v_floor_f32_e32 v3, v3
	s_mov_b32 s0, 0xcf800000
	v_fma_f32 v3, v3, s0, |v2|
	v_cvt_u32_f32_e32 v3, v3
	v_ashrrev_i32_e32 v2, 31, v2
	v_xor_b32_e32 v3, v3, v2
	v_sub_u32_e32 v2, v3, v2
.LBB6_599:
	s_mov_b64 s[0:1], 0
.LBB6_600:
	s_andn2_b64 vcc, exec, s[0:1]
	s_cbranch_vccnz .LBB6_602
; %bb.601:
	global_load_ubyte v2, v[0:1], off
	s_movk_i32 s0, 0x7f00
	s_brev_b32 s1, 16
	s_brev_b32 s34, 1
	s_mov_b32 s35, 0x2f800000
	s_waitcnt vmcnt(0)
	v_lshlrev_b16_e32 v3, 8, v2
	v_lshlrev_b32_e32 v2, 25, v2
	v_lshrrev_b32_e32 v5, 4, v2
	v_and_or_b32 v6, v3, s0, 0.5
	v_or_b32_e32 v5, 0x70000000, v5
	v_add_f32_e32 v6, -0.5, v6
	v_mul_f32_e32 v5, 0x7800000, v5
	v_cmp_gt_u32_e32 vcc, s1, v2
	v_bfe_i32 v3, v3, 0, 16
	v_cndmask_b32_e32 v2, v5, v6, vcc
	v_and_or_b32 v2, v3, s34, v2
	v_trunc_f32_e32 v2, v2
	v_mul_f32_e64 v3, |v2|, s35
	v_floor_f32_e32 v3, v3
	s_mov_b32 s0, 0xcf800000
	v_fma_f32 v3, v3, s0, |v2|
	v_cvt_u32_f32_e32 v3, v3
	v_ashrrev_i32_e32 v2, 31, v2
	v_xor_b32_e32 v3, v3, v2
	v_sub_u32_e32 v2, v3, v2
.LBB6_602:
	s_mov_b64 s[34:35], 0
	s_mov_b64 s[0:1], -1
.LBB6_603:
	s_andn2_b64 vcc, exec, s[34:35]
	s_cbranch_vccnz .LBB6_616
; %bb.604:
	s_cmp_gt_i32 s36, 14
	s_cbranch_scc0 .LBB6_607
; %bb.605:
	s_cmp_eq_u32 s36, 15
	s_cbranch_scc0 .LBB6_610
; %bb.606:
	global_load_ushort v2, v[0:1], off
	s_mov_b32 s0, 0x2f800000
	s_mov_b32 s1, 0xcf800000
	s_mov_b64 s[30:31], 0
	s_waitcnt vmcnt(0)
	v_lshlrev_b32_e32 v2, 16, v2
	v_trunc_f32_e32 v2, v2
	v_mul_f32_e64 v3, |v2|, s0
	v_floor_f32_e32 v3, v3
	v_fma_f32 v3, v3, s1, |v2|
	v_cvt_u32_f32_e32 v3, v3
	v_ashrrev_i32_e32 v2, 31, v2
	s_mov_b64 s[0:1], -1
	v_xor_b32_e32 v3, v3, v2
	v_sub_u32_e32 v2, v3, v2
	s_branch .LBB6_611
.LBB6_607:
	s_mov_b64 s[34:35], -1
                                        ; implicit-def: $vgpr2
	s_branch .LBB6_612
.LBB6_608:
	s_andn2_saveexec_b64 s[0:1], s[0:1]
	s_cbranch_execz .LBB6_589
.LBB6_609:
	v_cmp_ne_u16_e32 vcc, 0, v3
	s_andn2_b64 s[34:35], s[34:35], exec
	s_and_b64 s[38:39], vcc, exec
	s_or_b64 s[34:35], s[34:35], s[38:39]
	s_or_b64 exec, exec, s[0:1]
	v_mov_b32_e32 v2, 0
	s_and_saveexec_b64 s[0:1], s[34:35]
	s_cbranch_execnz .LBB6_590
	s_branch .LBB6_591
.LBB6_610:
	s_mov_b64 s[30:31], -1
                                        ; implicit-def: $vgpr2
.LBB6_611:
	s_mov_b64 s[34:35], 0
.LBB6_612:
	s_and_b64 vcc, exec, s[34:35]
	s_cbranch_vccz .LBB6_616
; %bb.613:
	s_cmp_eq_u32 s36, 11
	s_cbranch_scc0 .LBB6_615
; %bb.614:
	global_load_ubyte v2, v[0:1], off
	s_mov_b64 s[0:1], -1
	s_mov_b64 s[30:31], 0
	s_waitcnt vmcnt(0)
	v_cmp_ne_u16_e32 vcc, 0, v2
	v_cndmask_b32_e64 v2, 0, 1, vcc
	s_branch .LBB6_616
.LBB6_615:
	s_mov_b64 s[30:31], -1
                                        ; implicit-def: $vgpr2
.LBB6_616:
	s_mov_b64 s[34:35], 0
.LBB6_617:
	s_and_b64 vcc, exec, s[34:35]
	s_cbranch_vccz .LBB6_666
; %bb.618:
	s_cmp_lt_i32 s36, 5
	s_cbranch_scc1 .LBB6_623
; %bb.619:
	s_cmp_lt_i32 s36, 8
	s_cbranch_scc1 .LBB6_624
	;; [unrolled: 3-line block ×3, first 2 shown]
; %bb.621:
	s_cmp_gt_i32 s36, 9
	s_cbranch_scc0 .LBB6_626
; %bb.622:
	global_load_dwordx2 v[2:3], v[0:1], off
	s_movk_i32 s0, 0xffe0
	s_waitcnt vmcnt(0)
	v_trunc_f64_e32 v[2:3], v[2:3]
	v_ldexp_f64 v[5:6], v[2:3], s0
	s_mov_b32 s0, 0
	s_mov_b32 s1, 0xc1f00000
	v_floor_f64_e32 v[5:6], v[5:6]
	v_fma_f64 v[2:3], v[5:6], s[0:1], v[2:3]
	s_mov_b64 s[0:1], 0
	v_cvt_u32_f64_e32 v2, v[2:3]
	s_branch .LBB6_627
.LBB6_623:
	s_mov_b64 s[0:1], -1
                                        ; implicit-def: $vgpr2
	s_branch .LBB6_645
.LBB6_624:
	s_mov_b64 s[0:1], -1
                                        ; implicit-def: $vgpr2
	s_branch .LBB6_633
.LBB6_625:
	s_mov_b64 s[0:1], -1
                                        ; implicit-def: $vgpr2
	s_branch .LBB6_630
.LBB6_626:
	s_mov_b64 s[0:1], -1
                                        ; implicit-def: $vgpr2
.LBB6_627:
	s_andn2_b64 vcc, exec, s[0:1]
	s_cbranch_vccnz .LBB6_629
; %bb.628:
	global_load_dword v2, v[0:1], off
	s_mov_b32 s0, 0x2f800000
	s_waitcnt vmcnt(0)
	v_trunc_f32_e32 v2, v2
	v_mul_f32_e64 v3, |v2|, s0
	v_floor_f32_e32 v3, v3
	s_mov_b32 s0, 0xcf800000
	v_fma_f32 v3, v3, s0, |v2|
	v_cvt_u32_f32_e32 v3, v3
	v_ashrrev_i32_e32 v2, 31, v2
	v_xor_b32_e32 v3, v3, v2
	v_sub_u32_e32 v2, v3, v2
.LBB6_629:
	s_mov_b64 s[0:1], 0
.LBB6_630:
	s_andn2_b64 vcc, exec, s[0:1]
	s_cbranch_vccnz .LBB6_632
; %bb.631:
	global_load_dword v2, v[0:1], off
	s_waitcnt vmcnt(0)
	v_cvt_f32_f16_e32 v2, v2
	v_cvt_i32_f32_e32 v2, v2
.LBB6_632:
	s_mov_b64 s[0:1], 0
.LBB6_633:
	s_andn2_b64 vcc, exec, s[0:1]
	s_cbranch_vccnz .LBB6_644
; %bb.634:
	s_cmp_lt_i32 s36, 6
	s_cbranch_scc1 .LBB6_637
; %bb.635:
	s_cmp_gt_i32 s36, 6
	s_cbranch_scc0 .LBB6_638
; %bb.636:
	global_load_dwordx2 v[2:3], v[0:1], off
	s_movk_i32 s0, 0xffe0
	s_waitcnt vmcnt(0)
	v_trunc_f64_e32 v[2:3], v[2:3]
	v_ldexp_f64 v[5:6], v[2:3], s0
	s_mov_b32 s0, 0
	s_mov_b32 s1, 0xc1f00000
	v_floor_f64_e32 v[5:6], v[5:6]
	v_fma_f64 v[2:3], v[5:6], s[0:1], v[2:3]
	s_mov_b64 s[0:1], 0
	v_cvt_u32_f64_e32 v2, v[2:3]
	s_branch .LBB6_639
.LBB6_637:
	s_mov_b64 s[0:1], -1
                                        ; implicit-def: $vgpr2
	s_branch .LBB6_642
.LBB6_638:
	s_mov_b64 s[0:1], -1
                                        ; implicit-def: $vgpr2
.LBB6_639:
	s_andn2_b64 vcc, exec, s[0:1]
	s_cbranch_vccnz .LBB6_641
; %bb.640:
	global_load_dword v2, v[0:1], off
	s_mov_b32 s0, 0x2f800000
	s_waitcnt vmcnt(0)
	v_trunc_f32_e32 v2, v2
	v_mul_f32_e64 v3, |v2|, s0
	v_floor_f32_e32 v3, v3
	s_mov_b32 s0, 0xcf800000
	v_fma_f32 v3, v3, s0, |v2|
	v_cvt_u32_f32_e32 v3, v3
	v_ashrrev_i32_e32 v2, 31, v2
	v_xor_b32_e32 v3, v3, v2
	v_sub_u32_e32 v2, v3, v2
.LBB6_641:
	s_mov_b64 s[0:1], 0
.LBB6_642:
	s_andn2_b64 vcc, exec, s[0:1]
	s_cbranch_vccnz .LBB6_644
; %bb.643:
	global_load_ushort v2, v[0:1], off
	s_waitcnt vmcnt(0)
	v_cvt_f32_f16_e32 v2, v2
	v_cvt_i32_f32_e32 v2, v2
.LBB6_644:
	s_mov_b64 s[0:1], 0
.LBB6_645:
	s_andn2_b64 vcc, exec, s[0:1]
	s_cbranch_vccnz .LBB6_665
; %bb.646:
	s_cmp_lt_i32 s36, 2
	s_cbranch_scc1 .LBB6_650
; %bb.647:
	s_cmp_lt_i32 s36, 3
	s_cbranch_scc1 .LBB6_651
; %bb.648:
	s_cmp_gt_i32 s36, 3
	s_cbranch_scc0 .LBB6_652
; %bb.649:
	global_load_dwordx2 v[2:3], v[0:1], off
	s_mov_b64 s[0:1], 0
	s_branch .LBB6_653
.LBB6_650:
	s_mov_b64 s[0:1], -1
                                        ; implicit-def: $vgpr2
	s_branch .LBB6_659
.LBB6_651:
	s_mov_b64 s[0:1], -1
                                        ; implicit-def: $vgpr2
	s_branch .LBB6_656
.LBB6_652:
	s_mov_b64 s[0:1], -1
                                        ; implicit-def: $vgpr2
.LBB6_653:
	s_andn2_b64 vcc, exec, s[0:1]
	s_cbranch_vccnz .LBB6_655
; %bb.654:
	global_load_dword v2, v[0:1], off
.LBB6_655:
	s_mov_b64 s[0:1], 0
.LBB6_656:
	s_andn2_b64 vcc, exec, s[0:1]
	s_cbranch_vccnz .LBB6_658
; %bb.657:
	global_load_ushort v2, v[0:1], off
.LBB6_658:
	s_mov_b64 s[0:1], 0
.LBB6_659:
	s_andn2_b64 vcc, exec, s[0:1]
	s_cbranch_vccnz .LBB6_665
; %bb.660:
	s_cmp_gt_i32 s36, 0
	s_cbranch_scc0 .LBB6_662
; %bb.661:
	global_load_ubyte v2, v[0:1], off
	s_mov_b64 s[0:1], 0
	s_branch .LBB6_663
.LBB6_662:
	s_mov_b64 s[0:1], -1
                                        ; implicit-def: $vgpr2
.LBB6_663:
	s_andn2_b64 vcc, exec, s[0:1]
	s_cbranch_vccnz .LBB6_665
; %bb.664:
	global_load_ubyte v2, v[0:1], off
.LBB6_665:
	s_mov_b64 s[0:1], -1
.LBB6_666:
	s_andn2_b64 vcc, exec, s[0:1]
	s_cbranch_vccnz .LBB6_671
; %bb.667:
	s_cmp_lt_i32 s14, 1
	s_mov_b64 s[0:1], 0
	s_cbranch_scc1 .LBB6_672
; %bb.668:
	s_cmp_gt_i32 s14, 1
	s_cbranch_scc0 .LBB6_673
; %bb.669:
	s_cmp_eq_u32 s14, 2
	s_cbranch_scc0 .LBB6_674
; %bb.670:
	s_and_b32 s34, s2, 0xff
	s_waitcnt vmcnt(0)
	v_cmp_le_u16_sdwa s[34:35], v2, s34 src0_sel:BYTE_0 src1_sel:DWORD
	s_mov_b64 s[36:37], 0
	s_branch .LBB6_675
.LBB6_671:
	s_mov_b64 s[36:37], 0
                                        ; implicit-def: $vgpr4
	s_mov_b64 s[0:1], s[24:25]
	s_branch .LBB6_808
.LBB6_672:
	s_mov_b64 s[38:39], -1
                                        ; implicit-def: $sgpr34_sgpr35
	s_mov_b64 s[36:37], 0
	s_branch .LBB6_679
.LBB6_673:
	s_mov_b64 s[38:39], -1
	s_mov_b64 s[36:37], 0
                                        ; implicit-def: $sgpr34_sgpr35
	s_branch .LBB6_676
.LBB6_674:
	s_mov_b64 s[36:37], -1
                                        ; implicit-def: $sgpr34_sgpr35
.LBB6_675:
	s_mov_b64 s[38:39], 0
.LBB6_676:
	s_and_b64 vcc, exec, s[38:39]
	s_cbranch_vccz .LBB6_678
; %bb.677:
	s_and_b32 s38, s2, 0xff
	s_waitcnt vmcnt(0)
	v_cmp_gt_u16_sdwa s[38:39], v2, s38 src0_sel:BYTE_0 src1_sel:DWORD
	s_andn2_b64 s[34:35], s[34:35], exec
	s_and_b64 s[38:39], s[38:39], exec
	s_or_b64 s[34:35], s[34:35], s[38:39]
.LBB6_678:
	s_mov_b64 s[38:39], 0
.LBB6_679:
	s_and_b64 vcc, exec, s[38:39]
	s_cbranch_vccz .LBB6_690
; %bb.680:
	s_cmp_lg_u32 s14, 0
	s_mov_b64 s[0:1], -1
	s_cselect_b64 s[36:37], -1, 0
	s_andn2_b64 vcc, exec, s[36:37]
	s_cbranch_vccz .LBB6_691
.LBB6_681:
	s_andn2_b64 vcc, exec, s[0:1]
	s_cbranch_vccnz .LBB6_683
.LBB6_682:
	s_and_b32 s0, s2, 0xff
	s_waitcnt vmcnt(0)
	v_cmp_ge_u16_sdwa s[0:1], v2, s0 src0_sel:BYTE_0 src1_sel:DWORD
	s_andn2_b64 s[34:35], s[34:35], exec
	s_and_b64 s[0:1], s[0:1], exec
	s_or_b64 s[34:35], s[34:35], s[0:1]
.LBB6_683:
	v_mul_lo_u32 v0, v4, s12
	v_mov_b32_e32 v1, s9
	s_and_b32 s42, s3, 0xff
	s_cmp_lt_i32 s42, 11
	s_waitcnt vmcnt(0)
	v_ashrrev_i32_e32 v2, 31, v0
	v_add_co_u32_e32 v0, vcc, s8, v0
	v_addc_co_u32_e32 v1, vcc, v1, v2, vcc
	s_cbranch_scc1 .LBB6_692
; %bb.684:
	s_and_b32 s43, 0xffff, s42
	s_cmp_gt_i32 s43, 25
	s_cbranch_scc0 .LBB6_693
; %bb.685:
	s_cmp_gt_i32 s43, 28
	s_cbranch_scc0 .LBB6_694
; %bb.686:
	;; [unrolled: 3-line block ×4, first 2 shown]
	s_mov_b64 s[38:39], 0
	s_mov_b64 s[0:1], -1
	s_cmp_eq_u32 s43, 46
	s_mov_b64 s[36:37], 0
	s_cbranch_scc0 .LBB6_697
; %bb.689:
	v_cndmask_b32_e64 v2, 0, 1.0, s[34:35]
	v_bfe_u32 v3, v2, 16, 1
	s_movk_i32 s0, 0x7fff
	v_add3_u32 v2, v2, v3, s0
	v_lshrrev_b32_e32 v2, 16, v2
	global_store_dword v[0:1], v2, off
	s_mov_b64 s[36:37], -1
	s_mov_b64 s[0:1], 0
	s_branch .LBB6_697
.LBB6_690:
	s_andn2_b64 vcc, exec, s[36:37]
	s_cbranch_vccnz .LBB6_681
.LBB6_691:
	s_and_b32 s0, s2, 0xff
	s_waitcnt vmcnt(0)
	v_cmp_lt_u16_sdwa s[36:37], v2, s0 src0_sel:BYTE_0 src1_sel:DWORD
	s_andn2_b64 s[34:35], s[34:35], exec
	s_and_b64 s[36:37], s[36:37], exec
	s_or_b64 s[34:35], s[34:35], s[36:37]
	s_cbranch_execz .LBB6_682
	s_branch .LBB6_683
.LBB6_692:
	s_mov_b64 s[38:39], -1
	s_mov_b64 s[36:37], 0
	s_mov_b64 s[0:1], s[24:25]
	s_branch .LBB6_766
.LBB6_693:
	s_mov_b64 s[38:39], -1
	s_mov_b64 s[36:37], 0
	s_mov_b64 s[0:1], s[24:25]
	s_branch .LBB6_724
.LBB6_694:
	s_mov_b64 s[38:39], -1
	s_mov_b64 s[36:37], 0
	s_mov_b64 s[0:1], s[24:25]
	s_branch .LBB6_707
.LBB6_695:
	s_mov_b64 s[38:39], -1
	s_mov_b64 s[36:37], 0
	s_mov_b64 s[0:1], s[24:25]
	s_branch .LBB6_703
.LBB6_696:
	s_mov_b64 s[38:39], -1
	s_mov_b64 s[36:37], 0
	s_mov_b64 s[0:1], s[24:25]
.LBB6_697:
	s_and_b64 vcc, exec, s[38:39]
	s_cbranch_vccz .LBB6_702
; %bb.698:
	s_cmp_eq_u32 s43, 44
	s_mov_b64 s[0:1], -1
	s_cbranch_scc0 .LBB6_702
; %bb.699:
	v_cndmask_b32_e64 v3, 0, 1.0, s[34:35]
	v_lshrrev_b32_e32 v2, 23, v3
	s_movk_i32 s0, 0xff
	v_cmp_ne_u32_e32 vcc, s0, v2
	v_mov_b32_e32 v5, 0xff
	s_and_saveexec_b64 s[36:37], vcc
; %bb.700:
	s_mov_b32 s0, 0x3fffff
	v_and_b32_e32 v5, 0x400000, v3
	v_and_or_b32 v3, v3, s0, v2
	v_cmp_ne_u32_e32 vcc, 0, v5
	v_cmp_ne_u32_e64 s[0:1], 0, v3
	s_and_b64 s[0:1], vcc, s[0:1]
	v_cndmask_b32_e64 v3, 0, 1, s[0:1]
	v_add_u32_e32 v5, v2, v3
; %bb.701:
	s_or_b64 exec, exec, s[36:37]
	s_mov_b64 s[36:37], -1
	s_mov_b64 s[0:1], 0
	global_store_byte v[0:1], v5, off
.LBB6_702:
	s_mov_b64 s[38:39], 0
.LBB6_703:
	s_and_b64 vcc, exec, s[38:39]
	s_cbranch_vccz .LBB6_706
; %bb.704:
	s_cmp_eq_u32 s43, 29
	s_mov_b64 s[0:1], -1
	s_cbranch_scc0 .LBB6_706
; %bb.705:
	s_mov_b32 s0, 0
	v_cndmask_b32_e64 v2, 0, 1, s[34:35]
	v_mov_b32_e32 v3, s0
	global_store_dwordx2 v[0:1], v[2:3], off
	s_mov_b64 s[36:37], -1
	s_mov_b64 s[0:1], 0
.LBB6_706:
	s_mov_b64 s[38:39], 0
.LBB6_707:
	s_and_b64 vcc, exec, s[38:39]
	s_cbranch_vccz .LBB6_723
; %bb.708:
	s_cmp_lt_i32 s43, 27
	s_mov_b64 s[36:37], -1
	s_cbranch_scc1 .LBB6_714
; %bb.709:
	s_cmp_gt_i32 s43, 27
	s_cbranch_scc0 .LBB6_711
; %bb.710:
	v_cndmask_b32_e64 v2, 0, 1, s[34:35]
	s_mov_b64 s[36:37], 0
	global_store_dword v[0:1], v2, off
.LBB6_711:
	s_andn2_b64 vcc, exec, s[36:37]
	s_cbranch_vccnz .LBB6_713
; %bb.712:
	v_cndmask_b32_e64 v2, 0, 1, s[34:35]
	global_store_short v[0:1], v2, off
.LBB6_713:
	s_mov_b64 s[36:37], 0
.LBB6_714:
	s_andn2_b64 vcc, exec, s[36:37]
	s_cbranch_vccnz .LBB6_722
; %bb.715:
	v_cndmask_b32_e64 v3, 0, 1.0, s[34:35]
	s_mov_b32 s36, 0x43800000
	v_cmp_gt_u32_e32 vcc, s36, v3
	v_mov_b32_e32 v5, 0x80
	s_and_saveexec_b64 s[36:37], vcc
	s_cbranch_execz .LBB6_721
; %bb.716:
	s_mov_b32 s38, 0x3bffffff
	v_cmp_lt_u32_e32 vcc, s38, v3
	s_mov_b64 s[38:39], 0
                                        ; implicit-def: $vgpr2
	s_and_saveexec_b64 s[40:41], vcc
	s_xor_b64 s[40:41], exec, s[40:41]
	s_cbranch_execz .LBB6_822
; %bb.717:
	v_bfe_u32 v2, v3, 20, 1
	s_mov_b32 s44, 0x487ffff
	v_add3_u32 v2, v3, v2, s44
	s_mov_b64 s[38:39], exec
	v_lshrrev_b32_e32 v2, 20, v2
                                        ; implicit-def: $vgpr3
	s_andn2_saveexec_b64 s[40:41], s[40:41]
	s_cbranch_execnz .LBB6_823
.LBB6_718:
	s_or_b64 exec, exec, s[40:41]
	v_mov_b32_e32 v5, 0
	s_and_saveexec_b64 s[40:41], s[38:39]
.LBB6_719:
	v_mov_b32_e32 v5, v2
.LBB6_720:
	s_or_b64 exec, exec, s[40:41]
.LBB6_721:
	s_or_b64 exec, exec, s[36:37]
	global_store_byte v[0:1], v5, off
.LBB6_722:
	s_mov_b64 s[36:37], -1
.LBB6_723:
	s_mov_b64 s[38:39], 0
.LBB6_724:
	s_and_b64 vcc, exec, s[38:39]
	s_cbranch_vccz .LBB6_765
; %bb.725:
	s_cmp_gt_i32 s43, 22
	s_mov_b64 s[38:39], -1
	s_cbranch_scc0 .LBB6_757
; %bb.726:
	s_cmp_lt_i32 s43, 24
	s_mov_b64 s[36:37], -1
	s_cbranch_scc1 .LBB6_746
; %bb.727:
	s_cmp_gt_i32 s43, 24
	s_cbranch_scc0 .LBB6_735
; %bb.728:
	v_cndmask_b32_e64 v3, 0, 1.0, s[34:35]
	s_mov_b32 s36, 0x47800000
	v_cmp_gt_u32_e32 vcc, s36, v3
	v_mov_b32_e32 v5, 0x80
	s_and_saveexec_b64 s[36:37], vcc
	s_cbranch_execz .LBB6_734
; %bb.729:
	s_mov_b32 s38, 0x37ffffff
	v_cmp_lt_u32_e32 vcc, s38, v3
	s_mov_b64 s[38:39], 0
                                        ; implicit-def: $vgpr2
	s_and_saveexec_b64 s[40:41], vcc
	s_xor_b64 s[40:41], exec, s[40:41]
	s_cbranch_execz .LBB6_825
; %bb.730:
	v_bfe_u32 v2, v3, 21, 1
	s_mov_b32 s44, 0x88fffff
	v_add3_u32 v2, v3, v2, s44
	s_mov_b64 s[38:39], exec
	v_lshrrev_b32_e32 v2, 21, v2
                                        ; implicit-def: $vgpr3
	s_andn2_saveexec_b64 s[40:41], s[40:41]
	s_cbranch_execnz .LBB6_826
.LBB6_731:
	s_or_b64 exec, exec, s[40:41]
	v_mov_b32_e32 v5, 0
	s_and_saveexec_b64 s[40:41], s[38:39]
.LBB6_732:
	v_mov_b32_e32 v5, v2
.LBB6_733:
	s_or_b64 exec, exec, s[40:41]
.LBB6_734:
	s_or_b64 exec, exec, s[36:37]
	s_mov_b64 s[36:37], 0
	global_store_byte v[0:1], v5, off
.LBB6_735:
	s_and_b64 vcc, exec, s[36:37]
	s_cbranch_vccz .LBB6_745
; %bb.736:
	v_cndmask_b32_e64 v2, 0, 1.0, s[34:35]
	s_mov_b32 s36, 0x43f00000
	v_cmp_gt_u32_e32 vcc, s36, v2
                                        ; implicit-def: $vgpr3
	s_and_saveexec_b64 s[36:37], vcc
	s_xor_b64 s[36:37], exec, s[36:37]
	s_cbranch_execz .LBB6_742
; %bb.737:
	s_mov_b32 s38, 0x3c7fffff
	v_cmp_lt_u32_e32 vcc, s38, v2
                                        ; implicit-def: $vgpr3
	s_and_saveexec_b64 s[38:39], vcc
	s_xor_b64 s[38:39], exec, s[38:39]
; %bb.738:
	v_bfe_u32 v3, v2, 20, 1
	s_mov_b32 s40, 0x407ffff
	v_add3_u32 v2, v2, v3, s40
	v_lshrrev_b32_e32 v3, 20, v2
	v_and_b32_e32 v2, 0xff00000, v2
	s_mov_b32 s40, 0x7f00000
	v_mov_b32_e32 v5, 0x7e
	v_cmp_ne_u32_e32 vcc, s40, v2
	v_cndmask_b32_e32 v3, v5, v3, vcc
                                        ; implicit-def: $vgpr2
; %bb.739:
	s_andn2_saveexec_b64 s[38:39], s[38:39]
; %bb.740:
	v_add_f32_e32 v3, 0x46800000, v2
; %bb.741:
	s_or_b64 exec, exec, s[38:39]
                                        ; implicit-def: $vgpr2
.LBB6_742:
	s_andn2_saveexec_b64 s[36:37], s[36:37]
; %bb.743:
	s_mov_b32 s38, 0x7f800000
	v_mov_b32_e32 v3, 0x7e
	v_mov_b32_e32 v5, 0x7f
	v_cmp_lt_u32_e32 vcc, s38, v2
	v_cndmask_b32_e32 v3, v3, v5, vcc
; %bb.744:
	s_or_b64 exec, exec, s[36:37]
	global_store_byte v[0:1], v3, off
.LBB6_745:
	s_mov_b64 s[36:37], 0
.LBB6_746:
	s_andn2_b64 vcc, exec, s[36:37]
	s_cbranch_vccnz .LBB6_756
; %bb.747:
	v_cndmask_b32_e64 v2, 0, 1.0, s[34:35]
	s_mov_b32 s36, 0x47800000
	v_cmp_gt_u32_e32 vcc, s36, v2
                                        ; implicit-def: $vgpr3
	s_and_saveexec_b64 s[36:37], vcc
	s_xor_b64 s[36:37], exec, s[36:37]
	s_cbranch_execz .LBB6_753
; %bb.748:
	s_mov_b32 s38, 0x387fffff
	v_cmp_lt_u32_e32 vcc, s38, v2
                                        ; implicit-def: $vgpr3
	s_and_saveexec_b64 s[38:39], vcc
	s_xor_b64 s[38:39], exec, s[38:39]
; %bb.749:
	v_bfe_u32 v3, v2, 21, 1
	s_mov_b32 s40, 0x80fffff
	v_add3_u32 v2, v2, v3, s40
	v_lshrrev_b32_e32 v3, 21, v2
                                        ; implicit-def: $vgpr2
; %bb.750:
	s_andn2_saveexec_b64 s[38:39], s[38:39]
; %bb.751:
	v_add_f32_e32 v3, 0x43000000, v2
; %bb.752:
	s_or_b64 exec, exec, s[38:39]
                                        ; implicit-def: $vgpr2
.LBB6_753:
	s_andn2_saveexec_b64 s[36:37], s[36:37]
; %bb.754:
	s_mov_b32 s38, 0x7f800000
	v_mov_b32_e32 v3, 0x7c
	v_mov_b32_e32 v5, 0x7f
	v_cmp_lt_u32_e32 vcc, s38, v2
	v_cndmask_b32_e32 v3, v3, v5, vcc
; %bb.755:
	s_or_b64 exec, exec, s[36:37]
	global_store_byte v[0:1], v3, off
.LBB6_756:
	s_mov_b64 s[38:39], 0
	s_mov_b64 s[36:37], -1
.LBB6_757:
	s_andn2_b64 vcc, exec, s[38:39]
	s_cbranch_vccnz .LBB6_765
; %bb.758:
	s_cmp_gt_i32 s43, 14
	s_mov_b64 s[38:39], -1
	s_cbranch_scc0 .LBB6_762
; %bb.759:
	s_cmp_eq_u32 s43, 15
	s_mov_b64 s[0:1], -1
	s_cbranch_scc0 .LBB6_761
; %bb.760:
	v_cndmask_b32_e64 v2, 0, 1.0, s[34:35]
	v_bfe_u32 v3, v2, 16, 1
	s_movk_i32 s0, 0x7fff
	v_add3_u32 v2, v2, v3, s0
	global_store_short_d16_hi v[0:1], v2, off
	s_mov_b64 s[36:37], -1
	s_mov_b64 s[0:1], 0
.LBB6_761:
	s_mov_b64 s[38:39], 0
.LBB6_762:
	s_and_b64 vcc, exec, s[38:39]
	s_cbranch_vccz .LBB6_765
; %bb.763:
	s_cmp_eq_u32 s43, 11
	s_mov_b64 s[0:1], -1
	s_cbranch_scc0 .LBB6_765
; %bb.764:
	v_cndmask_b32_e64 v2, 0, 1, s[34:35]
	s_mov_b64 s[36:37], -1
	s_mov_b64 s[0:1], 0
	global_store_byte v[0:1], v2, off
.LBB6_765:
	s_mov_b64 s[38:39], 0
.LBB6_766:
	s_and_b64 vcc, exec, s[38:39]
	s_cbranch_vccz .LBB6_805
; %bb.767:
	s_and_b32 s38, 0xffff, s42
	s_cmp_lt_i32 s38, 5
	s_mov_b64 s[36:37], -1
	s_cbranch_scc1 .LBB6_788
; %bb.768:
	s_cmp_lt_i32 s38, 8
	s_cbranch_scc1 .LBB6_778
; %bb.769:
	s_cmp_lt_i32 s38, 9
	s_cbranch_scc1 .LBB6_775
; %bb.770:
	s_cmp_gt_i32 s38, 9
	s_cbranch_scc0 .LBB6_772
; %bb.771:
	v_cndmask_b32_e64 v2, 0, 1, s[34:35]
	v_cvt_f64_u32_e32 v[5:6], v2
	v_mov_b32_e32 v7, 0
	v_mov_b32_e32 v8, v7
	s_mov_b64 s[36:37], 0
	global_store_dwordx4 v[0:1], v[5:8], off
.LBB6_772:
	s_andn2_b64 vcc, exec, s[36:37]
	s_cbranch_vccnz .LBB6_774
; %bb.773:
	v_cndmask_b32_e64 v2, 0, 1.0, s[34:35]
	v_mov_b32_e32 v3, 0
	global_store_dwordx2 v[0:1], v[2:3], off
.LBB6_774:
	s_mov_b64 s[36:37], 0
.LBB6_775:
	s_andn2_b64 vcc, exec, s[36:37]
	s_cbranch_vccnz .LBB6_777
; %bb.776:
	v_cndmask_b32_e64 v2, 0, 1.0, s[34:35]
	v_cvt_f16_f32_e32 v2, v2
	global_store_dword v[0:1], v2, off
.LBB6_777:
	s_mov_b64 s[36:37], 0
.LBB6_778:
	s_andn2_b64 vcc, exec, s[36:37]
	s_cbranch_vccnz .LBB6_787
; %bb.779:
	s_cmp_lt_i32 s38, 6
	s_mov_b64 s[36:37], -1
	s_cbranch_scc1 .LBB6_785
; %bb.780:
	s_cmp_gt_i32 s38, 6
	s_cbranch_scc0 .LBB6_782
; %bb.781:
	v_cndmask_b32_e64 v2, 0, 1, s[34:35]
	v_cvt_f64_u32_e32 v[2:3], v2
	s_mov_b64 s[36:37], 0
	global_store_dwordx2 v[0:1], v[2:3], off
.LBB6_782:
	s_andn2_b64 vcc, exec, s[36:37]
	s_cbranch_vccnz .LBB6_784
; %bb.783:
	v_cndmask_b32_e64 v2, 0, 1.0, s[34:35]
	global_store_dword v[0:1], v2, off
.LBB6_784:
	s_mov_b64 s[36:37], 0
.LBB6_785:
	s_andn2_b64 vcc, exec, s[36:37]
	s_cbranch_vccnz .LBB6_787
; %bb.786:
	v_cndmask_b32_e64 v2, 0, 1.0, s[34:35]
	v_cvt_f16_f32_e32 v2, v2
	global_store_short v[0:1], v2, off
.LBB6_787:
	s_mov_b64 s[36:37], 0
.LBB6_788:
	s_andn2_b64 vcc, exec, s[36:37]
	s_cbranch_vccnz .LBB6_804
; %bb.789:
	s_cmp_lt_i32 s38, 2
	s_mov_b64 s[36:37], -1
	s_cbranch_scc1 .LBB6_799
; %bb.790:
	s_cmp_lt_i32 s38, 3
	s_cbranch_scc1 .LBB6_796
; %bb.791:
	s_cmp_gt_i32 s38, 3
	s_cbranch_scc0 .LBB6_793
; %bb.792:
	s_mov_b32 s36, 0
	v_cndmask_b32_e64 v2, 0, 1, s[34:35]
	v_mov_b32_e32 v3, s36
	s_mov_b64 s[36:37], 0
	global_store_dwordx2 v[0:1], v[2:3], off
.LBB6_793:
	s_andn2_b64 vcc, exec, s[36:37]
	s_cbranch_vccnz .LBB6_795
; %bb.794:
	v_cndmask_b32_e64 v2, 0, 1, s[34:35]
	global_store_dword v[0:1], v2, off
.LBB6_795:
	s_mov_b64 s[36:37], 0
.LBB6_796:
	s_andn2_b64 vcc, exec, s[36:37]
	s_cbranch_vccnz .LBB6_798
; %bb.797:
	v_cndmask_b32_e64 v2, 0, 1, s[34:35]
	global_store_short v[0:1], v2, off
.LBB6_798:
	s_mov_b64 s[36:37], 0
.LBB6_799:
	s_andn2_b64 vcc, exec, s[36:37]
	s_cbranch_vccnz .LBB6_804
; %bb.800:
	s_mov_b64 s[36:37], -1
	s_cmp_gt_i32 s38, 0
	v_cndmask_b32_e64 v2, 0, 1, s[34:35]
	s_cbranch_scc0 .LBB6_802
; %bb.801:
	s_mov_b64 s[36:37], 0
	global_store_byte v[0:1], v2, off
.LBB6_802:
	s_andn2_b64 vcc, exec, s[36:37]
	s_cbranch_vccnz .LBB6_804
; %bb.803:
	global_store_byte v[0:1], v2, off
.LBB6_804:
	s_mov_b64 s[36:37], -1
.LBB6_805:
	s_andn2_b64 vcc, exec, s[36:37]
	s_cbranch_vccnz .LBB6_807
; %bb.806:
	v_add_u32_e32 v4, 0x80, v4
	s_mov_b64 s[36:37], -1
	s_branch .LBB6_808
.LBB6_807:
	s_mov_b64 s[36:37], 0
                                        ; implicit-def: $vgpr4
.LBB6_808:
	s_andn2_b64 s[34:35], s[24:25], exec
	s_and_b64 s[0:1], s[0:1], exec
	s_or_b64 s[34:35], s[34:35], s[0:1]
	s_andn2_b64 s[0:1], s[22:23], exec
	s_and_b64 s[30:31], s[30:31], exec
	s_or_b64 s[0:1], s[0:1], s[30:31]
	s_orn2_b64 s[38:39], s[36:37], exec
.LBB6_809:
	s_or_b64 exec, exec, s[28:29]
	s_mov_b64 s[36:37], 0
	s_mov_b64 s[30:31], 0
	;; [unrolled: 1-line block ×3, first 2 shown]
                                        ; implicit-def: $vgpr0_vgpr1
                                        ; implicit-def: $vgpr2
	s_and_saveexec_b64 s[28:29], s[38:39]
	s_cbranch_execz .LBB6_890
; %bb.810:
	v_cmp_gt_i32_e32 vcc, s33, v4
	s_mov_b64 s[38:39], 0
	s_mov_b64 s[42:43], s[0:1]
	;; [unrolled: 1-line block ×3, first 2 shown]
                                        ; implicit-def: $vgpr0_vgpr1
                                        ; implicit-def: $vgpr2
	s_and_saveexec_b64 s[30:31], vcc
	s_cbranch_execz .LBB6_889
; %bb.811:
	v_mul_lo_u32 v0, v4, s13
	v_mov_b32_e32 v1, s11
	s_and_b32 s33, 0xffff, s15
	s_cmp_lt_i32 s33, 11
	s_waitcnt vmcnt(0)
	v_ashrrev_i32_e32 v2, 31, v0
	v_add_co_u32_e32 v0, vcc, s10, v0
	v_addc_co_u32_e32 v1, vcc, v1, v2, vcc
	s_cbranch_scc1 .LBB6_818
; %bb.812:
	s_cmp_gt_i32 s33, 25
	s_cbranch_scc0 .LBB6_819
; %bb.813:
	s_cmp_gt_i32 s33, 28
	s_cbranch_scc0 .LBB6_820
	;; [unrolled: 3-line block ×4, first 2 shown]
; %bb.816:
	s_cmp_eq_u32 s33, 46
	s_mov_b64 s[42:43], 0
	s_cbranch_scc0 .LBB6_827
; %bb.817:
	global_load_dword v2, v[0:1], off
	s_mov_b32 s36, 0x2f800000
	s_mov_b32 s37, 0xcf800000
	s_mov_b64 s[40:41], -1
	s_waitcnt vmcnt(0)
	v_lshlrev_b32_e32 v2, 16, v2
	v_trunc_f32_e32 v2, v2
	v_mul_f32_e64 v3, |v2|, s36
	v_floor_f32_e32 v3, v3
	v_fma_f32 v3, v3, s37, |v2|
	v_cvt_u32_f32_e32 v3, v3
	v_ashrrev_i32_e32 v2, 31, v2
	s_mov_b64 s[36:37], 0
	v_xor_b32_e32 v3, v3, v2
	v_sub_u32_e32 v2, v3, v2
	s_branch .LBB6_829
.LBB6_818:
	s_mov_b64 s[42:43], -1
                                        ; implicit-def: $vgpr2
	s_mov_b64 s[36:37], s[0:1]
	s_branch .LBB6_888
.LBB6_819:
	s_mov_b64 s[42:43], -1
	s_mov_b64 s[36:37], s[0:1]
                                        ; implicit-def: $vgpr2
	s_branch .LBB6_856
.LBB6_820:
	s_mov_b64 s[42:43], -1
	s_mov_b64 s[36:37], s[0:1]
                                        ; implicit-def: $vgpr2
	s_branch .LBB6_839
.LBB6_821:
	s_mov_b64 s[42:43], -1
	s_mov_b64 s[36:37], s[0:1]
                                        ; implicit-def: $vgpr2
	s_branch .LBB6_834
.LBB6_822:
	s_andn2_saveexec_b64 s[40:41], s[40:41]
	s_cbranch_execz .LBB6_718
.LBB6_823:
	v_add_f32_e32 v2, 0x46000000, v3
	v_and_b32_e32 v2, 0xff, v2
	v_cmp_ne_u32_e32 vcc, 0, v2
	s_andn2_b64 s[38:39], s[38:39], exec
	s_and_b64 s[44:45], vcc, exec
	s_or_b64 s[38:39], s[38:39], s[44:45]
	s_or_b64 exec, exec, s[40:41]
	v_mov_b32_e32 v5, 0
	s_and_saveexec_b64 s[40:41], s[38:39]
	s_cbranch_execnz .LBB6_719
	s_branch .LBB6_720
.LBB6_824:
	s_mov_b64 s[42:43], -1
	s_mov_b64 s[36:37], s[0:1]
	s_branch .LBB6_828
.LBB6_825:
	s_andn2_saveexec_b64 s[40:41], s[40:41]
	s_cbranch_execz .LBB6_731
.LBB6_826:
	v_add_f32_e32 v2, 0x42800000, v3
	v_and_b32_e32 v2, 0xff, v2
	v_cmp_ne_u32_e32 vcc, 0, v2
	s_andn2_b64 s[38:39], s[38:39], exec
	s_and_b64 s[44:45], vcc, exec
	s_or_b64 s[38:39], s[38:39], s[44:45]
	s_or_b64 exec, exec, s[40:41]
	v_mov_b32_e32 v5, 0
	s_and_saveexec_b64 s[40:41], s[38:39]
	s_cbranch_execnz .LBB6_732
	s_branch .LBB6_733
.LBB6_827:
	s_mov_b64 s[36:37], -1
.LBB6_828:
                                        ; implicit-def: $vgpr2
.LBB6_829:
	s_and_b64 vcc, exec, s[42:43]
	s_cbranch_vccz .LBB6_833
; %bb.830:
	s_cmp_eq_u32 s33, 44
	s_cbranch_scc0 .LBB6_832
; %bb.831:
	global_load_ubyte v2, v[0:1], off
	s_mov_b32 s36, 0x2f800000
	s_mov_b32 s37, 0xcf800000
	s_mov_b64 s[40:41], -1
	s_waitcnt vmcnt(0)
	v_lshlrev_b32_e32 v3, 23, v2
	v_trunc_f32_e32 v3, v3
	v_mul_f32_e64 v5, |v3|, s36
	v_floor_f32_e32 v5, v5
	v_fma_f32 v5, v5, s37, |v3|
	v_cvt_u32_f32_e32 v5, v5
	v_ashrrev_i32_e32 v3, 31, v3
	v_cmp_ne_u32_e32 vcc, 0, v2
	s_mov_b64 s[36:37], 0
	v_xor_b32_e32 v5, v5, v3
	v_sub_u32_e32 v3, v5, v3
	v_cndmask_b32_e32 v2, 0, v3, vcc
	s_branch .LBB6_833
.LBB6_832:
	s_mov_b64 s[36:37], -1
                                        ; implicit-def: $vgpr2
.LBB6_833:
	s_mov_b64 s[42:43], 0
.LBB6_834:
	s_and_b64 vcc, exec, s[42:43]
	s_cbranch_vccz .LBB6_838
; %bb.835:
	s_cmp_eq_u32 s33, 29
	s_cbranch_scc0 .LBB6_837
; %bb.836:
	global_load_dwordx2 v[2:3], v[0:1], off
	s_mov_b64 s[36:37], 0
	s_mov_b64 s[40:41], -1
	s_branch .LBB6_838
.LBB6_837:
	s_mov_b64 s[36:37], -1
                                        ; implicit-def: $vgpr2
.LBB6_838:
	s_mov_b64 s[42:43], 0
.LBB6_839:
	s_and_b64 vcc, exec, s[42:43]
	s_cbranch_vccz .LBB6_855
; %bb.840:
	s_cmp_lt_i32 s33, 27
	s_cbranch_scc1 .LBB6_843
; %bb.841:
	s_cmp_gt_i32 s33, 27
	s_cbranch_scc0 .LBB6_844
; %bb.842:
	global_load_dword v2, v[0:1], off
	s_mov_b64 s[40:41], 0
	s_branch .LBB6_845
.LBB6_843:
	s_mov_b64 s[40:41], -1
                                        ; implicit-def: $vgpr2
	s_branch .LBB6_848
.LBB6_844:
	s_mov_b64 s[40:41], -1
                                        ; implicit-def: $vgpr2
.LBB6_845:
	s_andn2_b64 vcc, exec, s[40:41]
	s_cbranch_vccnz .LBB6_847
; %bb.846:
	global_load_ushort v2, v[0:1], off
.LBB6_847:
	s_mov_b64 s[40:41], 0
.LBB6_848:
	s_andn2_b64 vcc, exec, s[40:41]
	s_cbranch_vccnz .LBB6_854
; %bb.849:
	global_load_ubyte v3, v[0:1], off
	s_movk_i32 s40, 0x7f
	s_mov_b64 s[42:43], 0
	s_waitcnt vmcnt(0)
	v_cmp_lt_i16_e32 vcc, s40, v3
	s_and_saveexec_b64 s[40:41], vcc
	s_xor_b64 s[40:41], exec, s[40:41]
	s_cbranch_execz .LBB6_866
; %bb.850:
	s_movk_i32 s42, 0x80
	v_cmp_ne_u16_e32 vcc, s42, v3
	s_and_b64 s[42:43], vcc, exec
	s_andn2_saveexec_b64 s[40:41], s[40:41]
	s_cbranch_execnz .LBB6_867
.LBB6_851:
	s_or_b64 exec, exec, s[40:41]
	v_mov_b32_e32 v2, 0
	s_and_saveexec_b64 s[40:41], s[42:43]
	s_cbranch_execz .LBB6_853
.LBB6_852:
	v_lshlrev_b32_e32 v2, 24, v3
	v_and_b32_e32 v3, 0xffff, v3
	v_and_b32_e32 v5, 7, v3
	v_ffbh_u32_e32 v7, v5
	v_min_u32_e32 v7, 32, v7
	v_subrev_u32_e32 v8, 28, v7
	v_bfe_u32 v6, v3, 3, 4
	v_lshlrev_b32_e32 v3, v8, v3
	v_sub_u32_e32 v7, 29, v7
	v_and_b32_e32 v3, 7, v3
	v_cmp_eq_u32_e32 vcc, 0, v6
	v_cndmask_b32_e32 v6, v6, v7, vcc
	v_cndmask_b32_e32 v3, v5, v3, vcc
	v_mov_b32_e32 v5, 0x3b800000
	v_lshlrev_b32_e32 v3, 20, v3
	v_and_b32_e32 v2, 0x80000000, v2
	v_lshl_add_u32 v5, v6, 23, v5
	v_or3_b32 v2, v2, v5, v3
	v_trunc_f32_e32 v2, v2
	s_mov_b32 s42, 0x2f800000
	v_mul_f32_e64 v3, |v2|, s42
	v_floor_f32_e32 v3, v3
	s_mov_b32 s42, 0xcf800000
	v_fma_f32 v3, v3, s42, |v2|
	v_cvt_u32_f32_e32 v3, v3
	v_ashrrev_i32_e32 v2, 31, v2
	v_xor_b32_e32 v3, v3, v2
	v_sub_u32_e32 v2, v3, v2
.LBB6_853:
	s_or_b64 exec, exec, s[40:41]
.LBB6_854:
	s_mov_b64 s[40:41], -1
.LBB6_855:
	s_mov_b64 s[42:43], 0
.LBB6_856:
	s_and_b64 vcc, exec, s[42:43]
	s_cbranch_vccz .LBB6_887
; %bb.857:
	s_cmp_gt_i32 s33, 22
	s_cbranch_scc0 .LBB6_865
; %bb.858:
	s_cmp_lt_i32 s33, 24
	s_cbranch_scc1 .LBB6_868
; %bb.859:
	s_cmp_gt_i32 s33, 24
	s_cbranch_scc0 .LBB6_869
; %bb.860:
	global_load_ubyte v3, v[0:1], off
	s_movk_i32 s38, 0x7f
	s_mov_b64 s[40:41], 0
	s_waitcnt vmcnt(0)
	v_cmp_lt_i16_e32 vcc, s38, v3
	s_and_saveexec_b64 s[38:39], vcc
	s_xor_b64 s[38:39], exec, s[38:39]
	s_cbranch_execz .LBB6_881
; %bb.861:
	s_movk_i32 s40, 0x80
	v_cmp_ne_u16_e32 vcc, s40, v3
	s_and_b64 s[40:41], vcc, exec
	s_andn2_saveexec_b64 s[38:39], s[38:39]
	s_cbranch_execnz .LBB6_882
.LBB6_862:
	s_or_b64 exec, exec, s[38:39]
	v_mov_b32_e32 v2, 0
	s_and_saveexec_b64 s[38:39], s[40:41]
	s_cbranch_execz .LBB6_864
.LBB6_863:
	v_lshlrev_b32_e32 v2, 24, v3
	v_and_b32_e32 v3, 0xffff, v3
	v_and_b32_e32 v5, 3, v3
	v_ffbh_u32_e32 v7, v5
	v_min_u32_e32 v7, 32, v7
	v_subrev_u32_e32 v8, 29, v7
	v_bfe_u32 v6, v3, 2, 5
	v_lshlrev_b32_e32 v3, v8, v3
	v_sub_u32_e32 v7, 30, v7
	v_and_b32_e32 v3, 3, v3
	v_cmp_eq_u32_e32 vcc, 0, v6
	v_cndmask_b32_e32 v6, v6, v7, vcc
	v_cndmask_b32_e32 v3, v5, v3, vcc
	v_mov_b32_e32 v5, 0x37800000
	v_lshlrev_b32_e32 v3, 21, v3
	v_and_b32_e32 v2, 0x80000000, v2
	v_lshl_add_u32 v5, v6, 23, v5
	v_or3_b32 v2, v2, v5, v3
	v_trunc_f32_e32 v2, v2
	s_mov_b32 s40, 0x2f800000
	v_mul_f32_e64 v3, |v2|, s40
	v_floor_f32_e32 v3, v3
	s_mov_b32 s40, 0xcf800000
	v_fma_f32 v3, v3, s40, |v2|
	v_cvt_u32_f32_e32 v3, v3
	v_ashrrev_i32_e32 v2, 31, v2
	v_xor_b32_e32 v3, v3, v2
	v_sub_u32_e32 v2, v3, v2
.LBB6_864:
	s_or_b64 exec, exec, s[38:39]
	s_mov_b64 s[38:39], 0
	s_branch .LBB6_870
.LBB6_865:
	s_mov_b64 s[38:39], -1
                                        ; implicit-def: $vgpr2
	s_branch .LBB6_876
.LBB6_866:
	s_andn2_saveexec_b64 s[40:41], s[40:41]
	s_cbranch_execz .LBB6_851
.LBB6_867:
	v_cmp_ne_u16_e32 vcc, 0, v3
	s_andn2_b64 s[42:43], s[42:43], exec
	s_and_b64 s[44:45], vcc, exec
	s_or_b64 s[42:43], s[42:43], s[44:45]
	s_or_b64 exec, exec, s[40:41]
	v_mov_b32_e32 v2, 0
	s_and_saveexec_b64 s[40:41], s[42:43]
	s_cbranch_execnz .LBB6_852
	s_branch .LBB6_853
.LBB6_868:
	s_mov_b64 s[38:39], -1
                                        ; implicit-def: $vgpr2
	s_branch .LBB6_873
.LBB6_869:
	s_mov_b64 s[38:39], -1
                                        ; implicit-def: $vgpr2
.LBB6_870:
	s_and_b64 vcc, exec, s[38:39]
	s_cbranch_vccz .LBB6_872
; %bb.871:
	global_load_ubyte v2, v[0:1], off
	s_mov_b32 s38, 0x7f800000
	s_brev_b32 s39, 1
	s_mov_b32 s40, 0x2f800000
	s_waitcnt vmcnt(0)
	v_lshlrev_b32_e32 v2, 24, v2
	v_and_b32_e32 v3, 0x7f000000, v2
	v_ffbh_u32_e32 v5, v3
	v_min_u32_e32 v5, 32, v5
	v_sub_u32_e64 v5, v5, 4 clamp
	v_lshlrev_b32_e32 v7, v5, v3
	v_lshlrev_b32_e32 v5, 23, v5
	v_lshrrev_b32_e32 v7, 4, v7
	v_add_u32_e32 v6, 0x1000000, v3
	v_sub_u32_e32 v5, v7, v5
	v_ashrrev_i32_e32 v6, 8, v6
	v_add_u32_e32 v5, 0x3c000000, v5
	v_and_or_b32 v5, v6, s38, v5
	v_cmp_ne_u32_e32 vcc, 0, v3
	v_cndmask_b32_e32 v3, 0, v5, vcc
	v_and_or_b32 v2, v2, s39, v3
	v_trunc_f32_e32 v2, v2
	v_mul_f32_e64 v3, |v2|, s40
	v_floor_f32_e32 v3, v3
	s_mov_b32 s38, 0xcf800000
	v_fma_f32 v3, v3, s38, |v2|
	v_cvt_u32_f32_e32 v3, v3
	v_ashrrev_i32_e32 v2, 31, v2
	v_xor_b32_e32 v3, v3, v2
	v_sub_u32_e32 v2, v3, v2
.LBB6_872:
	s_mov_b64 s[38:39], 0
.LBB6_873:
	s_andn2_b64 vcc, exec, s[38:39]
	s_cbranch_vccnz .LBB6_875
; %bb.874:
	global_load_ubyte v2, v[0:1], off
	s_movk_i32 s38, 0x7f00
	s_brev_b32 s39, 16
	s_brev_b32 s40, 1
	s_mov_b32 s41, 0x2f800000
	s_waitcnt vmcnt(0)
	v_lshlrev_b16_e32 v3, 8, v2
	v_lshlrev_b32_e32 v2, 25, v2
	v_lshrrev_b32_e32 v5, 4, v2
	v_and_or_b32 v6, v3, s38, 0.5
	v_or_b32_e32 v5, 0x70000000, v5
	v_add_f32_e32 v6, -0.5, v6
	v_mul_f32_e32 v5, 0x7800000, v5
	v_cmp_gt_u32_e32 vcc, s39, v2
	v_bfe_i32 v3, v3, 0, 16
	v_cndmask_b32_e32 v2, v5, v6, vcc
	v_and_or_b32 v2, v3, s40, v2
	v_trunc_f32_e32 v2, v2
	v_mul_f32_e64 v3, |v2|, s41
	v_floor_f32_e32 v3, v3
	s_mov_b32 s38, 0xcf800000
	v_fma_f32 v3, v3, s38, |v2|
	v_cvt_u32_f32_e32 v3, v3
	v_ashrrev_i32_e32 v2, 31, v2
	v_xor_b32_e32 v3, v3, v2
	v_sub_u32_e32 v2, v3, v2
.LBB6_875:
	s_mov_b64 s[38:39], 0
	s_mov_b64 s[40:41], -1
.LBB6_876:
	s_andn2_b64 vcc, exec, s[38:39]
	s_mov_b64 s[38:39], 0
	s_cbranch_vccnz .LBB6_887
; %bb.877:
	s_cmp_gt_i32 s33, 14
	s_cbranch_scc0 .LBB6_880
; %bb.878:
	s_cmp_eq_u32 s33, 15
	s_cbranch_scc0 .LBB6_883
; %bb.879:
	global_load_ushort v2, v[0:1], off
	s_mov_b32 s36, 0x2f800000
	s_mov_b32 s37, 0xcf800000
	s_mov_b64 s[40:41], -1
	s_waitcnt vmcnt(0)
	v_lshlrev_b32_e32 v2, 16, v2
	v_trunc_f32_e32 v2, v2
	v_mul_f32_e64 v3, |v2|, s36
	v_floor_f32_e32 v3, v3
	v_fma_f32 v3, v3, s37, |v2|
	v_cvt_u32_f32_e32 v3, v3
	v_ashrrev_i32_e32 v2, 31, v2
	s_mov_b64 s[36:37], 0
	v_xor_b32_e32 v3, v3, v2
	v_sub_u32_e32 v2, v3, v2
	s_branch .LBB6_884
.LBB6_880:
	s_mov_b64 s[42:43], -1
                                        ; implicit-def: $vgpr2
	s_branch .LBB6_885
.LBB6_881:
	s_andn2_saveexec_b64 s[38:39], s[38:39]
	s_cbranch_execz .LBB6_862
.LBB6_882:
	v_cmp_ne_u16_e32 vcc, 0, v3
	s_andn2_b64 s[40:41], s[40:41], exec
	s_and_b64 s[42:43], vcc, exec
	s_or_b64 s[40:41], s[40:41], s[42:43]
	s_or_b64 exec, exec, s[38:39]
	v_mov_b32_e32 v2, 0
	s_and_saveexec_b64 s[38:39], s[40:41]
	s_cbranch_execnz .LBB6_863
	s_branch .LBB6_864
.LBB6_883:
	s_mov_b64 s[36:37], -1
                                        ; implicit-def: $vgpr2
.LBB6_884:
	s_mov_b64 s[42:43], 0
.LBB6_885:
	s_and_b64 vcc, exec, s[42:43]
	s_cbranch_vccz .LBB6_887
; %bb.886:
	s_cmp_lg_u32 s33, 11
	s_cselect_b64 s[42:43], -1, 0
	s_andn2_b64 s[36:37], s[36:37], exec
	s_and_b64 s[42:43], s[42:43], exec
	s_mov_b64 s[38:39], -1
	s_or_b64 s[36:37], s[36:37], s[42:43]
.LBB6_887:
	s_mov_b64 s[42:43], 0
.LBB6_888:
	s_and_b64 s[44:45], s[42:43], exec
	s_andn2_b64 s[42:43], s[0:1], exec
	s_and_b64 s[36:37], s[36:37], exec
	s_and_b64 s[40:41], s[40:41], exec
	;; [unrolled: 1-line block ×3, first 2 shown]
	s_or_b64 s[42:43], s[42:43], s[36:37]
.LBB6_889:
	s_or_b64 exec, exec, s[30:31]
	s_and_b64 s[36:37], s[38:39], exec
	s_andn2_b64 s[0:1], s[0:1], exec
	s_and_b64 s[38:39], s[42:43], exec
	s_and_b64 s[40:41], s[40:41], exec
	;; [unrolled: 1-line block ×3, first 2 shown]
	s_or_b64 s[0:1], s[0:1], s[38:39]
.LBB6_890:
	s_or_b64 exec, exec, s[28:29]
	s_andn2_b64 s[24:25], s[24:25], exec
	s_and_b64 s[28:29], s[34:35], exec
	s_andn2_b64 s[22:23], s[22:23], exec
	s_and_b64 s[0:1], s[0:1], exec
	s_or_b64 s[24:25], s[24:25], s[28:29]
	s_and_b64 s[34:35], s[40:41], exec
	s_and_b64 s[30:31], s[30:31], exec
	;; [unrolled: 1-line block ×3, first 2 shown]
	s_or_b64 s[22:23], s[22:23], s[0:1]
.LBB6_891:
	s_or_b64 exec, exec, s[26:27]
	s_andn2_b64 s[0:1], s[16:17], exec
	s_and_b64 s[16:17], s[24:25], exec
	s_andn2_b64 s[18:19], s[18:19], exec
	s_and_b64 s[22:23], s[22:23], exec
	s_or_b64 s[16:17], s[0:1], s[16:17]
	s_and_b64 s[0:1], s[34:35], exec
	s_and_b64 s[26:27], s[30:31], exec
	;; [unrolled: 1-line block ×3, first 2 shown]
	s_or_b64 s[18:19], s[18:19], s[22:23]
	s_or_b64 exec, exec, s[20:21]
	s_mov_b64 s[20:21], 0
	s_and_saveexec_b64 s[22:23], s[18:19]
	s_cbranch_execz .LBB6_274
.LBB6_892:
	s_mov_b64 s[20:21], exec
	s_andn2_b64 s[24:25], s[24:25], exec
	s_trap 2
	s_or_b64 exec, exec, s[22:23]
	s_and_saveexec_b64 s[18:19], s[24:25]
	s_xor_b64 s[18:19], exec, s[18:19]
	s_cbranch_execnz .LBB6_275
.LBB6_893:
	s_or_b64 exec, exec, s[18:19]
	s_and_saveexec_b64 s[18:19], s[26:27]
	s_cbranch_execz .LBB6_939
.LBB6_894:
	s_sext_i32_i16 s22, s15
	s_cmp_lt_i32 s22, 5
	s_cbranch_scc1 .LBB6_899
; %bb.895:
	s_cmp_lt_i32 s22, 8
	s_cbranch_scc1 .LBB6_900
; %bb.896:
	;; [unrolled: 3-line block ×3, first 2 shown]
	s_cmp_gt_i32 s22, 9
	s_cbranch_scc0 .LBB6_902
; %bb.898:
	global_load_dwordx2 v[2:3], v[0:1], off
	s_movk_i32 s22, 0xffe0
	s_waitcnt vmcnt(0)
	v_trunc_f64_e32 v[2:3], v[2:3]
	v_ldexp_f64 v[5:6], v[2:3], s22
	s_mov_b32 s22, 0
	s_mov_b32 s23, 0xc1f00000
	v_floor_f64_e32 v[5:6], v[5:6]
	v_fma_f64 v[2:3], v[5:6], s[22:23], v[2:3]
	s_mov_b64 s[22:23], 0
	v_cvt_u32_f64_e32 v2, v[2:3]
	s_branch .LBB6_903
.LBB6_899:
                                        ; implicit-def: $vgpr2
	s_branch .LBB6_920
.LBB6_900:
                                        ; implicit-def: $vgpr2
	s_branch .LBB6_909
.LBB6_901:
	s_mov_b64 s[22:23], -1
                                        ; implicit-def: $vgpr2
	s_branch .LBB6_906
.LBB6_902:
	s_mov_b64 s[22:23], -1
                                        ; implicit-def: $vgpr2
.LBB6_903:
	s_andn2_b64 vcc, exec, s[22:23]
	s_cbranch_vccnz .LBB6_905
; %bb.904:
	global_load_dword v2, v[0:1], off
	s_mov_b32 s22, 0x2f800000
	s_waitcnt vmcnt(0)
	v_trunc_f32_e32 v2, v2
	v_mul_f32_e64 v3, |v2|, s22
	v_floor_f32_e32 v3, v3
	s_mov_b32 s22, 0xcf800000
	v_fma_f32 v3, v3, s22, |v2|
	v_cvt_u32_f32_e32 v3, v3
	v_ashrrev_i32_e32 v2, 31, v2
	v_xor_b32_e32 v3, v3, v2
	v_sub_u32_e32 v2, v3, v2
.LBB6_905:
	s_mov_b64 s[22:23], 0
.LBB6_906:
	s_andn2_b64 vcc, exec, s[22:23]
	s_cbranch_vccnz .LBB6_908
; %bb.907:
	global_load_dword v2, v[0:1], off
	s_waitcnt vmcnt(0)
	v_cvt_f32_f16_e32 v2, v2
	v_cvt_i32_f32_e32 v2, v2
.LBB6_908:
	s_cbranch_execnz .LBB6_919
.LBB6_909:
	s_sext_i32_i16 s22, s15
	s_cmp_lt_i32 s22, 6
	s_cbranch_scc1 .LBB6_912
; %bb.910:
	s_cmp_gt_i32 s22, 6
	s_cbranch_scc0 .LBB6_913
; %bb.911:
	global_load_dwordx2 v[2:3], v[0:1], off
	s_movk_i32 s22, 0xffe0
	s_waitcnt vmcnt(0)
	v_trunc_f64_e32 v[2:3], v[2:3]
	v_ldexp_f64 v[5:6], v[2:3], s22
	s_mov_b32 s22, 0
	s_mov_b32 s23, 0xc1f00000
	v_floor_f64_e32 v[5:6], v[5:6]
	v_fma_f64 v[2:3], v[5:6], s[22:23], v[2:3]
	s_mov_b64 s[22:23], 0
	v_cvt_u32_f64_e32 v2, v[2:3]
	s_branch .LBB6_914
.LBB6_912:
	s_mov_b64 s[22:23], -1
                                        ; implicit-def: $vgpr2
	s_branch .LBB6_917
.LBB6_913:
	s_mov_b64 s[22:23], -1
                                        ; implicit-def: $vgpr2
.LBB6_914:
	s_andn2_b64 vcc, exec, s[22:23]
	s_cbranch_vccnz .LBB6_916
; %bb.915:
	global_load_dword v2, v[0:1], off
	s_mov_b32 s22, 0x2f800000
	s_waitcnt vmcnt(0)
	v_trunc_f32_e32 v2, v2
	v_mul_f32_e64 v3, |v2|, s22
	v_floor_f32_e32 v3, v3
	s_mov_b32 s22, 0xcf800000
	v_fma_f32 v3, v3, s22, |v2|
	v_cvt_u32_f32_e32 v3, v3
	v_ashrrev_i32_e32 v2, 31, v2
	v_xor_b32_e32 v3, v3, v2
	v_sub_u32_e32 v2, v3, v2
.LBB6_916:
	s_mov_b64 s[22:23], 0
.LBB6_917:
	s_andn2_b64 vcc, exec, s[22:23]
	s_cbranch_vccnz .LBB6_919
; %bb.918:
	global_load_ushort v2, v[0:1], off
	s_waitcnt vmcnt(0)
	v_cvt_f32_f16_e32 v2, v2
	v_cvt_i32_f32_e32 v2, v2
.LBB6_919:
	s_cbranch_execnz .LBB6_938
.LBB6_920:
	s_sext_i32_i16 s22, s15
	s_cmp_lt_i32 s22, 2
	s_cbranch_scc1 .LBB6_924
; %bb.921:
	s_cmp_lt_i32 s22, 3
	s_cbranch_scc1 .LBB6_925
; %bb.922:
	s_cmp_gt_i32 s22, 3
	s_cbranch_scc0 .LBB6_926
; %bb.923:
	global_load_dwordx2 v[2:3], v[0:1], off
	s_mov_b64 s[22:23], 0
	s_branch .LBB6_927
.LBB6_924:
                                        ; implicit-def: $vgpr2
	s_branch .LBB6_933
.LBB6_925:
	s_mov_b64 s[22:23], -1
                                        ; implicit-def: $vgpr2
	s_branch .LBB6_930
.LBB6_926:
	s_mov_b64 s[22:23], -1
                                        ; implicit-def: $vgpr2
.LBB6_927:
	s_andn2_b64 vcc, exec, s[22:23]
	s_cbranch_vccnz .LBB6_929
; %bb.928:
	global_load_dword v2, v[0:1], off
.LBB6_929:
	s_mov_b64 s[22:23], 0
.LBB6_930:
	s_andn2_b64 vcc, exec, s[22:23]
	s_cbranch_vccnz .LBB6_932
; %bb.931:
	global_load_ushort v2, v[0:1], off
.LBB6_932:
	s_cbranch_execnz .LBB6_938
.LBB6_933:
	s_sext_i32_i16 s22, s15
	s_cmp_gt_i32 s22, 0
	s_cbranch_scc0 .LBB6_935
; %bb.934:
	global_load_ubyte v2, v[0:1], off
	s_mov_b64 s[22:23], 0
	s_branch .LBB6_936
.LBB6_935:
	s_mov_b64 s[22:23], -1
                                        ; implicit-def: $vgpr2
.LBB6_936:
	s_andn2_b64 vcc, exec, s[22:23]
	s_cbranch_vccnz .LBB6_938
; %bb.937:
	global_load_ubyte v2, v[0:1], off
.LBB6_938:
	s_or_b64 s[0:1], s[0:1], exec
.LBB6_939:
	s_or_b64 exec, exec, s[18:19]
	s_mov_b64 s[26:27], 0
	s_mov_b64 s[24:25], 0
                                        ; implicit-def: $sgpr18_sgpr19
                                        ; implicit-def: $sgpr33
                                        ; implicit-def: $vgpr0_vgpr1
	s_and_saveexec_b64 s[22:23], s[0:1]
	s_cbranch_execz .LBB6_944
; %bb.940:
	s_cmp_lt_i32 s14, 1
	s_mov_b64 s[0:1], 0
	s_cbranch_scc1 .LBB6_947
; %bb.941:
	s_cmp_gt_i32 s14, 1
	s_cbranch_scc0 .LBB6_948
; %bb.942:
	s_cmp_eq_u32 s14, 2
	s_cbranch_scc0 .LBB6_949
; %bb.943:
	s_and_b32 s18, s2, 0xff
	s_waitcnt vmcnt(0)
	v_cmp_le_u16_sdwa s[18:19], v2, s18 src0_sel:BYTE_0 src1_sel:DWORD
	s_branch .LBB6_951
.LBB6_944:
	s_or_b64 exec, exec, s[22:23]
	s_and_saveexec_b64 s[0:1], s[16:17]
	s_cbranch_execnz .LBB6_1036
.LBB6_945:
	s_or_b64 exec, exec, s[0:1]
	s_and_saveexec_b64 s[0:1], s[26:27]
	s_xor_b64 s[0:1], exec, s[0:1]
	s_cbranch_execz .LBB6_1037
.LBB6_946:
	s_waitcnt vmcnt(0)
	v_cndmask_b32_e64 v2, 0, 1, s[18:19]
	global_store_byte v[0:1], v2, off
	s_or_b64 exec, exec, s[0:1]
	s_and_saveexec_b64 s[0:1], s[24:25]
	s_xor_b64 s[0:1], exec, s[0:1]
	s_cbranch_execz .LBB6_1075
	s_branch .LBB6_1038
.LBB6_947:
                                        ; implicit-def: $sgpr18_sgpr19
	s_cbranch_execnz .LBB6_954
	s_branch .LBB6_955
.LBB6_948:
	s_mov_b64 s[26:27], -1
	s_branch .LBB6_950
.LBB6_949:
	s_mov_b64 s[24:25], -1
.LBB6_950:
                                        ; implicit-def: $sgpr18_sgpr19
.LBB6_951:
	s_and_b64 vcc, exec, s[26:27]
	s_cbranch_vccz .LBB6_953
; %bb.952:
	s_and_b32 s26, s2, 0xff
	s_waitcnt vmcnt(0)
	v_cmp_gt_u16_sdwa s[26:27], v2, s26 src0_sel:BYTE_0 src1_sel:DWORD
	s_andn2_b64 s[18:19], s[18:19], exec
	s_and_b64 s[26:27], s[26:27], exec
	s_or_b64 s[18:19], s[18:19], s[26:27]
.LBB6_953:
	s_branch .LBB6_955
.LBB6_954:
	s_cmp_lg_u32 s14, 0
	s_mov_b64 s[0:1], -1
	s_cselect_b64 s[24:25], -1, 0
.LBB6_955:
	s_andn2_b64 vcc, exec, s[24:25]
	s_cbranch_vccnz .LBB6_957
; %bb.956:
	s_and_b32 s0, s2, 0xff
	s_waitcnt vmcnt(0)
	v_cmp_lt_u16_sdwa s[24:25], v2, s0 src0_sel:BYTE_0 src1_sel:DWORD
	s_andn2_b64 s[18:19], s[18:19], exec
	s_and_b64 s[24:25], s[24:25], exec
	s_or_b64 s[18:19], s[18:19], s[24:25]
	s_cbranch_execz .LBB6_958
	s_branch .LBB6_959
.LBB6_957:
	s_andn2_b64 vcc, exec, s[0:1]
	s_cbranch_vccnz .LBB6_959
.LBB6_958:
	s_and_b32 s0, s2, 0xff
	s_waitcnt vmcnt(0)
	v_cmp_ge_u16_sdwa s[0:1], v2, s0 src0_sel:BYTE_0 src1_sel:DWORD
	s_andn2_b64 s[18:19], s[18:19], exec
	s_and_b64 s[0:1], s[0:1], exec
	s_or_b64 s[18:19], s[18:19], s[0:1]
.LBB6_959:
	v_mul_lo_u32 v0, v4, s12
	v_mov_b32_e32 v1, s9
	s_and_b32 s33, s3, 0xff
	s_cmp_lt_i32 s33, 11
	s_waitcnt vmcnt(0)
	v_ashrrev_i32_e32 v2, 31, v0
	v_add_co_u32_e32 v0, vcc, s8, v0
	v_addc_co_u32_e32 v1, vcc, v1, v2, vcc
	s_cbranch_scc1 .LBB6_1033
; %bb.960:
	s_and_b32 s34, 0xffff, s33
	s_mov_b64 s[26:27], -1
	s_cmp_gt_i32 s34, 25
	s_mov_b64 s[0:1], s[16:17]
	s_cbranch_scc0 .LBB6_993
; %bb.961:
	s_mov_b64 s[24:25], -1
	s_cmp_gt_i32 s34, 28
	s_mov_b64 s[0:1], s[16:17]
	s_cbranch_scc0 .LBB6_977
; %bb.962:
	s_cmp_gt_i32 s34, 43
	s_mov_b64 s[0:1], s[16:17]
	s_cbranch_scc0 .LBB6_973
; %bb.963:
	;; [unrolled: 4-line block ×3, first 2 shown]
	s_cmp_eq_u32 s34, 46
	s_mov_b64 s[0:1], -1
	s_cbranch_scc0 .LBB6_966
; %bb.965:
	v_cndmask_b32_e64 v2, 0, 1.0, s[18:19]
	v_bfe_u32 v3, v2, 16, 1
	s_movk_i32 s0, 0x7fff
	v_add3_u32 v2, v2, v3, s0
	v_lshrrev_b32_e32 v2, 16, v2
	global_store_dword v[0:1], v2, off
	s_mov_b64 s[0:1], 0
.LBB6_966:
	s_mov_b64 s[24:25], 0
.LBB6_967:
	s_and_b64 vcc, exec, s[24:25]
	s_cbranch_vccz .LBB6_972
; %bb.968:
	s_cmp_eq_u32 s34, 44
	s_mov_b64 s[0:1], -1
	s_cbranch_scc0 .LBB6_972
; %bb.969:
	v_cndmask_b32_e64 v3, 0, 1.0, s[18:19]
	v_lshrrev_b32_e32 v2, 23, v3
	s_movk_i32 s0, 0xff
	v_cmp_ne_u32_e32 vcc, s0, v2
	v_mov_b32_e32 v4, 0xff
	s_and_saveexec_b64 s[24:25], vcc
; %bb.970:
	s_mov_b32 s0, 0x3fffff
	v_and_b32_e32 v4, 0x400000, v3
	v_and_or_b32 v3, v3, s0, v2
	v_cmp_ne_u32_e32 vcc, 0, v4
	v_cmp_ne_u32_e64 s[0:1], 0, v3
	s_and_b64 s[0:1], vcc, s[0:1]
	v_cndmask_b32_e64 v3, 0, 1, s[0:1]
	v_add_u32_e32 v4, v2, v3
; %bb.971:
	s_or_b64 exec, exec, s[24:25]
	s_mov_b64 s[0:1], 0
	global_store_byte v[0:1], v4, off
.LBB6_972:
	s_mov_b64 s[24:25], 0
.LBB6_973:
	s_and_b64 vcc, exec, s[24:25]
	s_cbranch_vccz .LBB6_976
; %bb.974:
	s_cmp_eq_u32 s34, 29
	s_mov_b64 s[0:1], -1
	s_cbranch_scc0 .LBB6_976
; %bb.975:
	s_mov_b32 s0, 0
	v_cndmask_b32_e64 v2, 0, 1, s[18:19]
	v_mov_b32_e32 v3, s0
	global_store_dwordx2 v[0:1], v[2:3], off
	s_mov_b64 s[0:1], 0
.LBB6_976:
	s_mov_b64 s[24:25], 0
.LBB6_977:
	s_and_b64 vcc, exec, s[24:25]
	s_cbranch_vccz .LBB6_992
; %bb.978:
	s_cmp_lt_i32 s34, 27
	s_mov_b64 s[24:25], -1
	s_cbranch_scc1 .LBB6_984
; %bb.979:
	s_cmp_gt_i32 s34, 27
	v_cndmask_b32_e64 v2, 0, 1, s[18:19]
	s_cbranch_scc0 .LBB6_981
; %bb.980:
	s_mov_b64 s[24:25], 0
	global_store_dword v[0:1], v2, off
.LBB6_981:
	s_andn2_b64 vcc, exec, s[24:25]
	s_cbranch_vccnz .LBB6_983
; %bb.982:
	global_store_short v[0:1], v2, off
.LBB6_983:
	s_mov_b64 s[24:25], 0
.LBB6_984:
	s_andn2_b64 vcc, exec, s[24:25]
	s_cbranch_vccnz .LBB6_992
; %bb.985:
	v_cndmask_b32_e64 v3, 0, 1.0, s[18:19]
	s_mov_b32 s24, 0x43800000
	v_cmp_gt_u32_e32 vcc, s24, v3
	v_mov_b32_e32 v4, 0x80
	s_and_saveexec_b64 s[24:25], vcc
	s_cbranch_execz .LBB6_991
; %bb.986:
	s_mov_b32 s26, 0x3bffffff
	v_cmp_lt_u32_e32 vcc, s26, v3
	s_mov_b64 s[26:27], 0
                                        ; implicit-def: $vgpr2
	s_and_saveexec_b64 s[28:29], vcc
	s_xor_b64 s[28:29], exec, s[28:29]
	s_cbranch_execz .LBB6_1090
; %bb.987:
	v_bfe_u32 v2, v3, 20, 1
	s_mov_b32 s30, 0x487ffff
	v_add3_u32 v2, v3, v2, s30
	s_mov_b64 s[26:27], exec
	v_lshrrev_b32_e32 v2, 20, v2
                                        ; implicit-def: $vgpr3
	s_andn2_saveexec_b64 s[28:29], s[28:29]
	s_cbranch_execnz .LBB6_1091
.LBB6_988:
	s_or_b64 exec, exec, s[28:29]
	v_mov_b32_e32 v4, 0
	s_and_saveexec_b64 s[28:29], s[26:27]
.LBB6_989:
	v_mov_b32_e32 v4, v2
.LBB6_990:
	s_or_b64 exec, exec, s[28:29]
.LBB6_991:
	s_or_b64 exec, exec, s[24:25]
	global_store_byte v[0:1], v4, off
.LBB6_992:
	s_mov_b64 s[26:27], 0
.LBB6_993:
	s_mov_b64 s[24:25], 0
	s_and_b64 vcc, exec, s[26:27]
	s_cbranch_vccz .LBB6_1034
; %bb.994:
	s_cmp_gt_i32 s34, 22
	s_mov_b64 s[26:27], -1
	s_cbranch_scc0 .LBB6_1026
; %bb.995:
	s_cmp_lt_i32 s34, 24
	s_cbranch_scc1 .LBB6_1015
; %bb.996:
	s_cmp_gt_i32 s34, 24
	s_cbranch_scc0 .LBB6_1004
; %bb.997:
	v_cndmask_b32_e64 v3, 0, 1.0, s[18:19]
	s_mov_b32 s26, 0x47800000
	v_cmp_gt_u32_e32 vcc, s26, v3
	v_mov_b32_e32 v4, 0x80
	s_and_saveexec_b64 s[26:27], vcc
	s_cbranch_execz .LBB6_1003
; %bb.998:
	s_mov_b32 s28, 0x37ffffff
	v_cmp_lt_u32_e32 vcc, s28, v3
	s_mov_b64 s[28:29], 0
                                        ; implicit-def: $vgpr2
	s_and_saveexec_b64 s[30:31], vcc
	s_xor_b64 s[30:31], exec, s[30:31]
	s_cbranch_execz .LBB6_1225
; %bb.999:
	v_bfe_u32 v2, v3, 21, 1
	s_mov_b32 s35, 0x88fffff
	v_add3_u32 v2, v3, v2, s35
	s_mov_b64 s[28:29], exec
	v_lshrrev_b32_e32 v2, 21, v2
                                        ; implicit-def: $vgpr3
	s_andn2_saveexec_b64 s[30:31], s[30:31]
	s_cbranch_execnz .LBB6_1226
.LBB6_1000:
	s_or_b64 exec, exec, s[30:31]
	v_mov_b32_e32 v4, 0
	s_and_saveexec_b64 s[30:31], s[28:29]
.LBB6_1001:
	v_mov_b32_e32 v4, v2
.LBB6_1002:
	s_or_b64 exec, exec, s[30:31]
.LBB6_1003:
	s_or_b64 exec, exec, s[26:27]
	s_mov_b64 s[26:27], 0
	global_store_byte v[0:1], v4, off
.LBB6_1004:
	s_and_b64 vcc, exec, s[26:27]
	s_cbranch_vccz .LBB6_1014
; %bb.1005:
	v_cndmask_b32_e64 v2, 0, 1.0, s[18:19]
	s_mov_b32 s26, 0x43f00000
	v_cmp_gt_u32_e32 vcc, s26, v2
                                        ; implicit-def: $vgpr3
	s_and_saveexec_b64 s[26:27], vcc
	s_xor_b64 s[26:27], exec, s[26:27]
	s_cbranch_execz .LBB6_1011
; %bb.1006:
	s_mov_b32 s28, 0x3c7fffff
	v_cmp_lt_u32_e32 vcc, s28, v2
                                        ; implicit-def: $vgpr3
	s_and_saveexec_b64 s[28:29], vcc
	s_xor_b64 s[28:29], exec, s[28:29]
; %bb.1007:
	v_bfe_u32 v3, v2, 20, 1
	s_mov_b32 s30, 0x407ffff
	v_add3_u32 v2, v2, v3, s30
	v_lshrrev_b32_e32 v3, 20, v2
	v_and_b32_e32 v2, 0xff00000, v2
	s_mov_b32 s30, 0x7f00000
	v_mov_b32_e32 v4, 0x7e
	v_cmp_ne_u32_e32 vcc, s30, v2
	v_cndmask_b32_e32 v3, v4, v3, vcc
                                        ; implicit-def: $vgpr2
; %bb.1008:
	s_andn2_saveexec_b64 s[28:29], s[28:29]
; %bb.1009:
	v_add_f32_e32 v3, 0x46800000, v2
; %bb.1010:
	s_or_b64 exec, exec, s[28:29]
                                        ; implicit-def: $vgpr2
.LBB6_1011:
	s_andn2_saveexec_b64 s[26:27], s[26:27]
; %bb.1012:
	s_mov_b32 s28, 0x7f800000
	v_mov_b32_e32 v3, 0x7e
	v_mov_b32_e32 v4, 0x7f
	v_cmp_lt_u32_e32 vcc, s28, v2
	v_cndmask_b32_e32 v3, v3, v4, vcc
; %bb.1013:
	s_or_b64 exec, exec, s[26:27]
	global_store_byte v[0:1], v3, off
.LBB6_1014:
	s_mov_b64 s[26:27], 0
.LBB6_1015:
	s_andn2_b64 vcc, exec, s[26:27]
	s_cbranch_vccnz .LBB6_1025
; %bb.1016:
	v_cndmask_b32_e64 v2, 0, 1.0, s[18:19]
	s_mov_b32 s26, 0x47800000
	v_cmp_gt_u32_e32 vcc, s26, v2
                                        ; implicit-def: $vgpr3
	s_and_saveexec_b64 s[26:27], vcc
	s_xor_b64 s[26:27], exec, s[26:27]
	s_cbranch_execz .LBB6_1022
; %bb.1017:
	s_mov_b32 s28, 0x387fffff
	v_cmp_lt_u32_e32 vcc, s28, v2
                                        ; implicit-def: $vgpr3
	s_and_saveexec_b64 s[28:29], vcc
	s_xor_b64 s[28:29], exec, s[28:29]
; %bb.1018:
	v_bfe_u32 v3, v2, 21, 1
	s_mov_b32 s30, 0x80fffff
	v_add3_u32 v2, v2, v3, s30
	v_lshrrev_b32_e32 v3, 21, v2
                                        ; implicit-def: $vgpr2
; %bb.1019:
	s_andn2_saveexec_b64 s[28:29], s[28:29]
; %bb.1020:
	v_add_f32_e32 v3, 0x43000000, v2
; %bb.1021:
	s_or_b64 exec, exec, s[28:29]
                                        ; implicit-def: $vgpr2
.LBB6_1022:
	s_andn2_saveexec_b64 s[26:27], s[26:27]
; %bb.1023:
	s_mov_b32 s28, 0x7f800000
	v_mov_b32_e32 v3, 0x7c
	v_mov_b32_e32 v4, 0x7f
	v_cmp_lt_u32_e32 vcc, s28, v2
	v_cndmask_b32_e32 v3, v3, v4, vcc
; %bb.1024:
	s_or_b64 exec, exec, s[26:27]
	global_store_byte v[0:1], v3, off
.LBB6_1025:
	s_mov_b64 s[26:27], 0
.LBB6_1026:
	s_andn2_b64 vcc, exec, s[26:27]
	s_mov_b64 s[26:27], 0
	s_cbranch_vccnz .LBB6_1035
; %bb.1027:
	s_cmp_gt_i32 s34, 14
	s_mov_b64 s[28:29], -1
	s_cbranch_scc0 .LBB6_1031
; %bb.1028:
	s_cmp_eq_u32 s34, 15
	s_mov_b64 s[0:1], -1
	s_cbranch_scc0 .LBB6_1030
; %bb.1029:
	v_cndmask_b32_e64 v2, 0, 1.0, s[18:19]
	v_bfe_u32 v3, v2, 16, 1
	s_movk_i32 s0, 0x7fff
	v_add3_u32 v2, v2, v3, s0
	global_store_short_d16_hi v[0:1], v2, off
	s_mov_b64 s[0:1], 0
.LBB6_1030:
	s_mov_b64 s[28:29], 0
.LBB6_1031:
	s_and_b64 vcc, exec, s[28:29]
	s_cbranch_vccz .LBB6_1035
; %bb.1032:
	s_cmp_lg_u32 s34, 11
	s_cselect_b64 s[28:29], -1, 0
	s_andn2_b64 s[0:1], s[0:1], exec
	s_and_b64 s[28:29], s[28:29], exec
	s_mov_b64 s[26:27], -1
	s_or_b64 s[0:1], s[0:1], s[28:29]
	s_branch .LBB6_1035
.LBB6_1033:
	s_mov_b64 s[26:27], 0
	s_mov_b64 s[24:25], -1
	s_mov_b64 s[0:1], s[16:17]
	s_branch .LBB6_1035
.LBB6_1034:
	s_mov_b64 s[26:27], 0
.LBB6_1035:
	s_andn2_b64 s[16:17], s[16:17], exec
	s_and_b64 s[0:1], s[0:1], exec
	s_and_b64 s[24:25], s[24:25], exec
	;; [unrolled: 1-line block ×3, first 2 shown]
	s_or_b64 s[16:17], s[16:17], s[0:1]
	s_or_b64 exec, exec, s[22:23]
	s_and_saveexec_b64 s[0:1], s[16:17]
	s_cbranch_execz .LBB6_945
.LBB6_1036:
	s_or_b64 s[20:21], s[20:21], exec
	s_andn2_b64 s[26:27], s[26:27], exec
	s_trap 2
	s_or_b64 exec, exec, s[0:1]
	s_and_saveexec_b64 s[0:1], s[26:27]
	s_xor_b64 s[0:1], exec, s[0:1]
	s_cbranch_execnz .LBB6_946
.LBB6_1037:
	s_or_b64 exec, exec, s[0:1]
	s_and_saveexec_b64 s[0:1], s[24:25]
	s_xor_b64 s[0:1], exec, s[0:1]
	s_cbranch_execz .LBB6_1075
.LBB6_1038:
	s_sext_i32_i16 s22, s33
	s_cmp_lt_i32 s22, 5
	s_mov_b64 s[16:17], -1
	s_cbranch_scc1 .LBB6_1059
; %bb.1039:
	s_cmp_lt_i32 s22, 8
	s_cbranch_scc1 .LBB6_1049
; %bb.1040:
	s_cmp_lt_i32 s22, 9
	s_cbranch_scc1 .LBB6_1046
; %bb.1041:
	s_cmp_gt_i32 s22, 9
	s_cbranch_scc0 .LBB6_1043
; %bb.1042:
	s_waitcnt vmcnt(0)
	v_cndmask_b32_e64 v2, 0, 1, s[18:19]
	v_cvt_f64_u32_e32 v[2:3], v2
	v_mov_b32_e32 v4, 0
	v_mov_b32_e32 v5, v4
	s_mov_b64 s[16:17], 0
	global_store_dwordx4 v[0:1], v[2:5], off
.LBB6_1043:
	s_andn2_b64 vcc, exec, s[16:17]
	s_cbranch_vccnz .LBB6_1045
; %bb.1044:
	s_waitcnt vmcnt(0)
	v_cndmask_b32_e64 v2, 0, 1.0, s[18:19]
	v_mov_b32_e32 v3, 0
	global_store_dwordx2 v[0:1], v[2:3], off
.LBB6_1045:
	s_mov_b64 s[16:17], 0
.LBB6_1046:
	s_andn2_b64 vcc, exec, s[16:17]
	s_cbranch_vccnz .LBB6_1048
; %bb.1047:
	s_waitcnt vmcnt(0)
	v_cndmask_b32_e64 v2, 0, 1.0, s[18:19]
	v_cvt_f16_f32_e32 v2, v2
	global_store_dword v[0:1], v2, off
.LBB6_1048:
	s_mov_b64 s[16:17], 0
.LBB6_1049:
	s_andn2_b64 vcc, exec, s[16:17]
	s_cbranch_vccnz .LBB6_1058
; %bb.1050:
	s_sext_i32_i16 s22, s33
	s_cmp_lt_i32 s22, 6
	s_mov_b64 s[16:17], -1
	s_cbranch_scc1 .LBB6_1056
; %bb.1051:
	s_cmp_gt_i32 s22, 6
	s_cbranch_scc0 .LBB6_1053
; %bb.1052:
	s_waitcnt vmcnt(0)
	v_cndmask_b32_e64 v2, 0, 1, s[18:19]
	v_cvt_f64_u32_e32 v[2:3], v2
	s_mov_b64 s[16:17], 0
	global_store_dwordx2 v[0:1], v[2:3], off
.LBB6_1053:
	s_andn2_b64 vcc, exec, s[16:17]
	s_cbranch_vccnz .LBB6_1055
; %bb.1054:
	s_waitcnt vmcnt(0)
	v_cndmask_b32_e64 v2, 0, 1.0, s[18:19]
	global_store_dword v[0:1], v2, off
.LBB6_1055:
	s_mov_b64 s[16:17], 0
.LBB6_1056:
	s_andn2_b64 vcc, exec, s[16:17]
	s_cbranch_vccnz .LBB6_1058
; %bb.1057:
	s_waitcnt vmcnt(0)
	v_cndmask_b32_e64 v2, 0, 1.0, s[18:19]
	v_cvt_f16_f32_e32 v2, v2
	global_store_short v[0:1], v2, off
.LBB6_1058:
	s_mov_b64 s[16:17], 0
.LBB6_1059:
	s_andn2_b64 vcc, exec, s[16:17]
	s_cbranch_vccnz .LBB6_1075
; %bb.1060:
	s_sext_i32_i16 s22, s33
	s_cmp_lt_i32 s22, 2
	s_mov_b64 s[16:17], -1
	s_cbranch_scc1 .LBB6_1070
; %bb.1061:
	s_cmp_lt_i32 s22, 3
	s_cbranch_scc1 .LBB6_1067
; %bb.1062:
	s_cmp_gt_i32 s22, 3
	s_cbranch_scc0 .LBB6_1064
; %bb.1063:
	s_mov_b32 s16, 0
	s_waitcnt vmcnt(0)
	v_cndmask_b32_e64 v2, 0, 1, s[18:19]
	v_mov_b32_e32 v3, s16
	s_mov_b64 s[16:17], 0
	global_store_dwordx2 v[0:1], v[2:3], off
.LBB6_1064:
	s_andn2_b64 vcc, exec, s[16:17]
	s_cbranch_vccnz .LBB6_1066
; %bb.1065:
	s_waitcnt vmcnt(0)
	v_cndmask_b32_e64 v2, 0, 1, s[18:19]
	global_store_dword v[0:1], v2, off
.LBB6_1066:
	s_mov_b64 s[16:17], 0
.LBB6_1067:
	s_andn2_b64 vcc, exec, s[16:17]
	s_cbranch_vccnz .LBB6_1069
; %bb.1068:
	s_waitcnt vmcnt(0)
	v_cndmask_b32_e64 v2, 0, 1, s[18:19]
	global_store_short v[0:1], v2, off
.LBB6_1069:
	s_mov_b64 s[16:17], 0
.LBB6_1070:
	s_andn2_b64 vcc, exec, s[16:17]
	s_cbranch_vccnz .LBB6_1075
; %bb.1071:
	s_sext_i32_i16 s22, s33
	s_mov_b64 s[16:17], -1
	s_cmp_gt_i32 s22, 0
	s_waitcnt vmcnt(0)
	v_cndmask_b32_e64 v2, 0, 1, s[18:19]
	s_cbranch_scc0 .LBB6_1073
; %bb.1072:
	s_mov_b64 s[16:17], 0
	global_store_byte v[0:1], v2, off
.LBB6_1073:
	s_andn2_b64 vcc, exec, s[16:17]
	s_cbranch_vccnz .LBB6_1075
; %bb.1074:
	global_store_byte v[0:1], v2, off
.LBB6_1075:
	s_or_b64 exec, exec, s[0:1]
	s_and_b64 s[16:17], s[20:21], exec
                                        ; implicit-def: $vgpr4
.LBB6_1076:
	s_or_saveexec_b64 s[6:7], s[6:7]
	s_mov_b64 s[0:1], 0
                                        ; implicit-def: $sgpr24_sgpr25
                                        ; implicit-def: $sgpr28
                                        ; implicit-def: $vgpr0_vgpr1
	s_xor_b64 exec, exec, s[6:7]
	s_cbranch_execz .LBB6_1626
; %bb.1077:
	v_mul_lo_u32 v5, s13, v4
	v_mov_b32_e32 v1, s11
	s_and_b32 s15, 0xffff, s15
	s_cmp_lt_i32 s15, 11
	s_waitcnt vmcnt(0)
	v_ashrrev_i32_e32 v2, 31, v5
	v_add_co_u32_e32 v0, vcc, s10, v5
	v_addc_co_u32_e32 v1, vcc, v1, v2, vcc
	s_cbranch_scc1 .LBB6_1084
; %bb.1078:
	s_cmp_gt_i32 s15, 25
	s_cbranch_scc0 .LBB6_1086
; %bb.1079:
	s_cmp_gt_i32 s15, 28
	s_cbranch_scc0 .LBB6_1087
	;; [unrolled: 3-line block ×4, first 2 shown]
; %bb.1082:
	s_cmp_eq_u32 s15, 46
	s_mov_b64 s[18:19], 0
	s_cbranch_scc0 .LBB6_1092
; %bb.1083:
	global_load_dword v2, v[0:1], off
	s_mov_b32 s0, 0x2f800000
	s_mov_b32 s1, 0xcf800000
	s_mov_b64 s[20:21], -1
	s_waitcnt vmcnt(0)
	v_lshlrev_b32_e32 v2, 16, v2
	v_trunc_f32_e32 v2, v2
	v_mul_f32_e64 v3, |v2|, s0
	v_floor_f32_e32 v3, v3
	v_fma_f32 v3, v3, s1, |v2|
	v_cvt_u32_f32_e32 v3, v3
	v_ashrrev_i32_e32 v2, 31, v2
	s_mov_b64 s[0:1], 0
	v_xor_b32_e32 v3, v3, v2
	v_sub_u32_e32 v2, v3, v2
	s_branch .LBB6_1093
.LBB6_1084:
	s_mov_b64 s[20:21], 0
                                        ; implicit-def: $vgpr2
	s_mov_b64 s[18:19], s[16:17]
	s_cbranch_execnz .LBB6_1151
.LBB6_1085:
	s_andn2_b64 vcc, exec, s[20:21]
	s_cbranch_vccz .LBB6_1196
	s_branch .LBB6_1623
.LBB6_1086:
	s_mov_b64 s[20:21], 0
                                        ; implicit-def: $vgpr2
	s_cbranch_execnz .LBB6_1118
	s_branch .LBB6_1147
.LBB6_1087:
	s_mov_b64 s[20:21], 0
                                        ; implicit-def: $vgpr2
	s_cbranch_execz .LBB6_1117
	s_branch .LBB6_1102
.LBB6_1088:
	s_mov_b64 s[20:21], 0
                                        ; implicit-def: $vgpr2
	s_cbranch_execnz .LBB6_1098
	s_branch .LBB6_1101
.LBB6_1089:
	s_mov_b64 s[18:19], -1
	s_mov_b64 s[20:21], 0
                                        ; implicit-def: $vgpr2
	s_branch .LBB6_1093
.LBB6_1090:
	s_andn2_saveexec_b64 s[28:29], s[28:29]
	s_cbranch_execz .LBB6_988
.LBB6_1091:
	v_add_f32_e32 v2, 0x46000000, v3
	v_and_b32_e32 v2, 0xff, v2
	v_cmp_ne_u32_e32 vcc, 0, v2
	s_andn2_b64 s[26:27], s[26:27], exec
	s_and_b64 s[30:31], vcc, exec
	s_or_b64 s[26:27], s[26:27], s[30:31]
	s_or_b64 exec, exec, s[28:29]
	v_mov_b32_e32 v4, 0
	s_and_saveexec_b64 s[28:29], s[26:27]
	s_cbranch_execnz .LBB6_989
	s_branch .LBB6_990
.LBB6_1092:
	s_mov_b64 s[0:1], -1
                                        ; implicit-def: $vgpr2
	s_mov_b64 s[20:21], 0
.LBB6_1093:
	s_and_b64 vcc, exec, s[18:19]
	s_cbranch_vccz .LBB6_1096
; %bb.1094:
	s_cmp_eq_u32 s15, 44
	s_cbranch_scc0 .LBB6_1097
; %bb.1095:
	global_load_ubyte v2, v[0:1], off
	s_mov_b32 s0, 0x2f800000
	s_mov_b32 s1, 0xcf800000
	s_mov_b64 s[20:21], -1
	s_waitcnt vmcnt(0)
	v_lshlrev_b32_e32 v3, 23, v2
	v_trunc_f32_e32 v3, v3
	v_mul_f32_e64 v6, |v3|, s0
	v_floor_f32_e32 v6, v6
	v_fma_f32 v6, v6, s1, |v3|
	v_cvt_u32_f32_e32 v6, v6
	v_ashrrev_i32_e32 v3, 31, v3
	v_cmp_ne_u32_e32 vcc, 0, v2
	s_mov_b64 s[0:1], 0
	v_xor_b32_e32 v6, v6, v3
	v_sub_u32_e32 v3, v6, v3
	v_cndmask_b32_e32 v2, 0, v3, vcc
.LBB6_1096:
	s_branch .LBB6_1101
.LBB6_1097:
	s_mov_b64 s[0:1], -1
                                        ; implicit-def: $vgpr2
	s_branch .LBB6_1101
.LBB6_1098:
	s_cmp_eq_u32 s15, 29
	s_cbranch_scc0 .LBB6_1100
; %bb.1099:
	global_load_dwordx2 v[2:3], v[0:1], off
	s_mov_b64 s[0:1], 0
	s_mov_b64 s[20:21], -1
	s_branch .LBB6_1101
.LBB6_1100:
	s_mov_b64 s[0:1], -1
                                        ; implicit-def: $vgpr2
.LBB6_1101:
	s_branch .LBB6_1117
.LBB6_1102:
	s_cmp_lt_i32 s15, 27
	s_cbranch_scc1 .LBB6_1105
; %bb.1103:
	s_cmp_gt_i32 s15, 27
	s_cbranch_scc0 .LBB6_1106
; %bb.1104:
	global_load_dword v2, v[0:1], off
	s_mov_b64 s[18:19], 0
	s_branch .LBB6_1107
.LBB6_1105:
	s_mov_b64 s[18:19], -1
                                        ; implicit-def: $vgpr2
	s_branch .LBB6_1110
.LBB6_1106:
	s_mov_b64 s[18:19], -1
                                        ; implicit-def: $vgpr2
.LBB6_1107:
	s_andn2_b64 vcc, exec, s[18:19]
	s_cbranch_vccnz .LBB6_1109
; %bb.1108:
	global_load_ushort v2, v[0:1], off
.LBB6_1109:
	s_mov_b64 s[18:19], 0
.LBB6_1110:
	s_andn2_b64 vcc, exec, s[18:19]
	s_cbranch_vccnz .LBB6_1116
; %bb.1111:
	global_load_ubyte v3, v[0:1], off
	s_movk_i32 s18, 0x7f
	s_mov_b64 s[20:21], 0
	s_waitcnt vmcnt(0)
	v_cmp_lt_i16_e32 vcc, s18, v3
	s_and_saveexec_b64 s[18:19], vcc
	s_xor_b64 s[18:19], exec, s[18:19]
	s_cbranch_execz .LBB6_1127
; %bb.1112:
	s_movk_i32 s20, 0x80
	v_cmp_ne_u16_e32 vcc, s20, v3
	s_and_b64 s[20:21], vcc, exec
	s_andn2_saveexec_b64 s[18:19], s[18:19]
	s_cbranch_execnz .LBB6_1128
.LBB6_1113:
	s_or_b64 exec, exec, s[18:19]
	v_mov_b32_e32 v2, 0
	s_and_saveexec_b64 s[18:19], s[20:21]
	s_cbranch_execz .LBB6_1115
.LBB6_1114:
	v_lshlrev_b32_e32 v2, 24, v3
	v_and_b32_e32 v3, 0xffff, v3
	v_and_b32_e32 v6, 7, v3
	v_ffbh_u32_e32 v8, v6
	v_min_u32_e32 v8, 32, v8
	v_subrev_u32_e32 v9, 28, v8
	v_bfe_u32 v7, v3, 3, 4
	v_lshlrev_b32_e32 v3, v9, v3
	v_sub_u32_e32 v8, 29, v8
	v_and_b32_e32 v3, 7, v3
	v_cmp_eq_u32_e32 vcc, 0, v7
	v_cndmask_b32_e32 v7, v7, v8, vcc
	v_cndmask_b32_e32 v3, v6, v3, vcc
	v_mov_b32_e32 v6, 0x3b800000
	v_lshlrev_b32_e32 v3, 20, v3
	v_and_b32_e32 v2, 0x80000000, v2
	v_lshl_add_u32 v6, v7, 23, v6
	v_or3_b32 v2, v2, v6, v3
	v_trunc_f32_e32 v2, v2
	s_mov_b32 s20, 0x2f800000
	v_mul_f32_e64 v3, |v2|, s20
	v_floor_f32_e32 v3, v3
	s_mov_b32 s20, 0xcf800000
	v_fma_f32 v3, v3, s20, |v2|
	v_cvt_u32_f32_e32 v3, v3
	v_ashrrev_i32_e32 v2, 31, v2
	v_xor_b32_e32 v3, v3, v2
	v_sub_u32_e32 v2, v3, v2
.LBB6_1115:
	s_or_b64 exec, exec, s[18:19]
.LBB6_1116:
	s_mov_b64 s[20:21], -1
.LBB6_1117:
	s_branch .LBB6_1147
.LBB6_1118:
	s_cmp_gt_i32 s15, 22
	s_cbranch_scc0 .LBB6_1126
; %bb.1119:
	s_cmp_lt_i32 s15, 24
	s_cbranch_scc1 .LBB6_1129
; %bb.1120:
	s_cmp_gt_i32 s15, 24
	s_cbranch_scc0 .LBB6_1130
; %bb.1121:
	global_load_ubyte v3, v[0:1], off
	s_movk_i32 s4, 0x7f
	s_mov_b64 s[18:19], 0
	s_waitcnt vmcnt(0)
	v_cmp_lt_i16_e32 vcc, s4, v3
	s_and_saveexec_b64 s[4:5], vcc
	s_xor_b64 s[4:5], exec, s[4:5]
	s_cbranch_execz .LBB6_1141
; %bb.1122:
	s_movk_i32 s18, 0x80
	v_cmp_ne_u16_e32 vcc, s18, v3
	s_and_b64 s[18:19], vcc, exec
	s_andn2_saveexec_b64 s[4:5], s[4:5]
	s_cbranch_execnz .LBB6_1142
.LBB6_1123:
	s_or_b64 exec, exec, s[4:5]
	v_mov_b32_e32 v2, 0
	s_and_saveexec_b64 s[4:5], s[18:19]
	s_cbranch_execz .LBB6_1125
.LBB6_1124:
	v_lshlrev_b32_e32 v2, 24, v3
	v_and_b32_e32 v3, 0xffff, v3
	v_and_b32_e32 v6, 3, v3
	v_ffbh_u32_e32 v8, v6
	v_min_u32_e32 v8, 32, v8
	v_subrev_u32_e32 v9, 29, v8
	v_bfe_u32 v7, v3, 2, 5
	v_lshlrev_b32_e32 v3, v9, v3
	v_sub_u32_e32 v8, 30, v8
	v_and_b32_e32 v3, 3, v3
	v_cmp_eq_u32_e32 vcc, 0, v7
	v_cndmask_b32_e32 v7, v7, v8, vcc
	v_cndmask_b32_e32 v3, v6, v3, vcc
	v_mov_b32_e32 v6, 0x37800000
	v_lshlrev_b32_e32 v3, 21, v3
	v_and_b32_e32 v2, 0x80000000, v2
	v_lshl_add_u32 v6, v7, 23, v6
	v_or3_b32 v2, v2, v6, v3
	v_trunc_f32_e32 v2, v2
	s_mov_b32 s18, 0x2f800000
	v_mul_f32_e64 v3, |v2|, s18
	v_floor_f32_e32 v3, v3
	s_mov_b32 s18, 0xcf800000
	v_fma_f32 v3, v3, s18, |v2|
	v_cvt_u32_f32_e32 v3, v3
	v_ashrrev_i32_e32 v2, 31, v2
	v_xor_b32_e32 v3, v3, v2
	v_sub_u32_e32 v2, v3, v2
.LBB6_1125:
	s_or_b64 exec, exec, s[4:5]
	s_mov_b64 s[4:5], 0
	s_branch .LBB6_1131
.LBB6_1126:
                                        ; implicit-def: $vgpr2
	s_mov_b64 s[4:5], 0
	s_branch .LBB6_1137
.LBB6_1127:
	s_andn2_saveexec_b64 s[18:19], s[18:19]
	s_cbranch_execz .LBB6_1113
.LBB6_1128:
	v_cmp_ne_u16_e32 vcc, 0, v3
	s_andn2_b64 s[20:21], s[20:21], exec
	s_and_b64 s[22:23], vcc, exec
	s_or_b64 s[20:21], s[20:21], s[22:23]
	s_or_b64 exec, exec, s[18:19]
	v_mov_b32_e32 v2, 0
	s_and_saveexec_b64 s[18:19], s[20:21]
	s_cbranch_execnz .LBB6_1114
	s_branch .LBB6_1115
.LBB6_1129:
	s_mov_b64 s[4:5], -1
                                        ; implicit-def: $vgpr2
	s_branch .LBB6_1134
.LBB6_1130:
	s_mov_b64 s[4:5], -1
                                        ; implicit-def: $vgpr2
.LBB6_1131:
	s_and_b64 vcc, exec, s[4:5]
	s_cbranch_vccz .LBB6_1133
; %bb.1132:
	global_load_ubyte v2, v[0:1], off
	s_mov_b32 s4, 0x7f800000
	s_brev_b32 s5, 1
	s_mov_b32 s18, 0x2f800000
	s_waitcnt vmcnt(0)
	v_lshlrev_b32_e32 v2, 24, v2
	v_and_b32_e32 v3, 0x7f000000, v2
	v_ffbh_u32_e32 v6, v3
	v_min_u32_e32 v6, 32, v6
	v_sub_u32_e64 v6, v6, 4 clamp
	v_lshlrev_b32_e32 v8, v6, v3
	v_lshlrev_b32_e32 v6, 23, v6
	v_lshrrev_b32_e32 v8, 4, v8
	v_add_u32_e32 v7, 0x1000000, v3
	v_sub_u32_e32 v6, v8, v6
	v_ashrrev_i32_e32 v7, 8, v7
	v_add_u32_e32 v6, 0x3c000000, v6
	v_and_or_b32 v6, v7, s4, v6
	v_cmp_ne_u32_e32 vcc, 0, v3
	v_cndmask_b32_e32 v3, 0, v6, vcc
	v_and_or_b32 v2, v2, s5, v3
	v_trunc_f32_e32 v2, v2
	v_mul_f32_e64 v3, |v2|, s18
	v_floor_f32_e32 v3, v3
	s_mov_b32 s4, 0xcf800000
	v_fma_f32 v3, v3, s4, |v2|
	v_cvt_u32_f32_e32 v3, v3
	v_ashrrev_i32_e32 v2, 31, v2
	v_xor_b32_e32 v3, v3, v2
	v_sub_u32_e32 v2, v3, v2
.LBB6_1133:
	s_mov_b64 s[4:5], 0
.LBB6_1134:
	s_andn2_b64 vcc, exec, s[4:5]
	s_cbranch_vccnz .LBB6_1136
; %bb.1135:
	global_load_ubyte v2, v[0:1], off
	s_movk_i32 s4, 0x7f00
	s_brev_b32 s5, 16
	s_brev_b32 s18, 1
	s_mov_b32 s19, 0x2f800000
	s_waitcnt vmcnt(0)
	v_lshlrev_b16_e32 v3, 8, v2
	v_lshlrev_b32_e32 v2, 25, v2
	v_lshrrev_b32_e32 v6, 4, v2
	v_and_or_b32 v7, v3, s4, 0.5
	v_or_b32_e32 v6, 0x70000000, v6
	v_add_f32_e32 v7, -0.5, v7
	v_mul_f32_e32 v6, 0x7800000, v6
	v_cmp_gt_u32_e32 vcc, s5, v2
	v_bfe_i32 v3, v3, 0, 16
	v_cndmask_b32_e32 v2, v6, v7, vcc
	v_and_or_b32 v2, v3, s18, v2
	v_trunc_f32_e32 v2, v2
	v_mul_f32_e64 v3, |v2|, s19
	v_floor_f32_e32 v3, v3
	s_mov_b32 s4, 0xcf800000
	v_fma_f32 v3, v3, s4, |v2|
	v_cvt_u32_f32_e32 v3, v3
	v_ashrrev_i32_e32 v2, 31, v2
	v_xor_b32_e32 v3, v3, v2
	v_sub_u32_e32 v2, v3, v2
.LBB6_1136:
	s_mov_b64 s[20:21], -1
	s_mov_b64 s[4:5], 0
	s_cbranch_execnz .LBB6_1147
.LBB6_1137:
	s_cmp_gt_i32 s15, 14
	s_cbranch_scc0 .LBB6_1140
; %bb.1138:
	s_cmp_eq_u32 s15, 15
	s_cbranch_scc0 .LBB6_1143
; %bb.1139:
	global_load_ushort v2, v[0:1], off
	s_mov_b32 s0, 0x2f800000
	s_mov_b32 s1, 0xcf800000
	s_mov_b64 s[20:21], -1
	s_waitcnt vmcnt(0)
	v_lshlrev_b32_e32 v2, 16, v2
	v_trunc_f32_e32 v2, v2
	v_mul_f32_e64 v3, |v2|, s0
	v_floor_f32_e32 v3, v3
	v_fma_f32 v3, v3, s1, |v2|
	v_cvt_u32_f32_e32 v3, v3
	v_ashrrev_i32_e32 v2, 31, v2
	s_mov_b64 s[0:1], 0
	v_xor_b32_e32 v3, v3, v2
	v_sub_u32_e32 v2, v3, v2
	s_branch .LBB6_1144
.LBB6_1140:
	s_mov_b64 s[18:19], -1
                                        ; implicit-def: $vgpr2
	s_branch .LBB6_1145
.LBB6_1141:
	s_andn2_saveexec_b64 s[4:5], s[4:5]
	s_cbranch_execz .LBB6_1123
.LBB6_1142:
	v_cmp_ne_u16_e32 vcc, 0, v3
	s_andn2_b64 s[18:19], s[18:19], exec
	s_and_b64 s[20:21], vcc, exec
	s_or_b64 s[18:19], s[18:19], s[20:21]
	s_or_b64 exec, exec, s[4:5]
	v_mov_b32_e32 v2, 0
	s_and_saveexec_b64 s[4:5], s[18:19]
	s_cbranch_execnz .LBB6_1124
	s_branch .LBB6_1125
.LBB6_1143:
	s_mov_b64 s[0:1], -1
                                        ; implicit-def: $vgpr2
.LBB6_1144:
	s_mov_b64 s[18:19], 0
.LBB6_1145:
	s_and_b64 vcc, exec, s[18:19]
	s_cbranch_vccz .LBB6_1147
; %bb.1146:
	s_cmp_lg_u32 s15, 11
	s_mov_b64 s[4:5], -1
	s_cselect_b64 s[0:1], -1, 0
.LBB6_1147:
	s_and_b64 vcc, exec, s[0:1]
	s_mov_b64 s[18:19], s[16:17]
	s_cbranch_vccnz .LBB6_1223
; %bb.1148:
	s_andn2_b64 vcc, exec, s[4:5]
	s_cbranch_vccnz .LBB6_1150
.LBB6_1149:
	global_load_ubyte v2, v[0:1], off
	s_mov_b64 s[20:21], -1
	s_waitcnt vmcnt(0)
	v_cmp_ne_u16_e32 vcc, 0, v2
	v_cndmask_b32_e64 v2, 0, 1, vcc
.LBB6_1150:
	s_branch .LBB6_1085
.LBB6_1151:
	s_cmp_lt_i32 s15, 5
	s_cbranch_scc1 .LBB6_1156
; %bb.1152:
	s_cmp_lt_i32 s15, 8
	s_cbranch_scc1 .LBB6_1157
; %bb.1153:
	;; [unrolled: 3-line block ×3, first 2 shown]
	s_cmp_gt_i32 s15, 9
	s_cbranch_scc0 .LBB6_1159
; %bb.1155:
	global_load_dwordx2 v[2:3], v[0:1], off
	s_movk_i32 s0, 0xffe0
	s_waitcnt vmcnt(0)
	v_trunc_f64_e32 v[2:3], v[2:3]
	v_ldexp_f64 v[6:7], v[2:3], s0
	s_mov_b32 s0, 0
	s_mov_b32 s1, 0xc1f00000
	v_floor_f64_e32 v[6:7], v[6:7]
	v_fma_f64 v[2:3], v[6:7], s[0:1], v[2:3]
	s_mov_b64 s[0:1], 0
	v_cvt_u32_f64_e32 v2, v[2:3]
	s_branch .LBB6_1160
.LBB6_1156:
                                        ; implicit-def: $vgpr2
	s_branch .LBB6_1177
.LBB6_1157:
                                        ; implicit-def: $vgpr2
	s_branch .LBB6_1166
.LBB6_1158:
	s_mov_b64 s[0:1], -1
                                        ; implicit-def: $vgpr2
	s_branch .LBB6_1163
.LBB6_1159:
	s_mov_b64 s[0:1], -1
                                        ; implicit-def: $vgpr2
.LBB6_1160:
	s_andn2_b64 vcc, exec, s[0:1]
	s_cbranch_vccnz .LBB6_1162
; %bb.1161:
	global_load_dword v2, v[0:1], off
	s_mov_b32 s0, 0x2f800000
	s_waitcnt vmcnt(0)
	v_trunc_f32_e32 v2, v2
	v_mul_f32_e64 v3, |v2|, s0
	v_floor_f32_e32 v3, v3
	s_mov_b32 s0, 0xcf800000
	v_fma_f32 v3, v3, s0, |v2|
	v_cvt_u32_f32_e32 v3, v3
	v_ashrrev_i32_e32 v2, 31, v2
	v_xor_b32_e32 v3, v3, v2
	v_sub_u32_e32 v2, v3, v2
.LBB6_1162:
	s_mov_b64 s[0:1], 0
.LBB6_1163:
	s_andn2_b64 vcc, exec, s[0:1]
	s_cbranch_vccnz .LBB6_1165
; %bb.1164:
	global_load_dword v2, v[0:1], off
	s_waitcnt vmcnt(0)
	v_cvt_f32_f16_e32 v2, v2
	v_cvt_i32_f32_e32 v2, v2
.LBB6_1165:
	s_cbranch_execnz .LBB6_1176
.LBB6_1166:
	s_cmp_lt_i32 s15, 6
	s_cbranch_scc1 .LBB6_1169
; %bb.1167:
	s_cmp_gt_i32 s15, 6
	s_cbranch_scc0 .LBB6_1170
; %bb.1168:
	global_load_dwordx2 v[2:3], v[0:1], off
	s_movk_i32 s0, 0xffe0
	s_waitcnt vmcnt(0)
	v_trunc_f64_e32 v[2:3], v[2:3]
	v_ldexp_f64 v[6:7], v[2:3], s0
	s_mov_b32 s0, 0
	s_mov_b32 s1, 0xc1f00000
	v_floor_f64_e32 v[6:7], v[6:7]
	v_fma_f64 v[2:3], v[6:7], s[0:1], v[2:3]
	s_mov_b64 s[0:1], 0
	v_cvt_u32_f64_e32 v2, v[2:3]
	s_branch .LBB6_1171
.LBB6_1169:
	s_mov_b64 s[0:1], -1
                                        ; implicit-def: $vgpr2
	s_branch .LBB6_1174
.LBB6_1170:
	s_mov_b64 s[0:1], -1
                                        ; implicit-def: $vgpr2
.LBB6_1171:
	s_andn2_b64 vcc, exec, s[0:1]
	s_cbranch_vccnz .LBB6_1173
; %bb.1172:
	global_load_dword v2, v[0:1], off
	s_mov_b32 s0, 0x2f800000
	s_waitcnt vmcnt(0)
	v_trunc_f32_e32 v2, v2
	v_mul_f32_e64 v3, |v2|, s0
	v_floor_f32_e32 v3, v3
	s_mov_b32 s0, 0xcf800000
	v_fma_f32 v3, v3, s0, |v2|
	v_cvt_u32_f32_e32 v3, v3
	v_ashrrev_i32_e32 v2, 31, v2
	v_xor_b32_e32 v3, v3, v2
	v_sub_u32_e32 v2, v3, v2
.LBB6_1173:
	s_mov_b64 s[0:1], 0
.LBB6_1174:
	s_andn2_b64 vcc, exec, s[0:1]
	s_cbranch_vccnz .LBB6_1176
; %bb.1175:
	global_load_ushort v2, v[0:1], off
	s_waitcnt vmcnt(0)
	v_cvt_f32_f16_e32 v2, v2
	v_cvt_i32_f32_e32 v2, v2
.LBB6_1176:
	s_cbranch_execnz .LBB6_1195
.LBB6_1177:
	s_cmp_lt_i32 s15, 2
	s_cbranch_scc1 .LBB6_1181
; %bb.1178:
	s_cmp_lt_i32 s15, 3
	s_cbranch_scc1 .LBB6_1182
; %bb.1179:
	s_cmp_gt_i32 s15, 3
	s_cbranch_scc0 .LBB6_1183
; %bb.1180:
	global_load_dwordx2 v[2:3], v[0:1], off
	s_mov_b64 s[0:1], 0
	s_branch .LBB6_1184
.LBB6_1181:
                                        ; implicit-def: $vgpr2
	s_branch .LBB6_1190
.LBB6_1182:
	s_mov_b64 s[0:1], -1
                                        ; implicit-def: $vgpr2
	s_branch .LBB6_1187
.LBB6_1183:
	s_mov_b64 s[0:1], -1
                                        ; implicit-def: $vgpr2
.LBB6_1184:
	s_andn2_b64 vcc, exec, s[0:1]
	s_cbranch_vccnz .LBB6_1186
; %bb.1185:
	global_load_dword v2, v[0:1], off
.LBB6_1186:
	s_mov_b64 s[0:1], 0
.LBB6_1187:
	s_andn2_b64 vcc, exec, s[0:1]
	s_cbranch_vccnz .LBB6_1189
; %bb.1188:
	global_load_ushort v2, v[0:1], off
.LBB6_1189:
	s_cbranch_execnz .LBB6_1195
.LBB6_1190:
	s_cmp_gt_i32 s15, 0
	s_cbranch_scc0 .LBB6_1192
; %bb.1191:
	global_load_ubyte v2, v[0:1], off
	s_mov_b64 s[0:1], 0
	s_branch .LBB6_1193
.LBB6_1192:
	s_mov_b64 s[0:1], -1
                                        ; implicit-def: $vgpr2
.LBB6_1193:
	s_andn2_b64 vcc, exec, s[0:1]
	s_cbranch_vccnz .LBB6_1195
; %bb.1194:
	global_load_ubyte v2, v[0:1], off
.LBB6_1195:
.LBB6_1196:
	s_cmp_lt_i32 s14, 1
	s_mov_b64 s[0:1], 0
	s_cbranch_scc1 .LBB6_1200
; %bb.1197:
	s_cmp_gt_i32 s14, 1
	s_cbranch_scc0 .LBB6_1201
; %bb.1198:
	s_cmp_eq_u32 s14, 2
	s_cbranch_scc0 .LBB6_1202
; %bb.1199:
	s_and_b32 s4, s2, 0xff
	s_waitcnt vmcnt(0)
	v_cmp_le_u16_sdwa s[4:5], v2, s4 src0_sel:BYTE_0 src1_sel:DWORD
	s_mov_b64 s[20:21], 0
	s_branch .LBB6_1203
.LBB6_1200:
                                        ; implicit-def: $sgpr4_sgpr5
	s_mov_b64 s[20:21], 0
	s_cbranch_execnz .LBB6_1206
	s_branch .LBB6_1207
.LBB6_1201:
	s_mov_b64 s[20:21], 0
                                        ; implicit-def: $sgpr4_sgpr5
	s_cbranch_execnz .LBB6_1204
	s_branch .LBB6_1205
.LBB6_1202:
	s_mov_b64 s[20:21], -1
                                        ; implicit-def: $sgpr4_sgpr5
.LBB6_1203:
	s_branch .LBB6_1205
.LBB6_1204:
	s_and_b32 s22, s2, 0xff
	s_waitcnt vmcnt(0)
	v_cmp_gt_u16_sdwa s[22:23], v2, s22 src0_sel:BYTE_0 src1_sel:DWORD
	s_andn2_b64 s[4:5], s[4:5], exec
	s_and_b64 s[22:23], s[22:23], exec
	s_or_b64 s[4:5], s[4:5], s[22:23]
.LBB6_1205:
	s_branch .LBB6_1207
.LBB6_1206:
	s_cmp_lg_u32 s14, 0
	s_mov_b64 s[0:1], -1
	s_cselect_b64 s[20:21], -1, 0
.LBB6_1207:
	s_andn2_b64 vcc, exec, s[20:21]
	s_cbranch_vccnz .LBB6_1209
; %bb.1208:
	s_and_b32 s0, s2, 0xff
	s_waitcnt vmcnt(0)
	v_cmp_lt_u16_sdwa s[20:21], v2, s0 src0_sel:BYTE_0 src1_sel:DWORD
	s_andn2_b64 s[4:5], s[4:5], exec
	s_and_b64 s[20:21], s[20:21], exec
	s_or_b64 s[4:5], s[4:5], s[20:21]
	s_cbranch_execz .LBB6_1210
	s_branch .LBB6_1211
.LBB6_1209:
	s_andn2_b64 vcc, exec, s[0:1]
	s_cbranch_vccnz .LBB6_1211
.LBB6_1210:
	s_and_b32 s0, s2, 0xff
	s_waitcnt vmcnt(0)
	v_cmp_ge_u16_sdwa s[0:1], v2, s0 src0_sel:BYTE_0 src1_sel:DWORD
	s_andn2_b64 s[4:5], s[4:5], exec
	s_and_b64 s[0:1], s[0:1], exec
	s_or_b64 s[4:5], s[4:5], s[0:1]
.LBB6_1211:
	s_lshl_b32 s13, s13, 7
	v_add_u32_e32 v5, s13, v5
	v_ashrrev_i32_e32 v1, 31, v5
	s_waitcnt vmcnt(0)
	v_mov_b32_e32 v2, s11
	v_add_co_u32_e32 v0, vcc, s10, v5
	s_cmp_lt_i32 s15, 11
	v_addc_co_u32_e32 v1, vcc, v2, v1, vcc
	s_cbranch_scc1 .LBB6_1218
; %bb.1212:
	s_cmp_gt_i32 s15, 25
	s_mov_b64 s[20:21], 0
	s_cbranch_scc0 .LBB6_1220
; %bb.1213:
	s_cmp_gt_i32 s15, 28
	s_cbranch_scc0 .LBB6_1221
; %bb.1214:
	s_cmp_gt_i32 s15, 43
	;; [unrolled: 3-line block ×3, first 2 shown]
	s_cbranch_scc0 .LBB6_1224
; %bb.1216:
	s_cmp_eq_u32 s15, 46
	s_mov_b64 s[24:25], 0
	s_cbranch_scc0 .LBB6_1227
; %bb.1217:
	global_load_dword v2, v[0:1], off
	s_mov_b32 s0, 0x2f800000
	s_mov_b32 s1, 0xcf800000
	s_mov_b64 s[22:23], -1
	s_waitcnt vmcnt(0)
	v_lshlrev_b32_e32 v2, 16, v2
	v_trunc_f32_e32 v2, v2
	v_mul_f32_e64 v3, |v2|, s0
	v_floor_f32_e32 v3, v3
	v_fma_f32 v3, v3, s1, |v2|
	v_cvt_u32_f32_e32 v3, v3
	v_ashrrev_i32_e32 v2, 31, v2
	s_mov_b64 s[0:1], 0
	v_xor_b32_e32 v3, v3, v2
	v_sub_u32_e32 v2, v3, v2
	s_branch .LBB6_1228
.LBB6_1218:
	s_mov_b64 s[22:23], 0
                                        ; implicit-def: $vgpr2
	s_cbranch_execnz .LBB6_1289
.LBB6_1219:
	s_andn2_b64 vcc, exec, s[22:23]
	s_cbranch_vccnz .LBB6_1623
	s_branch .LBB6_1336
.LBB6_1220:
	s_mov_b64 s[22:23], 0
	s_mov_b64 s[0:1], 0
                                        ; implicit-def: $vgpr2
	s_cbranch_execnz .LBB6_1255
	s_branch .LBB6_1285
.LBB6_1221:
	s_mov_b64 s[24:25], -1
	s_mov_b64 s[22:23], 0
	s_mov_b64 s[0:1], 0
                                        ; implicit-def: $vgpr2
	s_branch .LBB6_1238
.LBB6_1222:
	s_mov_b64 s[24:25], -1
	s_mov_b64 s[22:23], 0
	s_mov_b64 s[0:1], 0
                                        ; implicit-def: $vgpr2
	s_branch .LBB6_1233
.LBB6_1223:
	s_or_b64 s[18:19], s[16:17], exec
	s_trap 2
	s_cbranch_execz .LBB6_1149
	s_branch .LBB6_1150
.LBB6_1224:
	s_mov_b64 s[24:25], -1
	s_mov_b64 s[22:23], 0
	s_mov_b64 s[0:1], 0
                                        ; implicit-def: $vgpr2
	s_branch .LBB6_1228
.LBB6_1225:
	s_andn2_saveexec_b64 s[30:31], s[30:31]
	s_cbranch_execz .LBB6_1000
.LBB6_1226:
	v_add_f32_e32 v2, 0x42800000, v3
	v_and_b32_e32 v2, 0xff, v2
	v_cmp_ne_u32_e32 vcc, 0, v2
	s_andn2_b64 s[28:29], s[28:29], exec
	s_and_b64 s[36:37], vcc, exec
	s_or_b64 s[28:29], s[28:29], s[36:37]
	s_or_b64 exec, exec, s[30:31]
	v_mov_b32_e32 v4, 0
	s_and_saveexec_b64 s[30:31], s[28:29]
	s_cbranch_execnz .LBB6_1001
	s_branch .LBB6_1002
.LBB6_1227:
	s_mov_b64 s[0:1], -1
                                        ; implicit-def: $vgpr2
	s_mov_b64 s[22:23], 0
.LBB6_1228:
	s_and_b64 vcc, exec, s[24:25]
	s_cbranch_vccz .LBB6_1232
; %bb.1229:
	s_cmp_eq_u32 s15, 44
	s_cbranch_scc0 .LBB6_1231
; %bb.1230:
	global_load_ubyte v2, v[0:1], off
	s_mov_b32 s0, 0x2f800000
	s_mov_b32 s1, 0xcf800000
	s_mov_b64 s[22:23], -1
	s_waitcnt vmcnt(0)
	v_lshlrev_b32_e32 v3, 23, v2
	v_trunc_f32_e32 v3, v3
	v_mul_f32_e64 v6, |v3|, s0
	v_floor_f32_e32 v6, v6
	v_fma_f32 v6, v6, s1, |v3|
	v_cvt_u32_f32_e32 v6, v6
	v_ashrrev_i32_e32 v3, 31, v3
	v_cmp_ne_u32_e32 vcc, 0, v2
	s_mov_b64 s[0:1], 0
	v_xor_b32_e32 v6, v6, v3
	v_sub_u32_e32 v3, v6, v3
	v_cndmask_b32_e32 v2, 0, v3, vcc
	s_branch .LBB6_1232
.LBB6_1231:
	s_mov_b64 s[0:1], -1
                                        ; implicit-def: $vgpr2
.LBB6_1232:
	s_mov_b64 s[24:25], 0
.LBB6_1233:
	s_and_b64 vcc, exec, s[24:25]
	s_cbranch_vccz .LBB6_1237
; %bb.1234:
	s_cmp_eq_u32 s15, 29
	s_cbranch_scc0 .LBB6_1236
; %bb.1235:
	global_load_dwordx2 v[2:3], v[0:1], off
	s_mov_b64 s[0:1], 0
	s_mov_b64 s[22:23], -1
	s_branch .LBB6_1237
.LBB6_1236:
	s_mov_b64 s[0:1], -1
                                        ; implicit-def: $vgpr2
.LBB6_1237:
	s_mov_b64 s[24:25], 0
.LBB6_1238:
	s_and_b64 vcc, exec, s[24:25]
	s_cbranch_vccz .LBB6_1254
; %bb.1239:
	s_cmp_lt_i32 s15, 27
	s_cbranch_scc1 .LBB6_1242
; %bb.1240:
	s_cmp_gt_i32 s15, 27
	s_cbranch_scc0 .LBB6_1243
; %bb.1241:
	global_load_dword v2, v[0:1], off
	s_mov_b64 s[22:23], 0
	s_branch .LBB6_1244
.LBB6_1242:
	s_mov_b64 s[22:23], -1
                                        ; implicit-def: $vgpr2
	s_branch .LBB6_1247
.LBB6_1243:
	s_mov_b64 s[22:23], -1
                                        ; implicit-def: $vgpr2
.LBB6_1244:
	s_andn2_b64 vcc, exec, s[22:23]
	s_cbranch_vccnz .LBB6_1246
; %bb.1245:
	global_load_ushort v2, v[0:1], off
.LBB6_1246:
	s_mov_b64 s[22:23], 0
.LBB6_1247:
	s_andn2_b64 vcc, exec, s[22:23]
	s_cbranch_vccnz .LBB6_1253
; %bb.1248:
	global_load_ubyte v3, v[0:1], off
	s_movk_i32 s22, 0x7f
	s_mov_b64 s[24:25], 0
	s_waitcnt vmcnt(0)
	v_cmp_lt_i16_e32 vcc, s22, v3
	s_and_saveexec_b64 s[22:23], vcc
	s_xor_b64 s[22:23], exec, s[22:23]
	s_cbranch_execz .LBB6_1264
; %bb.1249:
	s_movk_i32 s24, 0x80
	v_cmp_ne_u16_e32 vcc, s24, v3
	s_and_b64 s[24:25], vcc, exec
	s_andn2_saveexec_b64 s[22:23], s[22:23]
	s_cbranch_execnz .LBB6_1265
.LBB6_1250:
	s_or_b64 exec, exec, s[22:23]
	v_mov_b32_e32 v2, 0
	s_and_saveexec_b64 s[22:23], s[24:25]
	s_cbranch_execz .LBB6_1252
.LBB6_1251:
	v_lshlrev_b32_e32 v2, 24, v3
	v_and_b32_e32 v3, 0xffff, v3
	v_and_b32_e32 v6, 7, v3
	v_ffbh_u32_e32 v8, v6
	v_min_u32_e32 v8, 32, v8
	v_subrev_u32_e32 v9, 28, v8
	v_bfe_u32 v7, v3, 3, 4
	v_lshlrev_b32_e32 v3, v9, v3
	v_sub_u32_e32 v8, 29, v8
	v_and_b32_e32 v3, 7, v3
	v_cmp_eq_u32_e32 vcc, 0, v7
	v_cndmask_b32_e32 v7, v7, v8, vcc
	v_cndmask_b32_e32 v3, v6, v3, vcc
	v_mov_b32_e32 v6, 0x3b800000
	v_lshlrev_b32_e32 v3, 20, v3
	v_and_b32_e32 v2, 0x80000000, v2
	v_lshl_add_u32 v6, v7, 23, v6
	v_or3_b32 v2, v2, v6, v3
	v_trunc_f32_e32 v2, v2
	s_mov_b32 s24, 0x2f800000
	v_mul_f32_e64 v3, |v2|, s24
	v_floor_f32_e32 v3, v3
	s_mov_b32 s24, 0xcf800000
	v_fma_f32 v3, v3, s24, |v2|
	v_cvt_u32_f32_e32 v3, v3
	v_ashrrev_i32_e32 v2, 31, v2
	v_xor_b32_e32 v3, v3, v2
	v_sub_u32_e32 v2, v3, v2
.LBB6_1252:
	s_or_b64 exec, exec, s[22:23]
.LBB6_1253:
	s_mov_b64 s[22:23], -1
.LBB6_1254:
	s_branch .LBB6_1285
.LBB6_1255:
	s_cmp_gt_i32 s15, 22
	s_cbranch_scc0 .LBB6_1263
; %bb.1256:
	s_cmp_lt_i32 s15, 24
	s_cbranch_scc1 .LBB6_1266
; %bb.1257:
	s_cmp_gt_i32 s15, 24
	s_cbranch_scc0 .LBB6_1267
; %bb.1258:
	global_load_ubyte v3, v[0:1], off
	s_movk_i32 s20, 0x7f
	s_mov_b64 s[22:23], 0
	s_waitcnt vmcnt(0)
	v_cmp_lt_i16_e32 vcc, s20, v3
	s_and_saveexec_b64 s[20:21], vcc
	s_xor_b64 s[20:21], exec, s[20:21]
	s_cbranch_execz .LBB6_1279
; %bb.1259:
	s_movk_i32 s22, 0x80
	v_cmp_ne_u16_e32 vcc, s22, v3
	s_and_b64 s[22:23], vcc, exec
	s_andn2_saveexec_b64 s[20:21], s[20:21]
	s_cbranch_execnz .LBB6_1280
.LBB6_1260:
	s_or_b64 exec, exec, s[20:21]
	v_mov_b32_e32 v2, 0
	s_and_saveexec_b64 s[20:21], s[22:23]
	s_cbranch_execz .LBB6_1262
.LBB6_1261:
	v_lshlrev_b32_e32 v2, 24, v3
	v_and_b32_e32 v3, 0xffff, v3
	v_and_b32_e32 v6, 3, v3
	v_ffbh_u32_e32 v8, v6
	v_min_u32_e32 v8, 32, v8
	v_subrev_u32_e32 v9, 29, v8
	v_bfe_u32 v7, v3, 2, 5
	v_lshlrev_b32_e32 v3, v9, v3
	v_sub_u32_e32 v8, 30, v8
	v_and_b32_e32 v3, 3, v3
	v_cmp_eq_u32_e32 vcc, 0, v7
	v_cndmask_b32_e32 v7, v7, v8, vcc
	v_cndmask_b32_e32 v3, v6, v3, vcc
	v_mov_b32_e32 v6, 0x37800000
	v_lshlrev_b32_e32 v3, 21, v3
	v_and_b32_e32 v2, 0x80000000, v2
	v_lshl_add_u32 v6, v7, 23, v6
	v_or3_b32 v2, v2, v6, v3
	v_trunc_f32_e32 v2, v2
	s_mov_b32 s22, 0x2f800000
	v_mul_f32_e64 v3, |v2|, s22
	v_floor_f32_e32 v3, v3
	s_mov_b32 s22, 0xcf800000
	v_fma_f32 v3, v3, s22, |v2|
	v_cvt_u32_f32_e32 v3, v3
	v_ashrrev_i32_e32 v2, 31, v2
	v_xor_b32_e32 v3, v3, v2
	v_sub_u32_e32 v2, v3, v2
.LBB6_1262:
	s_or_b64 exec, exec, s[20:21]
	s_mov_b64 s[20:21], 0
	s_branch .LBB6_1268
.LBB6_1263:
	s_mov_b64 s[20:21], -1
                                        ; implicit-def: $vgpr2
	s_branch .LBB6_1274
.LBB6_1264:
	s_andn2_saveexec_b64 s[22:23], s[22:23]
	s_cbranch_execz .LBB6_1250
.LBB6_1265:
	v_cmp_ne_u16_e32 vcc, 0, v3
	s_andn2_b64 s[24:25], s[24:25], exec
	s_and_b64 s[26:27], vcc, exec
	s_or_b64 s[24:25], s[24:25], s[26:27]
	s_or_b64 exec, exec, s[22:23]
	v_mov_b32_e32 v2, 0
	s_and_saveexec_b64 s[22:23], s[24:25]
	s_cbranch_execnz .LBB6_1251
	s_branch .LBB6_1252
.LBB6_1266:
	s_mov_b64 s[20:21], -1
                                        ; implicit-def: $vgpr2
	s_branch .LBB6_1271
.LBB6_1267:
	s_mov_b64 s[20:21], -1
                                        ; implicit-def: $vgpr2
.LBB6_1268:
	s_and_b64 vcc, exec, s[20:21]
	s_cbranch_vccz .LBB6_1270
; %bb.1269:
	global_load_ubyte v2, v[0:1], off
	s_mov_b32 s20, 0x7f800000
	s_brev_b32 s21, 1
	s_mov_b32 s22, 0x2f800000
	s_waitcnt vmcnt(0)
	v_lshlrev_b32_e32 v2, 24, v2
	v_and_b32_e32 v3, 0x7f000000, v2
	v_ffbh_u32_e32 v6, v3
	v_min_u32_e32 v6, 32, v6
	v_sub_u32_e64 v6, v6, 4 clamp
	v_lshlrev_b32_e32 v8, v6, v3
	v_lshlrev_b32_e32 v6, 23, v6
	v_lshrrev_b32_e32 v8, 4, v8
	v_add_u32_e32 v7, 0x1000000, v3
	v_sub_u32_e32 v6, v8, v6
	v_ashrrev_i32_e32 v7, 8, v7
	v_add_u32_e32 v6, 0x3c000000, v6
	v_and_or_b32 v6, v7, s20, v6
	v_cmp_ne_u32_e32 vcc, 0, v3
	v_cndmask_b32_e32 v3, 0, v6, vcc
	v_and_or_b32 v2, v2, s21, v3
	v_trunc_f32_e32 v2, v2
	v_mul_f32_e64 v3, |v2|, s22
	v_floor_f32_e32 v3, v3
	s_mov_b32 s20, 0xcf800000
	v_fma_f32 v3, v3, s20, |v2|
	v_cvt_u32_f32_e32 v3, v3
	v_ashrrev_i32_e32 v2, 31, v2
	v_xor_b32_e32 v3, v3, v2
	v_sub_u32_e32 v2, v3, v2
.LBB6_1270:
	s_mov_b64 s[20:21], 0
.LBB6_1271:
	s_andn2_b64 vcc, exec, s[20:21]
	s_cbranch_vccnz .LBB6_1273
; %bb.1272:
	global_load_ubyte v2, v[0:1], off
	s_movk_i32 s20, 0x7f00
	s_brev_b32 s21, 16
	s_brev_b32 s22, 1
	s_mov_b32 s23, 0x2f800000
	s_waitcnt vmcnt(0)
	v_lshlrev_b16_e32 v3, 8, v2
	v_lshlrev_b32_e32 v2, 25, v2
	v_lshrrev_b32_e32 v6, 4, v2
	v_and_or_b32 v7, v3, s20, 0.5
	v_or_b32_e32 v6, 0x70000000, v6
	v_add_f32_e32 v7, -0.5, v7
	v_mul_f32_e32 v6, 0x7800000, v6
	v_cmp_gt_u32_e32 vcc, s21, v2
	v_bfe_i32 v3, v3, 0, 16
	v_cndmask_b32_e32 v2, v6, v7, vcc
	v_and_or_b32 v2, v3, s22, v2
	v_trunc_f32_e32 v2, v2
	v_mul_f32_e64 v3, |v2|, s23
	v_floor_f32_e32 v3, v3
	s_mov_b32 s20, 0xcf800000
	v_fma_f32 v3, v3, s20, |v2|
	v_cvt_u32_f32_e32 v3, v3
	v_ashrrev_i32_e32 v2, 31, v2
	v_xor_b32_e32 v3, v3, v2
	v_sub_u32_e32 v2, v3, v2
.LBB6_1273:
	s_mov_b64 s[20:21], 0
	s_mov_b64 s[22:23], -1
.LBB6_1274:
	s_andn2_b64 vcc, exec, s[20:21]
	s_mov_b64 s[20:21], 0
	s_cbranch_vccnz .LBB6_1285
; %bb.1275:
	s_cmp_gt_i32 s15, 14
	s_cbranch_scc0 .LBB6_1278
; %bb.1276:
	s_cmp_eq_u32 s15, 15
	s_cbranch_scc0 .LBB6_1281
; %bb.1277:
	global_load_ushort v2, v[0:1], off
	s_mov_b32 s0, 0x2f800000
	s_mov_b32 s1, 0xcf800000
	s_mov_b64 s[22:23], -1
	s_waitcnt vmcnt(0)
	v_lshlrev_b32_e32 v2, 16, v2
	v_trunc_f32_e32 v2, v2
	v_mul_f32_e64 v3, |v2|, s0
	v_floor_f32_e32 v3, v3
	v_fma_f32 v3, v3, s1, |v2|
	v_cvt_u32_f32_e32 v3, v3
	v_ashrrev_i32_e32 v2, 31, v2
	s_mov_b64 s[0:1], 0
	v_xor_b32_e32 v3, v3, v2
	v_sub_u32_e32 v2, v3, v2
	s_branch .LBB6_1282
.LBB6_1278:
	s_mov_b64 s[24:25], -1
                                        ; implicit-def: $vgpr2
	s_branch .LBB6_1283
.LBB6_1279:
	s_andn2_saveexec_b64 s[20:21], s[20:21]
	s_cbranch_execz .LBB6_1260
.LBB6_1280:
	v_cmp_ne_u16_e32 vcc, 0, v3
	s_andn2_b64 s[22:23], s[22:23], exec
	s_and_b64 s[24:25], vcc, exec
	s_or_b64 s[22:23], s[22:23], s[24:25]
	s_or_b64 exec, exec, s[20:21]
	v_mov_b32_e32 v2, 0
	s_and_saveexec_b64 s[20:21], s[22:23]
	s_cbranch_execnz .LBB6_1261
	s_branch .LBB6_1262
.LBB6_1281:
	s_mov_b64 s[0:1], -1
                                        ; implicit-def: $vgpr2
.LBB6_1282:
	s_mov_b64 s[24:25], 0
.LBB6_1283:
	s_and_b64 vcc, exec, s[24:25]
	s_cbranch_vccz .LBB6_1285
; %bb.1284:
	s_cmp_lg_u32 s15, 11
	s_mov_b64 s[20:21], -1
	s_cselect_b64 s[0:1], -1, 0
.LBB6_1285:
	s_and_b64 vcc, exec, s[0:1]
	s_cbranch_vccnz .LBB6_1364
; %bb.1286:
	s_andn2_b64 vcc, exec, s[20:21]
	s_cbranch_vccnz .LBB6_1288
.LBB6_1287:
	global_load_ubyte v2, v[0:1], off
	s_mov_b64 s[22:23], -1
	s_waitcnt vmcnt(0)
	v_cmp_ne_u16_e32 vcc, 0, v2
	v_cndmask_b32_e64 v2, 0, 1, vcc
.LBB6_1288:
	s_branch .LBB6_1219
.LBB6_1289:
	s_cmp_lt_i32 s15, 5
	s_cbranch_scc1 .LBB6_1294
; %bb.1290:
	s_cmp_lt_i32 s15, 8
	s_cbranch_scc1 .LBB6_1295
; %bb.1291:
	;; [unrolled: 3-line block ×3, first 2 shown]
	s_cmp_gt_i32 s15, 9
	s_cbranch_scc0 .LBB6_1297
; %bb.1293:
	global_load_dwordx2 v[2:3], v[0:1], off
	s_movk_i32 s0, 0xffe0
	s_waitcnt vmcnt(0)
	v_trunc_f64_e32 v[2:3], v[2:3]
	v_ldexp_f64 v[6:7], v[2:3], s0
	s_mov_b32 s0, 0
	s_mov_b32 s1, 0xc1f00000
	v_floor_f64_e32 v[6:7], v[6:7]
	v_fma_f64 v[2:3], v[6:7], s[0:1], v[2:3]
	s_mov_b64 s[0:1], 0
	v_cvt_u32_f64_e32 v2, v[2:3]
	s_branch .LBB6_1298
.LBB6_1294:
                                        ; implicit-def: $vgpr2
	s_branch .LBB6_1316
.LBB6_1295:
	s_mov_b64 s[0:1], -1
                                        ; implicit-def: $vgpr2
	s_branch .LBB6_1304
.LBB6_1296:
	s_mov_b64 s[0:1], -1
                                        ; implicit-def: $vgpr2
	s_branch .LBB6_1301
.LBB6_1297:
	s_mov_b64 s[0:1], -1
                                        ; implicit-def: $vgpr2
.LBB6_1298:
	s_andn2_b64 vcc, exec, s[0:1]
	s_cbranch_vccnz .LBB6_1300
; %bb.1299:
	global_load_dword v2, v[0:1], off
	s_mov_b32 s0, 0x2f800000
	s_waitcnt vmcnt(0)
	v_trunc_f32_e32 v2, v2
	v_mul_f32_e64 v3, |v2|, s0
	v_floor_f32_e32 v3, v3
	s_mov_b32 s0, 0xcf800000
	v_fma_f32 v3, v3, s0, |v2|
	v_cvt_u32_f32_e32 v3, v3
	v_ashrrev_i32_e32 v2, 31, v2
	v_xor_b32_e32 v3, v3, v2
	v_sub_u32_e32 v2, v3, v2
.LBB6_1300:
	s_mov_b64 s[0:1], 0
.LBB6_1301:
	s_andn2_b64 vcc, exec, s[0:1]
	s_cbranch_vccnz .LBB6_1303
; %bb.1302:
	global_load_dword v2, v[0:1], off
	s_waitcnt vmcnt(0)
	v_cvt_f32_f16_e32 v2, v2
	v_cvt_i32_f32_e32 v2, v2
.LBB6_1303:
	s_mov_b64 s[0:1], 0
.LBB6_1304:
	s_andn2_b64 vcc, exec, s[0:1]
	s_cbranch_vccnz .LBB6_1315
; %bb.1305:
	s_cmp_lt_i32 s15, 6
	s_cbranch_scc1 .LBB6_1308
; %bb.1306:
	s_cmp_gt_i32 s15, 6
	s_cbranch_scc0 .LBB6_1309
; %bb.1307:
	global_load_dwordx2 v[2:3], v[0:1], off
	s_movk_i32 s0, 0xffe0
	s_waitcnt vmcnt(0)
	v_trunc_f64_e32 v[2:3], v[2:3]
	v_ldexp_f64 v[6:7], v[2:3], s0
	s_mov_b32 s0, 0
	s_mov_b32 s1, 0xc1f00000
	v_floor_f64_e32 v[6:7], v[6:7]
	v_fma_f64 v[2:3], v[6:7], s[0:1], v[2:3]
	s_mov_b64 s[0:1], 0
	v_cvt_u32_f64_e32 v2, v[2:3]
	s_branch .LBB6_1310
.LBB6_1308:
	s_mov_b64 s[0:1], -1
                                        ; implicit-def: $vgpr2
	s_branch .LBB6_1313
.LBB6_1309:
	s_mov_b64 s[0:1], -1
                                        ; implicit-def: $vgpr2
.LBB6_1310:
	s_andn2_b64 vcc, exec, s[0:1]
	s_cbranch_vccnz .LBB6_1312
; %bb.1311:
	global_load_dword v2, v[0:1], off
	s_mov_b32 s0, 0x2f800000
	s_waitcnt vmcnt(0)
	v_trunc_f32_e32 v2, v2
	v_mul_f32_e64 v3, |v2|, s0
	v_floor_f32_e32 v3, v3
	s_mov_b32 s0, 0xcf800000
	v_fma_f32 v3, v3, s0, |v2|
	v_cvt_u32_f32_e32 v3, v3
	v_ashrrev_i32_e32 v2, 31, v2
	v_xor_b32_e32 v3, v3, v2
	v_sub_u32_e32 v2, v3, v2
.LBB6_1312:
	s_mov_b64 s[0:1], 0
.LBB6_1313:
	s_andn2_b64 vcc, exec, s[0:1]
	s_cbranch_vccnz .LBB6_1315
; %bb.1314:
	global_load_ushort v2, v[0:1], off
	s_waitcnt vmcnt(0)
	v_cvt_f32_f16_e32 v2, v2
	v_cvt_i32_f32_e32 v2, v2
.LBB6_1315:
	s_cbranch_execnz .LBB6_1335
.LBB6_1316:
	s_cmp_lt_i32 s15, 2
	s_cbranch_scc1 .LBB6_1320
; %bb.1317:
	s_cmp_lt_i32 s15, 3
	s_cbranch_scc1 .LBB6_1321
; %bb.1318:
	s_cmp_gt_i32 s15, 3
	s_cbranch_scc0 .LBB6_1322
; %bb.1319:
	global_load_dwordx2 v[2:3], v[0:1], off
	s_mov_b64 s[0:1], 0
	s_branch .LBB6_1323
.LBB6_1320:
	s_mov_b64 s[0:1], -1
                                        ; implicit-def: $vgpr2
	s_branch .LBB6_1329
.LBB6_1321:
	s_mov_b64 s[0:1], -1
                                        ; implicit-def: $vgpr2
	s_branch .LBB6_1326
.LBB6_1322:
	s_mov_b64 s[0:1], -1
                                        ; implicit-def: $vgpr2
.LBB6_1323:
	s_andn2_b64 vcc, exec, s[0:1]
	s_cbranch_vccnz .LBB6_1325
; %bb.1324:
	global_load_dword v2, v[0:1], off
.LBB6_1325:
	s_mov_b64 s[0:1], 0
.LBB6_1326:
	s_andn2_b64 vcc, exec, s[0:1]
	s_cbranch_vccnz .LBB6_1328
; %bb.1327:
	global_load_ushort v2, v[0:1], off
.LBB6_1328:
	s_mov_b64 s[0:1], 0
.LBB6_1329:
	s_andn2_b64 vcc, exec, s[0:1]
	s_cbranch_vccnz .LBB6_1335
; %bb.1330:
	s_cmp_gt_i32 s15, 0
	s_cbranch_scc0 .LBB6_1332
; %bb.1331:
	global_load_ubyte v2, v[0:1], off
	s_mov_b64 s[0:1], 0
	s_branch .LBB6_1333
.LBB6_1332:
	s_mov_b64 s[0:1], -1
                                        ; implicit-def: $vgpr2
.LBB6_1333:
	s_andn2_b64 vcc, exec, s[0:1]
	s_cbranch_vccnz .LBB6_1335
; %bb.1334:
	global_load_ubyte v2, v[0:1], off
.LBB6_1335:
.LBB6_1336:
	s_cmp_lt_i32 s14, 1
	s_mov_b64 s[0:1], 0
	s_cbranch_scc1 .LBB6_1340
; %bb.1337:
	s_cmp_gt_i32 s14, 1
	s_cbranch_scc0 .LBB6_1341
; %bb.1338:
	s_cmp_eq_u32 s14, 2
	s_cbranch_scc0 .LBB6_1342
; %bb.1339:
	s_and_b32 s20, s2, 0xff
	s_waitcnt vmcnt(0)
	v_cmp_le_u16_sdwa s[20:21], v2, s20 src0_sel:BYTE_0 src1_sel:DWORD
	s_mov_b64 s[22:23], 0
	s_branch .LBB6_1343
.LBB6_1340:
                                        ; implicit-def: $sgpr20_sgpr21
	s_mov_b64 s[22:23], 0
	s_cbranch_execnz .LBB6_1347
	s_branch .LBB6_1348
.LBB6_1341:
	s_mov_b64 s[24:25], -1
	s_mov_b64 s[22:23], 0
                                        ; implicit-def: $sgpr20_sgpr21
	s_branch .LBB6_1344
.LBB6_1342:
	s_mov_b64 s[22:23], -1
                                        ; implicit-def: $sgpr20_sgpr21
.LBB6_1343:
	s_mov_b64 s[24:25], 0
.LBB6_1344:
	s_and_b64 vcc, exec, s[24:25]
	s_cbranch_vccz .LBB6_1346
; %bb.1345:
	s_and_b32 s24, s2, 0xff
	s_waitcnt vmcnt(0)
	v_cmp_gt_u16_sdwa s[24:25], v2, s24 src0_sel:BYTE_0 src1_sel:DWORD
	s_andn2_b64 s[20:21], s[20:21], exec
	s_and_b64 s[24:25], s[24:25], exec
	s_or_b64 s[20:21], s[20:21], s[24:25]
.LBB6_1346:
	s_branch .LBB6_1348
.LBB6_1347:
	s_cmp_lg_u32 s14, 0
	s_mov_b64 s[0:1], -1
	s_cselect_b64 s[22:23], -1, 0
.LBB6_1348:
	s_andn2_b64 vcc, exec, s[22:23]
	s_cbranch_vccnz .LBB6_1350
; %bb.1349:
	s_and_b32 s0, s2, 0xff
	s_waitcnt vmcnt(0)
	v_cmp_lt_u16_sdwa s[22:23], v2, s0 src0_sel:BYTE_0 src1_sel:DWORD
	s_andn2_b64 s[20:21], s[20:21], exec
	s_and_b64 s[22:23], s[22:23], exec
	s_or_b64 s[20:21], s[20:21], s[22:23]
	s_cbranch_execz .LBB6_1351
	s_branch .LBB6_1352
.LBB6_1350:
	s_andn2_b64 vcc, exec, s[0:1]
	s_cbranch_vccnz .LBB6_1352
.LBB6_1351:
	s_and_b32 s0, s2, 0xff
	s_waitcnt vmcnt(0)
	v_cmp_ge_u16_sdwa s[0:1], v2, s0 src0_sel:BYTE_0 src1_sel:DWORD
	s_andn2_b64 s[20:21], s[20:21], exec
	s_and_b64 s[0:1], s[0:1], exec
	s_or_b64 s[20:21], s[20:21], s[0:1]
.LBB6_1352:
	v_add_u32_e32 v5, s13, v5
	v_ashrrev_i32_e32 v1, 31, v5
	s_waitcnt vmcnt(0)
	v_mov_b32_e32 v2, s11
	v_add_co_u32_e32 v0, vcc, s10, v5
	s_cmp_lt_i32 s15, 11
	v_addc_co_u32_e32 v1, vcc, v2, v1, vcc
	s_cbranch_scc1 .LBB6_1359
; %bb.1353:
	s_cmp_gt_i32 s15, 25
	s_mov_b64 s[22:23], 0
	s_cbranch_scc0 .LBB6_1361
; %bb.1354:
	s_cmp_gt_i32 s15, 28
	s_cbranch_scc0 .LBB6_1362
; %bb.1355:
	s_cmp_gt_i32 s15, 43
	;; [unrolled: 3-line block ×3, first 2 shown]
	s_cbranch_scc0 .LBB6_1365
; %bb.1357:
	s_cmp_eq_u32 s15, 46
	s_mov_b64 s[26:27], 0
	s_cbranch_scc0 .LBB6_1366
; %bb.1358:
	global_load_dword v2, v[0:1], off
	s_mov_b32 s0, 0x2f800000
	s_mov_b32 s1, 0xcf800000
	s_mov_b64 s[24:25], -1
	s_waitcnt vmcnt(0)
	v_lshlrev_b32_e32 v2, 16, v2
	v_trunc_f32_e32 v2, v2
	v_mul_f32_e64 v3, |v2|, s0
	v_floor_f32_e32 v3, v3
	v_fma_f32 v3, v3, s1, |v2|
	v_cvt_u32_f32_e32 v3, v3
	v_ashrrev_i32_e32 v2, 31, v2
	s_mov_b64 s[0:1], 0
	v_xor_b32_e32 v3, v3, v2
	v_sub_u32_e32 v2, v3, v2
	s_branch .LBB6_1367
.LBB6_1359:
	s_mov_b64 s[24:25], 0
                                        ; implicit-def: $vgpr2
	s_cbranch_execnz .LBB6_1429
.LBB6_1360:
	s_andn2_b64 vcc, exec, s[24:25]
	s_cbranch_vccnz .LBB6_1623
	s_branch .LBB6_1477
.LBB6_1361:
	s_mov_b64 s[26:27], -1
	s_mov_b64 s[24:25], 0
	s_mov_b64 s[0:1], 0
                                        ; implicit-def: $vgpr2
	s_branch .LBB6_1394
.LBB6_1362:
	s_mov_b64 s[26:27], -1
	s_mov_b64 s[24:25], 0
	s_mov_b64 s[0:1], 0
                                        ; implicit-def: $vgpr2
	s_branch .LBB6_1377
.LBB6_1363:
	s_mov_b64 s[26:27], -1
	s_mov_b64 s[24:25], 0
	s_mov_b64 s[0:1], 0
                                        ; implicit-def: $vgpr2
	s_branch .LBB6_1372
.LBB6_1364:
	s_trap 2
	s_or_b64 s[18:19], s[18:19], exec
	s_cbranch_execz .LBB6_1287
	s_branch .LBB6_1288
.LBB6_1365:
	s_mov_b64 s[26:27], -1
	s_mov_b64 s[24:25], 0
	s_mov_b64 s[0:1], 0
                                        ; implicit-def: $vgpr2
	s_branch .LBB6_1367
.LBB6_1366:
	s_mov_b64 s[0:1], -1
                                        ; implicit-def: $vgpr2
	s_mov_b64 s[24:25], 0
.LBB6_1367:
	s_and_b64 vcc, exec, s[26:27]
	s_cbranch_vccz .LBB6_1371
; %bb.1368:
	s_cmp_eq_u32 s15, 44
	s_cbranch_scc0 .LBB6_1370
; %bb.1369:
	global_load_ubyte v2, v[0:1], off
	s_mov_b32 s0, 0x2f800000
	s_mov_b32 s1, 0xcf800000
	s_mov_b64 s[24:25], -1
	s_waitcnt vmcnt(0)
	v_lshlrev_b32_e32 v3, 23, v2
	v_trunc_f32_e32 v3, v3
	v_mul_f32_e64 v6, |v3|, s0
	v_floor_f32_e32 v6, v6
	v_fma_f32 v6, v6, s1, |v3|
	v_cvt_u32_f32_e32 v6, v6
	v_ashrrev_i32_e32 v3, 31, v3
	v_cmp_ne_u32_e32 vcc, 0, v2
	s_mov_b64 s[0:1], 0
	v_xor_b32_e32 v6, v6, v3
	v_sub_u32_e32 v3, v6, v3
	v_cndmask_b32_e32 v2, 0, v3, vcc
	s_branch .LBB6_1371
.LBB6_1370:
	s_mov_b64 s[0:1], -1
                                        ; implicit-def: $vgpr2
.LBB6_1371:
	s_mov_b64 s[26:27], 0
.LBB6_1372:
	s_and_b64 vcc, exec, s[26:27]
	s_cbranch_vccz .LBB6_1376
; %bb.1373:
	s_cmp_eq_u32 s15, 29
	s_cbranch_scc0 .LBB6_1375
; %bb.1374:
	global_load_dwordx2 v[2:3], v[0:1], off
	s_mov_b64 s[0:1], 0
	s_mov_b64 s[24:25], -1
	s_branch .LBB6_1376
.LBB6_1375:
	s_mov_b64 s[0:1], -1
                                        ; implicit-def: $vgpr2
.LBB6_1376:
	s_mov_b64 s[26:27], 0
.LBB6_1377:
	s_and_b64 vcc, exec, s[26:27]
	s_cbranch_vccz .LBB6_1393
; %bb.1378:
	s_cmp_lt_i32 s15, 27
	s_cbranch_scc1 .LBB6_1381
; %bb.1379:
	s_cmp_gt_i32 s15, 27
	s_cbranch_scc0 .LBB6_1382
; %bb.1380:
	global_load_dword v2, v[0:1], off
	s_mov_b64 s[24:25], 0
	s_branch .LBB6_1383
.LBB6_1381:
	s_mov_b64 s[24:25], -1
                                        ; implicit-def: $vgpr2
	s_branch .LBB6_1386
.LBB6_1382:
	s_mov_b64 s[24:25], -1
                                        ; implicit-def: $vgpr2
.LBB6_1383:
	s_andn2_b64 vcc, exec, s[24:25]
	s_cbranch_vccnz .LBB6_1385
; %bb.1384:
	global_load_ushort v2, v[0:1], off
.LBB6_1385:
	s_mov_b64 s[24:25], 0
.LBB6_1386:
	s_andn2_b64 vcc, exec, s[24:25]
	s_cbranch_vccnz .LBB6_1392
; %bb.1387:
	global_load_ubyte v3, v[0:1], off
	s_movk_i32 s24, 0x7f
	s_mov_b64 s[26:27], 0
	s_waitcnt vmcnt(0)
	v_cmp_lt_i16_e32 vcc, s24, v3
	s_and_saveexec_b64 s[24:25], vcc
	s_xor_b64 s[24:25], exec, s[24:25]
	s_cbranch_execz .LBB6_1404
; %bb.1388:
	s_movk_i32 s26, 0x80
	v_cmp_ne_u16_e32 vcc, s26, v3
	s_and_b64 s[26:27], vcc, exec
	s_andn2_saveexec_b64 s[24:25], s[24:25]
	s_cbranch_execnz .LBB6_1405
.LBB6_1389:
	s_or_b64 exec, exec, s[24:25]
	v_mov_b32_e32 v2, 0
	s_and_saveexec_b64 s[24:25], s[26:27]
	s_cbranch_execz .LBB6_1391
.LBB6_1390:
	v_lshlrev_b32_e32 v2, 24, v3
	v_and_b32_e32 v3, 0xffff, v3
	v_and_b32_e32 v6, 7, v3
	v_ffbh_u32_e32 v8, v6
	v_min_u32_e32 v8, 32, v8
	v_subrev_u32_e32 v9, 28, v8
	v_bfe_u32 v7, v3, 3, 4
	v_lshlrev_b32_e32 v3, v9, v3
	v_sub_u32_e32 v8, 29, v8
	v_and_b32_e32 v3, 7, v3
	v_cmp_eq_u32_e32 vcc, 0, v7
	v_cndmask_b32_e32 v7, v7, v8, vcc
	v_cndmask_b32_e32 v3, v6, v3, vcc
	v_mov_b32_e32 v6, 0x3b800000
	v_lshlrev_b32_e32 v3, 20, v3
	v_and_b32_e32 v2, 0x80000000, v2
	v_lshl_add_u32 v6, v7, 23, v6
	v_or3_b32 v2, v2, v6, v3
	v_trunc_f32_e32 v2, v2
	s_mov_b32 s26, 0x2f800000
	v_mul_f32_e64 v3, |v2|, s26
	v_floor_f32_e32 v3, v3
	s_mov_b32 s26, 0xcf800000
	v_fma_f32 v3, v3, s26, |v2|
	v_cvt_u32_f32_e32 v3, v3
	v_ashrrev_i32_e32 v2, 31, v2
	v_xor_b32_e32 v3, v3, v2
	v_sub_u32_e32 v2, v3, v2
.LBB6_1391:
	s_or_b64 exec, exec, s[24:25]
.LBB6_1392:
	s_mov_b64 s[24:25], -1
.LBB6_1393:
	s_mov_b64 s[26:27], 0
.LBB6_1394:
	s_and_b64 vcc, exec, s[26:27]
	s_cbranch_vccz .LBB6_1425
; %bb.1395:
	s_cmp_gt_i32 s15, 22
	s_cbranch_scc0 .LBB6_1403
; %bb.1396:
	s_cmp_lt_i32 s15, 24
	s_cbranch_scc1 .LBB6_1406
; %bb.1397:
	s_cmp_gt_i32 s15, 24
	s_cbranch_scc0 .LBB6_1407
; %bb.1398:
	global_load_ubyte v3, v[0:1], off
	s_movk_i32 s22, 0x7f
	s_mov_b64 s[24:25], 0
	s_waitcnt vmcnt(0)
	v_cmp_lt_i16_e32 vcc, s22, v3
	s_and_saveexec_b64 s[22:23], vcc
	s_xor_b64 s[22:23], exec, s[22:23]
	s_cbranch_execz .LBB6_1419
; %bb.1399:
	s_movk_i32 s24, 0x80
	v_cmp_ne_u16_e32 vcc, s24, v3
	s_and_b64 s[24:25], vcc, exec
	s_andn2_saveexec_b64 s[22:23], s[22:23]
	s_cbranch_execnz .LBB6_1420
.LBB6_1400:
	s_or_b64 exec, exec, s[22:23]
	v_mov_b32_e32 v2, 0
	s_and_saveexec_b64 s[22:23], s[24:25]
	s_cbranch_execz .LBB6_1402
.LBB6_1401:
	v_lshlrev_b32_e32 v2, 24, v3
	v_and_b32_e32 v3, 0xffff, v3
	v_and_b32_e32 v6, 3, v3
	v_ffbh_u32_e32 v8, v6
	v_min_u32_e32 v8, 32, v8
	v_subrev_u32_e32 v9, 29, v8
	v_bfe_u32 v7, v3, 2, 5
	v_lshlrev_b32_e32 v3, v9, v3
	v_sub_u32_e32 v8, 30, v8
	v_and_b32_e32 v3, 3, v3
	v_cmp_eq_u32_e32 vcc, 0, v7
	v_cndmask_b32_e32 v7, v7, v8, vcc
	v_cndmask_b32_e32 v3, v6, v3, vcc
	v_mov_b32_e32 v6, 0x37800000
	v_lshlrev_b32_e32 v3, 21, v3
	v_and_b32_e32 v2, 0x80000000, v2
	v_lshl_add_u32 v6, v7, 23, v6
	v_or3_b32 v2, v2, v6, v3
	v_trunc_f32_e32 v2, v2
	s_mov_b32 s24, 0x2f800000
	v_mul_f32_e64 v3, |v2|, s24
	v_floor_f32_e32 v3, v3
	s_mov_b32 s24, 0xcf800000
	v_fma_f32 v3, v3, s24, |v2|
	v_cvt_u32_f32_e32 v3, v3
	v_ashrrev_i32_e32 v2, 31, v2
	v_xor_b32_e32 v3, v3, v2
	v_sub_u32_e32 v2, v3, v2
.LBB6_1402:
	s_or_b64 exec, exec, s[22:23]
	s_mov_b64 s[22:23], 0
	s_branch .LBB6_1408
.LBB6_1403:
	s_mov_b64 s[22:23], -1
                                        ; implicit-def: $vgpr2
	s_branch .LBB6_1414
.LBB6_1404:
	s_andn2_saveexec_b64 s[24:25], s[24:25]
	s_cbranch_execz .LBB6_1389
.LBB6_1405:
	v_cmp_ne_u16_e32 vcc, 0, v3
	s_andn2_b64 s[26:27], s[26:27], exec
	s_and_b64 s[28:29], vcc, exec
	s_or_b64 s[26:27], s[26:27], s[28:29]
	s_or_b64 exec, exec, s[24:25]
	v_mov_b32_e32 v2, 0
	s_and_saveexec_b64 s[24:25], s[26:27]
	s_cbranch_execnz .LBB6_1390
	s_branch .LBB6_1391
.LBB6_1406:
	s_mov_b64 s[22:23], -1
                                        ; implicit-def: $vgpr2
	s_branch .LBB6_1411
.LBB6_1407:
	s_mov_b64 s[22:23], -1
                                        ; implicit-def: $vgpr2
.LBB6_1408:
	s_and_b64 vcc, exec, s[22:23]
	s_cbranch_vccz .LBB6_1410
; %bb.1409:
	global_load_ubyte v2, v[0:1], off
	s_mov_b32 s22, 0x7f800000
	s_brev_b32 s23, 1
	s_mov_b32 s24, 0x2f800000
	s_waitcnt vmcnt(0)
	v_lshlrev_b32_e32 v2, 24, v2
	v_and_b32_e32 v3, 0x7f000000, v2
	v_ffbh_u32_e32 v6, v3
	v_min_u32_e32 v6, 32, v6
	v_sub_u32_e64 v6, v6, 4 clamp
	v_lshlrev_b32_e32 v8, v6, v3
	v_lshlrev_b32_e32 v6, 23, v6
	v_lshrrev_b32_e32 v8, 4, v8
	v_add_u32_e32 v7, 0x1000000, v3
	v_sub_u32_e32 v6, v8, v6
	v_ashrrev_i32_e32 v7, 8, v7
	v_add_u32_e32 v6, 0x3c000000, v6
	v_and_or_b32 v6, v7, s22, v6
	v_cmp_ne_u32_e32 vcc, 0, v3
	v_cndmask_b32_e32 v3, 0, v6, vcc
	v_and_or_b32 v2, v2, s23, v3
	v_trunc_f32_e32 v2, v2
	v_mul_f32_e64 v3, |v2|, s24
	v_floor_f32_e32 v3, v3
	s_mov_b32 s22, 0xcf800000
	v_fma_f32 v3, v3, s22, |v2|
	v_cvt_u32_f32_e32 v3, v3
	v_ashrrev_i32_e32 v2, 31, v2
	v_xor_b32_e32 v3, v3, v2
	v_sub_u32_e32 v2, v3, v2
.LBB6_1410:
	s_mov_b64 s[22:23], 0
.LBB6_1411:
	s_andn2_b64 vcc, exec, s[22:23]
	s_cbranch_vccnz .LBB6_1413
; %bb.1412:
	global_load_ubyte v2, v[0:1], off
	s_movk_i32 s22, 0x7f00
	s_brev_b32 s23, 16
	s_brev_b32 s24, 1
	s_mov_b32 s25, 0x2f800000
	s_waitcnt vmcnt(0)
	v_lshlrev_b16_e32 v3, 8, v2
	v_lshlrev_b32_e32 v2, 25, v2
	v_lshrrev_b32_e32 v6, 4, v2
	v_and_or_b32 v7, v3, s22, 0.5
	v_or_b32_e32 v6, 0x70000000, v6
	v_add_f32_e32 v7, -0.5, v7
	v_mul_f32_e32 v6, 0x7800000, v6
	v_cmp_gt_u32_e32 vcc, s23, v2
	v_bfe_i32 v3, v3, 0, 16
	v_cndmask_b32_e32 v2, v6, v7, vcc
	v_and_or_b32 v2, v3, s24, v2
	v_trunc_f32_e32 v2, v2
	v_mul_f32_e64 v3, |v2|, s25
	v_floor_f32_e32 v3, v3
	s_mov_b32 s22, 0xcf800000
	v_fma_f32 v3, v3, s22, |v2|
	v_cvt_u32_f32_e32 v3, v3
	v_ashrrev_i32_e32 v2, 31, v2
	v_xor_b32_e32 v3, v3, v2
	v_sub_u32_e32 v2, v3, v2
.LBB6_1413:
	s_mov_b64 s[22:23], 0
	s_mov_b64 s[24:25], -1
.LBB6_1414:
	s_andn2_b64 vcc, exec, s[22:23]
	s_mov_b64 s[22:23], 0
	s_cbranch_vccnz .LBB6_1425
; %bb.1415:
	s_cmp_gt_i32 s15, 14
	s_cbranch_scc0 .LBB6_1418
; %bb.1416:
	s_cmp_eq_u32 s15, 15
	s_cbranch_scc0 .LBB6_1421
; %bb.1417:
	global_load_ushort v2, v[0:1], off
	s_mov_b32 s0, 0x2f800000
	s_mov_b32 s1, 0xcf800000
	s_mov_b64 s[24:25], -1
	s_waitcnt vmcnt(0)
	v_lshlrev_b32_e32 v2, 16, v2
	v_trunc_f32_e32 v2, v2
	v_mul_f32_e64 v3, |v2|, s0
	v_floor_f32_e32 v3, v3
	v_fma_f32 v3, v3, s1, |v2|
	v_cvt_u32_f32_e32 v3, v3
	v_ashrrev_i32_e32 v2, 31, v2
	s_mov_b64 s[0:1], 0
	v_xor_b32_e32 v3, v3, v2
	v_sub_u32_e32 v2, v3, v2
	s_branch .LBB6_1422
.LBB6_1418:
	s_mov_b64 s[26:27], -1
                                        ; implicit-def: $vgpr2
	s_branch .LBB6_1423
.LBB6_1419:
	s_andn2_saveexec_b64 s[22:23], s[22:23]
	s_cbranch_execz .LBB6_1400
.LBB6_1420:
	v_cmp_ne_u16_e32 vcc, 0, v3
	s_andn2_b64 s[24:25], s[24:25], exec
	s_and_b64 s[26:27], vcc, exec
	s_or_b64 s[24:25], s[24:25], s[26:27]
	s_or_b64 exec, exec, s[22:23]
	v_mov_b32_e32 v2, 0
	s_and_saveexec_b64 s[22:23], s[24:25]
	s_cbranch_execnz .LBB6_1401
	s_branch .LBB6_1402
.LBB6_1421:
	s_mov_b64 s[0:1], -1
                                        ; implicit-def: $vgpr2
.LBB6_1422:
	s_mov_b64 s[26:27], 0
.LBB6_1423:
	s_and_b64 vcc, exec, s[26:27]
	s_cbranch_vccz .LBB6_1425
; %bb.1424:
	s_cmp_lg_u32 s15, 11
	s_mov_b64 s[22:23], -1
	s_cselect_b64 s[0:1], -1, 0
.LBB6_1425:
	s_and_b64 vcc, exec, s[0:1]
	s_cbranch_vccnz .LBB6_1504
; %bb.1426:
	s_andn2_b64 vcc, exec, s[22:23]
	s_cbranch_vccnz .LBB6_1428
.LBB6_1427:
	global_load_ubyte v2, v[0:1], off
	s_mov_b64 s[24:25], -1
	s_waitcnt vmcnt(0)
	v_cmp_ne_u16_e32 vcc, 0, v2
	v_cndmask_b32_e64 v2, 0, 1, vcc
.LBB6_1428:
	s_branch .LBB6_1360
.LBB6_1429:
	s_cmp_lt_i32 s15, 5
	s_cbranch_scc1 .LBB6_1434
; %bb.1430:
	s_cmp_lt_i32 s15, 8
	s_cbranch_scc1 .LBB6_1435
; %bb.1431:
	;; [unrolled: 3-line block ×3, first 2 shown]
	s_cmp_gt_i32 s15, 9
	s_cbranch_scc0 .LBB6_1437
; %bb.1433:
	global_load_dwordx2 v[2:3], v[0:1], off
	s_movk_i32 s0, 0xffe0
	s_waitcnt vmcnt(0)
	v_trunc_f64_e32 v[2:3], v[2:3]
	v_ldexp_f64 v[6:7], v[2:3], s0
	s_mov_b32 s0, 0
	s_mov_b32 s1, 0xc1f00000
	v_floor_f64_e32 v[6:7], v[6:7]
	v_fma_f64 v[2:3], v[6:7], s[0:1], v[2:3]
	s_mov_b64 s[0:1], 0
	v_cvt_u32_f64_e32 v2, v[2:3]
	s_branch .LBB6_1438
.LBB6_1434:
	s_mov_b64 s[0:1], -1
                                        ; implicit-def: $vgpr2
	s_branch .LBB6_1456
.LBB6_1435:
	s_mov_b64 s[0:1], -1
                                        ; implicit-def: $vgpr2
	s_branch .LBB6_1444
.LBB6_1436:
	s_mov_b64 s[0:1], -1
                                        ; implicit-def: $vgpr2
	s_branch .LBB6_1441
.LBB6_1437:
	s_mov_b64 s[0:1], -1
                                        ; implicit-def: $vgpr2
.LBB6_1438:
	s_andn2_b64 vcc, exec, s[0:1]
	s_cbranch_vccnz .LBB6_1440
; %bb.1439:
	global_load_dword v2, v[0:1], off
	s_mov_b32 s0, 0x2f800000
	s_waitcnt vmcnt(0)
	v_trunc_f32_e32 v2, v2
	v_mul_f32_e64 v3, |v2|, s0
	v_floor_f32_e32 v3, v3
	s_mov_b32 s0, 0xcf800000
	v_fma_f32 v3, v3, s0, |v2|
	v_cvt_u32_f32_e32 v3, v3
	v_ashrrev_i32_e32 v2, 31, v2
	v_xor_b32_e32 v3, v3, v2
	v_sub_u32_e32 v2, v3, v2
.LBB6_1440:
	s_mov_b64 s[0:1], 0
.LBB6_1441:
	s_andn2_b64 vcc, exec, s[0:1]
	s_cbranch_vccnz .LBB6_1443
; %bb.1442:
	global_load_dword v2, v[0:1], off
	s_waitcnt vmcnt(0)
	v_cvt_f32_f16_e32 v2, v2
	v_cvt_i32_f32_e32 v2, v2
.LBB6_1443:
	s_mov_b64 s[0:1], 0
.LBB6_1444:
	s_andn2_b64 vcc, exec, s[0:1]
	s_cbranch_vccnz .LBB6_1455
; %bb.1445:
	s_cmp_lt_i32 s15, 6
	s_cbranch_scc1 .LBB6_1448
; %bb.1446:
	s_cmp_gt_i32 s15, 6
	s_cbranch_scc0 .LBB6_1449
; %bb.1447:
	global_load_dwordx2 v[2:3], v[0:1], off
	s_movk_i32 s0, 0xffe0
	s_waitcnt vmcnt(0)
	v_trunc_f64_e32 v[2:3], v[2:3]
	v_ldexp_f64 v[6:7], v[2:3], s0
	s_mov_b32 s0, 0
	s_mov_b32 s1, 0xc1f00000
	v_floor_f64_e32 v[6:7], v[6:7]
	v_fma_f64 v[2:3], v[6:7], s[0:1], v[2:3]
	s_mov_b64 s[0:1], 0
	v_cvt_u32_f64_e32 v2, v[2:3]
	s_branch .LBB6_1450
.LBB6_1448:
	s_mov_b64 s[0:1], -1
                                        ; implicit-def: $vgpr2
	s_branch .LBB6_1453
.LBB6_1449:
	s_mov_b64 s[0:1], -1
                                        ; implicit-def: $vgpr2
.LBB6_1450:
	s_andn2_b64 vcc, exec, s[0:1]
	s_cbranch_vccnz .LBB6_1452
; %bb.1451:
	global_load_dword v2, v[0:1], off
	s_mov_b32 s0, 0x2f800000
	s_waitcnt vmcnt(0)
	v_trunc_f32_e32 v2, v2
	v_mul_f32_e64 v3, |v2|, s0
	v_floor_f32_e32 v3, v3
	s_mov_b32 s0, 0xcf800000
	v_fma_f32 v3, v3, s0, |v2|
	v_cvt_u32_f32_e32 v3, v3
	v_ashrrev_i32_e32 v2, 31, v2
	v_xor_b32_e32 v3, v3, v2
	v_sub_u32_e32 v2, v3, v2
.LBB6_1452:
	s_mov_b64 s[0:1], 0
.LBB6_1453:
	s_andn2_b64 vcc, exec, s[0:1]
	s_cbranch_vccnz .LBB6_1455
; %bb.1454:
	global_load_ushort v2, v[0:1], off
	s_waitcnt vmcnt(0)
	v_cvt_f32_f16_e32 v2, v2
	v_cvt_i32_f32_e32 v2, v2
.LBB6_1455:
	s_mov_b64 s[0:1], 0
.LBB6_1456:
	s_andn2_b64 vcc, exec, s[0:1]
	s_cbranch_vccnz .LBB6_1476
; %bb.1457:
	s_cmp_lt_i32 s15, 2
	s_cbranch_scc1 .LBB6_1461
; %bb.1458:
	s_cmp_lt_i32 s15, 3
	s_cbranch_scc1 .LBB6_1462
; %bb.1459:
	s_cmp_gt_i32 s15, 3
	s_cbranch_scc0 .LBB6_1463
; %bb.1460:
	global_load_dwordx2 v[2:3], v[0:1], off
	s_mov_b64 s[0:1], 0
	s_branch .LBB6_1464
.LBB6_1461:
	s_mov_b64 s[0:1], -1
                                        ; implicit-def: $vgpr2
	s_branch .LBB6_1470
.LBB6_1462:
	s_mov_b64 s[0:1], -1
                                        ; implicit-def: $vgpr2
	s_branch .LBB6_1467
.LBB6_1463:
	s_mov_b64 s[0:1], -1
                                        ; implicit-def: $vgpr2
.LBB6_1464:
	s_andn2_b64 vcc, exec, s[0:1]
	s_cbranch_vccnz .LBB6_1466
; %bb.1465:
	global_load_dword v2, v[0:1], off
.LBB6_1466:
	s_mov_b64 s[0:1], 0
.LBB6_1467:
	s_andn2_b64 vcc, exec, s[0:1]
	s_cbranch_vccnz .LBB6_1469
; %bb.1468:
	global_load_ushort v2, v[0:1], off
.LBB6_1469:
	s_mov_b64 s[0:1], 0
.LBB6_1470:
	s_andn2_b64 vcc, exec, s[0:1]
	s_cbranch_vccnz .LBB6_1476
; %bb.1471:
	s_cmp_gt_i32 s15, 0
	s_cbranch_scc0 .LBB6_1473
; %bb.1472:
	global_load_ubyte v2, v[0:1], off
	s_mov_b64 s[0:1], 0
	s_branch .LBB6_1474
.LBB6_1473:
	s_mov_b64 s[0:1], -1
                                        ; implicit-def: $vgpr2
.LBB6_1474:
	s_andn2_b64 vcc, exec, s[0:1]
	s_cbranch_vccnz .LBB6_1476
; %bb.1475:
	global_load_ubyte v2, v[0:1], off
.LBB6_1476:
.LBB6_1477:
	s_cmp_lt_i32 s14, 1
	s_mov_b64 s[0:1], 0
	s_cbranch_scc1 .LBB6_1481
; %bb.1478:
	s_cmp_gt_i32 s14, 1
	s_cbranch_scc0 .LBB6_1484
; %bb.1479:
	s_cmp_eq_u32 s14, 2
	s_cbranch_scc0 .LBB6_1485
; %bb.1480:
	s_and_b32 s22, s2, 0xff
	s_waitcnt vmcnt(0)
	v_cmp_le_u16_sdwa s[22:23], v2, s22 src0_sel:BYTE_0 src1_sel:DWORD
	s_mov_b64 s[24:25], 0
	s_branch .LBB6_1486
.LBB6_1481:
                                        ; implicit-def: $sgpr22_sgpr23
	s_mov_b64 s[24:25], 0
	s_cbranch_execnz .LBB6_1490
.LBB6_1482:
	s_andn2_b64 vcc, exec, s[24:25]
	s_cbranch_vccnz .LBB6_1491
.LBB6_1483:
	s_and_b32 s0, s2, 0xff
	s_waitcnt vmcnt(0)
	v_cmp_lt_u16_sdwa s[24:25], v2, s0 src0_sel:BYTE_0 src1_sel:DWORD
	s_andn2_b64 s[22:23], s[22:23], exec
	s_and_b64 s[24:25], s[24:25], exec
	s_or_b64 s[22:23], s[22:23], s[24:25]
	s_cbranch_execz .LBB6_1492
	s_branch .LBB6_1493
.LBB6_1484:
	s_mov_b64 s[26:27], -1
	s_mov_b64 s[24:25], 0
                                        ; implicit-def: $sgpr22_sgpr23
	s_branch .LBB6_1487
.LBB6_1485:
	s_mov_b64 s[24:25], -1
                                        ; implicit-def: $sgpr22_sgpr23
.LBB6_1486:
	s_mov_b64 s[26:27], 0
.LBB6_1487:
	s_and_b64 vcc, exec, s[26:27]
	s_cbranch_vccz .LBB6_1489
; %bb.1488:
	s_and_b32 s26, s2, 0xff
	s_waitcnt vmcnt(0)
	v_cmp_gt_u16_sdwa s[26:27], v2, s26 src0_sel:BYTE_0 src1_sel:DWORD
	s_andn2_b64 s[22:23], s[22:23], exec
	s_and_b64 s[26:27], s[26:27], exec
	s_or_b64 s[22:23], s[22:23], s[26:27]
.LBB6_1489:
	s_branch .LBB6_1482
.LBB6_1490:
	s_cmp_lg_u32 s14, 0
	s_mov_b64 s[0:1], -1
	s_cselect_b64 s[24:25], -1, 0
	s_andn2_b64 vcc, exec, s[24:25]
	s_cbranch_vccz .LBB6_1483
.LBB6_1491:
	s_andn2_b64 vcc, exec, s[0:1]
	s_cbranch_vccnz .LBB6_1493
.LBB6_1492:
	s_and_b32 s0, s2, 0xff
	s_waitcnt vmcnt(0)
	v_cmp_ge_u16_sdwa s[0:1], v2, s0 src0_sel:BYTE_0 src1_sel:DWORD
	s_andn2_b64 s[22:23], s[22:23], exec
	s_and_b64 s[0:1], s[0:1], exec
	s_or_b64 s[22:23], s[22:23], s[0:1]
.LBB6_1493:
	v_add_u32_e32 v0, s13, v5
	v_ashrrev_i32_e32 v1, 31, v0
	s_waitcnt vmcnt(0)
	v_mov_b32_e32 v2, s11
	v_add_co_u32_e32 v0, vcc, s10, v0
	s_cmp_lt_i32 s15, 11
	v_addc_co_u32_e32 v1, vcc, v2, v1, vcc
	s_cbranch_scc1 .LBB6_1500
; %bb.1494:
	s_cmp_gt_i32 s15, 25
	s_mov_b64 s[10:11], 0
	s_cbranch_scc0 .LBB6_1501
; %bb.1495:
	s_cmp_gt_i32 s15, 28
	s_cbranch_scc0 .LBB6_1502
; %bb.1496:
	s_cmp_gt_i32 s15, 43
	;; [unrolled: 3-line block ×3, first 2 shown]
	s_cbranch_scc0 .LBB6_1505
; %bb.1498:
	s_cmp_eq_u32 s15, 46
	s_mov_b64 s[26:27], 0
	s_cbranch_scc0 .LBB6_1506
; %bb.1499:
	global_load_dword v2, v[0:1], off
	s_mov_b32 s0, 0x2f800000
	s_mov_b32 s1, 0xcf800000
	s_mov_b64 s[24:25], -1
	s_waitcnt vmcnt(0)
	v_lshlrev_b32_e32 v2, 16, v2
	v_trunc_f32_e32 v2, v2
	v_mul_f32_e64 v3, |v2|, s0
	v_floor_f32_e32 v3, v3
	v_fma_f32 v3, v3, s1, |v2|
	v_cvt_u32_f32_e32 v3, v3
	v_ashrrev_i32_e32 v2, 31, v2
	s_mov_b64 s[0:1], 0
	v_xor_b32_e32 v3, v3, v2
	v_sub_u32_e32 v2, v3, v2
	s_branch .LBB6_1507
.LBB6_1500:
	s_mov_b64 s[0:1], -1
	s_mov_b64 s[24:25], 0
                                        ; implicit-def: $vgpr2
	s_branch .LBB6_1569
.LBB6_1501:
	s_mov_b64 s[26:27], -1
	s_mov_b64 s[24:25], 0
	s_mov_b64 s[0:1], 0
                                        ; implicit-def: $vgpr2
	s_branch .LBB6_1534
.LBB6_1502:
	s_mov_b64 s[26:27], -1
	s_mov_b64 s[24:25], 0
	s_mov_b64 s[0:1], 0
                                        ; implicit-def: $vgpr2
	s_branch .LBB6_1517
.LBB6_1503:
	s_mov_b64 s[26:27], -1
	s_mov_b64 s[24:25], 0
	s_mov_b64 s[0:1], 0
                                        ; implicit-def: $vgpr2
	s_branch .LBB6_1512
.LBB6_1504:
	s_trap 2
	s_or_b64 s[18:19], s[18:19], exec
	s_cbranch_execz .LBB6_1427
	s_branch .LBB6_1428
.LBB6_1505:
	s_mov_b64 s[26:27], -1
	s_mov_b64 s[24:25], 0
	s_mov_b64 s[0:1], 0
                                        ; implicit-def: $vgpr2
	s_branch .LBB6_1507
.LBB6_1506:
	s_mov_b64 s[0:1], -1
                                        ; implicit-def: $vgpr2
	s_mov_b64 s[24:25], 0
.LBB6_1507:
	s_and_b64 vcc, exec, s[26:27]
	s_cbranch_vccz .LBB6_1511
; %bb.1508:
	s_cmp_eq_u32 s15, 44
	s_cbranch_scc0 .LBB6_1510
; %bb.1509:
	global_load_ubyte v2, v[0:1], off
	s_mov_b32 s0, 0x2f800000
	s_mov_b32 s1, 0xcf800000
	s_mov_b64 s[24:25], -1
	s_waitcnt vmcnt(0)
	v_lshlrev_b32_e32 v3, 23, v2
	v_trunc_f32_e32 v3, v3
	v_mul_f32_e64 v5, |v3|, s0
	v_floor_f32_e32 v5, v5
	v_fma_f32 v5, v5, s1, |v3|
	v_cvt_u32_f32_e32 v5, v5
	v_ashrrev_i32_e32 v3, 31, v3
	v_cmp_ne_u32_e32 vcc, 0, v2
	s_mov_b64 s[0:1], 0
	v_xor_b32_e32 v5, v5, v3
	v_sub_u32_e32 v3, v5, v3
	v_cndmask_b32_e32 v2, 0, v3, vcc
	s_branch .LBB6_1511
.LBB6_1510:
	s_mov_b64 s[0:1], -1
                                        ; implicit-def: $vgpr2
.LBB6_1511:
	s_mov_b64 s[26:27], 0
.LBB6_1512:
	s_and_b64 vcc, exec, s[26:27]
	s_cbranch_vccz .LBB6_1516
; %bb.1513:
	s_cmp_eq_u32 s15, 29
	s_cbranch_scc0 .LBB6_1515
; %bb.1514:
	global_load_dwordx2 v[2:3], v[0:1], off
	s_mov_b64 s[0:1], 0
	s_mov_b64 s[24:25], -1
	s_branch .LBB6_1516
.LBB6_1515:
	s_mov_b64 s[0:1], -1
                                        ; implicit-def: $vgpr2
.LBB6_1516:
	s_mov_b64 s[26:27], 0
.LBB6_1517:
	s_and_b64 vcc, exec, s[26:27]
	s_cbranch_vccz .LBB6_1533
; %bb.1518:
	s_cmp_lt_i32 s15, 27
	s_cbranch_scc1 .LBB6_1521
; %bb.1519:
	s_cmp_gt_i32 s15, 27
	s_cbranch_scc0 .LBB6_1522
; %bb.1520:
	global_load_dword v2, v[0:1], off
	s_mov_b64 s[24:25], 0
	s_branch .LBB6_1523
.LBB6_1521:
	s_mov_b64 s[24:25], -1
                                        ; implicit-def: $vgpr2
	s_branch .LBB6_1526
.LBB6_1522:
	s_mov_b64 s[24:25], -1
                                        ; implicit-def: $vgpr2
.LBB6_1523:
	s_andn2_b64 vcc, exec, s[24:25]
	s_cbranch_vccnz .LBB6_1525
; %bb.1524:
	global_load_ushort v2, v[0:1], off
.LBB6_1525:
	s_mov_b64 s[24:25], 0
.LBB6_1526:
	s_andn2_b64 vcc, exec, s[24:25]
	s_cbranch_vccnz .LBB6_1532
; %bb.1527:
	global_load_ubyte v3, v[0:1], off
	s_movk_i32 s13, 0x7f
	s_mov_b64 s[26:27], 0
	s_waitcnt vmcnt(0)
	v_cmp_lt_i16_e32 vcc, s13, v3
	s_and_saveexec_b64 s[24:25], vcc
	s_xor_b64 s[24:25], exec, s[24:25]
	s_cbranch_execz .LBB6_1544
; %bb.1528:
	s_movk_i32 s13, 0x80
	v_cmp_ne_u16_e32 vcc, s13, v3
	s_and_b64 s[26:27], vcc, exec
	s_andn2_saveexec_b64 s[24:25], s[24:25]
	s_cbranch_execnz .LBB6_1545
.LBB6_1529:
	s_or_b64 exec, exec, s[24:25]
	v_mov_b32_e32 v2, 0
	s_and_saveexec_b64 s[24:25], s[26:27]
	s_cbranch_execz .LBB6_1531
.LBB6_1530:
	v_lshlrev_b32_e32 v2, 24, v3
	v_and_b32_e32 v3, 0xffff, v3
	v_and_b32_e32 v5, 7, v3
	v_ffbh_u32_e32 v7, v5
	v_min_u32_e32 v7, 32, v7
	v_subrev_u32_e32 v8, 28, v7
	v_bfe_u32 v6, v3, 3, 4
	v_lshlrev_b32_e32 v3, v8, v3
	v_sub_u32_e32 v7, 29, v7
	v_and_b32_e32 v3, 7, v3
	v_cmp_eq_u32_e32 vcc, 0, v6
	v_cndmask_b32_e32 v6, v6, v7, vcc
	v_cndmask_b32_e32 v3, v5, v3, vcc
	v_mov_b32_e32 v5, 0x3b800000
	v_lshlrev_b32_e32 v3, 20, v3
	v_and_b32_e32 v2, 0x80000000, v2
	v_lshl_add_u32 v5, v6, 23, v5
	v_or3_b32 v2, v2, v5, v3
	v_trunc_f32_e32 v2, v2
	s_mov_b32 s13, 0x2f800000
	v_mul_f32_e64 v3, |v2|, s13
	v_floor_f32_e32 v3, v3
	s_mov_b32 s13, 0xcf800000
	v_fma_f32 v3, v3, s13, |v2|
	v_cvt_u32_f32_e32 v3, v3
	v_ashrrev_i32_e32 v2, 31, v2
	v_xor_b32_e32 v3, v3, v2
	v_sub_u32_e32 v2, v3, v2
.LBB6_1531:
	s_or_b64 exec, exec, s[24:25]
.LBB6_1532:
	s_mov_b64 s[24:25], -1
.LBB6_1533:
	s_mov_b64 s[26:27], 0
.LBB6_1534:
	s_and_b64 vcc, exec, s[26:27]
	s_cbranch_vccz .LBB6_1565
; %bb.1535:
	s_cmp_gt_i32 s15, 22
	s_cbranch_scc0 .LBB6_1543
; %bb.1536:
	s_cmp_lt_i32 s15, 24
	s_cbranch_scc1 .LBB6_1546
; %bb.1537:
	s_cmp_gt_i32 s15, 24
	s_cbranch_scc0 .LBB6_1547
; %bb.1538:
	global_load_ubyte v3, v[0:1], off
	s_movk_i32 s10, 0x7f
	s_mov_b64 s[24:25], 0
	s_waitcnt vmcnt(0)
	v_cmp_lt_i16_e32 vcc, s10, v3
	s_and_saveexec_b64 s[10:11], vcc
	s_xor_b64 s[10:11], exec, s[10:11]
	s_cbranch_execz .LBB6_1559
; %bb.1539:
	s_movk_i32 s13, 0x80
	v_cmp_ne_u16_e32 vcc, s13, v3
	s_and_b64 s[24:25], vcc, exec
	s_andn2_saveexec_b64 s[10:11], s[10:11]
	s_cbranch_execnz .LBB6_1560
.LBB6_1540:
	s_or_b64 exec, exec, s[10:11]
	v_mov_b32_e32 v2, 0
	s_and_saveexec_b64 s[10:11], s[24:25]
	s_cbranch_execz .LBB6_1542
.LBB6_1541:
	v_lshlrev_b32_e32 v2, 24, v3
	v_and_b32_e32 v3, 0xffff, v3
	v_and_b32_e32 v5, 3, v3
	v_ffbh_u32_e32 v7, v5
	v_min_u32_e32 v7, 32, v7
	v_subrev_u32_e32 v8, 29, v7
	v_bfe_u32 v6, v3, 2, 5
	v_lshlrev_b32_e32 v3, v8, v3
	v_sub_u32_e32 v7, 30, v7
	v_and_b32_e32 v3, 3, v3
	v_cmp_eq_u32_e32 vcc, 0, v6
	v_cndmask_b32_e32 v6, v6, v7, vcc
	v_cndmask_b32_e32 v3, v5, v3, vcc
	v_mov_b32_e32 v5, 0x37800000
	v_lshlrev_b32_e32 v3, 21, v3
	v_and_b32_e32 v2, 0x80000000, v2
	v_lshl_add_u32 v5, v6, 23, v5
	v_or3_b32 v2, v2, v5, v3
	v_trunc_f32_e32 v2, v2
	s_mov_b32 s13, 0x2f800000
	v_mul_f32_e64 v3, |v2|, s13
	v_floor_f32_e32 v3, v3
	s_mov_b32 s13, 0xcf800000
	v_fma_f32 v3, v3, s13, |v2|
	v_cvt_u32_f32_e32 v3, v3
	v_ashrrev_i32_e32 v2, 31, v2
	v_xor_b32_e32 v3, v3, v2
	v_sub_u32_e32 v2, v3, v2
.LBB6_1542:
	s_or_b64 exec, exec, s[10:11]
	s_mov_b64 s[10:11], 0
	s_branch .LBB6_1548
.LBB6_1543:
	s_mov_b64 s[10:11], -1
                                        ; implicit-def: $vgpr2
	s_branch .LBB6_1554
.LBB6_1544:
	s_andn2_saveexec_b64 s[24:25], s[24:25]
	s_cbranch_execz .LBB6_1529
.LBB6_1545:
	v_cmp_ne_u16_e32 vcc, 0, v3
	s_andn2_b64 s[26:27], s[26:27], exec
	s_and_b64 s[28:29], vcc, exec
	s_or_b64 s[26:27], s[26:27], s[28:29]
	s_or_b64 exec, exec, s[24:25]
	v_mov_b32_e32 v2, 0
	s_and_saveexec_b64 s[24:25], s[26:27]
	s_cbranch_execnz .LBB6_1530
	s_branch .LBB6_1531
.LBB6_1546:
	s_mov_b64 s[10:11], -1
                                        ; implicit-def: $vgpr2
	s_branch .LBB6_1551
.LBB6_1547:
	s_mov_b64 s[10:11], -1
                                        ; implicit-def: $vgpr2
.LBB6_1548:
	s_and_b64 vcc, exec, s[10:11]
	s_cbranch_vccz .LBB6_1550
; %bb.1549:
	global_load_ubyte v2, v[0:1], off
	s_mov_b32 s10, 0x7f800000
	s_brev_b32 s11, 1
	s_mov_b32 s13, 0x2f800000
	s_waitcnt vmcnt(0)
	v_lshlrev_b32_e32 v2, 24, v2
	v_and_b32_e32 v3, 0x7f000000, v2
	v_ffbh_u32_e32 v5, v3
	v_min_u32_e32 v5, 32, v5
	v_sub_u32_e64 v5, v5, 4 clamp
	v_lshlrev_b32_e32 v7, v5, v3
	v_lshlrev_b32_e32 v5, 23, v5
	v_lshrrev_b32_e32 v7, 4, v7
	v_add_u32_e32 v6, 0x1000000, v3
	v_sub_u32_e32 v5, v7, v5
	v_ashrrev_i32_e32 v6, 8, v6
	v_add_u32_e32 v5, 0x3c000000, v5
	v_and_or_b32 v5, v6, s10, v5
	v_cmp_ne_u32_e32 vcc, 0, v3
	v_cndmask_b32_e32 v3, 0, v5, vcc
	v_and_or_b32 v2, v2, s11, v3
	v_trunc_f32_e32 v2, v2
	v_mul_f32_e64 v3, |v2|, s13
	v_floor_f32_e32 v3, v3
	s_mov_b32 s10, 0xcf800000
	v_fma_f32 v3, v3, s10, |v2|
	v_cvt_u32_f32_e32 v3, v3
	v_ashrrev_i32_e32 v2, 31, v2
	v_xor_b32_e32 v3, v3, v2
	v_sub_u32_e32 v2, v3, v2
.LBB6_1550:
	s_mov_b64 s[10:11], 0
.LBB6_1551:
	s_andn2_b64 vcc, exec, s[10:11]
	s_cbranch_vccnz .LBB6_1553
; %bb.1552:
	global_load_ubyte v2, v[0:1], off
	s_movk_i32 s10, 0x7f00
	s_brev_b32 s11, 16
	s_brev_b32 s13, 1
	s_mov_b32 s24, 0x2f800000
	s_waitcnt vmcnt(0)
	v_lshlrev_b16_e32 v3, 8, v2
	v_lshlrev_b32_e32 v2, 25, v2
	v_lshrrev_b32_e32 v5, 4, v2
	v_and_or_b32 v6, v3, s10, 0.5
	v_or_b32_e32 v5, 0x70000000, v5
	v_add_f32_e32 v6, -0.5, v6
	v_mul_f32_e32 v5, 0x7800000, v5
	v_cmp_gt_u32_e32 vcc, s11, v2
	v_bfe_i32 v3, v3, 0, 16
	v_cndmask_b32_e32 v2, v5, v6, vcc
	v_and_or_b32 v2, v3, s13, v2
	v_trunc_f32_e32 v2, v2
	v_mul_f32_e64 v3, |v2|, s24
	v_floor_f32_e32 v3, v3
	s_mov_b32 s10, 0xcf800000
	v_fma_f32 v3, v3, s10, |v2|
	v_cvt_u32_f32_e32 v3, v3
	v_ashrrev_i32_e32 v2, 31, v2
	v_xor_b32_e32 v3, v3, v2
	v_sub_u32_e32 v2, v3, v2
.LBB6_1553:
	s_mov_b64 s[10:11], 0
	s_mov_b64 s[24:25], -1
.LBB6_1554:
	s_andn2_b64 vcc, exec, s[10:11]
	s_mov_b64 s[10:11], 0
	s_cbranch_vccnz .LBB6_1565
; %bb.1555:
	s_cmp_gt_i32 s15, 14
	s_cbranch_scc0 .LBB6_1558
; %bb.1556:
	s_cmp_eq_u32 s15, 15
	s_cbranch_scc0 .LBB6_1561
; %bb.1557:
	global_load_ushort v2, v[0:1], off
	s_mov_b32 s0, 0x2f800000
	s_mov_b32 s1, 0xcf800000
	s_mov_b64 s[24:25], -1
	s_waitcnt vmcnt(0)
	v_lshlrev_b32_e32 v2, 16, v2
	v_trunc_f32_e32 v2, v2
	v_mul_f32_e64 v3, |v2|, s0
	v_floor_f32_e32 v3, v3
	v_fma_f32 v3, v3, s1, |v2|
	v_cvt_u32_f32_e32 v3, v3
	v_ashrrev_i32_e32 v2, 31, v2
	s_mov_b64 s[0:1], 0
	v_xor_b32_e32 v3, v3, v2
	v_sub_u32_e32 v2, v3, v2
	s_branch .LBB6_1562
.LBB6_1558:
	s_mov_b64 s[26:27], -1
                                        ; implicit-def: $vgpr2
	s_branch .LBB6_1563
.LBB6_1559:
	s_andn2_saveexec_b64 s[10:11], s[10:11]
	s_cbranch_execz .LBB6_1540
.LBB6_1560:
	v_cmp_ne_u16_e32 vcc, 0, v3
	s_andn2_b64 s[24:25], s[24:25], exec
	s_and_b64 s[26:27], vcc, exec
	s_or_b64 s[24:25], s[24:25], s[26:27]
	s_or_b64 exec, exec, s[10:11]
	v_mov_b32_e32 v2, 0
	s_and_saveexec_b64 s[10:11], s[24:25]
	s_cbranch_execnz .LBB6_1541
	s_branch .LBB6_1542
.LBB6_1561:
	s_mov_b64 s[0:1], -1
                                        ; implicit-def: $vgpr2
.LBB6_1562:
	s_mov_b64 s[26:27], 0
.LBB6_1563:
	s_and_b64 vcc, exec, s[26:27]
	s_cbranch_vccz .LBB6_1565
; %bb.1564:
	s_cmp_lg_u32 s15, 11
	s_mov_b64 s[10:11], -1
	s_cselect_b64 s[0:1], -1, 0
.LBB6_1565:
	s_and_b64 vcc, exec, s[0:1]
	s_cbranch_vccnz .LBB6_2117
; %bb.1566:
	s_andn2_b64 vcc, exec, s[10:11]
	s_cbranch_vccnz .LBB6_1568
.LBB6_1567:
	global_load_ubyte v2, v[0:1], off
	s_mov_b64 s[24:25], -1
	s_waitcnt vmcnt(0)
	v_cmp_ne_u16_e32 vcc, 0, v2
	v_cndmask_b32_e64 v2, 0, 1, vcc
.LBB6_1568:
	s_mov_b64 s[0:1], 0
.LBB6_1569:
	s_and_b64 vcc, exec, s[0:1]
	s_cbranch_vccz .LBB6_1618
; %bb.1570:
	s_cmp_lt_i32 s15, 5
	s_cbranch_scc1 .LBB6_1575
; %bb.1571:
	s_cmp_lt_i32 s15, 8
	s_cbranch_scc1 .LBB6_1576
	;; [unrolled: 3-line block ×3, first 2 shown]
; %bb.1573:
	s_cmp_gt_i32 s15, 9
	s_cbranch_scc0 .LBB6_1578
; %bb.1574:
	global_load_dwordx2 v[2:3], v[0:1], off
	s_movk_i32 s0, 0xffe0
	s_waitcnt vmcnt(0)
	v_trunc_f64_e32 v[2:3], v[2:3]
	v_ldexp_f64 v[5:6], v[2:3], s0
	s_mov_b32 s0, 0
	s_mov_b32 s1, 0xc1f00000
	v_floor_f64_e32 v[5:6], v[5:6]
	v_fma_f64 v[2:3], v[5:6], s[0:1], v[2:3]
	s_mov_b64 s[0:1], 0
	v_cvt_u32_f64_e32 v2, v[2:3]
	s_branch .LBB6_1579
.LBB6_1575:
	s_mov_b64 s[0:1], -1
                                        ; implicit-def: $vgpr2
	s_branch .LBB6_1597
.LBB6_1576:
	s_mov_b64 s[0:1], -1
                                        ; implicit-def: $vgpr2
	s_branch .LBB6_1585
.LBB6_1577:
	s_mov_b64 s[0:1], -1
                                        ; implicit-def: $vgpr2
	s_branch .LBB6_1582
.LBB6_1578:
	s_mov_b64 s[0:1], -1
                                        ; implicit-def: $vgpr2
.LBB6_1579:
	s_andn2_b64 vcc, exec, s[0:1]
	s_cbranch_vccnz .LBB6_1581
; %bb.1580:
	global_load_dword v2, v[0:1], off
	s_mov_b32 s0, 0x2f800000
	s_waitcnt vmcnt(0)
	v_trunc_f32_e32 v2, v2
	v_mul_f32_e64 v3, |v2|, s0
	v_floor_f32_e32 v3, v3
	s_mov_b32 s0, 0xcf800000
	v_fma_f32 v3, v3, s0, |v2|
	v_cvt_u32_f32_e32 v3, v3
	v_ashrrev_i32_e32 v2, 31, v2
	v_xor_b32_e32 v3, v3, v2
	v_sub_u32_e32 v2, v3, v2
.LBB6_1581:
	s_mov_b64 s[0:1], 0
.LBB6_1582:
	s_andn2_b64 vcc, exec, s[0:1]
	s_cbranch_vccnz .LBB6_1584
; %bb.1583:
	global_load_dword v2, v[0:1], off
	s_waitcnt vmcnt(0)
	v_cvt_f32_f16_e32 v2, v2
	v_cvt_i32_f32_e32 v2, v2
.LBB6_1584:
	s_mov_b64 s[0:1], 0
.LBB6_1585:
	s_andn2_b64 vcc, exec, s[0:1]
	s_cbranch_vccnz .LBB6_1596
; %bb.1586:
	s_cmp_lt_i32 s15, 6
	s_cbranch_scc1 .LBB6_1589
; %bb.1587:
	s_cmp_gt_i32 s15, 6
	s_cbranch_scc0 .LBB6_1590
; %bb.1588:
	global_load_dwordx2 v[2:3], v[0:1], off
	s_movk_i32 s0, 0xffe0
	s_waitcnt vmcnt(0)
	v_trunc_f64_e32 v[2:3], v[2:3]
	v_ldexp_f64 v[5:6], v[2:3], s0
	s_mov_b32 s0, 0
	s_mov_b32 s1, 0xc1f00000
	v_floor_f64_e32 v[5:6], v[5:6]
	v_fma_f64 v[2:3], v[5:6], s[0:1], v[2:3]
	s_mov_b64 s[0:1], 0
	v_cvt_u32_f64_e32 v2, v[2:3]
	s_branch .LBB6_1591
.LBB6_1589:
	s_mov_b64 s[0:1], -1
                                        ; implicit-def: $vgpr2
	s_branch .LBB6_1594
.LBB6_1590:
	s_mov_b64 s[0:1], -1
                                        ; implicit-def: $vgpr2
.LBB6_1591:
	s_andn2_b64 vcc, exec, s[0:1]
	s_cbranch_vccnz .LBB6_1593
; %bb.1592:
	global_load_dword v2, v[0:1], off
	s_mov_b32 s0, 0x2f800000
	s_waitcnt vmcnt(0)
	v_trunc_f32_e32 v2, v2
	v_mul_f32_e64 v3, |v2|, s0
	v_floor_f32_e32 v3, v3
	s_mov_b32 s0, 0xcf800000
	v_fma_f32 v3, v3, s0, |v2|
	v_cvt_u32_f32_e32 v3, v3
	v_ashrrev_i32_e32 v2, 31, v2
	v_xor_b32_e32 v3, v3, v2
	v_sub_u32_e32 v2, v3, v2
.LBB6_1593:
	s_mov_b64 s[0:1], 0
.LBB6_1594:
	s_andn2_b64 vcc, exec, s[0:1]
	s_cbranch_vccnz .LBB6_1596
; %bb.1595:
	global_load_ushort v2, v[0:1], off
	s_waitcnt vmcnt(0)
	v_cvt_f32_f16_e32 v2, v2
	v_cvt_i32_f32_e32 v2, v2
.LBB6_1596:
	s_mov_b64 s[0:1], 0
.LBB6_1597:
	s_andn2_b64 vcc, exec, s[0:1]
	s_cbranch_vccnz .LBB6_1617
; %bb.1598:
	s_cmp_lt_i32 s15, 2
	s_cbranch_scc1 .LBB6_1602
; %bb.1599:
	s_cmp_lt_i32 s15, 3
	s_cbranch_scc1 .LBB6_1603
; %bb.1600:
	s_cmp_gt_i32 s15, 3
	s_cbranch_scc0 .LBB6_1604
; %bb.1601:
	global_load_dwordx2 v[2:3], v[0:1], off
	s_mov_b64 s[0:1], 0
	s_branch .LBB6_1605
.LBB6_1602:
	s_mov_b64 s[0:1], -1
                                        ; implicit-def: $vgpr2
	s_branch .LBB6_1611
.LBB6_1603:
	s_mov_b64 s[0:1], -1
                                        ; implicit-def: $vgpr2
	s_branch .LBB6_1608
.LBB6_1604:
	s_mov_b64 s[0:1], -1
                                        ; implicit-def: $vgpr2
.LBB6_1605:
	s_andn2_b64 vcc, exec, s[0:1]
	s_cbranch_vccnz .LBB6_1607
; %bb.1606:
	global_load_dword v2, v[0:1], off
.LBB6_1607:
	s_mov_b64 s[0:1], 0
.LBB6_1608:
	s_andn2_b64 vcc, exec, s[0:1]
	s_cbranch_vccnz .LBB6_1610
; %bb.1609:
	global_load_ushort v2, v[0:1], off
.LBB6_1610:
	s_mov_b64 s[0:1], 0
.LBB6_1611:
	s_andn2_b64 vcc, exec, s[0:1]
	s_cbranch_vccnz .LBB6_1617
; %bb.1612:
	s_cmp_gt_i32 s15, 0
	s_cbranch_scc0 .LBB6_1614
; %bb.1613:
	global_load_ubyte v2, v[0:1], off
	s_mov_b64 s[0:1], 0
	s_branch .LBB6_1615
.LBB6_1614:
	s_mov_b64 s[0:1], -1
                                        ; implicit-def: $vgpr2
.LBB6_1615:
	s_andn2_b64 vcc, exec, s[0:1]
	s_cbranch_vccnz .LBB6_1617
; %bb.1616:
	global_load_ubyte v2, v[0:1], off
.LBB6_1617:
	s_mov_b64 s[24:25], -1
.LBB6_1618:
	s_andn2_b64 vcc, exec, s[24:25]
	s_cbranch_vccnz .LBB6_1623
; %bb.1619:
	s_cmp_lt_i32 s14, 1
	s_mov_b64 s[0:1], 0
	s_cbranch_scc1 .LBB6_1669
; %bb.1620:
	s_cmp_gt_i32 s14, 1
	s_cbranch_scc0 .LBB6_1670
; %bb.1621:
	s_cmp_eq_u32 s14, 2
	s_cbranch_scc0 .LBB6_1671
; %bb.1622:
	s_and_b32 s10, s2, 0xff
	s_waitcnt vmcnt(0)
	v_cmp_le_u16_sdwa s[24:25], v2, s10 src0_sel:BYTE_0 src1_sel:DWORD
	s_mov_b64 s[10:11], 0
	s_branch .LBB6_1672
.LBB6_1623:
	s_mov_b64 s[0:1], 0
                                        ; implicit-def: $sgpr24_sgpr25
.LBB6_1624:
	s_mov_b64 s[2:3], 0
                                        ; implicit-def: $sgpr28
                                        ; implicit-def: $vgpr0_vgpr1
.LBB6_1625:
	s_and_b64 s[4:5], s[2:3], exec
	s_andn2_b64 s[2:3], s[16:17], exec
	s_and_b64 s[8:9], s[18:19], exec
	s_and_b64 s[0:1], s[0:1], exec
	s_or_b64 s[16:17], s[2:3], s[8:9]
.LBB6_1626:
	s_or_b64 exec, exec, s[6:7]
	s_and_saveexec_b64 s[2:3], s[16:17]
	s_cbranch_execz .LBB6_1629
; %bb.1627:
	; divergent unreachable
	s_or_b64 exec, exec, s[2:3]
	s_and_saveexec_b64 s[2:3], s[4:5]
	s_xor_b64 s[2:3], exec, s[2:3]
	s_cbranch_execnz .LBB6_1630
.LBB6_1628:
	s_or_b64 exec, exec, s[2:3]
	s_and_saveexec_b64 s[2:3], s[0:1]
	s_cbranch_execnz .LBB6_1631
	s_branch .LBB6_1668
.LBB6_1629:
	s_or_b64 exec, exec, s[2:3]
	s_and_saveexec_b64 s[2:3], s[4:5]
	s_xor_b64 s[2:3], exec, s[2:3]
	s_cbranch_execz .LBB6_1628
.LBB6_1630:
	s_waitcnt vmcnt(0)
	v_cndmask_b32_e64 v2, 0, 1, s[24:25]
	global_store_byte v[0:1], v2, off
	s_or_b64 exec, exec, s[2:3]
	s_and_saveexec_b64 s[2:3], s[0:1]
	s_cbranch_execz .LBB6_1668
.LBB6_1631:
	s_sext_i32_i16 s2, s28
	s_cmp_lt_i32 s2, 5
	s_mov_b64 s[0:1], -1
	s_cbranch_scc1 .LBB6_1652
; %bb.1632:
	s_cmp_lt_i32 s2, 8
	s_cbranch_scc1 .LBB6_1642
; %bb.1633:
	s_cmp_lt_i32 s2, 9
	s_cbranch_scc1 .LBB6_1639
; %bb.1634:
	s_cmp_gt_i32 s2, 9
	s_cbranch_scc0 .LBB6_1636
; %bb.1635:
	s_waitcnt vmcnt(0)
	v_cndmask_b32_e64 v2, 0, 1, s[24:25]
	v_cvt_f64_u32_e32 v[2:3], v2
	v_mov_b32_e32 v4, 0
	v_mov_b32_e32 v5, v4
	s_mov_b64 s[0:1], 0
	global_store_dwordx4 v[0:1], v[2:5], off
.LBB6_1636:
	s_andn2_b64 vcc, exec, s[0:1]
	s_cbranch_vccnz .LBB6_1638
; %bb.1637:
	s_waitcnt vmcnt(0)
	v_cndmask_b32_e64 v2, 0, 1.0, s[24:25]
	v_mov_b32_e32 v3, 0
	global_store_dwordx2 v[0:1], v[2:3], off
.LBB6_1638:
	s_mov_b64 s[0:1], 0
.LBB6_1639:
	s_andn2_b64 vcc, exec, s[0:1]
	s_cbranch_vccnz .LBB6_1641
; %bb.1640:
	s_waitcnt vmcnt(0)
	v_cndmask_b32_e64 v2, 0, 1.0, s[24:25]
	v_cvt_f16_f32_e32 v2, v2
	global_store_dword v[0:1], v2, off
.LBB6_1641:
	s_mov_b64 s[0:1], 0
.LBB6_1642:
	s_andn2_b64 vcc, exec, s[0:1]
	s_cbranch_vccnz .LBB6_1651
; %bb.1643:
	s_sext_i32_i16 s2, s28
	s_cmp_lt_i32 s2, 6
	s_mov_b64 s[0:1], -1
	s_cbranch_scc1 .LBB6_1649
; %bb.1644:
	s_cmp_gt_i32 s2, 6
	s_cbranch_scc0 .LBB6_1646
; %bb.1645:
	s_waitcnt vmcnt(0)
	v_cndmask_b32_e64 v2, 0, 1, s[24:25]
	v_cvt_f64_u32_e32 v[2:3], v2
	s_mov_b64 s[0:1], 0
	global_store_dwordx2 v[0:1], v[2:3], off
.LBB6_1646:
	s_andn2_b64 vcc, exec, s[0:1]
	s_cbranch_vccnz .LBB6_1648
; %bb.1647:
	s_waitcnt vmcnt(0)
	v_cndmask_b32_e64 v2, 0, 1.0, s[24:25]
	global_store_dword v[0:1], v2, off
.LBB6_1648:
	s_mov_b64 s[0:1], 0
.LBB6_1649:
	s_andn2_b64 vcc, exec, s[0:1]
	s_cbranch_vccnz .LBB6_1651
; %bb.1650:
	s_waitcnt vmcnt(0)
	v_cndmask_b32_e64 v2, 0, 1.0, s[24:25]
	v_cvt_f16_f32_e32 v2, v2
	global_store_short v[0:1], v2, off
.LBB6_1651:
	s_mov_b64 s[0:1], 0
.LBB6_1652:
	s_andn2_b64 vcc, exec, s[0:1]
	s_cbranch_vccnz .LBB6_1668
; %bb.1653:
	s_sext_i32_i16 s2, s28
	s_cmp_lt_i32 s2, 2
	s_mov_b64 s[0:1], -1
	s_cbranch_scc1 .LBB6_1663
; %bb.1654:
	s_cmp_lt_i32 s2, 3
	s_cbranch_scc1 .LBB6_1660
; %bb.1655:
	s_cmp_gt_i32 s2, 3
	s_cbranch_scc0 .LBB6_1657
; %bb.1656:
	s_mov_b32 s0, 0
	s_waitcnt vmcnt(0)
	v_cndmask_b32_e64 v2, 0, 1, s[24:25]
	v_mov_b32_e32 v3, s0
	global_store_dwordx2 v[0:1], v[2:3], off
	s_mov_b64 s[0:1], 0
.LBB6_1657:
	s_andn2_b64 vcc, exec, s[0:1]
	s_cbranch_vccnz .LBB6_1659
; %bb.1658:
	s_waitcnt vmcnt(0)
	v_cndmask_b32_e64 v2, 0, 1, s[24:25]
	global_store_dword v[0:1], v2, off
.LBB6_1659:
	s_mov_b64 s[0:1], 0
.LBB6_1660:
	s_andn2_b64 vcc, exec, s[0:1]
	s_cbranch_vccnz .LBB6_1662
; %bb.1661:
	s_waitcnt vmcnt(0)
	v_cndmask_b32_e64 v2, 0, 1, s[24:25]
	global_store_short v[0:1], v2, off
.LBB6_1662:
	s_mov_b64 s[0:1], 0
.LBB6_1663:
	s_andn2_b64 vcc, exec, s[0:1]
	s_cbranch_vccnz .LBB6_1668
; %bb.1664:
	s_sext_i32_i16 s2, s28
	s_mov_b64 s[0:1], -1
	s_cmp_gt_i32 s2, 0
	s_waitcnt vmcnt(0)
	v_cndmask_b32_e64 v2, 0, 1, s[24:25]
	s_cbranch_scc0 .LBB6_1666
; %bb.1665:
	global_store_byte v[0:1], v2, off
	s_mov_b64 s[0:1], 0
.LBB6_1666:
	s_andn2_b64 vcc, exec, s[0:1]
	s_cbranch_vccnz .LBB6_1668
; %bb.1667:
	global_store_byte v[0:1], v2, off
	s_endpgm
.LBB6_1668:
	s_endpgm
.LBB6_1669:
	s_mov_b64 s[26:27], -1
                                        ; implicit-def: $sgpr24_sgpr25
	s_mov_b64 s[10:11], 0
	s_branch .LBB6_1676
.LBB6_1670:
	s_mov_b64 s[26:27], -1
	s_mov_b64 s[10:11], 0
                                        ; implicit-def: $sgpr24_sgpr25
	s_branch .LBB6_1673
.LBB6_1671:
	s_mov_b64 s[10:11], -1
                                        ; implicit-def: $sgpr24_sgpr25
.LBB6_1672:
	s_mov_b64 s[26:27], 0
.LBB6_1673:
	s_and_b64 vcc, exec, s[26:27]
	s_cbranch_vccz .LBB6_1675
; %bb.1674:
	s_and_b32 s13, s2, 0xff
	s_waitcnt vmcnt(0)
	v_cmp_gt_u16_sdwa s[26:27], v2, s13 src0_sel:BYTE_0 src1_sel:DWORD
	s_andn2_b64 s[24:25], s[24:25], exec
	s_and_b64 s[26:27], s[26:27], exec
	s_or_b64 s[24:25], s[24:25], s[26:27]
.LBB6_1675:
	s_mov_b64 s[26:27], 0
.LBB6_1676:
	s_and_b64 vcc, exec, s[26:27]
	s_cbranch_vccz .LBB6_1758
; %bb.1677:
	s_cmp_lg_u32 s14, 0
	s_mov_b64 s[0:1], -1
	s_cselect_b64 s[10:11], -1, 0
	s_andn2_b64 vcc, exec, s[10:11]
	s_cbranch_vccz .LBB6_1759
.LBB6_1678:
	s_andn2_b64 vcc, exec, s[0:1]
	s_cbranch_vccnz .LBB6_1680
.LBB6_1679:
	s_and_b32 s0, s2, 0xff
	s_waitcnt vmcnt(0)
	v_cmp_ge_u16_sdwa s[0:1], v2, s0 src0_sel:BYTE_0 src1_sel:DWORD
	s_andn2_b64 s[10:11], s[24:25], exec
	s_and_b64 s[0:1], s[0:1], exec
	s_or_b64 s[24:25], s[10:11], s[0:1]
.LBB6_1680:
	s_waitcnt vmcnt(0)
	v_mul_lo_u32 v2, s12, v4
	v_mov_b32_e32 v1, s9
	s_and_b32 s28, s3, 0xff
	s_cmp_lt_i32 s28, 11
	v_ashrrev_i32_e32 v3, 31, v2
	v_add_co_u32_e32 v0, vcc, s8, v2
	v_addc_co_u32_e32 v1, vcc, v1, v3, vcc
	s_cbranch_scc1 .LBB6_1760
; %bb.1681:
	s_and_b32 s13, 0xffff, s28
	s_mov_b64 s[14:15], -1
	s_mov_b64 s[2:3], 0
	s_cmp_gt_i32 s13, 25
	s_mov_b64 s[10:11], 0
	s_mov_b64 s[0:1], 0
	s_cbranch_scc0 .LBB6_1714
; %bb.1682:
	s_cmp_gt_i32 s13, 28
	s_cbranch_scc0 .LBB6_1697
; %bb.1683:
	s_cmp_gt_i32 s13, 43
	;; [unrolled: 3-line block ×3, first 2 shown]
	s_cbranch_scc0 .LBB6_1687
; %bb.1685:
	s_mov_b64 s[0:1], -1
	s_mov_b64 s[14:15], 0
	s_cmp_eq_u32 s13, 46
	s_cbranch_scc0 .LBB6_1687
; %bb.1686:
	v_cndmask_b32_e64 v3, 0, 1.0, s[4:5]
	v_bfe_u32 v4, v3, 16, 1
	s_movk_i32 s0, 0x7fff
	v_add3_u32 v3, v3, v4, s0
	v_lshrrev_b32_e32 v3, 16, v3
	global_store_dword v[0:1], v3, off
	s_mov_b64 s[0:1], 0
	s_mov_b64 s[10:11], -1
.LBB6_1687:
	s_and_b64 vcc, exec, s[14:15]
	s_cbranch_vccz .LBB6_1692
; %bb.1688:
	s_cmp_eq_u32 s13, 44
	s_mov_b64 s[0:1], -1
	s_cbranch_scc0 .LBB6_1692
; %bb.1689:
	v_cndmask_b32_e64 v4, 0, 1.0, s[4:5]
	v_lshrrev_b32_e32 v3, 23, v4
	s_movk_i32 s0, 0xff
	v_cmp_ne_u32_e32 vcc, s0, v3
	v_mov_b32_e32 v5, 0xff
	s_and_saveexec_b64 s[10:11], vcc
; %bb.1690:
	s_mov_b32 s0, 0x3fffff
	v_and_b32_e32 v5, 0x400000, v4
	v_and_or_b32 v4, v4, s0, v3
	v_cmp_ne_u32_e32 vcc, 0, v5
	v_cmp_ne_u32_e64 s[0:1], 0, v4
	s_and_b64 s[0:1], vcc, s[0:1]
	v_cndmask_b32_e64 v4, 0, 1, s[0:1]
	v_add_u32_e32 v5, v3, v4
; %bb.1691:
	s_or_b64 exec, exec, s[10:11]
	s_mov_b64 s[0:1], 0
	s_mov_b64 s[10:11], -1
	global_store_byte v[0:1], v5, off
.LBB6_1692:
	s_mov_b64 s[14:15], 0
.LBB6_1693:
	s_and_b64 vcc, exec, s[14:15]
	s_cbranch_vccz .LBB6_1696
; %bb.1694:
	s_cmp_eq_u32 s13, 29
	s_mov_b64 s[0:1], -1
	s_cbranch_scc0 .LBB6_1696
; %bb.1695:
	s_mov_b32 s0, 0
	v_cndmask_b32_e64 v3, 0, 1, s[4:5]
	v_mov_b32_e32 v4, s0
	global_store_dwordx2 v[0:1], v[3:4], off
	s_mov_b64 s[0:1], 0
	s_mov_b64 s[10:11], -1
.LBB6_1696:
	s_mov_b64 s[14:15], 0
.LBB6_1697:
	s_and_b64 vcc, exec, s[14:15]
	s_cbranch_vccz .LBB6_1713
; %bb.1698:
	s_cmp_lt_i32 s13, 27
	s_mov_b64 s[10:11], -1
	s_cbranch_scc1 .LBB6_1704
; %bb.1699:
	s_cmp_gt_i32 s13, 27
	s_cbranch_scc0 .LBB6_1701
; %bb.1700:
	v_cndmask_b32_e64 v3, 0, 1, s[4:5]
	s_mov_b64 s[10:11], 0
	global_store_dword v[0:1], v3, off
.LBB6_1701:
	s_andn2_b64 vcc, exec, s[10:11]
	s_cbranch_vccnz .LBB6_1703
; %bb.1702:
	v_cndmask_b32_e64 v3, 0, 1, s[4:5]
	global_store_short v[0:1], v3, off
.LBB6_1703:
	s_mov_b64 s[10:11], 0
.LBB6_1704:
	s_andn2_b64 vcc, exec, s[10:11]
	s_cbranch_vccnz .LBB6_1712
; %bb.1705:
	v_cndmask_b32_e64 v4, 0, 1.0, s[4:5]
	s_mov_b32 s10, 0x43800000
	v_cmp_gt_u32_e32 vcc, s10, v4
	v_mov_b32_e32 v5, 0x80
	s_and_saveexec_b64 s[10:11], vcc
	s_cbranch_execz .LBB6_1711
; %bb.1706:
	s_mov_b32 s14, 0x3bffffff
	v_cmp_lt_u32_e32 vcc, s14, v4
	s_mov_b64 s[14:15], 0
                                        ; implicit-def: $vgpr3
	s_and_saveexec_b64 s[26:27], vcc
	s_xor_b64 s[26:27], exec, s[26:27]
	s_cbranch_execz .LBB6_2118
; %bb.1707:
	v_bfe_u32 v3, v4, 20, 1
	s_mov_b32 s29, 0x487ffff
	v_add3_u32 v3, v4, v3, s29
	s_mov_b64 s[14:15], exec
	v_lshrrev_b32_e32 v3, 20, v3
                                        ; implicit-def: $vgpr4
	s_andn2_saveexec_b64 s[26:27], s[26:27]
	s_cbranch_execnz .LBB6_2119
.LBB6_1708:
	s_or_b64 exec, exec, s[26:27]
	v_mov_b32_e32 v5, 0
	s_and_saveexec_b64 s[26:27], s[14:15]
.LBB6_1709:
	v_mov_b32_e32 v5, v3
.LBB6_1710:
	s_or_b64 exec, exec, s[26:27]
.LBB6_1711:
	s_or_b64 exec, exec, s[10:11]
	global_store_byte v[0:1], v5, off
.LBB6_1712:
	s_mov_b64 s[10:11], -1
.LBB6_1713:
	s_mov_b64 s[14:15], 0
.LBB6_1714:
	s_and_b64 vcc, exec, s[14:15]
	s_cbranch_vccz .LBB6_1754
; %bb.1715:
	s_cmp_gt_i32 s13, 22
	s_mov_b64 s[2:3], -1
	s_cbranch_scc0 .LBB6_1747
; %bb.1716:
	s_cmp_lt_i32 s13, 24
	s_cbranch_scc1 .LBB6_1736
; %bb.1717:
	s_cmp_gt_i32 s13, 24
	s_cbranch_scc0 .LBB6_1725
; %bb.1718:
	v_cndmask_b32_e64 v4, 0, 1.0, s[4:5]
	s_mov_b32 s2, 0x47800000
	v_cmp_gt_u32_e32 vcc, s2, v4
	v_mov_b32_e32 v5, 0x80
	s_and_saveexec_b64 s[2:3], vcc
	s_cbranch_execz .LBB6_1724
; %bb.1719:
	s_mov_b32 s10, 0x37ffffff
	v_cmp_lt_u32_e32 vcc, s10, v4
	s_mov_b64 s[10:11], 0
                                        ; implicit-def: $vgpr3
	s_and_saveexec_b64 s[14:15], vcc
	s_xor_b64 s[14:15], exec, s[14:15]
	s_cbranch_execz .LBB6_2121
; %bb.1720:
	v_bfe_u32 v3, v4, 21, 1
	s_mov_b32 s26, 0x88fffff
	v_add3_u32 v3, v4, v3, s26
	s_mov_b64 s[10:11], exec
	v_lshrrev_b32_e32 v3, 21, v3
                                        ; implicit-def: $vgpr4
	s_andn2_saveexec_b64 s[14:15], s[14:15]
	s_cbranch_execnz .LBB6_2122
.LBB6_1721:
	s_or_b64 exec, exec, s[14:15]
	v_mov_b32_e32 v5, 0
	s_and_saveexec_b64 s[14:15], s[10:11]
.LBB6_1722:
	v_mov_b32_e32 v5, v3
.LBB6_1723:
	s_or_b64 exec, exec, s[14:15]
.LBB6_1724:
	s_or_b64 exec, exec, s[2:3]
	s_mov_b64 s[2:3], 0
	global_store_byte v[0:1], v5, off
.LBB6_1725:
	s_and_b64 vcc, exec, s[2:3]
	s_cbranch_vccz .LBB6_1735
; %bb.1726:
	v_cndmask_b32_e64 v3, 0, 1.0, s[4:5]
	s_mov_b32 s2, 0x43f00000
	v_cmp_gt_u32_e32 vcc, s2, v3
                                        ; implicit-def: $vgpr4
	s_and_saveexec_b64 s[2:3], vcc
	s_xor_b64 s[2:3], exec, s[2:3]
	s_cbranch_execz .LBB6_1732
; %bb.1727:
	s_mov_b32 s10, 0x3c7fffff
	v_cmp_lt_u32_e32 vcc, s10, v3
                                        ; implicit-def: $vgpr4
	s_and_saveexec_b64 s[10:11], vcc
	s_xor_b64 s[10:11], exec, s[10:11]
; %bb.1728:
	v_bfe_u32 v4, v3, 20, 1
	s_mov_b32 s14, 0x407ffff
	v_add3_u32 v3, v3, v4, s14
	v_lshrrev_b32_e32 v4, 20, v3
	v_and_b32_e32 v3, 0xff00000, v3
	s_mov_b32 s14, 0x7f00000
	v_mov_b32_e32 v5, 0x7e
	v_cmp_ne_u32_e32 vcc, s14, v3
	v_cndmask_b32_e32 v4, v5, v4, vcc
                                        ; implicit-def: $vgpr3
; %bb.1729:
	s_andn2_saveexec_b64 s[10:11], s[10:11]
; %bb.1730:
	v_add_f32_e32 v4, 0x46800000, v3
; %bb.1731:
	s_or_b64 exec, exec, s[10:11]
                                        ; implicit-def: $vgpr3
.LBB6_1732:
	s_andn2_saveexec_b64 s[2:3], s[2:3]
; %bb.1733:
	s_mov_b32 s10, 0x7f800000
	v_mov_b32_e32 v4, 0x7e
	v_mov_b32_e32 v5, 0x7f
	v_cmp_lt_u32_e32 vcc, s10, v3
	v_cndmask_b32_e32 v4, v4, v5, vcc
; %bb.1734:
	s_or_b64 exec, exec, s[2:3]
	global_store_byte v[0:1], v4, off
.LBB6_1735:
	s_mov_b64 s[2:3], 0
.LBB6_1736:
	s_andn2_b64 vcc, exec, s[2:3]
	s_cbranch_vccnz .LBB6_1746
; %bb.1737:
	v_cndmask_b32_e64 v3, 0, 1.0, s[4:5]
	s_mov_b32 s2, 0x47800000
	v_cmp_gt_u32_e32 vcc, s2, v3
                                        ; implicit-def: $vgpr4
	s_and_saveexec_b64 s[2:3], vcc
	s_xor_b64 s[2:3], exec, s[2:3]
	s_cbranch_execz .LBB6_1743
; %bb.1738:
	s_mov_b32 s10, 0x387fffff
	v_cmp_lt_u32_e32 vcc, s10, v3
                                        ; implicit-def: $vgpr4
	s_and_saveexec_b64 s[10:11], vcc
	s_xor_b64 s[10:11], exec, s[10:11]
; %bb.1739:
	v_bfe_u32 v4, v3, 21, 1
	s_mov_b32 s14, 0x80fffff
	v_add3_u32 v3, v3, v4, s14
	v_lshrrev_b32_e32 v4, 21, v3
                                        ; implicit-def: $vgpr3
; %bb.1740:
	s_andn2_saveexec_b64 s[10:11], s[10:11]
; %bb.1741:
	v_add_f32_e32 v4, 0x43000000, v3
; %bb.1742:
	s_or_b64 exec, exec, s[10:11]
                                        ; implicit-def: $vgpr3
.LBB6_1743:
	s_andn2_saveexec_b64 s[2:3], s[2:3]
; %bb.1744:
	s_mov_b32 s10, 0x7f800000
	v_mov_b32_e32 v4, 0x7c
	v_mov_b32_e32 v5, 0x7f
	v_cmp_lt_u32_e32 vcc, s10, v3
	v_cndmask_b32_e32 v4, v4, v5, vcc
; %bb.1745:
	s_or_b64 exec, exec, s[2:3]
	global_store_byte v[0:1], v4, off
.LBB6_1746:
	s_mov_b64 s[2:3], 0
	s_mov_b64 s[10:11], -1
.LBB6_1747:
	s_andn2_b64 vcc, exec, s[2:3]
	s_mov_b64 s[2:3], 0
	s_cbranch_vccnz .LBB6_1754
; %bb.1748:
	s_cmp_gt_i32 s13, 14
	s_mov_b64 s[14:15], -1
	s_cbranch_scc0 .LBB6_1752
; %bb.1749:
	s_cmp_eq_u32 s13, 15
	s_mov_b64 s[0:1], -1
	s_cbranch_scc0 .LBB6_1751
; %bb.1750:
	v_cndmask_b32_e64 v3, 0, 1.0, s[4:5]
	v_bfe_u32 v4, v3, 16, 1
	s_movk_i32 s0, 0x7fff
	v_add3_u32 v3, v3, v4, s0
	global_store_short_d16_hi v[0:1], v3, off
	s_mov_b64 s[0:1], 0
	s_mov_b64 s[10:11], -1
.LBB6_1751:
	s_mov_b64 s[14:15], 0
.LBB6_1752:
	s_and_b64 vcc, exec, s[14:15]
	s_cbranch_vccz .LBB6_1754
; %bb.1753:
	s_cmp_lg_u32 s13, 11
	s_mov_b64 s[2:3], -1
	s_cselect_b64 s[0:1], -1, 0
.LBB6_1754:
	s_and_b64 vcc, exec, s[0:1]
	s_cbranch_vccnz .LBB6_2120
; %bb.1755:
	s_andn2_b64 vcc, exec, s[2:3]
	s_cbranch_vccnz .LBB6_1757
.LBB6_1756:
	v_cndmask_b32_e64 v3, 0, 1, s[4:5]
	s_mov_b64 s[10:11], -1
	global_store_byte v[0:1], v3, off
.LBB6_1757:
	s_mov_b64 s[0:1], 0
	s_branch .LBB6_1761
.LBB6_1758:
	s_andn2_b64 vcc, exec, s[10:11]
	s_cbranch_vccnz .LBB6_1678
.LBB6_1759:
	s_and_b32 s0, s2, 0xff
	s_waitcnt vmcnt(0)
	v_cmp_lt_u16_sdwa s[10:11], v2, s0 src0_sel:BYTE_0 src1_sel:DWORD
	s_andn2_b64 s[14:15], s[24:25], exec
	s_and_b64 s[10:11], s[10:11], exec
	s_or_b64 s[24:25], s[14:15], s[10:11]
	s_cbranch_execz .LBB6_1679
	s_branch .LBB6_1680
.LBB6_1760:
	s_mov_b64 s[0:1], -1
	s_mov_b64 s[10:11], 0
.LBB6_1761:
	s_and_b64 vcc, exec, s[0:1]
	s_cbranch_vccz .LBB6_1800
; %bb.1762:
	s_and_b32 s2, 0xffff, s28
	s_cmp_lt_i32 s2, 5
	s_mov_b64 s[0:1], -1
	s_cbranch_scc1 .LBB6_1783
; %bb.1763:
	s_cmp_lt_i32 s2, 8
	s_cbranch_scc1 .LBB6_1773
; %bb.1764:
	s_cmp_lt_i32 s2, 9
	s_cbranch_scc1 .LBB6_1770
; %bb.1765:
	s_cmp_gt_i32 s2, 9
	s_cbranch_scc0 .LBB6_1767
; %bb.1766:
	v_cndmask_b32_e64 v3, 0, 1, s[4:5]
	v_cvt_f64_u32_e32 v[3:4], v3
	v_mov_b32_e32 v5, 0
	v_mov_b32_e32 v6, v5
	s_mov_b64 s[0:1], 0
	global_store_dwordx4 v[0:1], v[3:6], off
.LBB6_1767:
	s_andn2_b64 vcc, exec, s[0:1]
	s_cbranch_vccnz .LBB6_1769
; %bb.1768:
	v_cndmask_b32_e64 v3, 0, 1.0, s[4:5]
	v_mov_b32_e32 v4, 0
	global_store_dwordx2 v[0:1], v[3:4], off
.LBB6_1769:
	s_mov_b64 s[0:1], 0
.LBB6_1770:
	s_andn2_b64 vcc, exec, s[0:1]
	s_cbranch_vccnz .LBB6_1772
; %bb.1771:
	v_cndmask_b32_e64 v3, 0, 1.0, s[4:5]
	v_cvt_f16_f32_e32 v3, v3
	global_store_dword v[0:1], v3, off
.LBB6_1772:
	s_mov_b64 s[0:1], 0
.LBB6_1773:
	s_andn2_b64 vcc, exec, s[0:1]
	s_cbranch_vccnz .LBB6_1782
; %bb.1774:
	s_cmp_lt_i32 s2, 6
	s_mov_b64 s[0:1], -1
	s_cbranch_scc1 .LBB6_1780
; %bb.1775:
	s_cmp_gt_i32 s2, 6
	s_cbranch_scc0 .LBB6_1777
; %bb.1776:
	v_cndmask_b32_e64 v3, 0, 1, s[4:5]
	v_cvt_f64_u32_e32 v[3:4], v3
	s_mov_b64 s[0:1], 0
	global_store_dwordx2 v[0:1], v[3:4], off
.LBB6_1777:
	s_andn2_b64 vcc, exec, s[0:1]
	s_cbranch_vccnz .LBB6_1779
; %bb.1778:
	v_cndmask_b32_e64 v3, 0, 1.0, s[4:5]
	global_store_dword v[0:1], v3, off
.LBB6_1779:
	s_mov_b64 s[0:1], 0
.LBB6_1780:
	s_andn2_b64 vcc, exec, s[0:1]
	s_cbranch_vccnz .LBB6_1782
; %bb.1781:
	v_cndmask_b32_e64 v3, 0, 1.0, s[4:5]
	v_cvt_f16_f32_e32 v3, v3
	global_store_short v[0:1], v3, off
.LBB6_1782:
	s_mov_b64 s[0:1], 0
.LBB6_1783:
	s_andn2_b64 vcc, exec, s[0:1]
	s_cbranch_vccnz .LBB6_1799
; %bb.1784:
	s_cmp_lt_i32 s2, 2
	s_mov_b64 s[0:1], -1
	s_cbranch_scc1 .LBB6_1794
; %bb.1785:
	s_cmp_lt_i32 s2, 3
	s_cbranch_scc1 .LBB6_1791
; %bb.1786:
	s_cmp_gt_i32 s2, 3
	s_cbranch_scc0 .LBB6_1788
; %bb.1787:
	s_mov_b32 s0, 0
	v_cndmask_b32_e64 v3, 0, 1, s[4:5]
	v_mov_b32_e32 v4, s0
	global_store_dwordx2 v[0:1], v[3:4], off
	s_mov_b64 s[0:1], 0
.LBB6_1788:
	s_andn2_b64 vcc, exec, s[0:1]
	s_cbranch_vccnz .LBB6_1790
; %bb.1789:
	v_cndmask_b32_e64 v3, 0, 1, s[4:5]
	global_store_dword v[0:1], v3, off
.LBB6_1790:
	s_mov_b64 s[0:1], 0
.LBB6_1791:
	s_andn2_b64 vcc, exec, s[0:1]
	s_cbranch_vccnz .LBB6_1793
; %bb.1792:
	v_cndmask_b32_e64 v3, 0, 1, s[4:5]
	global_store_short v[0:1], v3, off
.LBB6_1793:
	s_mov_b64 s[0:1], 0
.LBB6_1794:
	s_andn2_b64 vcc, exec, s[0:1]
	s_cbranch_vccnz .LBB6_1799
; %bb.1795:
	s_mov_b64 s[0:1], -1
	s_cmp_gt_i32 s2, 0
	v_cndmask_b32_e64 v3, 0, 1, s[4:5]
	s_cbranch_scc0 .LBB6_1797
; %bb.1796:
	global_store_byte v[0:1], v3, off
	s_mov_b64 s[0:1], 0
.LBB6_1797:
	s_andn2_b64 vcc, exec, s[0:1]
	s_cbranch_vccnz .LBB6_1799
; %bb.1798:
	global_store_byte v[0:1], v3, off
.LBB6_1799:
	s_mov_b64 s[10:11], -1
.LBB6_1800:
	s_andn2_b64 vcc, exec, s[10:11]
	s_cbranch_vccnz .LBB6_2115
; %bb.1801:
	s_lshl_b32 s14, s12, 7
	v_add_u32_e32 v2, s14, v2
	v_ashrrev_i32_e32 v1, 31, v2
	v_mov_b32_e32 v3, s9
	v_add_co_u32_e32 v0, vcc, s8, v2
	s_cmp_lt_i32 s28, 11
	v_addc_co_u32_e32 v1, vcc, v3, v1, vcc
	s_cbranch_scc1 .LBB6_1879
; %bb.1802:
	s_and_b32 s15, 0xffff, s28
	s_mov_b64 s[10:11], -1
	s_mov_b64 s[2:3], 0
	s_cmp_gt_i32 s15, 25
	s_mov_b64 s[4:5], 0
	s_mov_b64 s[0:1], 0
	s_cbranch_scc0 .LBB6_1835
; %bb.1803:
	s_cmp_gt_i32 s15, 28
	s_cbranch_scc0 .LBB6_1818
; %bb.1804:
	s_cmp_gt_i32 s15, 43
	;; [unrolled: 3-line block ×3, first 2 shown]
	s_cbranch_scc0 .LBB6_1808
; %bb.1806:
	s_mov_b64 s[0:1], -1
	s_mov_b64 s[10:11], 0
	s_cmp_eq_u32 s15, 46
	s_cbranch_scc0 .LBB6_1808
; %bb.1807:
	v_cndmask_b32_e64 v3, 0, 1.0, s[20:21]
	v_bfe_u32 v4, v3, 16, 1
	s_movk_i32 s0, 0x7fff
	v_add3_u32 v3, v3, v4, s0
	v_lshrrev_b32_e32 v3, 16, v3
	global_store_dword v[0:1], v3, off
	s_mov_b64 s[0:1], 0
	s_mov_b64 s[4:5], -1
.LBB6_1808:
	s_and_b64 vcc, exec, s[10:11]
	s_cbranch_vccz .LBB6_1813
; %bb.1809:
	s_cmp_eq_u32 s15, 44
	s_mov_b64 s[0:1], -1
	s_cbranch_scc0 .LBB6_1813
; %bb.1810:
	v_cndmask_b32_e64 v4, 0, 1.0, s[20:21]
	v_lshrrev_b32_e32 v3, 23, v4
	s_movk_i32 s0, 0xff
	v_cmp_ne_u32_e32 vcc, s0, v3
	v_mov_b32_e32 v5, 0xff
	s_and_saveexec_b64 s[4:5], vcc
; %bb.1811:
	s_mov_b32 s0, 0x3fffff
	v_and_b32_e32 v5, 0x400000, v4
	v_and_or_b32 v4, v4, s0, v3
	v_cmp_ne_u32_e32 vcc, 0, v5
	v_cmp_ne_u32_e64 s[0:1], 0, v4
	s_and_b64 s[0:1], vcc, s[0:1]
	v_cndmask_b32_e64 v4, 0, 1, s[0:1]
	v_add_u32_e32 v5, v3, v4
; %bb.1812:
	s_or_b64 exec, exec, s[4:5]
	s_mov_b64 s[0:1], 0
	s_mov_b64 s[4:5], -1
	global_store_byte v[0:1], v5, off
.LBB6_1813:
	s_mov_b64 s[10:11], 0
.LBB6_1814:
	s_and_b64 vcc, exec, s[10:11]
	s_cbranch_vccz .LBB6_1817
; %bb.1815:
	s_cmp_eq_u32 s15, 29
	s_mov_b64 s[0:1], -1
	s_cbranch_scc0 .LBB6_1817
; %bb.1816:
	s_mov_b32 s0, 0
	v_cndmask_b32_e64 v3, 0, 1, s[20:21]
	v_mov_b32_e32 v4, s0
	global_store_dwordx2 v[0:1], v[3:4], off
	s_mov_b64 s[0:1], 0
	s_mov_b64 s[4:5], -1
.LBB6_1817:
	s_mov_b64 s[10:11], 0
.LBB6_1818:
	s_and_b64 vcc, exec, s[10:11]
	s_cbranch_vccz .LBB6_1834
; %bb.1819:
	s_cmp_lt_i32 s15, 27
	s_mov_b64 s[4:5], -1
	s_cbranch_scc1 .LBB6_1825
; %bb.1820:
	s_cmp_gt_i32 s15, 27
	s_cbranch_scc0 .LBB6_1822
; %bb.1821:
	v_cndmask_b32_e64 v3, 0, 1, s[20:21]
	s_mov_b64 s[4:5], 0
	global_store_dword v[0:1], v3, off
.LBB6_1822:
	s_andn2_b64 vcc, exec, s[4:5]
	s_cbranch_vccnz .LBB6_1824
; %bb.1823:
	v_cndmask_b32_e64 v3, 0, 1, s[20:21]
	global_store_short v[0:1], v3, off
.LBB6_1824:
	s_mov_b64 s[4:5], 0
.LBB6_1825:
	s_andn2_b64 vcc, exec, s[4:5]
	s_cbranch_vccnz .LBB6_1833
; %bb.1826:
	v_cndmask_b32_e64 v4, 0, 1.0, s[20:21]
	s_mov_b32 s4, 0x43800000
	v_cmp_gt_u32_e32 vcc, s4, v4
	v_mov_b32_e32 v5, 0x80
	s_and_saveexec_b64 s[4:5], vcc
	s_cbranch_execz .LBB6_1832
; %bb.1827:
	s_mov_b32 s10, 0x3bffffff
	v_cmp_lt_u32_e32 vcc, s10, v4
	s_mov_b64 s[10:11], 0
                                        ; implicit-def: $vgpr3
	s_and_saveexec_b64 s[12:13], vcc
	s_xor_b64 s[12:13], exec, s[12:13]
	s_cbranch_execz .LBB6_2123
; %bb.1828:
	v_bfe_u32 v3, v4, 20, 1
	s_mov_b32 s26, 0x487ffff
	v_add3_u32 v3, v4, v3, s26
	s_mov_b64 s[10:11], exec
	v_lshrrev_b32_e32 v3, 20, v3
                                        ; implicit-def: $vgpr4
	s_andn2_saveexec_b64 s[12:13], s[12:13]
	s_cbranch_execnz .LBB6_2124
.LBB6_1829:
	s_or_b64 exec, exec, s[12:13]
	v_mov_b32_e32 v5, 0
	s_and_saveexec_b64 s[12:13], s[10:11]
.LBB6_1830:
	v_mov_b32_e32 v5, v3
.LBB6_1831:
	s_or_b64 exec, exec, s[12:13]
.LBB6_1832:
	s_or_b64 exec, exec, s[4:5]
	global_store_byte v[0:1], v5, off
.LBB6_1833:
	s_mov_b64 s[4:5], -1
.LBB6_1834:
	s_mov_b64 s[10:11], 0
.LBB6_1835:
	s_and_b64 vcc, exec, s[10:11]
	s_cbranch_vccz .LBB6_1875
; %bb.1836:
	s_cmp_gt_i32 s15, 22
	s_mov_b64 s[2:3], -1
	s_cbranch_scc0 .LBB6_1868
; %bb.1837:
	s_cmp_lt_i32 s15, 24
	s_cbranch_scc1 .LBB6_1857
; %bb.1838:
	s_cmp_gt_i32 s15, 24
	s_cbranch_scc0 .LBB6_1846
; %bb.1839:
	v_cndmask_b32_e64 v4, 0, 1.0, s[20:21]
	s_mov_b32 s2, 0x47800000
	v_cmp_gt_u32_e32 vcc, s2, v4
	v_mov_b32_e32 v5, 0x80
	s_and_saveexec_b64 s[2:3], vcc
	s_cbranch_execz .LBB6_1845
; %bb.1840:
	s_mov_b32 s4, 0x37ffffff
	v_cmp_lt_u32_e32 vcc, s4, v4
	s_mov_b64 s[4:5], 0
                                        ; implicit-def: $vgpr3
	s_and_saveexec_b64 s[10:11], vcc
	s_xor_b64 s[10:11], exec, s[10:11]
	s_cbranch_execz .LBB6_2126
; %bb.1841:
	v_bfe_u32 v3, v4, 21, 1
	s_mov_b32 s12, 0x88fffff
	v_add3_u32 v3, v4, v3, s12
	s_mov_b64 s[4:5], exec
	v_lshrrev_b32_e32 v3, 21, v3
                                        ; implicit-def: $vgpr4
	s_andn2_saveexec_b64 s[10:11], s[10:11]
	s_cbranch_execnz .LBB6_2127
.LBB6_1842:
	s_or_b64 exec, exec, s[10:11]
	v_mov_b32_e32 v5, 0
	s_and_saveexec_b64 s[10:11], s[4:5]
.LBB6_1843:
	v_mov_b32_e32 v5, v3
.LBB6_1844:
	s_or_b64 exec, exec, s[10:11]
.LBB6_1845:
	s_or_b64 exec, exec, s[2:3]
	s_mov_b64 s[2:3], 0
	global_store_byte v[0:1], v5, off
.LBB6_1846:
	s_and_b64 vcc, exec, s[2:3]
	s_cbranch_vccz .LBB6_1856
; %bb.1847:
	v_cndmask_b32_e64 v3, 0, 1.0, s[20:21]
	s_mov_b32 s2, 0x43f00000
	v_cmp_gt_u32_e32 vcc, s2, v3
                                        ; implicit-def: $vgpr4
	s_and_saveexec_b64 s[2:3], vcc
	s_xor_b64 s[2:3], exec, s[2:3]
	s_cbranch_execz .LBB6_1853
; %bb.1848:
	s_mov_b32 s4, 0x3c7fffff
	v_cmp_lt_u32_e32 vcc, s4, v3
                                        ; implicit-def: $vgpr4
	s_and_saveexec_b64 s[4:5], vcc
	s_xor_b64 s[4:5], exec, s[4:5]
; %bb.1849:
	v_bfe_u32 v4, v3, 20, 1
	s_mov_b32 s10, 0x407ffff
	v_add3_u32 v3, v3, v4, s10
	v_lshrrev_b32_e32 v4, 20, v3
	v_and_b32_e32 v3, 0xff00000, v3
	s_mov_b32 s10, 0x7f00000
	v_mov_b32_e32 v5, 0x7e
	v_cmp_ne_u32_e32 vcc, s10, v3
	v_cndmask_b32_e32 v4, v5, v4, vcc
                                        ; implicit-def: $vgpr3
; %bb.1850:
	s_andn2_saveexec_b64 s[4:5], s[4:5]
; %bb.1851:
	v_add_f32_e32 v4, 0x46800000, v3
; %bb.1852:
	s_or_b64 exec, exec, s[4:5]
                                        ; implicit-def: $vgpr3
.LBB6_1853:
	s_andn2_saveexec_b64 s[2:3], s[2:3]
; %bb.1854:
	s_mov_b32 s4, 0x7f800000
	v_mov_b32_e32 v4, 0x7e
	v_mov_b32_e32 v5, 0x7f
	v_cmp_lt_u32_e32 vcc, s4, v3
	v_cndmask_b32_e32 v4, v4, v5, vcc
; %bb.1855:
	s_or_b64 exec, exec, s[2:3]
	global_store_byte v[0:1], v4, off
.LBB6_1856:
	s_mov_b64 s[2:3], 0
.LBB6_1857:
	s_andn2_b64 vcc, exec, s[2:3]
	s_cbranch_vccnz .LBB6_1867
; %bb.1858:
	v_cndmask_b32_e64 v3, 0, 1.0, s[20:21]
	s_mov_b32 s2, 0x47800000
	v_cmp_gt_u32_e32 vcc, s2, v3
                                        ; implicit-def: $vgpr4
	s_and_saveexec_b64 s[2:3], vcc
	s_xor_b64 s[2:3], exec, s[2:3]
	s_cbranch_execz .LBB6_1864
; %bb.1859:
	s_mov_b32 s4, 0x387fffff
	v_cmp_lt_u32_e32 vcc, s4, v3
                                        ; implicit-def: $vgpr4
	s_and_saveexec_b64 s[4:5], vcc
	s_xor_b64 s[4:5], exec, s[4:5]
; %bb.1860:
	v_bfe_u32 v4, v3, 21, 1
	s_mov_b32 s10, 0x80fffff
	v_add3_u32 v3, v3, v4, s10
	v_lshrrev_b32_e32 v4, 21, v3
                                        ; implicit-def: $vgpr3
; %bb.1861:
	s_andn2_saveexec_b64 s[4:5], s[4:5]
; %bb.1862:
	v_add_f32_e32 v4, 0x43000000, v3
; %bb.1863:
	s_or_b64 exec, exec, s[4:5]
                                        ; implicit-def: $vgpr3
.LBB6_1864:
	s_andn2_saveexec_b64 s[2:3], s[2:3]
; %bb.1865:
	s_mov_b32 s4, 0x7f800000
	v_mov_b32_e32 v4, 0x7c
	v_mov_b32_e32 v5, 0x7f
	v_cmp_lt_u32_e32 vcc, s4, v3
	v_cndmask_b32_e32 v4, v4, v5, vcc
; %bb.1866:
	s_or_b64 exec, exec, s[2:3]
	global_store_byte v[0:1], v4, off
.LBB6_1867:
	s_mov_b64 s[2:3], 0
	s_mov_b64 s[4:5], -1
.LBB6_1868:
	s_andn2_b64 vcc, exec, s[2:3]
	s_mov_b64 s[2:3], 0
	s_cbranch_vccnz .LBB6_1875
; %bb.1869:
	s_cmp_gt_i32 s15, 14
	s_mov_b64 s[10:11], -1
	s_cbranch_scc0 .LBB6_1873
; %bb.1870:
	s_cmp_eq_u32 s15, 15
	s_mov_b64 s[0:1], -1
	s_cbranch_scc0 .LBB6_1872
; %bb.1871:
	v_cndmask_b32_e64 v3, 0, 1.0, s[20:21]
	v_bfe_u32 v4, v3, 16, 1
	s_movk_i32 s0, 0x7fff
	v_add3_u32 v3, v3, v4, s0
	global_store_short_d16_hi v[0:1], v3, off
	s_mov_b64 s[0:1], 0
	s_mov_b64 s[4:5], -1
.LBB6_1872:
	s_mov_b64 s[10:11], 0
.LBB6_1873:
	s_and_b64 vcc, exec, s[10:11]
	s_cbranch_vccz .LBB6_1875
; %bb.1874:
	s_cmp_lg_u32 s15, 11
	s_mov_b64 s[2:3], -1
	s_cselect_b64 s[0:1], -1, 0
.LBB6_1875:
	s_and_b64 vcc, exec, s[0:1]
	s_cbranch_vccnz .LBB6_2125
; %bb.1876:
	s_andn2_b64 vcc, exec, s[2:3]
	s_cbranch_vccnz .LBB6_1878
.LBB6_1877:
	v_cndmask_b32_e64 v3, 0, 1, s[20:21]
	s_mov_b64 s[4:5], -1
	global_store_byte v[0:1], v3, off
.LBB6_1878:
	s_mov_b64 s[0:1], 0
	s_branch .LBB6_1880
.LBB6_1879:
	s_mov_b64 s[0:1], -1
	s_mov_b64 s[4:5], 0
.LBB6_1880:
	s_and_b64 vcc, exec, s[0:1]
	s_cbranch_vccz .LBB6_1919
; %bb.1881:
	s_and_b32 s2, 0xffff, s28
	s_cmp_lt_i32 s2, 5
	s_mov_b64 s[0:1], -1
	s_cbranch_scc1 .LBB6_1902
; %bb.1882:
	s_cmp_lt_i32 s2, 8
	s_cbranch_scc1 .LBB6_1892
; %bb.1883:
	s_cmp_lt_i32 s2, 9
	s_cbranch_scc1 .LBB6_1889
; %bb.1884:
	s_cmp_gt_i32 s2, 9
	s_cbranch_scc0 .LBB6_1886
; %bb.1885:
	v_cndmask_b32_e64 v3, 0, 1, s[20:21]
	v_cvt_f64_u32_e32 v[3:4], v3
	v_mov_b32_e32 v5, 0
	v_mov_b32_e32 v6, v5
	s_mov_b64 s[0:1], 0
	global_store_dwordx4 v[0:1], v[3:6], off
.LBB6_1886:
	s_andn2_b64 vcc, exec, s[0:1]
	s_cbranch_vccnz .LBB6_1888
; %bb.1887:
	v_cndmask_b32_e64 v3, 0, 1.0, s[20:21]
	v_mov_b32_e32 v4, 0
	global_store_dwordx2 v[0:1], v[3:4], off
.LBB6_1888:
	s_mov_b64 s[0:1], 0
.LBB6_1889:
	s_andn2_b64 vcc, exec, s[0:1]
	s_cbranch_vccnz .LBB6_1891
; %bb.1890:
	v_cndmask_b32_e64 v3, 0, 1.0, s[20:21]
	v_cvt_f16_f32_e32 v3, v3
	global_store_dword v[0:1], v3, off
.LBB6_1891:
	s_mov_b64 s[0:1], 0
.LBB6_1892:
	s_andn2_b64 vcc, exec, s[0:1]
	s_cbranch_vccnz .LBB6_1901
; %bb.1893:
	s_cmp_lt_i32 s2, 6
	s_mov_b64 s[0:1], -1
	s_cbranch_scc1 .LBB6_1899
; %bb.1894:
	s_cmp_gt_i32 s2, 6
	s_cbranch_scc0 .LBB6_1896
; %bb.1895:
	v_cndmask_b32_e64 v3, 0, 1, s[20:21]
	v_cvt_f64_u32_e32 v[3:4], v3
	s_mov_b64 s[0:1], 0
	global_store_dwordx2 v[0:1], v[3:4], off
.LBB6_1896:
	s_andn2_b64 vcc, exec, s[0:1]
	s_cbranch_vccnz .LBB6_1898
; %bb.1897:
	v_cndmask_b32_e64 v3, 0, 1.0, s[20:21]
	global_store_dword v[0:1], v3, off
.LBB6_1898:
	s_mov_b64 s[0:1], 0
.LBB6_1899:
	s_andn2_b64 vcc, exec, s[0:1]
	s_cbranch_vccnz .LBB6_1901
; %bb.1900:
	v_cndmask_b32_e64 v3, 0, 1.0, s[20:21]
	v_cvt_f16_f32_e32 v3, v3
	global_store_short v[0:1], v3, off
.LBB6_1901:
	s_mov_b64 s[0:1], 0
.LBB6_1902:
	s_andn2_b64 vcc, exec, s[0:1]
	s_cbranch_vccnz .LBB6_1918
; %bb.1903:
	s_cmp_lt_i32 s2, 2
	s_mov_b64 s[0:1], -1
	s_cbranch_scc1 .LBB6_1913
; %bb.1904:
	s_cmp_lt_i32 s2, 3
	s_cbranch_scc1 .LBB6_1910
; %bb.1905:
	s_cmp_gt_i32 s2, 3
	s_cbranch_scc0 .LBB6_1907
; %bb.1906:
	s_mov_b32 s0, 0
	v_cndmask_b32_e64 v3, 0, 1, s[20:21]
	v_mov_b32_e32 v4, s0
	global_store_dwordx2 v[0:1], v[3:4], off
	s_mov_b64 s[0:1], 0
.LBB6_1907:
	s_andn2_b64 vcc, exec, s[0:1]
	s_cbranch_vccnz .LBB6_1909
; %bb.1908:
	v_cndmask_b32_e64 v3, 0, 1, s[20:21]
	global_store_dword v[0:1], v3, off
.LBB6_1909:
	s_mov_b64 s[0:1], 0
.LBB6_1910:
	s_andn2_b64 vcc, exec, s[0:1]
	s_cbranch_vccnz .LBB6_1912
; %bb.1911:
	v_cndmask_b32_e64 v3, 0, 1, s[20:21]
	global_store_short v[0:1], v3, off
.LBB6_1912:
	s_mov_b64 s[0:1], 0
.LBB6_1913:
	s_andn2_b64 vcc, exec, s[0:1]
	s_cbranch_vccnz .LBB6_1918
; %bb.1914:
	s_mov_b64 s[0:1], -1
	s_cmp_gt_i32 s2, 0
	v_cndmask_b32_e64 v3, 0, 1, s[20:21]
	s_cbranch_scc0 .LBB6_1916
; %bb.1915:
	global_store_byte v[0:1], v3, off
	s_mov_b64 s[0:1], 0
.LBB6_1916:
	s_andn2_b64 vcc, exec, s[0:1]
	s_cbranch_vccnz .LBB6_1918
; %bb.1917:
	global_store_byte v[0:1], v3, off
.LBB6_1918:
	s_mov_b64 s[4:5], -1
.LBB6_1919:
	s_andn2_b64 vcc, exec, s[4:5]
	s_cbranch_vccnz .LBB6_2115
; %bb.1920:
	v_add_u32_e32 v2, s14, v2
	v_ashrrev_i32_e32 v1, 31, v2
	v_mov_b32_e32 v3, s9
	v_add_co_u32_e32 v0, vcc, s8, v2
	s_cmp_lt_i32 s28, 11
	v_addc_co_u32_e32 v1, vcc, v3, v1, vcc
	s_cbranch_scc1 .LBB6_1998
; %bb.1921:
	s_and_b32 s15, 0xffff, s28
	s_mov_b64 s[10:11], -1
	s_mov_b64 s[2:3], 0
	s_cmp_gt_i32 s15, 25
	s_mov_b64 s[4:5], 0
	s_mov_b64 s[0:1], 0
	s_cbranch_scc0 .LBB6_1954
; %bb.1922:
	s_cmp_gt_i32 s15, 28
	s_cbranch_scc0 .LBB6_1937
; %bb.1923:
	s_cmp_gt_i32 s15, 43
	;; [unrolled: 3-line block ×3, first 2 shown]
	s_cbranch_scc0 .LBB6_1927
; %bb.1925:
	s_mov_b64 s[0:1], -1
	s_mov_b64 s[10:11], 0
	s_cmp_eq_u32 s15, 46
	s_cbranch_scc0 .LBB6_1927
; %bb.1926:
	v_cndmask_b32_e64 v3, 0, 1.0, s[22:23]
	v_bfe_u32 v4, v3, 16, 1
	s_movk_i32 s0, 0x7fff
	v_add3_u32 v3, v3, v4, s0
	v_lshrrev_b32_e32 v3, 16, v3
	global_store_dword v[0:1], v3, off
	s_mov_b64 s[0:1], 0
	s_mov_b64 s[4:5], -1
.LBB6_1927:
	s_and_b64 vcc, exec, s[10:11]
	s_cbranch_vccz .LBB6_1932
; %bb.1928:
	s_cmp_eq_u32 s15, 44
	s_mov_b64 s[0:1], -1
	s_cbranch_scc0 .LBB6_1932
; %bb.1929:
	v_cndmask_b32_e64 v4, 0, 1.0, s[22:23]
	v_lshrrev_b32_e32 v3, 23, v4
	s_movk_i32 s0, 0xff
	v_cmp_ne_u32_e32 vcc, s0, v3
	v_mov_b32_e32 v5, 0xff
	s_and_saveexec_b64 s[4:5], vcc
; %bb.1930:
	s_mov_b32 s0, 0x3fffff
	v_and_b32_e32 v5, 0x400000, v4
	v_and_or_b32 v4, v4, s0, v3
	v_cmp_ne_u32_e32 vcc, 0, v5
	v_cmp_ne_u32_e64 s[0:1], 0, v4
	s_and_b64 s[0:1], vcc, s[0:1]
	v_cndmask_b32_e64 v4, 0, 1, s[0:1]
	v_add_u32_e32 v5, v3, v4
; %bb.1931:
	s_or_b64 exec, exec, s[4:5]
	s_mov_b64 s[0:1], 0
	s_mov_b64 s[4:5], -1
	global_store_byte v[0:1], v5, off
.LBB6_1932:
	s_mov_b64 s[10:11], 0
.LBB6_1933:
	s_and_b64 vcc, exec, s[10:11]
	s_cbranch_vccz .LBB6_1936
; %bb.1934:
	s_cmp_eq_u32 s15, 29
	s_mov_b64 s[0:1], -1
	s_cbranch_scc0 .LBB6_1936
; %bb.1935:
	s_mov_b32 s0, 0
	v_cndmask_b32_e64 v3, 0, 1, s[22:23]
	v_mov_b32_e32 v4, s0
	global_store_dwordx2 v[0:1], v[3:4], off
	s_mov_b64 s[0:1], 0
	s_mov_b64 s[4:5], -1
.LBB6_1936:
	s_mov_b64 s[10:11], 0
.LBB6_1937:
	s_and_b64 vcc, exec, s[10:11]
	s_cbranch_vccz .LBB6_1953
; %bb.1938:
	s_cmp_lt_i32 s15, 27
	s_mov_b64 s[4:5], -1
	s_cbranch_scc1 .LBB6_1944
; %bb.1939:
	s_cmp_gt_i32 s15, 27
	s_cbranch_scc0 .LBB6_1941
; %bb.1940:
	v_cndmask_b32_e64 v3, 0, 1, s[22:23]
	s_mov_b64 s[4:5], 0
	global_store_dword v[0:1], v3, off
.LBB6_1941:
	s_andn2_b64 vcc, exec, s[4:5]
	s_cbranch_vccnz .LBB6_1943
; %bb.1942:
	v_cndmask_b32_e64 v3, 0, 1, s[22:23]
	global_store_short v[0:1], v3, off
.LBB6_1943:
	s_mov_b64 s[4:5], 0
.LBB6_1944:
	s_andn2_b64 vcc, exec, s[4:5]
	s_cbranch_vccnz .LBB6_1952
; %bb.1945:
	v_cndmask_b32_e64 v4, 0, 1.0, s[22:23]
	s_mov_b32 s4, 0x43800000
	v_cmp_gt_u32_e32 vcc, s4, v4
	v_mov_b32_e32 v5, 0x80
	s_and_saveexec_b64 s[4:5], vcc
	s_cbranch_execz .LBB6_1951
; %bb.1946:
	s_mov_b32 s10, 0x3bffffff
	v_cmp_lt_u32_e32 vcc, s10, v4
	s_mov_b64 s[10:11], 0
                                        ; implicit-def: $vgpr3
	s_and_saveexec_b64 s[12:13], vcc
	s_xor_b64 s[12:13], exec, s[12:13]
	s_cbranch_execz .LBB6_2128
; %bb.1947:
	v_bfe_u32 v3, v4, 20, 1
	s_mov_b32 s20, 0x487ffff
	v_add3_u32 v3, v4, v3, s20
	s_mov_b64 s[10:11], exec
	v_lshrrev_b32_e32 v3, 20, v3
                                        ; implicit-def: $vgpr4
	s_andn2_saveexec_b64 s[12:13], s[12:13]
	s_cbranch_execnz .LBB6_2129
.LBB6_1948:
	s_or_b64 exec, exec, s[12:13]
	v_mov_b32_e32 v5, 0
	s_and_saveexec_b64 s[12:13], s[10:11]
.LBB6_1949:
	v_mov_b32_e32 v5, v3
.LBB6_1950:
	s_or_b64 exec, exec, s[12:13]
.LBB6_1951:
	s_or_b64 exec, exec, s[4:5]
	global_store_byte v[0:1], v5, off
.LBB6_1952:
	s_mov_b64 s[4:5], -1
.LBB6_1953:
	s_mov_b64 s[10:11], 0
.LBB6_1954:
	s_and_b64 vcc, exec, s[10:11]
	s_cbranch_vccz .LBB6_1994
; %bb.1955:
	s_cmp_gt_i32 s15, 22
	s_mov_b64 s[2:3], -1
	s_cbranch_scc0 .LBB6_1987
; %bb.1956:
	s_cmp_lt_i32 s15, 24
	s_cbranch_scc1 .LBB6_1976
; %bb.1957:
	s_cmp_gt_i32 s15, 24
	s_cbranch_scc0 .LBB6_1965
; %bb.1958:
	v_cndmask_b32_e64 v4, 0, 1.0, s[22:23]
	s_mov_b32 s2, 0x47800000
	v_cmp_gt_u32_e32 vcc, s2, v4
	v_mov_b32_e32 v5, 0x80
	s_and_saveexec_b64 s[2:3], vcc
	s_cbranch_execz .LBB6_1964
; %bb.1959:
	s_mov_b32 s4, 0x37ffffff
	v_cmp_lt_u32_e32 vcc, s4, v4
	s_mov_b64 s[4:5], 0
                                        ; implicit-def: $vgpr3
	s_and_saveexec_b64 s[10:11], vcc
	s_xor_b64 s[10:11], exec, s[10:11]
	s_cbranch_execz .LBB6_2131
; %bb.1960:
	v_bfe_u32 v3, v4, 21, 1
	s_mov_b32 s12, 0x88fffff
	v_add3_u32 v3, v4, v3, s12
	s_mov_b64 s[4:5], exec
	v_lshrrev_b32_e32 v3, 21, v3
                                        ; implicit-def: $vgpr4
	s_andn2_saveexec_b64 s[10:11], s[10:11]
	s_cbranch_execnz .LBB6_2132
.LBB6_1961:
	s_or_b64 exec, exec, s[10:11]
	v_mov_b32_e32 v5, 0
	s_and_saveexec_b64 s[10:11], s[4:5]
.LBB6_1962:
	v_mov_b32_e32 v5, v3
.LBB6_1963:
	s_or_b64 exec, exec, s[10:11]
.LBB6_1964:
	s_or_b64 exec, exec, s[2:3]
	s_mov_b64 s[2:3], 0
	global_store_byte v[0:1], v5, off
.LBB6_1965:
	s_and_b64 vcc, exec, s[2:3]
	s_cbranch_vccz .LBB6_1975
; %bb.1966:
	v_cndmask_b32_e64 v3, 0, 1.0, s[22:23]
	s_mov_b32 s2, 0x43f00000
	v_cmp_gt_u32_e32 vcc, s2, v3
                                        ; implicit-def: $vgpr4
	s_and_saveexec_b64 s[2:3], vcc
	s_xor_b64 s[2:3], exec, s[2:3]
	s_cbranch_execz .LBB6_1972
; %bb.1967:
	s_mov_b32 s4, 0x3c7fffff
	v_cmp_lt_u32_e32 vcc, s4, v3
                                        ; implicit-def: $vgpr4
	s_and_saveexec_b64 s[4:5], vcc
	s_xor_b64 s[4:5], exec, s[4:5]
; %bb.1968:
	v_bfe_u32 v4, v3, 20, 1
	s_mov_b32 s10, 0x407ffff
	v_add3_u32 v3, v3, v4, s10
	v_lshrrev_b32_e32 v4, 20, v3
	v_and_b32_e32 v3, 0xff00000, v3
	s_mov_b32 s10, 0x7f00000
	v_mov_b32_e32 v5, 0x7e
	v_cmp_ne_u32_e32 vcc, s10, v3
	v_cndmask_b32_e32 v4, v5, v4, vcc
                                        ; implicit-def: $vgpr3
; %bb.1969:
	s_andn2_saveexec_b64 s[4:5], s[4:5]
; %bb.1970:
	v_add_f32_e32 v4, 0x46800000, v3
; %bb.1971:
	s_or_b64 exec, exec, s[4:5]
                                        ; implicit-def: $vgpr3
.LBB6_1972:
	s_andn2_saveexec_b64 s[2:3], s[2:3]
; %bb.1973:
	s_mov_b32 s4, 0x7f800000
	v_mov_b32_e32 v4, 0x7e
	v_mov_b32_e32 v5, 0x7f
	v_cmp_lt_u32_e32 vcc, s4, v3
	v_cndmask_b32_e32 v4, v4, v5, vcc
; %bb.1974:
	s_or_b64 exec, exec, s[2:3]
	global_store_byte v[0:1], v4, off
.LBB6_1975:
	s_mov_b64 s[2:3], 0
.LBB6_1976:
	s_andn2_b64 vcc, exec, s[2:3]
	s_cbranch_vccnz .LBB6_1986
; %bb.1977:
	v_cndmask_b32_e64 v3, 0, 1.0, s[22:23]
	s_mov_b32 s2, 0x47800000
	v_cmp_gt_u32_e32 vcc, s2, v3
                                        ; implicit-def: $vgpr4
	s_and_saveexec_b64 s[2:3], vcc
	s_xor_b64 s[2:3], exec, s[2:3]
	s_cbranch_execz .LBB6_1983
; %bb.1978:
	s_mov_b32 s4, 0x387fffff
	v_cmp_lt_u32_e32 vcc, s4, v3
                                        ; implicit-def: $vgpr4
	s_and_saveexec_b64 s[4:5], vcc
	s_xor_b64 s[4:5], exec, s[4:5]
; %bb.1979:
	v_bfe_u32 v4, v3, 21, 1
	s_mov_b32 s10, 0x80fffff
	v_add3_u32 v3, v3, v4, s10
	v_lshrrev_b32_e32 v4, 21, v3
                                        ; implicit-def: $vgpr3
; %bb.1980:
	s_andn2_saveexec_b64 s[4:5], s[4:5]
; %bb.1981:
	v_add_f32_e32 v4, 0x43000000, v3
; %bb.1982:
	s_or_b64 exec, exec, s[4:5]
                                        ; implicit-def: $vgpr3
.LBB6_1983:
	s_andn2_saveexec_b64 s[2:3], s[2:3]
; %bb.1984:
	s_mov_b32 s4, 0x7f800000
	v_mov_b32_e32 v4, 0x7c
	v_mov_b32_e32 v5, 0x7f
	v_cmp_lt_u32_e32 vcc, s4, v3
	v_cndmask_b32_e32 v4, v4, v5, vcc
; %bb.1985:
	s_or_b64 exec, exec, s[2:3]
	global_store_byte v[0:1], v4, off
.LBB6_1986:
	s_mov_b64 s[2:3], 0
	s_mov_b64 s[4:5], -1
.LBB6_1987:
	s_andn2_b64 vcc, exec, s[2:3]
	s_mov_b64 s[2:3], 0
	s_cbranch_vccnz .LBB6_1994
; %bb.1988:
	s_cmp_gt_i32 s15, 14
	s_mov_b64 s[10:11], -1
	s_cbranch_scc0 .LBB6_1992
; %bb.1989:
	s_cmp_eq_u32 s15, 15
	s_mov_b64 s[0:1], -1
	s_cbranch_scc0 .LBB6_1991
; %bb.1990:
	v_cndmask_b32_e64 v3, 0, 1.0, s[22:23]
	v_bfe_u32 v4, v3, 16, 1
	s_movk_i32 s0, 0x7fff
	v_add3_u32 v3, v3, v4, s0
	global_store_short_d16_hi v[0:1], v3, off
	s_mov_b64 s[0:1], 0
	s_mov_b64 s[4:5], -1
.LBB6_1991:
	s_mov_b64 s[10:11], 0
.LBB6_1992:
	s_and_b64 vcc, exec, s[10:11]
	s_cbranch_vccz .LBB6_1994
; %bb.1993:
	s_cmp_lg_u32 s15, 11
	s_mov_b64 s[2:3], -1
	s_cselect_b64 s[0:1], -1, 0
.LBB6_1994:
	s_and_b64 vcc, exec, s[0:1]
	s_cbranch_vccnz .LBB6_2130
; %bb.1995:
	s_andn2_b64 vcc, exec, s[2:3]
	s_cbranch_vccnz .LBB6_1997
.LBB6_1996:
	v_cndmask_b32_e64 v3, 0, 1, s[22:23]
	s_mov_b64 s[4:5], -1
	global_store_byte v[0:1], v3, off
.LBB6_1997:
	s_mov_b64 s[0:1], 0
	s_branch .LBB6_1999
.LBB6_1998:
	s_mov_b64 s[0:1], -1
	s_mov_b64 s[4:5], 0
.LBB6_1999:
	s_and_b64 vcc, exec, s[0:1]
	s_cbranch_vccz .LBB6_2038
; %bb.2000:
	s_and_b32 s2, 0xffff, s28
	s_cmp_lt_i32 s2, 5
	s_mov_b64 s[0:1], -1
	s_cbranch_scc1 .LBB6_2021
; %bb.2001:
	s_cmp_lt_i32 s2, 8
	s_cbranch_scc1 .LBB6_2011
; %bb.2002:
	s_cmp_lt_i32 s2, 9
	s_cbranch_scc1 .LBB6_2008
; %bb.2003:
	s_cmp_gt_i32 s2, 9
	s_cbranch_scc0 .LBB6_2005
; %bb.2004:
	v_cndmask_b32_e64 v3, 0, 1, s[22:23]
	v_cvt_f64_u32_e32 v[3:4], v3
	v_mov_b32_e32 v5, 0
	v_mov_b32_e32 v6, v5
	s_mov_b64 s[0:1], 0
	global_store_dwordx4 v[0:1], v[3:6], off
.LBB6_2005:
	s_andn2_b64 vcc, exec, s[0:1]
	s_cbranch_vccnz .LBB6_2007
; %bb.2006:
	v_cndmask_b32_e64 v3, 0, 1.0, s[22:23]
	v_mov_b32_e32 v4, 0
	global_store_dwordx2 v[0:1], v[3:4], off
.LBB6_2007:
	s_mov_b64 s[0:1], 0
.LBB6_2008:
	s_andn2_b64 vcc, exec, s[0:1]
	s_cbranch_vccnz .LBB6_2010
; %bb.2009:
	v_cndmask_b32_e64 v3, 0, 1.0, s[22:23]
	v_cvt_f16_f32_e32 v3, v3
	global_store_dword v[0:1], v3, off
.LBB6_2010:
	s_mov_b64 s[0:1], 0
.LBB6_2011:
	s_andn2_b64 vcc, exec, s[0:1]
	s_cbranch_vccnz .LBB6_2020
; %bb.2012:
	s_cmp_lt_i32 s2, 6
	s_mov_b64 s[0:1], -1
	s_cbranch_scc1 .LBB6_2018
; %bb.2013:
	s_cmp_gt_i32 s2, 6
	s_cbranch_scc0 .LBB6_2015
; %bb.2014:
	v_cndmask_b32_e64 v3, 0, 1, s[22:23]
	v_cvt_f64_u32_e32 v[3:4], v3
	s_mov_b64 s[0:1], 0
	global_store_dwordx2 v[0:1], v[3:4], off
.LBB6_2015:
	s_andn2_b64 vcc, exec, s[0:1]
	s_cbranch_vccnz .LBB6_2017
; %bb.2016:
	v_cndmask_b32_e64 v3, 0, 1.0, s[22:23]
	global_store_dword v[0:1], v3, off
.LBB6_2017:
	s_mov_b64 s[0:1], 0
.LBB6_2018:
	s_andn2_b64 vcc, exec, s[0:1]
	s_cbranch_vccnz .LBB6_2020
; %bb.2019:
	v_cndmask_b32_e64 v3, 0, 1.0, s[22:23]
	v_cvt_f16_f32_e32 v3, v3
	global_store_short v[0:1], v3, off
.LBB6_2020:
	s_mov_b64 s[0:1], 0
.LBB6_2021:
	s_andn2_b64 vcc, exec, s[0:1]
	s_cbranch_vccnz .LBB6_2037
; %bb.2022:
	s_cmp_lt_i32 s2, 2
	s_mov_b64 s[0:1], -1
	s_cbranch_scc1 .LBB6_2032
; %bb.2023:
	s_cmp_lt_i32 s2, 3
	s_cbranch_scc1 .LBB6_2029
; %bb.2024:
	s_cmp_gt_i32 s2, 3
	s_cbranch_scc0 .LBB6_2026
; %bb.2025:
	s_mov_b32 s0, 0
	v_cndmask_b32_e64 v3, 0, 1, s[22:23]
	v_mov_b32_e32 v4, s0
	global_store_dwordx2 v[0:1], v[3:4], off
	s_mov_b64 s[0:1], 0
.LBB6_2026:
	s_andn2_b64 vcc, exec, s[0:1]
	s_cbranch_vccnz .LBB6_2028
; %bb.2027:
	v_cndmask_b32_e64 v3, 0, 1, s[22:23]
	global_store_dword v[0:1], v3, off
.LBB6_2028:
	s_mov_b64 s[0:1], 0
.LBB6_2029:
	s_andn2_b64 vcc, exec, s[0:1]
	s_cbranch_vccnz .LBB6_2031
; %bb.2030:
	v_cndmask_b32_e64 v3, 0, 1, s[22:23]
	global_store_short v[0:1], v3, off
.LBB6_2031:
	s_mov_b64 s[0:1], 0
.LBB6_2032:
	s_andn2_b64 vcc, exec, s[0:1]
	s_cbranch_vccnz .LBB6_2037
; %bb.2033:
	s_mov_b64 s[0:1], -1
	s_cmp_gt_i32 s2, 0
	v_cndmask_b32_e64 v3, 0, 1, s[22:23]
	s_cbranch_scc0 .LBB6_2035
; %bb.2034:
	global_store_byte v[0:1], v3, off
	s_mov_b64 s[0:1], 0
.LBB6_2035:
	s_andn2_b64 vcc, exec, s[0:1]
	s_cbranch_vccnz .LBB6_2037
; %bb.2036:
	global_store_byte v[0:1], v3, off
.LBB6_2037:
	s_mov_b64 s[4:5], -1
.LBB6_2038:
	s_andn2_b64 vcc, exec, s[4:5]
	s_cbranch_vccnz .LBB6_2115
; %bb.2039:
	v_add_u32_e32 v0, s14, v2
	v_ashrrev_i32_e32 v1, 31, v0
	v_mov_b32_e32 v2, s9
	v_add_co_u32_e32 v0, vcc, s8, v0
	s_cmp_lt_i32 s28, 11
	v_addc_co_u32_e32 v1, vcc, v2, v1, vcc
	s_cbranch_scc1 .LBB6_2116
; %bb.2040:
	s_and_b32 s12, 0xffff, s28
	s_mov_b64 s[4:5], -1
	s_mov_b64 s[2:3], 0
	s_cmp_gt_i32 s12, 25
	s_mov_b64 s[0:1], 0
	s_cbranch_scc0 .LBB6_2073
; %bb.2041:
	s_cmp_gt_i32 s12, 28
	s_cbranch_scc0 .LBB6_2057
; %bb.2042:
	s_cmp_gt_i32 s12, 43
	;; [unrolled: 3-line block ×3, first 2 shown]
	s_cbranch_scc0 .LBB6_2047
; %bb.2044:
	s_cmp_eq_u32 s12, 46
	s_mov_b64 s[0:1], -1
	s_cbranch_scc0 .LBB6_2046
; %bb.2045:
	v_cndmask_b32_e64 v2, 0, 1.0, s[24:25]
	v_bfe_u32 v3, v2, 16, 1
	s_movk_i32 s0, 0x7fff
	v_add3_u32 v2, v2, v3, s0
	v_lshrrev_b32_e32 v2, 16, v2
	global_store_dword v[0:1], v2, off
	s_mov_b64 s[0:1], 0
.LBB6_2046:
	s_mov_b64 s[4:5], 0
.LBB6_2047:
	s_and_b64 vcc, exec, s[4:5]
	s_cbranch_vccz .LBB6_2052
; %bb.2048:
	s_cmp_eq_u32 s12, 44
	s_mov_b64 s[0:1], -1
	s_cbranch_scc0 .LBB6_2052
; %bb.2049:
	v_cndmask_b32_e64 v3, 0, 1.0, s[24:25]
	v_lshrrev_b32_e32 v2, 23, v3
	s_movk_i32 s0, 0xff
	v_cmp_ne_u32_e32 vcc, s0, v2
	v_mov_b32_e32 v4, 0xff
	s_and_saveexec_b64 s[4:5], vcc
; %bb.2050:
	s_mov_b32 s0, 0x3fffff
	v_and_b32_e32 v4, 0x400000, v3
	v_and_or_b32 v3, v3, s0, v2
	v_cmp_ne_u32_e32 vcc, 0, v4
	v_cmp_ne_u32_e64 s[0:1], 0, v3
	s_and_b64 s[0:1], vcc, s[0:1]
	v_cndmask_b32_e64 v3, 0, 1, s[0:1]
	v_add_u32_e32 v4, v2, v3
; %bb.2051:
	s_or_b64 exec, exec, s[4:5]
	s_mov_b64 s[0:1], 0
	global_store_byte v[0:1], v4, off
.LBB6_2052:
	s_mov_b64 s[4:5], 0
.LBB6_2053:
	s_and_b64 vcc, exec, s[4:5]
	s_cbranch_vccz .LBB6_2056
; %bb.2054:
	s_cmp_eq_u32 s12, 29
	s_mov_b64 s[0:1], -1
	s_cbranch_scc0 .LBB6_2056
; %bb.2055:
	s_mov_b32 s0, 0
	v_cndmask_b32_e64 v2, 0, 1, s[24:25]
	v_mov_b32_e32 v3, s0
	global_store_dwordx2 v[0:1], v[2:3], off
	s_mov_b64 s[0:1], 0
.LBB6_2056:
	s_mov_b64 s[4:5], 0
.LBB6_2057:
	s_and_b64 vcc, exec, s[4:5]
	s_cbranch_vccz .LBB6_2072
; %bb.2058:
	s_cmp_lt_i32 s12, 27
	s_mov_b64 s[4:5], -1
	s_cbranch_scc1 .LBB6_2064
; %bb.2059:
	s_cmp_gt_i32 s12, 27
	v_cndmask_b32_e64 v2, 0, 1, s[24:25]
	s_cbranch_scc0 .LBB6_2061
; %bb.2060:
	global_store_dword v[0:1], v2, off
	s_mov_b64 s[4:5], 0
.LBB6_2061:
	s_andn2_b64 vcc, exec, s[4:5]
	s_cbranch_vccnz .LBB6_2063
; %bb.2062:
	global_store_short v[0:1], v2, off
.LBB6_2063:
	s_mov_b64 s[4:5], 0
.LBB6_2064:
	s_andn2_b64 vcc, exec, s[4:5]
	s_cbranch_vccnz .LBB6_2072
; %bb.2065:
	v_cndmask_b32_e64 v3, 0, 1.0, s[24:25]
	s_mov_b32 s4, 0x43800000
	v_cmp_gt_u32_e32 vcc, s4, v3
	v_mov_b32_e32 v4, 0x80
	s_and_saveexec_b64 s[4:5], vcc
	s_cbranch_execz .LBB6_2071
; %bb.2066:
	s_mov_b32 s8, 0x3bffffff
	v_cmp_lt_u32_e32 vcc, s8, v3
	s_mov_b64 s[8:9], 0
                                        ; implicit-def: $vgpr2
	s_and_saveexec_b64 s[10:11], vcc
	s_xor_b64 s[10:11], exec, s[10:11]
	s_cbranch_execz .LBB6_2133
; %bb.2067:
	v_bfe_u32 v2, v3, 20, 1
	s_mov_b32 s13, 0x487ffff
	v_add3_u32 v2, v3, v2, s13
	s_mov_b64 s[8:9], exec
	v_lshrrev_b32_e32 v2, 20, v2
                                        ; implicit-def: $vgpr3
	s_andn2_saveexec_b64 s[10:11], s[10:11]
	s_cbranch_execnz .LBB6_2134
.LBB6_2068:
	s_or_b64 exec, exec, s[10:11]
	v_mov_b32_e32 v4, 0
	s_and_saveexec_b64 s[10:11], s[8:9]
.LBB6_2069:
	v_mov_b32_e32 v4, v2
.LBB6_2070:
	s_or_b64 exec, exec, s[10:11]
.LBB6_2071:
	s_or_b64 exec, exec, s[4:5]
	global_store_byte v[0:1], v4, off
.LBB6_2072:
	s_mov_b64 s[4:5], 0
.LBB6_2073:
	s_and_b64 vcc, exec, s[4:5]
	s_cbranch_vccz .LBB6_2113
; %bb.2074:
	s_cmp_gt_i32 s12, 22
	s_mov_b64 s[2:3], -1
	s_cbranch_scc0 .LBB6_2106
; %bb.2075:
	s_cmp_lt_i32 s12, 24
	s_cbranch_scc1 .LBB6_2095
; %bb.2076:
	s_cmp_gt_i32 s12, 24
	s_cbranch_scc0 .LBB6_2084
; %bb.2077:
	v_cndmask_b32_e64 v3, 0, 1.0, s[24:25]
	s_mov_b32 s2, 0x47800000
	v_cmp_gt_u32_e32 vcc, s2, v3
	v_mov_b32_e32 v4, 0x80
	s_and_saveexec_b64 s[2:3], vcc
	s_cbranch_execz .LBB6_2083
; %bb.2078:
	s_mov_b32 s4, 0x37ffffff
	v_cmp_lt_u32_e32 vcc, s4, v3
	s_mov_b64 s[4:5], 0
                                        ; implicit-def: $vgpr2
	s_and_saveexec_b64 s[8:9], vcc
	s_xor_b64 s[8:9], exec, s[8:9]
	s_cbranch_execz .LBB6_2136
; %bb.2079:
	v_bfe_u32 v2, v3, 21, 1
	s_mov_b32 s10, 0x88fffff
	v_add3_u32 v2, v3, v2, s10
	s_mov_b64 s[4:5], exec
	v_lshrrev_b32_e32 v2, 21, v2
                                        ; implicit-def: $vgpr3
	s_andn2_saveexec_b64 s[8:9], s[8:9]
	s_cbranch_execnz .LBB6_2137
.LBB6_2080:
	s_or_b64 exec, exec, s[8:9]
	v_mov_b32_e32 v4, 0
	s_and_saveexec_b64 s[8:9], s[4:5]
.LBB6_2081:
	v_mov_b32_e32 v4, v2
.LBB6_2082:
	s_or_b64 exec, exec, s[8:9]
.LBB6_2083:
	s_or_b64 exec, exec, s[2:3]
	s_mov_b64 s[2:3], 0
	global_store_byte v[0:1], v4, off
.LBB6_2084:
	s_and_b64 vcc, exec, s[2:3]
	s_cbranch_vccz .LBB6_2094
; %bb.2085:
	v_cndmask_b32_e64 v2, 0, 1.0, s[24:25]
	s_mov_b32 s2, 0x43f00000
	v_cmp_gt_u32_e32 vcc, s2, v2
                                        ; implicit-def: $vgpr3
	s_and_saveexec_b64 s[2:3], vcc
	s_xor_b64 s[2:3], exec, s[2:3]
	s_cbranch_execz .LBB6_2091
; %bb.2086:
	s_mov_b32 s4, 0x3c7fffff
	v_cmp_lt_u32_e32 vcc, s4, v2
                                        ; implicit-def: $vgpr3
	s_and_saveexec_b64 s[4:5], vcc
	s_xor_b64 s[4:5], exec, s[4:5]
; %bb.2087:
	v_bfe_u32 v3, v2, 20, 1
	s_mov_b32 s8, 0x407ffff
	v_add3_u32 v2, v2, v3, s8
	v_lshrrev_b32_e32 v3, 20, v2
	v_and_b32_e32 v2, 0xff00000, v2
	s_mov_b32 s8, 0x7f00000
	v_mov_b32_e32 v4, 0x7e
	v_cmp_ne_u32_e32 vcc, s8, v2
	v_cndmask_b32_e32 v3, v4, v3, vcc
                                        ; implicit-def: $vgpr2
; %bb.2088:
	s_andn2_saveexec_b64 s[4:5], s[4:5]
; %bb.2089:
	v_add_f32_e32 v3, 0x46800000, v2
; %bb.2090:
	s_or_b64 exec, exec, s[4:5]
                                        ; implicit-def: $vgpr2
.LBB6_2091:
	s_andn2_saveexec_b64 s[2:3], s[2:3]
; %bb.2092:
	s_mov_b32 s4, 0x7f800000
	v_mov_b32_e32 v3, 0x7e
	v_mov_b32_e32 v4, 0x7f
	v_cmp_lt_u32_e32 vcc, s4, v2
	v_cndmask_b32_e32 v3, v3, v4, vcc
; %bb.2093:
	s_or_b64 exec, exec, s[2:3]
	global_store_byte v[0:1], v3, off
.LBB6_2094:
	s_mov_b64 s[2:3], 0
.LBB6_2095:
	s_andn2_b64 vcc, exec, s[2:3]
	s_cbranch_vccnz .LBB6_2105
; %bb.2096:
	v_cndmask_b32_e64 v2, 0, 1.0, s[24:25]
	s_mov_b32 s2, 0x47800000
	v_cmp_gt_u32_e32 vcc, s2, v2
                                        ; implicit-def: $vgpr3
	s_and_saveexec_b64 s[2:3], vcc
	s_xor_b64 s[2:3], exec, s[2:3]
	s_cbranch_execz .LBB6_2102
; %bb.2097:
	s_mov_b32 s4, 0x387fffff
	v_cmp_lt_u32_e32 vcc, s4, v2
                                        ; implicit-def: $vgpr3
	s_and_saveexec_b64 s[4:5], vcc
	s_xor_b64 s[4:5], exec, s[4:5]
; %bb.2098:
	v_bfe_u32 v3, v2, 21, 1
	s_mov_b32 s8, 0x80fffff
	v_add3_u32 v2, v2, v3, s8
	v_lshrrev_b32_e32 v3, 21, v2
                                        ; implicit-def: $vgpr2
; %bb.2099:
	s_andn2_saveexec_b64 s[4:5], s[4:5]
; %bb.2100:
	v_add_f32_e32 v3, 0x43000000, v2
; %bb.2101:
	s_or_b64 exec, exec, s[4:5]
                                        ; implicit-def: $vgpr2
.LBB6_2102:
	s_andn2_saveexec_b64 s[2:3], s[2:3]
; %bb.2103:
	s_mov_b32 s4, 0x7f800000
	v_mov_b32_e32 v3, 0x7c
	v_mov_b32_e32 v4, 0x7f
	v_cmp_lt_u32_e32 vcc, s4, v2
	v_cndmask_b32_e32 v3, v3, v4, vcc
; %bb.2104:
	s_or_b64 exec, exec, s[2:3]
	global_store_byte v[0:1], v3, off
.LBB6_2105:
	s_mov_b64 s[2:3], 0
.LBB6_2106:
	s_andn2_b64 vcc, exec, s[2:3]
	s_mov_b64 s[2:3], 0
	s_cbranch_vccnz .LBB6_2113
; %bb.2107:
	s_cmp_gt_i32 s12, 14
	s_mov_b64 s[4:5], -1
	s_cbranch_scc0 .LBB6_2111
; %bb.2108:
	s_cmp_eq_u32 s12, 15
	s_mov_b64 s[0:1], -1
	s_cbranch_scc0 .LBB6_2110
; %bb.2109:
	v_cndmask_b32_e64 v2, 0, 1.0, s[24:25]
	v_bfe_u32 v3, v2, 16, 1
	s_movk_i32 s0, 0x7fff
	v_add3_u32 v2, v2, v3, s0
	global_store_short_d16_hi v[0:1], v2, off
	s_mov_b64 s[0:1], 0
.LBB6_2110:
	s_mov_b64 s[4:5], 0
.LBB6_2111:
	s_and_b64 vcc, exec, s[4:5]
	s_cbranch_vccz .LBB6_2113
; %bb.2112:
	s_cmp_lg_u32 s12, 11
	s_mov_b64 s[2:3], -1
	s_cselect_b64 s[0:1], -1, 0
.LBB6_2113:
	s_and_b64 vcc, exec, s[0:1]
	s_cbranch_vccnz .LBB6_2135
.LBB6_2114:
	s_mov_b64 s[0:1], 0
	s_branch .LBB6_1625
.LBB6_2115:
	s_mov_b64 s[0:1], 0
	s_branch .LBB6_1624
.LBB6_2116:
	s_mov_b64 s[2:3], 0
	s_mov_b64 s[0:1], -1
	s_branch .LBB6_1625
.LBB6_2117:
	s_trap 2
	s_or_b64 s[18:19], s[18:19], exec
	s_cbranch_execz .LBB6_1567
	s_branch .LBB6_1568
.LBB6_2118:
	s_andn2_saveexec_b64 s[26:27], s[26:27]
	s_cbranch_execz .LBB6_1708
.LBB6_2119:
	v_add_f32_e32 v3, 0x46000000, v4
	v_and_b32_e32 v3, 0xff, v3
	v_cmp_ne_u32_e32 vcc, 0, v3
	s_andn2_b64 s[14:15], s[14:15], exec
	s_and_b64 s[30:31], vcc, exec
	s_or_b64 s[14:15], s[14:15], s[30:31]
	s_or_b64 exec, exec, s[26:27]
	v_mov_b32_e32 v5, 0
	s_and_saveexec_b64 s[26:27], s[14:15]
	s_cbranch_execnz .LBB6_1709
	s_branch .LBB6_1710
.LBB6_2120:
	s_trap 2
	s_or_b64 s[18:19], s[18:19], exec
	s_cbranch_execz .LBB6_1756
	s_branch .LBB6_1757
.LBB6_2121:
	s_andn2_saveexec_b64 s[14:15], s[14:15]
	s_cbranch_execz .LBB6_1721
.LBB6_2122:
	v_add_f32_e32 v3, 0x42800000, v4
	v_and_b32_e32 v3, 0xff, v3
	v_cmp_ne_u32_e32 vcc, 0, v3
	s_andn2_b64 s[10:11], s[10:11], exec
	s_and_b64 s[26:27], vcc, exec
	s_or_b64 s[10:11], s[10:11], s[26:27]
	s_or_b64 exec, exec, s[14:15]
	v_mov_b32_e32 v5, 0
	s_and_saveexec_b64 s[14:15], s[10:11]
	s_cbranch_execnz .LBB6_1722
	s_branch .LBB6_1723
.LBB6_2123:
	s_andn2_saveexec_b64 s[12:13], s[12:13]
	s_cbranch_execz .LBB6_1829
.LBB6_2124:
	v_add_f32_e32 v3, 0x46000000, v4
	v_and_b32_e32 v3, 0xff, v3
	v_cmp_ne_u32_e32 vcc, 0, v3
	s_andn2_b64 s[10:11], s[10:11], exec
	s_and_b64 s[26:27], vcc, exec
	s_or_b64 s[10:11], s[10:11], s[26:27]
	s_or_b64 exec, exec, s[12:13]
	v_mov_b32_e32 v5, 0
	s_and_saveexec_b64 s[12:13], s[10:11]
	s_cbranch_execnz .LBB6_1830
	s_branch .LBB6_1831
.LBB6_2125:
	s_trap 2
	s_or_b64 s[18:19], s[18:19], exec
	s_cbranch_execz .LBB6_1877
	s_branch .LBB6_1878
.LBB6_2126:
	s_andn2_saveexec_b64 s[10:11], s[10:11]
	s_cbranch_execz .LBB6_1842
.LBB6_2127:
	v_add_f32_e32 v3, 0x42800000, v4
	v_and_b32_e32 v3, 0xff, v3
	v_cmp_ne_u32_e32 vcc, 0, v3
	s_andn2_b64 s[4:5], s[4:5], exec
	s_and_b64 s[12:13], vcc, exec
	s_or_b64 s[4:5], s[4:5], s[12:13]
	s_or_b64 exec, exec, s[10:11]
	v_mov_b32_e32 v5, 0
	s_and_saveexec_b64 s[10:11], s[4:5]
	s_cbranch_execnz .LBB6_1843
	s_branch .LBB6_1844
.LBB6_2128:
	s_andn2_saveexec_b64 s[12:13], s[12:13]
	s_cbranch_execz .LBB6_1948
.LBB6_2129:
	v_add_f32_e32 v3, 0x46000000, v4
	v_and_b32_e32 v3, 0xff, v3
	v_cmp_ne_u32_e32 vcc, 0, v3
	s_andn2_b64 s[10:11], s[10:11], exec
	s_and_b64 s[20:21], vcc, exec
	s_or_b64 s[10:11], s[10:11], s[20:21]
	s_or_b64 exec, exec, s[12:13]
	v_mov_b32_e32 v5, 0
	s_and_saveexec_b64 s[12:13], s[10:11]
	s_cbranch_execnz .LBB6_1949
	s_branch .LBB6_1950
.LBB6_2130:
	s_trap 2
	s_or_b64 s[18:19], s[18:19], exec
	s_cbranch_execz .LBB6_1996
	s_branch .LBB6_1997
.LBB6_2131:
	s_andn2_saveexec_b64 s[10:11], s[10:11]
	s_cbranch_execz .LBB6_1961
.LBB6_2132:
	v_add_f32_e32 v3, 0x42800000, v4
	v_and_b32_e32 v3, 0xff, v3
	v_cmp_ne_u32_e32 vcc, 0, v3
	s_andn2_b64 s[4:5], s[4:5], exec
	s_and_b64 s[12:13], vcc, exec
	s_or_b64 s[4:5], s[4:5], s[12:13]
	s_or_b64 exec, exec, s[10:11]
	v_mov_b32_e32 v5, 0
	s_and_saveexec_b64 s[10:11], s[4:5]
	s_cbranch_execnz .LBB6_1962
	s_branch .LBB6_1963
.LBB6_2133:
	s_andn2_saveexec_b64 s[10:11], s[10:11]
	s_cbranch_execz .LBB6_2068
.LBB6_2134:
	v_add_f32_e32 v2, 0x46000000, v3
	v_and_b32_e32 v2, 0xff, v2
	v_cmp_ne_u32_e32 vcc, 0, v2
	s_andn2_b64 s[8:9], s[8:9], exec
	s_and_b64 s[14:15], vcc, exec
	s_or_b64 s[8:9], s[8:9], s[14:15]
	s_or_b64 exec, exec, s[10:11]
	v_mov_b32_e32 v4, 0
	s_and_saveexec_b64 s[10:11], s[8:9]
	s_cbranch_execnz .LBB6_2069
	s_branch .LBB6_2070
.LBB6_2135:
	s_mov_b64 s[2:3], 0
	s_or_b64 s[18:19], s[18:19], exec
	s_trap 2
	s_branch .LBB6_2114
.LBB6_2136:
	s_andn2_saveexec_b64 s[8:9], s[8:9]
	s_cbranch_execz .LBB6_2080
.LBB6_2137:
	v_add_f32_e32 v2, 0x42800000, v3
	v_and_b32_e32 v2, 0xff, v2
	v_cmp_ne_u32_e32 vcc, 0, v2
	s_andn2_b64 s[4:5], s[4:5], exec
	s_and_b64 s[10:11], vcc, exec
	s_or_b64 s[4:5], s[4:5], s[10:11]
	s_or_b64 exec, exec, s[8:9]
	v_mov_b32_e32 v4, 0
	s_and_saveexec_b64 s[8:9], s[4:5]
	s_cbranch_execnz .LBB6_2081
	s_branch .LBB6_2082
	.section	.rodata,"a",@progbits
	.p2align	6, 0x0
	.amdhsa_kernel _ZN2at6native32elementwise_kernel_manual_unrollILi128ELi4EZNS0_15gpu_kernel_implIZNS0_21compare_scalar_kernelIhEEvRNS_18TensorIteratorBaseENS0_12_GLOBAL__N_16OpTypeET_EUlhE_EEvS5_RKS8_EUlibE_EEviT1_
		.amdhsa_group_segment_fixed_size 0
		.amdhsa_private_segment_fixed_size 0
		.amdhsa_kernarg_size 48
		.amdhsa_user_sgpr_count 6
		.amdhsa_user_sgpr_private_segment_buffer 1
		.amdhsa_user_sgpr_dispatch_ptr 0
		.amdhsa_user_sgpr_queue_ptr 0
		.amdhsa_user_sgpr_kernarg_segment_ptr 1
		.amdhsa_user_sgpr_dispatch_id 0
		.amdhsa_user_sgpr_flat_scratch_init 0
		.amdhsa_user_sgpr_private_segment_size 0
		.amdhsa_uses_dynamic_stack 0
		.amdhsa_system_sgpr_private_segment_wavefront_offset 0
		.amdhsa_system_sgpr_workgroup_id_x 1
		.amdhsa_system_sgpr_workgroup_id_y 0
		.amdhsa_system_sgpr_workgroup_id_z 0
		.amdhsa_system_sgpr_workgroup_info 0
		.amdhsa_system_vgpr_workitem_id 0
		.amdhsa_next_free_vgpr 10
		.amdhsa_next_free_sgpr 46
		.amdhsa_reserve_vcc 1
		.amdhsa_reserve_flat_scratch 0
		.amdhsa_float_round_mode_32 0
		.amdhsa_float_round_mode_16_64 0
		.amdhsa_float_denorm_mode_32 3
		.amdhsa_float_denorm_mode_16_64 3
		.amdhsa_dx10_clamp 1
		.amdhsa_ieee_mode 1
		.amdhsa_fp16_overflow 0
		.amdhsa_exception_fp_ieee_invalid_op 0
		.amdhsa_exception_fp_denorm_src 0
		.amdhsa_exception_fp_ieee_div_zero 0
		.amdhsa_exception_fp_ieee_overflow 0
		.amdhsa_exception_fp_ieee_underflow 0
		.amdhsa_exception_fp_ieee_inexact 0
		.amdhsa_exception_int_div_zero 0
	.end_amdhsa_kernel
	.section	.text._ZN2at6native32elementwise_kernel_manual_unrollILi128ELi4EZNS0_15gpu_kernel_implIZNS0_21compare_scalar_kernelIhEEvRNS_18TensorIteratorBaseENS0_12_GLOBAL__N_16OpTypeET_EUlhE_EEvS5_RKS8_EUlibE_EEviT1_,"axG",@progbits,_ZN2at6native32elementwise_kernel_manual_unrollILi128ELi4EZNS0_15gpu_kernel_implIZNS0_21compare_scalar_kernelIhEEvRNS_18TensorIteratorBaseENS0_12_GLOBAL__N_16OpTypeET_EUlhE_EEvS5_RKS8_EUlibE_EEviT1_,comdat
.Lfunc_end6:
	.size	_ZN2at6native32elementwise_kernel_manual_unrollILi128ELi4EZNS0_15gpu_kernel_implIZNS0_21compare_scalar_kernelIhEEvRNS_18TensorIteratorBaseENS0_12_GLOBAL__N_16OpTypeET_EUlhE_EEvS5_RKS8_EUlibE_EEviT1_, .Lfunc_end6-_ZN2at6native32elementwise_kernel_manual_unrollILi128ELi4EZNS0_15gpu_kernel_implIZNS0_21compare_scalar_kernelIhEEvRNS_18TensorIteratorBaseENS0_12_GLOBAL__N_16OpTypeET_EUlhE_EEvS5_RKS8_EUlibE_EEviT1_
                                        ; -- End function
	.set _ZN2at6native32elementwise_kernel_manual_unrollILi128ELi4EZNS0_15gpu_kernel_implIZNS0_21compare_scalar_kernelIhEEvRNS_18TensorIteratorBaseENS0_12_GLOBAL__N_16OpTypeET_EUlhE_EEvS5_RKS8_EUlibE_EEviT1_.num_vgpr, 10
	.set _ZN2at6native32elementwise_kernel_manual_unrollILi128ELi4EZNS0_15gpu_kernel_implIZNS0_21compare_scalar_kernelIhEEvRNS_18TensorIteratorBaseENS0_12_GLOBAL__N_16OpTypeET_EUlhE_EEvS5_RKS8_EUlibE_EEviT1_.num_agpr, 0
	.set _ZN2at6native32elementwise_kernel_manual_unrollILi128ELi4EZNS0_15gpu_kernel_implIZNS0_21compare_scalar_kernelIhEEvRNS_18TensorIteratorBaseENS0_12_GLOBAL__N_16OpTypeET_EUlhE_EEvS5_RKS8_EUlibE_EEviT1_.numbered_sgpr, 46
	.set _ZN2at6native32elementwise_kernel_manual_unrollILi128ELi4EZNS0_15gpu_kernel_implIZNS0_21compare_scalar_kernelIhEEvRNS_18TensorIteratorBaseENS0_12_GLOBAL__N_16OpTypeET_EUlhE_EEvS5_RKS8_EUlibE_EEviT1_.num_named_barrier, 0
	.set _ZN2at6native32elementwise_kernel_manual_unrollILi128ELi4EZNS0_15gpu_kernel_implIZNS0_21compare_scalar_kernelIhEEvRNS_18TensorIteratorBaseENS0_12_GLOBAL__N_16OpTypeET_EUlhE_EEvS5_RKS8_EUlibE_EEviT1_.private_seg_size, 0
	.set _ZN2at6native32elementwise_kernel_manual_unrollILi128ELi4EZNS0_15gpu_kernel_implIZNS0_21compare_scalar_kernelIhEEvRNS_18TensorIteratorBaseENS0_12_GLOBAL__N_16OpTypeET_EUlhE_EEvS5_RKS8_EUlibE_EEviT1_.uses_vcc, 1
	.set _ZN2at6native32elementwise_kernel_manual_unrollILi128ELi4EZNS0_15gpu_kernel_implIZNS0_21compare_scalar_kernelIhEEvRNS_18TensorIteratorBaseENS0_12_GLOBAL__N_16OpTypeET_EUlhE_EEvS5_RKS8_EUlibE_EEviT1_.uses_flat_scratch, 0
	.set _ZN2at6native32elementwise_kernel_manual_unrollILi128ELi4EZNS0_15gpu_kernel_implIZNS0_21compare_scalar_kernelIhEEvRNS_18TensorIteratorBaseENS0_12_GLOBAL__N_16OpTypeET_EUlhE_EEvS5_RKS8_EUlibE_EEviT1_.has_dyn_sized_stack, 0
	.set _ZN2at6native32elementwise_kernel_manual_unrollILi128ELi4EZNS0_15gpu_kernel_implIZNS0_21compare_scalar_kernelIhEEvRNS_18TensorIteratorBaseENS0_12_GLOBAL__N_16OpTypeET_EUlhE_EEvS5_RKS8_EUlibE_EEviT1_.has_recursion, 0
	.set _ZN2at6native32elementwise_kernel_manual_unrollILi128ELi4EZNS0_15gpu_kernel_implIZNS0_21compare_scalar_kernelIhEEvRNS_18TensorIteratorBaseENS0_12_GLOBAL__N_16OpTypeET_EUlhE_EEvS5_RKS8_EUlibE_EEviT1_.has_indirect_call, 0
	.section	.AMDGPU.csdata,"",@progbits
; Kernel info:
; codeLenInByte = 35448
; TotalNumSgprs: 50
; NumVgprs: 10
; ScratchSize: 0
; MemoryBound: 1
; FloatMode: 240
; IeeeMode: 1
; LDSByteSize: 0 bytes/workgroup (compile time only)
; SGPRBlocks: 6
; VGPRBlocks: 2
; NumSGPRsForWavesPerEU: 50
; NumVGPRsForWavesPerEU: 10
; Occupancy: 10
; WaveLimiterHint : 0
; COMPUTE_PGM_RSRC2:SCRATCH_EN: 0
; COMPUTE_PGM_RSRC2:USER_SGPR: 6
; COMPUTE_PGM_RSRC2:TRAP_HANDLER: 0
; COMPUTE_PGM_RSRC2:TGID_X_EN: 1
; COMPUTE_PGM_RSRC2:TGID_Y_EN: 0
; COMPUTE_PGM_RSRC2:TGID_Z_EN: 0
; COMPUTE_PGM_RSRC2:TIDIG_COMP_CNT: 0
	.section	.text._ZN2at6native32elementwise_kernel_manual_unrollILi128ELi4EZNS0_15gpu_kernel_implIZNS0_21compare_scalar_kernelIhEEvRNS_18TensorIteratorBaseENS0_12_GLOBAL__N_16OpTypeET_EUlhE_EEvS5_RKS8_EUlibE0_EEviT1_,"axG",@progbits,_ZN2at6native32elementwise_kernel_manual_unrollILi128ELi4EZNS0_15gpu_kernel_implIZNS0_21compare_scalar_kernelIhEEvRNS_18TensorIteratorBaseENS0_12_GLOBAL__N_16OpTypeET_EUlhE_EEvS5_RKS8_EUlibE0_EEviT1_,comdat
	.globl	_ZN2at6native32elementwise_kernel_manual_unrollILi128ELi4EZNS0_15gpu_kernel_implIZNS0_21compare_scalar_kernelIhEEvRNS_18TensorIteratorBaseENS0_12_GLOBAL__N_16OpTypeET_EUlhE_EEvS5_RKS8_EUlibE0_EEviT1_ ; -- Begin function _ZN2at6native32elementwise_kernel_manual_unrollILi128ELi4EZNS0_15gpu_kernel_implIZNS0_21compare_scalar_kernelIhEEvRNS_18TensorIteratorBaseENS0_12_GLOBAL__N_16OpTypeET_EUlhE_EEvS5_RKS8_EUlibE0_EEviT1_
	.p2align	8
	.type	_ZN2at6native32elementwise_kernel_manual_unrollILi128ELi4EZNS0_15gpu_kernel_implIZNS0_21compare_scalar_kernelIhEEvRNS_18TensorIteratorBaseENS0_12_GLOBAL__N_16OpTypeET_EUlhE_EEvS5_RKS8_EUlibE0_EEviT1_,@function
_ZN2at6native32elementwise_kernel_manual_unrollILi128ELi4EZNS0_15gpu_kernel_implIZNS0_21compare_scalar_kernelIhEEvRNS_18TensorIteratorBaseENS0_12_GLOBAL__N_16OpTypeET_EUlhE_EEvS5_RKS8_EUlibE0_EEviT1_: ; @_ZN2at6native32elementwise_kernel_manual_unrollILi128ELi4EZNS0_15gpu_kernel_implIZNS0_21compare_scalar_kernelIhEEvRNS_18TensorIteratorBaseENS0_12_GLOBAL__N_16OpTypeET_EUlhE_EEvS5_RKS8_EUlibE0_EEviT1_
; %bb.0:
	s_load_dword s72, s[4:5], 0x0
	s_load_dword s33, s[4:5], 0x8
	s_add_u32 s34, s4, 8
	s_addc_u32 s35, s5, 0
	v_lshl_or_b32 v8, s6, 9, v0
	v_or_b32_e32 v15, 0x180, v8
	s_waitcnt lgkmcnt(0)
	s_add_i32 s74, s33, -1
	s_cmp_gt_u32 s74, 1
	v_cmp_le_i32_e32 vcc, s72, v15
	s_cselect_b64 s[40:41], -1, 0
	s_mov_b64 s[6:7], 0
	s_mov_b64 s[28:29], 0
	s_and_saveexec_b64 s[0:1], vcc
	s_xor_b64 s[42:43], exec, s[0:1]
	s_cbranch_execz .LBB7_1135
; %bb.1:
	s_load_dwordx4 s[28:31], s[34:35], 0x4
	s_load_dwordx2 s[46:47], s[34:35], 0x14
	s_load_dwordx2 s[44:45], s[34:35], 0x158
	s_load_dword s75, s[34:35], 0x160
	s_cmp_lg_u32 s33, 0
	s_load_dwordx4 s[36:39], s[34:35], 0xc4
	s_load_dwordx4 s[24:27], s[34:35], 0x148
	s_cselect_b64 s[52:53], -1, 0
	s_add_u32 s50, s34, 0xc4
	s_addc_u32 s51, s35, 0
	s_min_u32 s77, s74, 15
	s_cmp_gt_u32 s33, 1
	s_cselect_b64 s[48:49], -1, 0
	s_waitcnt lgkmcnt(0)
	s_bfe_u32 s76, s75, 0x80008
	v_cmp_gt_i32_e32 vcc, s72, v8
	s_mov_b64 s[2:3], -1
	s_mov_b64 s[62:63], 0
	s_mov_b64 s[56:57], 0
	;; [unrolled: 1-line block ×3, first 2 shown]
	s_and_saveexec_b64 s[58:59], vcc
	s_cbranch_execz .LBB7_278
; %bb.2:
	s_andn2_b64 vcc, exec, s[40:41]
	s_cbranch_vccnz .LBB7_7
; %bb.3:
	s_andn2_b64 vcc, exec, s[52:53]
	s_cbranch_vccnz .LBB7_8
; %bb.4:
	s_add_i32 s61, s77, 1
	s_cmp_eq_u32 s74, 2
	s_cbranch_scc1 .LBB7_9
; %bb.5:
	s_and_b32 s60, s61, 28
	v_mov_b32_e32 v2, 0
	s_mov_b32 s64, 0
	s_mov_b64 s[54:55], s[34:35]
	s_mov_b64 s[56:57], s[50:51]
	v_mov_b32_e32 v0, 0
	v_mov_b32_e32 v1, v8
.LBB7_6:                                ; =>This Inner Loop Header: Depth=1
	s_load_dwordx8 s[16:23], s[54:55], 0x4
	s_load_dwordx4 s[0:3], s[54:55], 0x24
	s_load_dwordx8 s[8:15], s[56:57], 0x0
	s_add_u32 s54, s54, 48
	s_addc_u32 s55, s55, 0
	s_waitcnt lgkmcnt(0)
	v_mul_hi_u32 v3, s17, v1
	s_add_i32 s64, s64, 4
	s_add_u32 s56, s56, 32
	s_addc_u32 s57, s57, 0
	v_add_u32_e32 v3, v1, v3
	v_lshrrev_b32_e32 v3, s18, v3
	v_mul_lo_u32 v4, v3, s16
	v_mul_hi_u32 v5, s20, v3
	s_cmp_lg_u32 s60, s64
	v_sub_u32_e32 v1, v1, v4
	v_add_u32_e32 v4, v3, v5
	v_mul_lo_u32 v5, v1, s8
	v_mul_lo_u32 v6, v1, s9
	v_lshrrev_b32_e32 v1, s21, v4
	v_mul_lo_u32 v4, v1, s19
	v_mul_hi_u32 v7, s23, v1
	v_sub_u32_e32 v3, v3, v4
	v_add_u32_e32 v4, v1, v7
	v_lshrrev_b32_e32 v4, s0, v4
	v_mul_hi_u32 v9, s2, v4
	v_mul_lo_u32 v10, v4, s22
	v_mul_lo_u32 v7, v3, s10
	;; [unrolled: 1-line block ×3, first 2 shown]
	v_sub_u32_e32 v10, v1, v10
	v_add_u32_e32 v1, v4, v9
	v_lshrrev_b32_e32 v1, s3, v1
	v_mul_lo_u32 v9, v1, s1
	v_mul_lo_u32 v11, v10, s12
	v_mul_lo_u32 v10, v10, s13
	v_add3_u32 v0, v5, v0, v7
	v_sub_u32_e32 v4, v4, v9
	v_mul_lo_u32 v9, v4, s14
	v_mul_lo_u32 v4, v4, s15
	v_add3_u32 v2, v6, v2, v3
	v_add3_u32 v0, v11, v0, v9
	;; [unrolled: 1-line block ×3, first 2 shown]
	s_cbranch_scc1 .LBB7_6
	s_branch .LBB7_10
.LBB7_7:
                                        ; implicit-def: $vgpr0
                                        ; implicit-def: $vgpr2
	s_branch .LBB7_14
.LBB7_8:
	v_mov_b32_e32 v0, 0
	v_mov_b32_e32 v2, 0
	s_branch .LBB7_13
.LBB7_9:
	s_mov_b32 s60, 0
	v_mov_b32_e32 v0, 0
	v_mov_b32_e32 v2, 0
	;; [unrolled: 1-line block ×3, first 2 shown]
.LBB7_10:
	s_and_b32 s8, s61, 3
	s_cmp_eq_u32 s8, 0
	s_cbranch_scc1 .LBB7_13
; %bb.11:
	s_lshl_b32 s0, s60, 3
	s_add_u32 s0, s34, s0
	s_addc_u32 s1, s35, 0
	s_add_u32 s0, s0, 0xc4
	s_addc_u32 s1, s1, 0
	s_mul_i32 s2, s60, 12
	s_add_u32 s2, s34, s2
	s_addc_u32 s3, s35, 0
.LBB7_12:                               ; =>This Inner Loop Header: Depth=1
	s_load_dwordx2 s[10:11], s[2:3], 0x4
	s_load_dword s9, s[2:3], 0xc
	s_load_dwordx2 s[12:13], s[0:1], 0x0
	s_add_u32 s2, s2, 12
	s_addc_u32 s3, s3, 0
	s_waitcnt lgkmcnt(0)
	v_mul_hi_u32 v3, s11, v1
	s_add_u32 s0, s0, 8
	s_addc_u32 s1, s1, 0
	s_add_i32 s8, s8, -1
	v_add_u32_e32 v3, v1, v3
	v_lshrrev_b32_e32 v4, s9, v3
	v_mul_lo_u32 v3, v4, s10
	s_cmp_lg_u32 s8, 0
	v_sub_u32_e32 v3, v1, v3
	v_mad_u64_u32 v[0:1], s[10:11], v3, s12, v[0:1]
	v_mad_u64_u32 v[2:3], s[10:11], v3, s13, v[2:3]
	v_mov_b32_e32 v1, v4
	s_cbranch_scc1 .LBB7_12
.LBB7_13:
	s_cbranch_execnz .LBB7_16
.LBB7_14:
	v_mul_hi_u32 v0, s29, v8
	s_andn2_b64 vcc, exec, s[48:49]
	v_add_u32_e32 v0, v8, v0
	v_lshrrev_b32_e32 v1, s30, v0
	v_mul_lo_u32 v0, v1, s28
	v_sub_u32_e32 v2, v8, v0
	v_mul_lo_u32 v0, v2, s36
	v_mul_lo_u32 v2, v2, s37
	s_cbranch_vccnz .LBB7_16
; %bb.15:
	v_mul_hi_u32 v3, s46, v1
	v_add_u32_e32 v3, v1, v3
	v_lshrrev_b32_e32 v3, s47, v3
	v_mul_lo_u32 v3, v3, s31
	v_sub_u32_e32 v3, v1, v3
	v_mad_u64_u32 v[0:1], s[0:1], v3, s38, v[0:1]
	v_mad_u64_u32 v[2:3], s[0:1], v3, s39, v[2:3]
.LBB7_16:
	v_mov_b32_e32 v3, s27
	s_and_b32 s10, 0xffff, s76
	v_add_co_u32_e32 v1, vcc, s26, v2
	s_cmp_lt_i32 s10, 11
	v_addc_co_u32_e32 v2, vcc, 0, v3, vcc
	s_cbranch_scc1 .LBB7_23
; %bb.17:
	s_cmp_gt_i32 s10, 25
	s_cbranch_scc0 .LBB7_29
; %bb.18:
	s_cmp_gt_i32 s10, 28
	s_cbranch_scc0 .LBB7_31
	;; [unrolled: 3-line block ×4, first 2 shown]
; %bb.21:
	s_cmp_eq_u32 s10, 46
	s_mov_b64 s[8:9], 0
	s_cbranch_scc0 .LBB7_57
; %bb.22:
	global_load_dword v3, v[1:2], off
	s_mov_b32 s0, 0x2f800000
	s_mov_b32 s1, 0xcf800000
	s_mov_b64 s[2:3], 0
	s_waitcnt vmcnt(0)
	v_lshlrev_b32_e32 v3, 16, v3
	v_trunc_f32_e32 v3, v3
	v_mul_f32_e64 v4, |v3|, s0
	v_floor_f32_e32 v4, v4
	v_fma_f32 v4, v4, s1, |v3|
	v_cvt_u32_f32_e32 v4, v4
	v_ashrrev_i32_e32 v3, 31, v3
	s_mov_b64 s[0:1], -1
	v_xor_b32_e32 v4, v4, v3
	v_sub_u32_e32 v3, v4, v3
	s_branch .LBB7_59
.LBB7_23:
	s_mov_b64 s[2:3], 0
                                        ; implicit-def: $vgpr3
	s_mov_b64 s[0:1], 0
	s_cbranch_execnz .LBB7_228
.LBB7_24:
	s_andn2_b64 vcc, exec, s[0:1]
	s_cbranch_vccnz .LBB7_275
.LBB7_25:
	s_cmp_lt_i32 s44, 1
	s_mov_b64 s[0:1], 0
	s_cbranch_scc1 .LBB7_30
; %bb.26:
	s_cmp_gt_i32 s44, 1
	s_cbranch_scc0 .LBB7_32
; %bb.27:
	s_cmp_eq_u32 s44, 2
	s_cbranch_scc0 .LBB7_34
; %bb.28:
	s_and_b32 s8, s45, 0xff
	s_waitcnt vmcnt(0)
	v_cmp_le_u16_sdwa s[8:9], v3, s8 src0_sel:BYTE_0 src1_sel:DWORD
	s_mov_b64 s[10:11], 0
	s_branch .LBB7_35
.LBB7_29:
	s_mov_b64 s[2:3], 0
	s_mov_b64 s[0:1], 0
                                        ; implicit-def: $vgpr3
	s_cbranch_execnz .LBB7_195
	s_branch .LBB7_227
.LBB7_30:
                                        ; implicit-def: $sgpr8_sgpr9
	s_mov_b64 s[10:11], 0
	s_cbranch_execnz .LBB7_39
	s_branch .LBB7_40
.LBB7_31:
	s_mov_b64 s[8:9], -1
	s_mov_b64 s[2:3], 0
	s_mov_b64 s[0:1], 0
                                        ; implicit-def: $vgpr3
	s_branch .LBB7_178
.LBB7_32:
	s_mov_b64 s[12:13], -1
	s_mov_b64 s[10:11], 0
                                        ; implicit-def: $sgpr8_sgpr9
	s_branch .LBB7_36
.LBB7_33:
	s_mov_b64 s[8:9], -1
	s_mov_b64 s[2:3], 0
	s_mov_b64 s[0:1], 0
                                        ; implicit-def: $vgpr3
	s_branch .LBB7_173
.LBB7_34:
	s_mov_b64 s[10:11], -1
                                        ; implicit-def: $sgpr8_sgpr9
.LBB7_35:
	s_mov_b64 s[12:13], 0
.LBB7_36:
	s_and_b64 vcc, exec, s[12:13]
	s_cbranch_vccz .LBB7_38
; %bb.37:
	s_and_b32 s12, s45, 0xff
	s_waitcnt vmcnt(0)
	v_cmp_gt_u16_sdwa s[12:13], v3, s12 src0_sel:BYTE_0 src1_sel:DWORD
	s_andn2_b64 s[8:9], s[8:9], exec
	s_and_b64 s[12:13], s[12:13], exec
	s_or_b64 s[8:9], s[8:9], s[12:13]
.LBB7_38:
	s_branch .LBB7_40
.LBB7_39:
	s_cmp_lg_u32 s44, 0
	s_mov_b64 s[0:1], -1
	s_cselect_b64 s[10:11], -1, 0
.LBB7_40:
	s_andn2_b64 vcc, exec, s[10:11]
	s_cbranch_vccnz .LBB7_42
; %bb.41:
	s_and_b32 s0, s45, 0xff
	s_waitcnt vmcnt(0)
	v_cmp_lt_u16_sdwa s[10:11], v3, s0 src0_sel:BYTE_0 src1_sel:DWORD
	s_andn2_b64 s[8:9], s[8:9], exec
	s_and_b64 s[10:11], s[10:11], exec
	s_or_b64 s[8:9], s[8:9], s[10:11]
	s_cbranch_execz .LBB7_43
	s_branch .LBB7_44
.LBB7_42:
	s_andn2_b64 vcc, exec, s[0:1]
	s_cbranch_vccnz .LBB7_44
.LBB7_43:
	s_and_b32 s0, s45, 0xff
	s_waitcnt vmcnt(0)
	v_cmp_ge_u16_sdwa s[0:1], v3, s0 src0_sel:BYTE_0 src1_sel:DWORD
	s_andn2_b64 s[8:9], s[8:9], exec
	s_and_b64 s[0:1], s[0:1], exec
	s_or_b64 s[8:9], s[8:9], s[0:1]
.LBB7_44:
	v_mov_b32_e32 v1, s25
	s_and_b32 s16, s75, 0xff
	v_add_co_u32_e32 v0, vcc, s24, v0
	s_cmp_lt_i32 s16, 11
	v_addc_co_u32_e32 v1, vcc, 0, v1, vcc
	s_cbranch_scc1 .LBB7_51
; %bb.45:
	s_and_b32 s17, 0xffff, s16
	s_cmp_gt_i32 s17, 25
	s_cbranch_scc0 .LBB7_53
; %bb.46:
	s_cmp_gt_i32 s17, 28
	s_cbranch_scc0 .LBB7_54
; %bb.47:
	;; [unrolled: 3-line block ×4, first 2 shown]
	s_mov_b64 s[12:13], 0
	s_mov_b64 s[0:1], -1
	s_cmp_eq_u32 s17, 46
	s_mov_b64 s[10:11], 0
	s_cbranch_scc0 .LBB7_63
; %bb.50:
	v_cndmask_b32_e64 v2, 0, 1.0, s[8:9]
	s_waitcnt vmcnt(0)
	v_bfe_u32 v3, v2, 16, 1
	s_movk_i32 s0, 0x7fff
	v_add3_u32 v2, v2, v3, s0
	v_lshrrev_b32_e32 v2, 16, v2
	global_store_dword v[0:1], v2, off
	s_mov_b64 s[10:11], -1
	s_mov_b64 s[0:1], 0
	s_branch .LBB7_63
.LBB7_51:
	s_mov_b64 s[0:1], 0
	s_mov_b64 s[10:11], 0
	s_cbranch_execnz .LBB7_132
.LBB7_52:
	s_andn2_b64 vcc, exec, s[10:11]
	s_cbranch_vccnz .LBB7_276
	s_branch .LBB7_170
.LBB7_53:
	s_mov_b64 s[12:13], -1
	s_mov_b64 s[0:1], 0
	s_mov_b64 s[10:11], 0
	s_branch .LBB7_90
.LBB7_54:
	s_mov_b64 s[12:13], -1
	s_mov_b64 s[0:1], 0
	s_mov_b64 s[10:11], 0
	s_branch .LBB7_73
.LBB7_55:
	s_mov_b64 s[8:9], -1
	s_mov_b64 s[2:3], 0
	s_branch .LBB7_58
.LBB7_56:
	s_mov_b64 s[12:13], -1
	s_mov_b64 s[0:1], 0
	s_mov_b64 s[10:11], 0
	s_branch .LBB7_69
.LBB7_57:
	s_mov_b64 s[2:3], -1
.LBB7_58:
	s_mov_b64 s[0:1], 0
                                        ; implicit-def: $vgpr3
.LBB7_59:
	s_and_b64 vcc, exec, s[8:9]
	s_cbranch_vccz .LBB7_172
; %bb.60:
	s_cmp_eq_u32 s10, 44
	s_cbranch_scc0 .LBB7_171
; %bb.61:
	global_load_ubyte v3, v[1:2], off
	s_mov_b32 s0, 0x2f800000
	s_mov_b32 s1, 0xcf800000
	s_mov_b64 s[2:3], 0
	s_waitcnt vmcnt(0)
	v_lshlrev_b32_e32 v4, 23, v3
	v_trunc_f32_e32 v4, v4
	v_mul_f32_e64 v5, |v4|, s0
	v_floor_f32_e32 v5, v5
	v_fma_f32 v5, v5, s1, |v4|
	v_cvt_u32_f32_e32 v5, v5
	v_ashrrev_i32_e32 v4, 31, v4
	v_cmp_ne_u32_e32 vcc, 0, v3
	s_mov_b64 s[0:1], -1
	v_xor_b32_e32 v5, v5, v4
	v_sub_u32_e32 v4, v5, v4
	v_cndmask_b32_e32 v3, 0, v4, vcc
	s_branch .LBB7_172
.LBB7_62:
	s_mov_b64 s[12:13], -1
	s_mov_b64 s[0:1], 0
	s_mov_b64 s[10:11], 0
.LBB7_63:
	s_and_b64 vcc, exec, s[12:13]
	s_cbranch_vccz .LBB7_68
; %bb.64:
	s_cmp_eq_u32 s17, 44
	s_mov_b64 s[0:1], -1
	s_cbranch_scc0 .LBB7_68
; %bb.65:
	s_waitcnt vmcnt(0)
	v_cndmask_b32_e64 v3, 0, 1.0, s[8:9]
	v_lshrrev_b32_e32 v2, 23, v3
	s_movk_i32 s0, 0xff
	v_cmp_ne_u32_e32 vcc, s0, v2
	v_mov_b32_e32 v4, 0xff
	s_and_saveexec_b64 s[10:11], vcc
; %bb.66:
	s_mov_b32 s0, 0x3fffff
	v_and_b32_e32 v4, 0x400000, v3
	v_and_or_b32 v3, v3, s0, v2
	v_cmp_ne_u32_e32 vcc, 0, v4
	v_cmp_ne_u32_e64 s[0:1], 0, v3
	s_and_b64 s[0:1], vcc, s[0:1]
	v_cndmask_b32_e64 v3, 0, 1, s[0:1]
	v_add_u32_e32 v4, v2, v3
; %bb.67:
	s_or_b64 exec, exec, s[10:11]
	s_mov_b64 s[10:11], -1
	s_mov_b64 s[0:1], 0
	global_store_byte v[0:1], v4, off
.LBB7_68:
	s_mov_b64 s[12:13], 0
.LBB7_69:
	s_and_b64 vcc, exec, s[12:13]
	s_cbranch_vccz .LBB7_72
; %bb.70:
	s_cmp_eq_u32 s17, 29
	s_mov_b64 s[0:1], -1
	s_cbranch_scc0 .LBB7_72
; %bb.71:
	s_mov_b32 s0, 0
	v_cndmask_b32_e64 v2, 0, 1, s[8:9]
	s_waitcnt vmcnt(0)
	v_mov_b32_e32 v3, s0
	global_store_dwordx2 v[0:1], v[2:3], off
	s_mov_b64 s[10:11], -1
	s_mov_b64 s[0:1], 0
.LBB7_72:
	s_mov_b64 s[12:13], 0
.LBB7_73:
	s_and_b64 vcc, exec, s[12:13]
	s_cbranch_vccz .LBB7_89
; %bb.74:
	s_cmp_lt_i32 s17, 27
	s_mov_b64 s[10:11], -1
	s_cbranch_scc1 .LBB7_80
; %bb.75:
	s_cmp_gt_i32 s17, 27
	s_cbranch_scc0 .LBB7_77
; %bb.76:
	v_cndmask_b32_e64 v2, 0, 1, s[8:9]
	s_mov_b64 s[10:11], 0
	global_store_dword v[0:1], v2, off
.LBB7_77:
	s_andn2_b64 vcc, exec, s[10:11]
	s_cbranch_vccnz .LBB7_79
; %bb.78:
	v_cndmask_b32_e64 v2, 0, 1, s[8:9]
	global_store_short v[0:1], v2, off
.LBB7_79:
	s_mov_b64 s[10:11], 0
.LBB7_80:
	s_andn2_b64 vcc, exec, s[10:11]
	s_cbranch_vccnz .LBB7_88
; %bb.81:
	s_waitcnt vmcnt(0)
	v_cndmask_b32_e64 v3, 0, 1.0, s[8:9]
	s_mov_b32 s10, 0x43800000
	v_cmp_gt_u32_e32 vcc, s10, v3
	v_mov_b32_e32 v4, 0x80
	s_and_saveexec_b64 s[10:11], vcc
	s_cbranch_execz .LBB7_87
; %bb.82:
	s_mov_b32 s12, 0x3bffffff
	v_cmp_lt_u32_e32 vcc, s12, v3
	s_mov_b64 s[12:13], 0
                                        ; implicit-def: $vgpr2
	s_and_saveexec_b64 s[14:15], vcc
	s_xor_b64 s[14:15], exec, s[14:15]
	s_cbranch_execz .LBB7_335
; %bb.83:
	v_bfe_u32 v2, v3, 20, 1
	s_mov_b32 s18, 0x487ffff
	v_add3_u32 v2, v3, v2, s18
	s_mov_b64 s[12:13], exec
	v_lshrrev_b32_e32 v2, 20, v2
                                        ; implicit-def: $vgpr3
	s_andn2_saveexec_b64 s[14:15], s[14:15]
	s_cbranch_execnz .LBB7_336
.LBB7_84:
	s_or_b64 exec, exec, s[14:15]
	v_mov_b32_e32 v4, 0
	s_and_saveexec_b64 s[14:15], s[12:13]
.LBB7_85:
	v_mov_b32_e32 v4, v2
.LBB7_86:
	s_or_b64 exec, exec, s[14:15]
.LBB7_87:
	s_or_b64 exec, exec, s[10:11]
	global_store_byte v[0:1], v4, off
.LBB7_88:
	s_mov_b64 s[10:11], -1
.LBB7_89:
	s_mov_b64 s[12:13], 0
.LBB7_90:
	s_and_b64 vcc, exec, s[12:13]
	s_cbranch_vccz .LBB7_131
; %bb.91:
	s_cmp_gt_i32 s17, 22
	s_mov_b64 s[12:13], -1
	s_cbranch_scc0 .LBB7_123
; %bb.92:
	s_cmp_lt_i32 s17, 24
	s_mov_b64 s[10:11], -1
	s_cbranch_scc1 .LBB7_112
; %bb.93:
	s_cmp_gt_i32 s17, 24
	s_cbranch_scc0 .LBB7_101
; %bb.94:
	s_waitcnt vmcnt(0)
	v_cndmask_b32_e64 v3, 0, 1.0, s[8:9]
	s_mov_b32 s10, 0x47800000
	v_cmp_gt_u32_e32 vcc, s10, v3
	v_mov_b32_e32 v4, 0x80
	s_and_saveexec_b64 s[10:11], vcc
	s_cbranch_execz .LBB7_100
; %bb.95:
	s_mov_b32 s12, 0x37ffffff
	v_cmp_lt_u32_e32 vcc, s12, v3
	s_mov_b64 s[12:13], 0
                                        ; implicit-def: $vgpr2
	s_and_saveexec_b64 s[14:15], vcc
	s_xor_b64 s[14:15], exec, s[14:15]
	s_cbranch_execz .LBB7_339
; %bb.96:
	v_bfe_u32 v2, v3, 21, 1
	s_mov_b32 s18, 0x88fffff
	v_add3_u32 v2, v3, v2, s18
	s_mov_b64 s[12:13], exec
	v_lshrrev_b32_e32 v2, 21, v2
                                        ; implicit-def: $vgpr3
	s_andn2_saveexec_b64 s[14:15], s[14:15]
	s_cbranch_execnz .LBB7_340
.LBB7_97:
	s_or_b64 exec, exec, s[14:15]
	v_mov_b32_e32 v4, 0
	s_and_saveexec_b64 s[14:15], s[12:13]
.LBB7_98:
	v_mov_b32_e32 v4, v2
.LBB7_99:
	s_or_b64 exec, exec, s[14:15]
.LBB7_100:
	s_or_b64 exec, exec, s[10:11]
	s_mov_b64 s[10:11], 0
	global_store_byte v[0:1], v4, off
.LBB7_101:
	s_and_b64 vcc, exec, s[10:11]
	s_cbranch_vccz .LBB7_111
; %bb.102:
	v_cndmask_b32_e64 v2, 0, 1.0, s[8:9]
	s_mov_b32 s10, 0x43f00000
	v_cmp_gt_u32_e32 vcc, s10, v2
                                        ; implicit-def: $vgpr3
	s_and_saveexec_b64 s[10:11], vcc
	s_xor_b64 s[10:11], exec, s[10:11]
	s_cbranch_execz .LBB7_108
; %bb.103:
	s_mov_b32 s12, 0x3c7fffff
	v_cmp_lt_u32_e32 vcc, s12, v2
                                        ; implicit-def: $vgpr3
	s_and_saveexec_b64 s[12:13], vcc
	s_xor_b64 s[12:13], exec, s[12:13]
	s_cbranch_execz .LBB7_105
; %bb.104:
	s_waitcnt vmcnt(0)
	v_bfe_u32 v3, v2, 20, 1
	s_mov_b32 s14, 0x407ffff
	v_add3_u32 v2, v2, v3, s14
	v_lshrrev_b32_e32 v3, 20, v2
	v_and_b32_e32 v2, 0xff00000, v2
	s_mov_b32 s14, 0x7f00000
	v_mov_b32_e32 v4, 0x7e
	v_cmp_ne_u32_e32 vcc, s14, v2
	v_cndmask_b32_e32 v3, v4, v3, vcc
                                        ; implicit-def: $vgpr2
.LBB7_105:
	s_andn2_saveexec_b64 s[12:13], s[12:13]
	s_cbranch_execz .LBB7_107
; %bb.106:
	s_waitcnt vmcnt(0)
	v_add_f32_e32 v3, 0x46800000, v2
.LBB7_107:
	s_or_b64 exec, exec, s[12:13]
                                        ; implicit-def: $vgpr2
.LBB7_108:
	s_andn2_saveexec_b64 s[10:11], s[10:11]
	s_cbranch_execz .LBB7_110
; %bb.109:
	s_mov_b32 s12, 0x7f800000
	s_waitcnt vmcnt(0)
	v_mov_b32_e32 v3, 0x7e
	v_mov_b32_e32 v4, 0x7f
	v_cmp_lt_u32_e32 vcc, s12, v2
	v_cndmask_b32_e32 v3, v3, v4, vcc
.LBB7_110:
	s_or_b64 exec, exec, s[10:11]
	s_waitcnt vmcnt(0)
	global_store_byte v[0:1], v3, off
.LBB7_111:
	s_mov_b64 s[10:11], 0
.LBB7_112:
	s_andn2_b64 vcc, exec, s[10:11]
	s_cbranch_vccnz .LBB7_122
; %bb.113:
	v_cndmask_b32_e64 v2, 0, 1.0, s[8:9]
	s_mov_b32 s10, 0x47800000
	v_cmp_gt_u32_e32 vcc, s10, v2
                                        ; implicit-def: $vgpr3
	s_and_saveexec_b64 s[10:11], vcc
	s_xor_b64 s[10:11], exec, s[10:11]
	s_cbranch_execz .LBB7_119
; %bb.114:
	s_mov_b32 s12, 0x387fffff
	v_cmp_lt_u32_e32 vcc, s12, v2
                                        ; implicit-def: $vgpr3
	s_and_saveexec_b64 s[12:13], vcc
	s_xor_b64 s[12:13], exec, s[12:13]
	s_cbranch_execz .LBB7_116
; %bb.115:
	s_waitcnt vmcnt(0)
	v_bfe_u32 v3, v2, 21, 1
	s_mov_b32 s14, 0x80fffff
	v_add3_u32 v2, v2, v3, s14
	v_lshrrev_b32_e32 v3, 21, v2
                                        ; implicit-def: $vgpr2
.LBB7_116:
	s_andn2_saveexec_b64 s[12:13], s[12:13]
	s_cbranch_execz .LBB7_118
; %bb.117:
	s_waitcnt vmcnt(0)
	v_add_f32_e32 v3, 0x43000000, v2
.LBB7_118:
	s_or_b64 exec, exec, s[12:13]
                                        ; implicit-def: $vgpr2
.LBB7_119:
	s_andn2_saveexec_b64 s[10:11], s[10:11]
	s_cbranch_execz .LBB7_121
; %bb.120:
	s_mov_b32 s12, 0x7f800000
	s_waitcnt vmcnt(0)
	v_mov_b32_e32 v3, 0x7c
	v_mov_b32_e32 v4, 0x7f
	v_cmp_lt_u32_e32 vcc, s12, v2
	v_cndmask_b32_e32 v3, v3, v4, vcc
.LBB7_121:
	s_or_b64 exec, exec, s[10:11]
	s_waitcnt vmcnt(0)
	global_store_byte v[0:1], v3, off
.LBB7_122:
	s_mov_b64 s[12:13], 0
	s_mov_b64 s[10:11], -1
.LBB7_123:
	s_andn2_b64 vcc, exec, s[12:13]
	s_cbranch_vccnz .LBB7_131
; %bb.124:
	s_cmp_gt_i32 s17, 14
	s_mov_b64 s[12:13], -1
	s_cbranch_scc0 .LBB7_128
; %bb.125:
	s_cmp_eq_u32 s17, 15
	s_mov_b64 s[0:1], -1
	s_cbranch_scc0 .LBB7_127
; %bb.126:
	v_cndmask_b32_e64 v2, 0, 1.0, s[8:9]
	s_waitcnt vmcnt(0)
	v_bfe_u32 v3, v2, 16, 1
	s_movk_i32 s0, 0x7fff
	v_add3_u32 v2, v2, v3, s0
	global_store_short_d16_hi v[0:1], v2, off
	s_mov_b64 s[10:11], -1
	s_mov_b64 s[0:1], 0
.LBB7_127:
	s_mov_b64 s[12:13], 0
.LBB7_128:
	s_and_b64 vcc, exec, s[12:13]
	s_cbranch_vccz .LBB7_131
; %bb.129:
	s_cmp_eq_u32 s17, 11
	s_mov_b64 s[0:1], -1
	s_cbranch_scc0 .LBB7_131
; %bb.130:
	v_cndmask_b32_e64 v2, 0, 1, s[8:9]
	s_mov_b64 s[10:11], -1
	s_mov_b64 s[0:1], 0
	global_store_byte v[0:1], v2, off
.LBB7_131:
	s_branch .LBB7_52
.LBB7_132:
	s_and_b32 s12, 0xffff, s16
	s_cmp_lt_i32 s12, 5
	s_mov_b64 s[10:11], -1
	s_cbranch_scc1 .LBB7_153
; %bb.133:
	s_cmp_lt_i32 s12, 8
	s_cbranch_scc1 .LBB7_143
; %bb.134:
	s_cmp_lt_i32 s12, 9
	s_cbranch_scc1 .LBB7_140
; %bb.135:
	s_cmp_gt_i32 s12, 9
	s_cbranch_scc0 .LBB7_137
; %bb.136:
	v_cndmask_b32_e64 v2, 0, 1, s[8:9]
	s_waitcnt vmcnt(0)
	v_cvt_f64_u32_e32 v[2:3], v2
	v_mov_b32_e32 v4, 0
	v_mov_b32_e32 v5, v4
	s_mov_b64 s[10:11], 0
	global_store_dwordx4 v[0:1], v[2:5], off
.LBB7_137:
	s_andn2_b64 vcc, exec, s[10:11]
	s_cbranch_vccnz .LBB7_139
; %bb.138:
	v_cndmask_b32_e64 v2, 0, 1.0, s[8:9]
	s_waitcnt vmcnt(0)
	v_mov_b32_e32 v3, 0
	global_store_dwordx2 v[0:1], v[2:3], off
.LBB7_139:
	s_mov_b64 s[10:11], 0
.LBB7_140:
	s_andn2_b64 vcc, exec, s[10:11]
	s_cbranch_vccnz .LBB7_142
; %bb.141:
	v_cndmask_b32_e64 v2, 0, 1.0, s[8:9]
	v_cvt_f16_f32_e32 v2, v2
	global_store_dword v[0:1], v2, off
.LBB7_142:
	s_mov_b64 s[10:11], 0
.LBB7_143:
	s_andn2_b64 vcc, exec, s[10:11]
	s_cbranch_vccnz .LBB7_152
; %bb.144:
	s_cmp_lt_i32 s12, 6
	s_mov_b64 s[10:11], -1
	s_cbranch_scc1 .LBB7_150
; %bb.145:
	s_cmp_gt_i32 s12, 6
	s_cbranch_scc0 .LBB7_147
; %bb.146:
	v_cndmask_b32_e64 v2, 0, 1, s[8:9]
	s_waitcnt vmcnt(0)
	v_cvt_f64_u32_e32 v[2:3], v2
	s_mov_b64 s[10:11], 0
	global_store_dwordx2 v[0:1], v[2:3], off
.LBB7_147:
	s_andn2_b64 vcc, exec, s[10:11]
	s_cbranch_vccnz .LBB7_149
; %bb.148:
	v_cndmask_b32_e64 v2, 0, 1.0, s[8:9]
	global_store_dword v[0:1], v2, off
.LBB7_149:
	s_mov_b64 s[10:11], 0
.LBB7_150:
	s_andn2_b64 vcc, exec, s[10:11]
	s_cbranch_vccnz .LBB7_152
; %bb.151:
	v_cndmask_b32_e64 v2, 0, 1.0, s[8:9]
	v_cvt_f16_f32_e32 v2, v2
	global_store_short v[0:1], v2, off
.LBB7_152:
	s_mov_b64 s[10:11], 0
.LBB7_153:
	s_andn2_b64 vcc, exec, s[10:11]
	s_cbranch_vccnz .LBB7_169
; %bb.154:
	s_cmp_lt_i32 s12, 2
	s_mov_b64 s[10:11], -1
	s_cbranch_scc1 .LBB7_164
; %bb.155:
	s_cmp_lt_i32 s12, 3
	s_cbranch_scc1 .LBB7_161
; %bb.156:
	s_cmp_gt_i32 s12, 3
	s_cbranch_scc0 .LBB7_158
; %bb.157:
	s_mov_b32 s10, 0
	v_cndmask_b32_e64 v2, 0, 1, s[8:9]
	s_waitcnt vmcnt(0)
	v_mov_b32_e32 v3, s10
	global_store_dwordx2 v[0:1], v[2:3], off
	s_mov_b64 s[10:11], 0
.LBB7_158:
	s_andn2_b64 vcc, exec, s[10:11]
	s_cbranch_vccnz .LBB7_160
; %bb.159:
	v_cndmask_b32_e64 v2, 0, 1, s[8:9]
	global_store_dword v[0:1], v2, off
.LBB7_160:
	s_mov_b64 s[10:11], 0
.LBB7_161:
	s_andn2_b64 vcc, exec, s[10:11]
	s_cbranch_vccnz .LBB7_163
; %bb.162:
	v_cndmask_b32_e64 v2, 0, 1, s[8:9]
	global_store_short v[0:1], v2, off
.LBB7_163:
	s_mov_b64 s[10:11], 0
.LBB7_164:
	s_andn2_b64 vcc, exec, s[10:11]
	s_cbranch_vccnz .LBB7_169
; %bb.165:
	s_cmp_gt_i32 s12, 0
	s_mov_b64 s[10:11], -1
	s_cbranch_scc0 .LBB7_167
; %bb.166:
	v_cndmask_b32_e64 v2, 0, 1, s[8:9]
	global_store_byte v[0:1], v2, off
	s_mov_b64 s[10:11], 0
.LBB7_167:
	s_andn2_b64 vcc, exec, s[10:11]
	s_cbranch_vccnz .LBB7_169
; %bb.168:
	v_cndmask_b32_e64 v2, 0, 1, s[8:9]
	global_store_byte v[0:1], v2, off
.LBB7_169:
.LBB7_170:
	v_add_u32_e32 v8, 0x80, v8
	s_mov_b64 s[8:9], -1
	s_branch .LBB7_277
.LBB7_171:
	s_mov_b64 s[2:3], -1
                                        ; implicit-def: $vgpr3
.LBB7_172:
	s_mov_b64 s[8:9], 0
.LBB7_173:
	s_and_b64 vcc, exec, s[8:9]
	s_cbranch_vccz .LBB7_177
; %bb.174:
	s_cmp_eq_u32 s10, 29
	s_cbranch_scc0 .LBB7_176
; %bb.175:
	global_load_dwordx2 v[3:4], v[1:2], off
	s_mov_b64 s[0:1], -1
	s_mov_b64 s[2:3], 0
	s_branch .LBB7_177
.LBB7_176:
	s_mov_b64 s[2:3], -1
                                        ; implicit-def: $vgpr3
.LBB7_177:
	s_mov_b64 s[8:9], 0
.LBB7_178:
	s_and_b64 vcc, exec, s[8:9]
	s_cbranch_vccz .LBB7_194
; %bb.179:
	s_cmp_lt_i32 s10, 27
	s_cbranch_scc1 .LBB7_182
; %bb.180:
	s_cmp_gt_i32 s10, 27
	s_cbranch_scc0 .LBB7_183
; %bb.181:
	global_load_dword v3, v[1:2], off
	s_mov_b64 s[0:1], 0
	s_branch .LBB7_184
.LBB7_182:
	s_mov_b64 s[0:1], -1
                                        ; implicit-def: $vgpr3
	s_branch .LBB7_187
.LBB7_183:
	s_mov_b64 s[0:1], -1
                                        ; implicit-def: $vgpr3
.LBB7_184:
	s_andn2_b64 vcc, exec, s[0:1]
	s_cbranch_vccnz .LBB7_186
; %bb.185:
	global_load_ushort v3, v[1:2], off
.LBB7_186:
	s_mov_b64 s[0:1], 0
.LBB7_187:
	s_andn2_b64 vcc, exec, s[0:1]
	s_cbranch_vccnz .LBB7_193
; %bb.188:
	global_load_ubyte v4, v[1:2], off
	s_movk_i32 s0, 0x7f
	s_mov_b64 s[8:9], 0
	s_waitcnt vmcnt(0)
	v_cmp_lt_i16_e32 vcc, s0, v4
	s_and_saveexec_b64 s[0:1], vcc
	s_xor_b64 s[0:1], exec, s[0:1]
	s_cbranch_execz .LBB7_204
; %bb.189:
	s_movk_i32 s8, 0x80
	v_cmp_ne_u16_e32 vcc, s8, v4
	s_and_b64 s[8:9], vcc, exec
	s_andn2_saveexec_b64 s[0:1], s[0:1]
	s_cbranch_execnz .LBB7_205
.LBB7_190:
	s_or_b64 exec, exec, s[0:1]
	v_mov_b32_e32 v3, 0
	s_and_saveexec_b64 s[0:1], s[8:9]
	s_cbranch_execz .LBB7_192
.LBB7_191:
	v_lshlrev_b32_e32 v3, 24, v4
	v_and_b32_e32 v4, 0xffff, v4
	v_and_b32_e32 v5, 7, v4
	v_ffbh_u32_e32 v7, v5
	v_min_u32_e32 v7, 32, v7
	v_subrev_u32_e32 v9, 28, v7
	v_bfe_u32 v6, v4, 3, 4
	v_lshlrev_b32_e32 v4, v9, v4
	v_sub_u32_e32 v7, 29, v7
	v_and_b32_e32 v4, 7, v4
	v_cmp_eq_u32_e32 vcc, 0, v6
	v_cndmask_b32_e32 v6, v6, v7, vcc
	v_cndmask_b32_e32 v4, v5, v4, vcc
	v_mov_b32_e32 v5, 0x3b800000
	v_lshlrev_b32_e32 v4, 20, v4
	v_and_b32_e32 v3, 0x80000000, v3
	v_lshl_add_u32 v5, v6, 23, v5
	v_or3_b32 v3, v3, v5, v4
	v_trunc_f32_e32 v3, v3
	s_mov_b32 s8, 0x2f800000
	v_mul_f32_e64 v4, |v3|, s8
	v_floor_f32_e32 v4, v4
	s_mov_b32 s8, 0xcf800000
	v_fma_f32 v4, v4, s8, |v3|
	v_cvt_u32_f32_e32 v4, v4
	v_ashrrev_i32_e32 v3, 31, v3
	v_xor_b32_e32 v4, v4, v3
	v_sub_u32_e32 v3, v4, v3
.LBB7_192:
	s_or_b64 exec, exec, s[0:1]
.LBB7_193:
	s_mov_b64 s[0:1], -1
.LBB7_194:
	s_branch .LBB7_227
.LBB7_195:
	s_cmp_gt_i32 s10, 22
	s_cbranch_scc0 .LBB7_203
; %bb.196:
	s_cmp_lt_i32 s10, 24
	s_cbranch_scc1 .LBB7_206
; %bb.197:
	s_cmp_gt_i32 s10, 24
	s_cbranch_scc0 .LBB7_207
; %bb.198:
	global_load_ubyte v4, v[1:2], off
	s_movk_i32 s0, 0x7f
	s_mov_b64 s[8:9], 0
	s_waitcnt vmcnt(0)
	v_cmp_lt_i16_e32 vcc, s0, v4
	s_and_saveexec_b64 s[0:1], vcc
	s_xor_b64 s[0:1], exec, s[0:1]
	s_cbranch_execz .LBB7_219
; %bb.199:
	s_movk_i32 s8, 0x80
	v_cmp_ne_u16_e32 vcc, s8, v4
	s_and_b64 s[8:9], vcc, exec
	s_andn2_saveexec_b64 s[0:1], s[0:1]
	s_cbranch_execnz .LBB7_220
.LBB7_200:
	s_or_b64 exec, exec, s[0:1]
	v_mov_b32_e32 v3, 0
	s_and_saveexec_b64 s[0:1], s[8:9]
	s_cbranch_execz .LBB7_202
.LBB7_201:
	v_lshlrev_b32_e32 v3, 24, v4
	v_and_b32_e32 v4, 0xffff, v4
	v_and_b32_e32 v5, 3, v4
	v_ffbh_u32_e32 v7, v5
	v_min_u32_e32 v7, 32, v7
	v_subrev_u32_e32 v9, 29, v7
	v_bfe_u32 v6, v4, 2, 5
	v_lshlrev_b32_e32 v4, v9, v4
	v_sub_u32_e32 v7, 30, v7
	v_and_b32_e32 v4, 3, v4
	v_cmp_eq_u32_e32 vcc, 0, v6
	v_cndmask_b32_e32 v6, v6, v7, vcc
	v_cndmask_b32_e32 v4, v5, v4, vcc
	v_mov_b32_e32 v5, 0x37800000
	v_lshlrev_b32_e32 v4, 21, v4
	v_and_b32_e32 v3, 0x80000000, v3
	v_lshl_add_u32 v5, v6, 23, v5
	v_or3_b32 v3, v3, v5, v4
	v_trunc_f32_e32 v3, v3
	s_mov_b32 s8, 0x2f800000
	v_mul_f32_e64 v4, |v3|, s8
	v_floor_f32_e32 v4, v4
	s_mov_b32 s8, 0xcf800000
	v_fma_f32 v4, v4, s8, |v3|
	v_cvt_u32_f32_e32 v4, v4
	v_ashrrev_i32_e32 v3, 31, v3
	v_xor_b32_e32 v4, v4, v3
	v_sub_u32_e32 v3, v4, v3
.LBB7_202:
	s_or_b64 exec, exec, s[0:1]
	s_mov_b64 s[0:1], 0
	s_branch .LBB7_208
.LBB7_203:
	s_mov_b64 s[8:9], -1
                                        ; implicit-def: $vgpr3
	s_branch .LBB7_214
.LBB7_204:
	s_andn2_saveexec_b64 s[0:1], s[0:1]
	s_cbranch_execz .LBB7_190
.LBB7_205:
	v_cmp_ne_u16_e32 vcc, 0, v4
	s_andn2_b64 s[8:9], s[8:9], exec
	s_and_b64 s[12:13], vcc, exec
	s_or_b64 s[8:9], s[8:9], s[12:13]
	s_or_b64 exec, exec, s[0:1]
	v_mov_b32_e32 v3, 0
	s_and_saveexec_b64 s[0:1], s[8:9]
	s_cbranch_execnz .LBB7_191
	s_branch .LBB7_192
.LBB7_206:
	s_mov_b64 s[0:1], -1
                                        ; implicit-def: $vgpr3
	s_branch .LBB7_211
.LBB7_207:
	s_mov_b64 s[0:1], -1
                                        ; implicit-def: $vgpr3
.LBB7_208:
	s_and_b64 vcc, exec, s[0:1]
	s_cbranch_vccz .LBB7_210
; %bb.209:
	global_load_ubyte v3, v[1:2], off
	s_mov_b32 s0, 0x7f800000
	s_brev_b32 s1, 1
	s_mov_b32 s8, 0x2f800000
	s_waitcnt vmcnt(0)
	v_lshlrev_b32_e32 v3, 24, v3
	v_and_b32_e32 v4, 0x7f000000, v3
	v_ffbh_u32_e32 v5, v4
	v_min_u32_e32 v5, 32, v5
	v_sub_u32_e64 v5, v5, 4 clamp
	v_lshlrev_b32_e32 v7, v5, v4
	v_lshlrev_b32_e32 v5, 23, v5
	v_lshrrev_b32_e32 v7, 4, v7
	v_add_u32_e32 v6, 0x1000000, v4
	v_sub_u32_e32 v5, v7, v5
	v_ashrrev_i32_e32 v6, 8, v6
	v_add_u32_e32 v5, 0x3c000000, v5
	v_and_or_b32 v5, v6, s0, v5
	v_cmp_ne_u32_e32 vcc, 0, v4
	v_cndmask_b32_e32 v4, 0, v5, vcc
	v_and_or_b32 v3, v3, s1, v4
	v_trunc_f32_e32 v3, v3
	v_mul_f32_e64 v4, |v3|, s8
	v_floor_f32_e32 v4, v4
	s_mov_b32 s0, 0xcf800000
	v_fma_f32 v4, v4, s0, |v3|
	v_cvt_u32_f32_e32 v4, v4
	v_ashrrev_i32_e32 v3, 31, v3
	v_xor_b32_e32 v4, v4, v3
	v_sub_u32_e32 v3, v4, v3
.LBB7_210:
	s_mov_b64 s[0:1], 0
.LBB7_211:
	s_andn2_b64 vcc, exec, s[0:1]
	s_cbranch_vccnz .LBB7_213
; %bb.212:
	global_load_ubyte v3, v[1:2], off
	s_movk_i32 s0, 0x7f00
	s_brev_b32 s1, 16
	s_brev_b32 s8, 1
	s_mov_b32 s9, 0x2f800000
	s_waitcnt vmcnt(0)
	v_lshlrev_b16_e32 v4, 8, v3
	v_lshlrev_b32_e32 v3, 25, v3
	v_lshrrev_b32_e32 v5, 4, v3
	v_and_or_b32 v6, v4, s0, 0.5
	v_or_b32_e32 v5, 0x70000000, v5
	v_add_f32_e32 v6, -0.5, v6
	v_mul_f32_e32 v5, 0x7800000, v5
	v_cmp_gt_u32_e32 vcc, s1, v3
	v_bfe_i32 v4, v4, 0, 16
	v_cndmask_b32_e32 v3, v5, v6, vcc
	v_and_or_b32 v3, v4, s8, v3
	v_trunc_f32_e32 v3, v3
	v_mul_f32_e64 v4, |v3|, s9
	v_floor_f32_e32 v4, v4
	s_mov_b32 s0, 0xcf800000
	v_fma_f32 v4, v4, s0, |v3|
	v_cvt_u32_f32_e32 v4, v4
	v_ashrrev_i32_e32 v3, 31, v3
	v_xor_b32_e32 v4, v4, v3
	v_sub_u32_e32 v3, v4, v3
.LBB7_213:
	s_mov_b64 s[8:9], 0
	s_mov_b64 s[0:1], -1
.LBB7_214:
	s_andn2_b64 vcc, exec, s[8:9]
	s_cbranch_vccnz .LBB7_227
; %bb.215:
	s_cmp_gt_i32 s10, 14
	s_cbranch_scc0 .LBB7_218
; %bb.216:
	s_cmp_eq_u32 s10, 15
	s_cbranch_scc0 .LBB7_221
; %bb.217:
	global_load_ushort v3, v[1:2], off
	s_mov_b32 s0, 0x2f800000
	s_mov_b32 s1, 0xcf800000
	s_mov_b64 s[2:3], 0
	s_waitcnt vmcnt(0)
	v_lshlrev_b32_e32 v3, 16, v3
	v_trunc_f32_e32 v3, v3
	v_mul_f32_e64 v4, |v3|, s0
	v_floor_f32_e32 v4, v4
	v_fma_f32 v4, v4, s1, |v3|
	v_cvt_u32_f32_e32 v4, v4
	v_ashrrev_i32_e32 v3, 31, v3
	s_mov_b64 s[0:1], -1
	v_xor_b32_e32 v4, v4, v3
	v_sub_u32_e32 v3, v4, v3
	s_branch .LBB7_222
.LBB7_218:
	s_mov_b64 s[8:9], -1
                                        ; implicit-def: $vgpr3
	s_branch .LBB7_223
.LBB7_219:
	s_andn2_saveexec_b64 s[0:1], s[0:1]
	s_cbranch_execz .LBB7_200
.LBB7_220:
	v_cmp_ne_u16_e32 vcc, 0, v4
	s_andn2_b64 s[8:9], s[8:9], exec
	s_and_b64 s[12:13], vcc, exec
	s_or_b64 s[8:9], s[8:9], s[12:13]
	s_or_b64 exec, exec, s[0:1]
	v_mov_b32_e32 v3, 0
	s_and_saveexec_b64 s[0:1], s[8:9]
	s_cbranch_execnz .LBB7_201
	s_branch .LBB7_202
.LBB7_221:
	s_mov_b64 s[2:3], -1
                                        ; implicit-def: $vgpr3
.LBB7_222:
	s_mov_b64 s[8:9], 0
.LBB7_223:
	s_and_b64 vcc, exec, s[8:9]
	s_cbranch_vccz .LBB7_227
; %bb.224:
	s_cmp_eq_u32 s10, 11
	s_cbranch_scc0 .LBB7_226
; %bb.225:
	global_load_ubyte v3, v[1:2], off
	s_mov_b64 s[0:1], -1
	s_mov_b64 s[2:3], 0
	s_waitcnt vmcnt(0)
	v_cmp_ne_u16_e32 vcc, 0, v3
	v_cndmask_b32_e64 v3, 0, 1, vcc
	s_branch .LBB7_227
.LBB7_226:
	s_mov_b64 s[2:3], -1
                                        ; implicit-def: $vgpr3
.LBB7_227:
	s_branch .LBB7_24
.LBB7_228:
	s_cmp_lt_i32 s10, 5
	s_cbranch_scc1 .LBB7_233
; %bb.229:
	s_cmp_lt_i32 s10, 8
	s_cbranch_scc1 .LBB7_234
; %bb.230:
	;; [unrolled: 3-line block ×3, first 2 shown]
	s_cmp_gt_i32 s10, 9
	s_cbranch_scc0 .LBB7_236
; %bb.232:
	global_load_dwordx2 v[3:4], v[1:2], off
	s_movk_i32 s0, 0xffe0
	s_waitcnt vmcnt(0)
	v_trunc_f64_e32 v[3:4], v[3:4]
	v_ldexp_f64 v[5:6], v[3:4], s0
	s_mov_b32 s0, 0
	s_mov_b32 s1, 0xc1f00000
	v_floor_f64_e32 v[5:6], v[5:6]
	v_fma_f64 v[3:4], v[5:6], s[0:1], v[3:4]
	s_mov_b64 s[0:1], 0
	v_cvt_u32_f64_e32 v3, v[3:4]
	s_branch .LBB7_237
.LBB7_233:
                                        ; implicit-def: $vgpr3
	s_branch .LBB7_255
.LBB7_234:
	s_mov_b64 s[0:1], -1
                                        ; implicit-def: $vgpr3
	s_branch .LBB7_243
.LBB7_235:
	s_mov_b64 s[0:1], -1
                                        ; implicit-def: $vgpr3
	s_branch .LBB7_240
.LBB7_236:
	s_mov_b64 s[0:1], -1
                                        ; implicit-def: $vgpr3
.LBB7_237:
	s_andn2_b64 vcc, exec, s[0:1]
	s_cbranch_vccnz .LBB7_239
; %bb.238:
	global_load_dword v3, v[1:2], off
	s_mov_b32 s0, 0x2f800000
	s_waitcnt vmcnt(0)
	v_trunc_f32_e32 v3, v3
	v_mul_f32_e64 v4, |v3|, s0
	v_floor_f32_e32 v4, v4
	s_mov_b32 s0, 0xcf800000
	v_fma_f32 v4, v4, s0, |v3|
	v_cvt_u32_f32_e32 v4, v4
	v_ashrrev_i32_e32 v3, 31, v3
	v_xor_b32_e32 v4, v4, v3
	v_sub_u32_e32 v3, v4, v3
.LBB7_239:
	s_mov_b64 s[0:1], 0
.LBB7_240:
	s_andn2_b64 vcc, exec, s[0:1]
	s_cbranch_vccnz .LBB7_242
; %bb.241:
	global_load_dword v3, v[1:2], off
	s_waitcnt vmcnt(0)
	v_cvt_f32_f16_e32 v3, v3
	v_cvt_i32_f32_e32 v3, v3
.LBB7_242:
	s_mov_b64 s[0:1], 0
.LBB7_243:
	s_andn2_b64 vcc, exec, s[0:1]
	s_cbranch_vccnz .LBB7_254
; %bb.244:
	s_cmp_lt_i32 s10, 6
	s_cbranch_scc1 .LBB7_247
; %bb.245:
	s_cmp_gt_i32 s10, 6
	s_cbranch_scc0 .LBB7_248
; %bb.246:
	global_load_dwordx2 v[3:4], v[1:2], off
	s_movk_i32 s0, 0xffe0
	s_waitcnt vmcnt(0)
	v_trunc_f64_e32 v[3:4], v[3:4]
	v_ldexp_f64 v[5:6], v[3:4], s0
	s_mov_b32 s0, 0
	s_mov_b32 s1, 0xc1f00000
	v_floor_f64_e32 v[5:6], v[5:6]
	v_fma_f64 v[3:4], v[5:6], s[0:1], v[3:4]
	s_mov_b64 s[0:1], 0
	v_cvt_u32_f64_e32 v3, v[3:4]
	s_branch .LBB7_249
.LBB7_247:
	s_mov_b64 s[0:1], -1
                                        ; implicit-def: $vgpr3
	s_branch .LBB7_252
.LBB7_248:
	s_mov_b64 s[0:1], -1
                                        ; implicit-def: $vgpr3
.LBB7_249:
	s_andn2_b64 vcc, exec, s[0:1]
	s_cbranch_vccnz .LBB7_251
; %bb.250:
	global_load_dword v3, v[1:2], off
	s_mov_b32 s0, 0x2f800000
	s_waitcnt vmcnt(0)
	v_trunc_f32_e32 v3, v3
	v_mul_f32_e64 v4, |v3|, s0
	v_floor_f32_e32 v4, v4
	s_mov_b32 s0, 0xcf800000
	v_fma_f32 v4, v4, s0, |v3|
	v_cvt_u32_f32_e32 v4, v4
	v_ashrrev_i32_e32 v3, 31, v3
	v_xor_b32_e32 v4, v4, v3
	v_sub_u32_e32 v3, v4, v3
.LBB7_251:
	s_mov_b64 s[0:1], 0
.LBB7_252:
	s_andn2_b64 vcc, exec, s[0:1]
	s_cbranch_vccnz .LBB7_254
; %bb.253:
	global_load_ushort v3, v[1:2], off
	s_waitcnt vmcnt(0)
	v_cvt_f32_f16_e32 v3, v3
	v_cvt_i32_f32_e32 v3, v3
.LBB7_254:
	s_cbranch_execnz .LBB7_274
.LBB7_255:
	s_cmp_lt_i32 s10, 2
	s_cbranch_scc1 .LBB7_259
; %bb.256:
	s_cmp_lt_i32 s10, 3
	s_cbranch_scc1 .LBB7_260
; %bb.257:
	s_cmp_gt_i32 s10, 3
	s_cbranch_scc0 .LBB7_261
; %bb.258:
	global_load_dwordx2 v[3:4], v[1:2], off
	s_mov_b64 s[0:1], 0
	s_branch .LBB7_262
.LBB7_259:
	s_mov_b64 s[0:1], -1
                                        ; implicit-def: $vgpr3
	s_branch .LBB7_268
.LBB7_260:
	s_mov_b64 s[0:1], -1
                                        ; implicit-def: $vgpr3
	s_branch .LBB7_265
.LBB7_261:
	s_mov_b64 s[0:1], -1
                                        ; implicit-def: $vgpr3
.LBB7_262:
	s_andn2_b64 vcc, exec, s[0:1]
	s_cbranch_vccnz .LBB7_264
; %bb.263:
	global_load_dword v3, v[1:2], off
.LBB7_264:
	s_mov_b64 s[0:1], 0
.LBB7_265:
	s_andn2_b64 vcc, exec, s[0:1]
	s_cbranch_vccnz .LBB7_267
; %bb.266:
	global_load_ushort v3, v[1:2], off
.LBB7_267:
	s_mov_b64 s[0:1], 0
.LBB7_268:
	s_andn2_b64 vcc, exec, s[0:1]
	s_cbranch_vccnz .LBB7_274
; %bb.269:
	s_cmp_gt_i32 s10, 0
	s_cbranch_scc0 .LBB7_271
; %bb.270:
	global_load_ubyte v3, v[1:2], off
	s_mov_b64 s[0:1], 0
	s_branch .LBB7_272
.LBB7_271:
	s_mov_b64 s[0:1], -1
                                        ; implicit-def: $vgpr3
.LBB7_272:
	s_andn2_b64 vcc, exec, s[0:1]
	s_cbranch_vccnz .LBB7_274
; %bb.273:
	global_load_ubyte v3, v[1:2], off
.LBB7_274:
	s_branch .LBB7_25
.LBB7_275:
	s_mov_b64 s[0:1], 0
.LBB7_276:
	s_mov_b64 s[8:9], 0
                                        ; implicit-def: $vgpr8
.LBB7_277:
	s_and_b64 s[54:55], s[0:1], exec
	s_and_b64 s[56:57], s[2:3], exec
	s_orn2_b64 s[2:3], s[8:9], exec
.LBB7_278:
	s_or_b64 exec, exec, s[58:59]
	s_mov_b64 s[10:11], 0
	s_mov_b64 s[0:1], 0
                                        ; implicit-def: $vgpr1_vgpr2
                                        ; implicit-def: $vgpr0
                                        ; implicit-def: $vgpr3
	s_and_saveexec_b64 s[58:59], s[2:3]
	s_cbranch_execz .LBB7_285
; %bb.279:
	v_cmp_gt_i32_e32 vcc, s72, v8
	s_mov_b64 s[0:1], -1
	s_mov_b64 s[60:61], s[56:57]
	s_mov_b64 s[62:63], s[54:55]
	s_and_saveexec_b64 s[64:65], vcc
	s_cbranch_execz .LBB7_566
; %bb.280:
	s_andn2_b64 vcc, exec, s[40:41]
	s_cbranch_vccnz .LBB7_288
; %bb.281:
	s_andn2_b64 vcc, exec, s[52:53]
	s_cbranch_vccnz .LBB7_289
; %bb.282:
	s_add_i32 s67, s77, 1
	s_cmp_eq_u32 s74, 2
	s_cbranch_scc1 .LBB7_290
; %bb.283:
	s_and_b32 s66, s67, 28
	v_mov_b32_e32 v2, 0
	s_mov_b32 s68, 0
	s_mov_b64 s[60:61], s[34:35]
	s_mov_b64 s[62:63], s[50:51]
	v_mov_b32_e32 v0, 0
	v_mov_b32_e32 v1, v8
.LBB7_284:                              ; =>This Inner Loop Header: Depth=1
	s_load_dwordx8 s[16:23], s[60:61], 0x4
	s_load_dwordx4 s[0:3], s[60:61], 0x24
	s_load_dwordx8 s[8:15], s[62:63], 0x0
	s_add_u32 s60, s60, 48
	s_addc_u32 s61, s61, 0
	s_waitcnt vmcnt(0) lgkmcnt(0)
	v_mul_hi_u32 v3, s17, v1
	s_add_i32 s68, s68, 4
	s_add_u32 s62, s62, 32
	s_addc_u32 s63, s63, 0
	v_add_u32_e32 v3, v1, v3
	v_lshrrev_b32_e32 v3, s18, v3
	v_mul_lo_u32 v4, v3, s16
	v_mul_hi_u32 v5, s20, v3
	s_cmp_eq_u32 s66, s68
	v_sub_u32_e32 v1, v1, v4
	v_add_u32_e32 v4, v3, v5
	v_mul_lo_u32 v5, v1, s8
	v_mul_lo_u32 v6, v1, s9
	v_lshrrev_b32_e32 v1, s21, v4
	v_mul_lo_u32 v4, v1, s19
	v_mul_hi_u32 v7, s23, v1
	v_sub_u32_e32 v3, v3, v4
	v_add_u32_e32 v4, v1, v7
	v_lshrrev_b32_e32 v4, s0, v4
	v_mul_hi_u32 v9, s2, v4
	v_mul_lo_u32 v10, v4, s22
	v_mul_lo_u32 v7, v3, s10
	;; [unrolled: 1-line block ×3, first 2 shown]
	v_sub_u32_e32 v10, v1, v10
	v_add_u32_e32 v1, v4, v9
	v_lshrrev_b32_e32 v1, s3, v1
	v_mul_lo_u32 v9, v1, s1
	v_mul_lo_u32 v11, v10, s12
	;; [unrolled: 1-line block ×3, first 2 shown]
	v_add3_u32 v0, v5, v0, v7
	v_sub_u32_e32 v4, v4, v9
	v_mul_lo_u32 v9, v4, s14
	v_mul_lo_u32 v4, v4, s15
	v_add3_u32 v2, v6, v2, v3
	v_add3_u32 v0, v11, v0, v9
	v_add3_u32 v2, v10, v2, v4
	s_cbranch_scc0 .LBB7_284
	s_branch .LBB7_291
.LBB7_285:
	s_or_b64 exec, exec, s[58:59]
	s_mov_b64 s[2:3], 0
	s_and_saveexec_b64 s[8:9], s[56:57]
	s_cbranch_execnz .LBB7_951
.LBB7_286:
	s_or_b64 exec, exec, s[8:9]
	s_and_saveexec_b64 s[8:9], s[62:63]
	s_xor_b64 s[8:9], exec, s[8:9]
	s_cbranch_execz .LBB7_952
.LBB7_287:
	global_load_ubyte v3, v[1:2], off
	s_or_b64 s[0:1], s[0:1], exec
	s_waitcnt vmcnt(0)
	v_cmp_ne_u16_e32 vcc, 0, v3
	v_cndmask_b32_e64 v3, 0, 1, vcc
	s_or_b64 exec, exec, s[8:9]
	s_and_saveexec_b64 s[8:9], s[10:11]
	s_cbranch_execz .LBB7_998
	s_branch .LBB7_953
.LBB7_288:
                                        ; implicit-def: $vgpr0
                                        ; implicit-def: $vgpr2
	s_andn2_b64 vcc, exec, s[0:1]
	s_cbranch_vccz .LBB7_295
	s_branch .LBB7_297
.LBB7_289:
	v_mov_b32_e32 v0, 0
	v_mov_b32_e32 v2, 0
	s_branch .LBB7_294
.LBB7_290:
	s_mov_b32 s66, 0
	v_mov_b32_e32 v0, 0
	v_mov_b32_e32 v2, 0
	;; [unrolled: 1-line block ×3, first 2 shown]
.LBB7_291:
	s_and_b32 s8, s67, 3
	s_cmp_eq_u32 s8, 0
	s_cbranch_scc1 .LBB7_294
; %bb.292:
	s_lshl_b32 s0, s66, 3
	s_add_u32 s0, s34, s0
	s_addc_u32 s1, s35, 0
	s_add_u32 s0, s0, 0xc4
	s_addc_u32 s1, s1, 0
	s_mul_i32 s2, s66, 12
	s_add_u32 s2, s34, s2
	s_addc_u32 s3, s35, 0
.LBB7_293:                              ; =>This Inner Loop Header: Depth=1
	s_load_dwordx2 s[10:11], s[2:3], 0x4
	s_load_dword s9, s[2:3], 0xc
	s_load_dwordx2 s[12:13], s[0:1], 0x0
	s_add_u32 s2, s2, 12
	s_addc_u32 s3, s3, 0
	s_waitcnt vmcnt(0) lgkmcnt(0)
	v_mul_hi_u32 v3, s11, v1
	s_add_u32 s0, s0, 8
	s_addc_u32 s1, s1, 0
	s_add_i32 s8, s8, -1
	v_add_u32_e32 v3, v1, v3
	v_lshrrev_b32_e32 v4, s9, v3
	v_mul_lo_u32 v3, v4, s10
	s_cmp_lg_u32 s8, 0
	v_sub_u32_e32 v3, v1, v3
	v_mad_u64_u32 v[0:1], s[10:11], v3, s12, v[0:1]
	v_mad_u64_u32 v[2:3], s[10:11], v3, s13, v[2:3]
	v_mov_b32_e32 v1, v4
	s_cbranch_scc1 .LBB7_293
.LBB7_294:
	s_cbranch_execnz .LBB7_297
.LBB7_295:
	v_mul_hi_u32 v0, s29, v8
	s_andn2_b64 vcc, exec, s[48:49]
	v_add_u32_e32 v0, v8, v0
	v_lshrrev_b32_e32 v1, s30, v0
	v_mul_lo_u32 v0, v1, s28
	v_sub_u32_e32 v2, v8, v0
	v_mul_lo_u32 v0, v2, s36
	v_mul_lo_u32 v2, v2, s37
	s_cbranch_vccnz .LBB7_297
; %bb.296:
	s_waitcnt vmcnt(0)
	v_mul_hi_u32 v3, s46, v1
	v_add_u32_e32 v3, v1, v3
	v_lshrrev_b32_e32 v3, s47, v3
	v_mul_lo_u32 v3, v3, s31
	v_sub_u32_e32 v3, v1, v3
	v_mad_u64_u32 v[0:1], s[0:1], v3, s38, v[0:1]
	v_mad_u64_u32 v[2:3], s[0:1], v3, s39, v[2:3]
.LBB7_297:
	s_waitcnt vmcnt(0)
	v_mov_b32_e32 v3, s27
	s_and_b32 s10, 0xffff, s76
	v_add_co_u32_e32 v1, vcc, s26, v2
	s_cmp_lt_i32 s10, 11
	v_addc_co_u32_e32 v2, vcc, 0, v3, vcc
	s_cbranch_scc1 .LBB7_304
; %bb.298:
	s_cmp_gt_i32 s10, 25
	s_cbranch_scc0 .LBB7_310
; %bb.299:
	s_cmp_gt_i32 s10, 28
	s_cbranch_scc0 .LBB7_314
	;; [unrolled: 3-line block ×4, first 2 shown]
; %bb.302:
	s_cmp_eq_u32 s10, 46
	s_mov_b64 s[8:9], 0
	s_cbranch_scc0 .LBB7_341
; %bb.303:
	global_load_dword v3, v[1:2], off
	s_mov_b32 s0, 0x2f800000
	s_mov_b32 s1, 0xcf800000
	s_mov_b64 s[2:3], 0
	s_waitcnt vmcnt(0)
	v_lshlrev_b32_e32 v3, 16, v3
	v_trunc_f32_e32 v3, v3
	v_mul_f32_e64 v4, |v3|, s0
	v_floor_f32_e32 v4, v4
	v_fma_f32 v4, v4, s1, |v3|
	v_cvt_u32_f32_e32 v4, v4
	v_ashrrev_i32_e32 v3, 31, v3
	s_mov_b64 s[0:1], -1
	v_xor_b32_e32 v4, v4, v3
	v_sub_u32_e32 v3, v4, v3
	s_branch .LBB7_342
.LBB7_304:
	s_mov_b64 s[0:1], 0
                                        ; implicit-def: $vgpr3
	s_mov_b64 s[2:3], s[56:57]
	s_cbranch_execnz .LBB7_515
.LBB7_305:
	s_andn2_b64 vcc, exec, s[0:1]
	s_cbranch_vccnz .LBB7_563
.LBB7_306:
	s_cmp_lt_i32 s44, 1
	s_mov_b64 s[0:1], 0
	s_cbranch_scc1 .LBB7_311
; %bb.307:
	s_cmp_gt_i32 s44, 1
	s_cbranch_scc0 .LBB7_315
; %bb.308:
	s_cmp_eq_u32 s44, 2
	s_cbranch_scc0 .LBB7_317
; %bb.309:
	s_and_b32 s8, s45, 0xff
	s_waitcnt vmcnt(0)
	v_cmp_le_u16_sdwa s[8:9], v3, s8 src0_sel:BYTE_0 src1_sel:DWORD
	s_mov_b64 s[10:11], 0
	s_branch .LBB7_318
.LBB7_310:
	s_mov_b64 s[8:9], -1
	s_mov_b64 s[0:1], 0
	s_mov_b64 s[2:3], s[56:57]
                                        ; implicit-def: $vgpr3
	s_branch .LBB7_481
.LBB7_311:
                                        ; implicit-def: $sgpr8_sgpr9
	s_mov_b64 s[10:11], 0
	s_cbranch_execnz .LBB7_322
.LBB7_312:
	s_andn2_b64 vcc, exec, s[10:11]
	s_cbranch_vccnz .LBB7_323
.LBB7_313:
	s_and_b32 s0, s45, 0xff
	s_waitcnt vmcnt(0)
	v_cmp_lt_u16_sdwa s[10:11], v3, s0 src0_sel:BYTE_0 src1_sel:DWORD
	s_andn2_b64 s[8:9], s[8:9], exec
	s_and_b64 s[10:11], s[10:11], exec
	s_or_b64 s[8:9], s[8:9], s[10:11]
	s_cbranch_execz .LBB7_324
	s_branch .LBB7_325
.LBB7_314:
	s_mov_b64 s[8:9], -1
	s_mov_b64 s[0:1], 0
	s_mov_b64 s[2:3], s[56:57]
                                        ; implicit-def: $vgpr3
	s_branch .LBB7_464
.LBB7_315:
	s_mov_b64 s[12:13], -1
	s_mov_b64 s[10:11], 0
                                        ; implicit-def: $sgpr8_sgpr9
	s_branch .LBB7_319
.LBB7_316:
	s_mov_b64 s[8:9], -1
	s_mov_b64 s[0:1], 0
	s_mov_b64 s[2:3], s[56:57]
                                        ; implicit-def: $vgpr3
	s_branch .LBB7_459
.LBB7_317:
	s_mov_b64 s[10:11], -1
                                        ; implicit-def: $sgpr8_sgpr9
.LBB7_318:
	s_mov_b64 s[12:13], 0
.LBB7_319:
	s_and_b64 vcc, exec, s[12:13]
	s_cbranch_vccz .LBB7_321
; %bb.320:
	s_and_b32 s12, s45, 0xff
	s_waitcnt vmcnt(0)
	v_cmp_gt_u16_sdwa s[12:13], v3, s12 src0_sel:BYTE_0 src1_sel:DWORD
	s_andn2_b64 s[8:9], s[8:9], exec
	s_and_b64 s[12:13], s[12:13], exec
	s_or_b64 s[8:9], s[8:9], s[12:13]
.LBB7_321:
	s_branch .LBB7_312
.LBB7_322:
	s_cmp_lg_u32 s44, 0
	s_mov_b64 s[0:1], -1
	s_cselect_b64 s[10:11], -1, 0
	s_andn2_b64 vcc, exec, s[10:11]
	s_cbranch_vccz .LBB7_313
.LBB7_323:
	s_andn2_b64 vcc, exec, s[0:1]
	s_cbranch_vccnz .LBB7_325
.LBB7_324:
	s_and_b32 s0, s45, 0xff
	s_waitcnt vmcnt(0)
	v_cmp_ge_u16_sdwa s[0:1], v3, s0 src0_sel:BYTE_0 src1_sel:DWORD
	s_andn2_b64 s[8:9], s[8:9], exec
	s_and_b64 s[0:1], s[0:1], exec
	s_or_b64 s[8:9], s[8:9], s[0:1]
.LBB7_325:
	v_mov_b32_e32 v1, s25
	s_and_b32 s16, s75, 0xff
	v_add_co_u32_e32 v0, vcc, s24, v0
	s_cmp_lt_i32 s16, 11
	v_addc_co_u32_e32 v1, vcc, 0, v1, vcc
	s_cbranch_scc1 .LBB7_332
; %bb.326:
	s_and_b32 s17, 0xffff, s16
	s_cmp_gt_i32 s17, 25
	s_cbranch_scc0 .LBB7_333
; %bb.327:
	s_cmp_gt_i32 s17, 28
	s_cbranch_scc0 .LBB7_334
; %bb.328:
	;; [unrolled: 3-line block ×4, first 2 shown]
	s_mov_b64 s[12:13], 0
	s_mov_b64 s[0:1], -1
	s_cmp_eq_u32 s17, 46
	s_mov_b64 s[10:11], 0
	s_cbranch_scc0 .LBB7_346
; %bb.331:
	v_cndmask_b32_e64 v2, 0, 1.0, s[8:9]
	s_waitcnt vmcnt(0)
	v_bfe_u32 v3, v2, 16, 1
	s_movk_i32 s0, 0x7fff
	v_add3_u32 v2, v2, v3, s0
	v_lshrrev_b32_e32 v2, 16, v2
	global_store_dword v[0:1], v2, off
	s_mov_b64 s[10:11], -1
	s_mov_b64 s[0:1], 0
	s_branch .LBB7_346
.LBB7_332:
	s_mov_b64 s[12:13], -1
	s_mov_b64 s[10:11], 0
	s_mov_b64 s[0:1], s[54:55]
	s_branch .LBB7_415
.LBB7_333:
	s_mov_b64 s[12:13], -1
	s_mov_b64 s[10:11], 0
	s_mov_b64 s[0:1], s[54:55]
	s_branch .LBB7_373
.LBB7_334:
	s_mov_b64 s[12:13], -1
	s_mov_b64 s[10:11], 0
	s_mov_b64 s[0:1], s[54:55]
	s_branch .LBB7_356
.LBB7_335:
	s_andn2_saveexec_b64 s[14:15], s[14:15]
	s_cbranch_execz .LBB7_84
.LBB7_336:
	v_add_f32_e32 v2, 0x46000000, v3
	v_and_b32_e32 v2, 0xff, v2
	v_cmp_ne_u32_e32 vcc, 0, v2
	s_andn2_b64 s[12:13], s[12:13], exec
	s_and_b64 s[18:19], vcc, exec
	s_or_b64 s[12:13], s[12:13], s[18:19]
	s_or_b64 exec, exec, s[14:15]
	v_mov_b32_e32 v4, 0
	s_and_saveexec_b64 s[14:15], s[12:13]
	s_cbranch_execnz .LBB7_85
	s_branch .LBB7_86
.LBB7_337:
	s_mov_b64 s[8:9], -1
	s_mov_b64 s[0:1], 0
	s_mov_b64 s[2:3], s[56:57]
                                        ; implicit-def: $vgpr3
	s_branch .LBB7_342
.LBB7_338:
	s_mov_b64 s[12:13], -1
	s_mov_b64 s[10:11], 0
	s_mov_b64 s[0:1], s[54:55]
	s_branch .LBB7_352
.LBB7_339:
	s_andn2_saveexec_b64 s[14:15], s[14:15]
	s_cbranch_execz .LBB7_97
.LBB7_340:
	v_add_f32_e32 v2, 0x42800000, v3
	v_and_b32_e32 v2, 0xff, v2
	v_cmp_ne_u32_e32 vcc, 0, v2
	s_andn2_b64 s[12:13], s[12:13], exec
	s_and_b64 s[18:19], vcc, exec
	s_or_b64 s[12:13], s[12:13], s[18:19]
	s_or_b64 exec, exec, s[14:15]
	v_mov_b32_e32 v4, 0
	s_and_saveexec_b64 s[14:15], s[12:13]
	s_cbranch_execnz .LBB7_98
	s_branch .LBB7_99
.LBB7_341:
	s_mov_b64 s[2:3], -1
                                        ; implicit-def: $vgpr3
	s_mov_b64 s[0:1], 0
.LBB7_342:
	s_and_b64 vcc, exec, s[8:9]
	s_cbranch_vccz .LBB7_458
; %bb.343:
	s_cmp_eq_u32 s10, 44
	s_cbranch_scc0 .LBB7_457
; %bb.344:
	global_load_ubyte v3, v[1:2], off
	s_mov_b32 s0, 0x2f800000
	s_mov_b32 s1, 0xcf800000
	s_mov_b64 s[2:3], 0
	s_waitcnt vmcnt(0)
	v_lshlrev_b32_e32 v4, 23, v3
	v_trunc_f32_e32 v4, v4
	v_mul_f32_e64 v5, |v4|, s0
	v_floor_f32_e32 v5, v5
	v_fma_f32 v5, v5, s1, |v4|
	v_cvt_u32_f32_e32 v5, v5
	v_ashrrev_i32_e32 v4, 31, v4
	v_cmp_ne_u32_e32 vcc, 0, v3
	s_mov_b64 s[0:1], -1
	v_xor_b32_e32 v5, v5, v4
	v_sub_u32_e32 v4, v5, v4
	v_cndmask_b32_e32 v3, 0, v4, vcc
	s_branch .LBB7_458
.LBB7_345:
	s_mov_b64 s[12:13], -1
	s_mov_b64 s[10:11], 0
	s_mov_b64 s[0:1], s[54:55]
.LBB7_346:
	s_and_b64 vcc, exec, s[12:13]
	s_cbranch_vccz .LBB7_351
; %bb.347:
	s_cmp_eq_u32 s17, 44
	s_mov_b64 s[0:1], -1
	s_cbranch_scc0 .LBB7_351
; %bb.348:
	s_waitcnt vmcnt(0)
	v_cndmask_b32_e64 v3, 0, 1.0, s[8:9]
	v_lshrrev_b32_e32 v2, 23, v3
	s_movk_i32 s0, 0xff
	v_cmp_ne_u32_e32 vcc, s0, v2
	v_mov_b32_e32 v4, 0xff
	s_and_saveexec_b64 s[10:11], vcc
; %bb.349:
	s_mov_b32 s0, 0x3fffff
	v_and_b32_e32 v4, 0x400000, v3
	v_and_or_b32 v3, v3, s0, v2
	v_cmp_ne_u32_e32 vcc, 0, v4
	v_cmp_ne_u32_e64 s[0:1], 0, v3
	s_and_b64 s[0:1], vcc, s[0:1]
	v_cndmask_b32_e64 v3, 0, 1, s[0:1]
	v_add_u32_e32 v4, v2, v3
; %bb.350:
	s_or_b64 exec, exec, s[10:11]
	s_mov_b64 s[10:11], -1
	s_mov_b64 s[0:1], 0
	global_store_byte v[0:1], v4, off
.LBB7_351:
	s_mov_b64 s[12:13], 0
.LBB7_352:
	s_and_b64 vcc, exec, s[12:13]
	s_cbranch_vccz .LBB7_355
; %bb.353:
	s_cmp_eq_u32 s17, 29
	s_mov_b64 s[0:1], -1
	s_cbranch_scc0 .LBB7_355
; %bb.354:
	s_mov_b32 s0, 0
	v_cndmask_b32_e64 v2, 0, 1, s[8:9]
	s_waitcnt vmcnt(0)
	v_mov_b32_e32 v3, s0
	global_store_dwordx2 v[0:1], v[2:3], off
	s_mov_b64 s[10:11], -1
	s_mov_b64 s[0:1], 0
.LBB7_355:
	s_mov_b64 s[12:13], 0
.LBB7_356:
	s_and_b64 vcc, exec, s[12:13]
	s_cbranch_vccz .LBB7_372
; %bb.357:
	s_cmp_lt_i32 s17, 27
	s_mov_b64 s[10:11], -1
	s_cbranch_scc1 .LBB7_363
; %bb.358:
	s_cmp_gt_i32 s17, 27
	s_cbranch_scc0 .LBB7_360
; %bb.359:
	v_cndmask_b32_e64 v2, 0, 1, s[8:9]
	s_mov_b64 s[10:11], 0
	global_store_dword v[0:1], v2, off
.LBB7_360:
	s_andn2_b64 vcc, exec, s[10:11]
	s_cbranch_vccnz .LBB7_362
; %bb.361:
	v_cndmask_b32_e64 v2, 0, 1, s[8:9]
	global_store_short v[0:1], v2, off
.LBB7_362:
	s_mov_b64 s[10:11], 0
.LBB7_363:
	s_andn2_b64 vcc, exec, s[10:11]
	s_cbranch_vccnz .LBB7_371
; %bb.364:
	s_waitcnt vmcnt(0)
	v_cndmask_b32_e64 v3, 0, 1.0, s[8:9]
	s_mov_b32 s10, 0x43800000
	v_cmp_gt_u32_e32 vcc, s10, v3
	v_mov_b32_e32 v4, 0x80
	s_and_saveexec_b64 s[10:11], vcc
	s_cbranch_execz .LBB7_370
; %bb.365:
	s_mov_b32 s12, 0x3bffffff
	v_cmp_lt_u32_e32 vcc, s12, v3
	s_mov_b64 s[12:13], 0
                                        ; implicit-def: $vgpr2
	s_and_saveexec_b64 s[14:15], vcc
	s_xor_b64 s[14:15], exec, s[14:15]
	s_cbranch_execz .LBB7_594
; %bb.366:
	v_bfe_u32 v2, v3, 20, 1
	s_mov_b32 s18, 0x487ffff
	v_add3_u32 v2, v3, v2, s18
	s_mov_b64 s[12:13], exec
	v_lshrrev_b32_e32 v2, 20, v2
                                        ; implicit-def: $vgpr3
	s_andn2_saveexec_b64 s[14:15], s[14:15]
	s_cbranch_execnz .LBB7_595
.LBB7_367:
	s_or_b64 exec, exec, s[14:15]
	v_mov_b32_e32 v4, 0
	s_and_saveexec_b64 s[14:15], s[12:13]
.LBB7_368:
	v_mov_b32_e32 v4, v2
.LBB7_369:
	s_or_b64 exec, exec, s[14:15]
.LBB7_370:
	s_or_b64 exec, exec, s[10:11]
	global_store_byte v[0:1], v4, off
.LBB7_371:
	s_mov_b64 s[10:11], -1
.LBB7_372:
	s_mov_b64 s[12:13], 0
.LBB7_373:
	s_and_b64 vcc, exec, s[12:13]
	s_cbranch_vccz .LBB7_414
; %bb.374:
	s_cmp_gt_i32 s17, 22
	s_mov_b64 s[12:13], -1
	s_cbranch_scc0 .LBB7_406
; %bb.375:
	s_cmp_lt_i32 s17, 24
	s_mov_b64 s[10:11], -1
	s_cbranch_scc1 .LBB7_395
; %bb.376:
	s_cmp_gt_i32 s17, 24
	s_cbranch_scc0 .LBB7_384
; %bb.377:
	s_waitcnt vmcnt(0)
	v_cndmask_b32_e64 v3, 0, 1.0, s[8:9]
	s_mov_b32 s10, 0x47800000
	v_cmp_gt_u32_e32 vcc, s10, v3
	v_mov_b32_e32 v4, 0x80
	s_and_saveexec_b64 s[10:11], vcc
	s_cbranch_execz .LBB7_383
; %bb.378:
	s_mov_b32 s12, 0x37ffffff
	v_cmp_lt_u32_e32 vcc, s12, v3
	s_mov_b64 s[12:13], 0
                                        ; implicit-def: $vgpr2
	s_and_saveexec_b64 s[14:15], vcc
	s_xor_b64 s[14:15], exec, s[14:15]
	s_cbranch_execz .LBB7_597
; %bb.379:
	v_bfe_u32 v2, v3, 21, 1
	s_mov_b32 s18, 0x88fffff
	v_add3_u32 v2, v3, v2, s18
	s_mov_b64 s[12:13], exec
	v_lshrrev_b32_e32 v2, 21, v2
                                        ; implicit-def: $vgpr3
	s_andn2_saveexec_b64 s[14:15], s[14:15]
	s_cbranch_execnz .LBB7_598
.LBB7_380:
	s_or_b64 exec, exec, s[14:15]
	v_mov_b32_e32 v4, 0
	s_and_saveexec_b64 s[14:15], s[12:13]
.LBB7_381:
	v_mov_b32_e32 v4, v2
.LBB7_382:
	s_or_b64 exec, exec, s[14:15]
.LBB7_383:
	s_or_b64 exec, exec, s[10:11]
	s_mov_b64 s[10:11], 0
	global_store_byte v[0:1], v4, off
.LBB7_384:
	s_and_b64 vcc, exec, s[10:11]
	s_cbranch_vccz .LBB7_394
; %bb.385:
	v_cndmask_b32_e64 v2, 0, 1.0, s[8:9]
	s_mov_b32 s10, 0x43f00000
	v_cmp_gt_u32_e32 vcc, s10, v2
                                        ; implicit-def: $vgpr3
	s_and_saveexec_b64 s[10:11], vcc
	s_xor_b64 s[10:11], exec, s[10:11]
	s_cbranch_execz .LBB7_391
; %bb.386:
	s_mov_b32 s12, 0x3c7fffff
	v_cmp_lt_u32_e32 vcc, s12, v2
                                        ; implicit-def: $vgpr3
	s_and_saveexec_b64 s[12:13], vcc
	s_xor_b64 s[12:13], exec, s[12:13]
	s_cbranch_execz .LBB7_388
; %bb.387:
	s_waitcnt vmcnt(0)
	v_bfe_u32 v3, v2, 20, 1
	s_mov_b32 s14, 0x407ffff
	v_add3_u32 v2, v2, v3, s14
	v_lshrrev_b32_e32 v3, 20, v2
	v_and_b32_e32 v2, 0xff00000, v2
	s_mov_b32 s14, 0x7f00000
	v_mov_b32_e32 v4, 0x7e
	v_cmp_ne_u32_e32 vcc, s14, v2
	v_cndmask_b32_e32 v3, v4, v3, vcc
                                        ; implicit-def: $vgpr2
.LBB7_388:
	s_andn2_saveexec_b64 s[12:13], s[12:13]
	s_cbranch_execz .LBB7_390
; %bb.389:
	s_waitcnt vmcnt(0)
	v_add_f32_e32 v3, 0x46800000, v2
.LBB7_390:
	s_or_b64 exec, exec, s[12:13]
                                        ; implicit-def: $vgpr2
.LBB7_391:
	s_andn2_saveexec_b64 s[10:11], s[10:11]
	s_cbranch_execz .LBB7_393
; %bb.392:
	s_mov_b32 s12, 0x7f800000
	s_waitcnt vmcnt(0)
	v_mov_b32_e32 v3, 0x7e
	v_mov_b32_e32 v4, 0x7f
	v_cmp_lt_u32_e32 vcc, s12, v2
	v_cndmask_b32_e32 v3, v3, v4, vcc
.LBB7_393:
	s_or_b64 exec, exec, s[10:11]
	s_waitcnt vmcnt(0)
	global_store_byte v[0:1], v3, off
.LBB7_394:
	s_mov_b64 s[10:11], 0
.LBB7_395:
	s_andn2_b64 vcc, exec, s[10:11]
	s_cbranch_vccnz .LBB7_405
; %bb.396:
	v_cndmask_b32_e64 v2, 0, 1.0, s[8:9]
	s_mov_b32 s10, 0x47800000
	v_cmp_gt_u32_e32 vcc, s10, v2
                                        ; implicit-def: $vgpr3
	s_and_saveexec_b64 s[10:11], vcc
	s_xor_b64 s[10:11], exec, s[10:11]
	s_cbranch_execz .LBB7_402
; %bb.397:
	s_mov_b32 s12, 0x387fffff
	v_cmp_lt_u32_e32 vcc, s12, v2
                                        ; implicit-def: $vgpr3
	s_and_saveexec_b64 s[12:13], vcc
	s_xor_b64 s[12:13], exec, s[12:13]
	s_cbranch_execz .LBB7_399
; %bb.398:
	s_waitcnt vmcnt(0)
	v_bfe_u32 v3, v2, 21, 1
	s_mov_b32 s14, 0x80fffff
	v_add3_u32 v2, v2, v3, s14
	v_lshrrev_b32_e32 v3, 21, v2
                                        ; implicit-def: $vgpr2
.LBB7_399:
	s_andn2_saveexec_b64 s[12:13], s[12:13]
	s_cbranch_execz .LBB7_401
; %bb.400:
	s_waitcnt vmcnt(0)
	v_add_f32_e32 v3, 0x43000000, v2
.LBB7_401:
	s_or_b64 exec, exec, s[12:13]
                                        ; implicit-def: $vgpr2
.LBB7_402:
	s_andn2_saveexec_b64 s[10:11], s[10:11]
	s_cbranch_execz .LBB7_404
; %bb.403:
	s_mov_b32 s12, 0x7f800000
	s_waitcnt vmcnt(0)
	v_mov_b32_e32 v3, 0x7c
	v_mov_b32_e32 v4, 0x7f
	v_cmp_lt_u32_e32 vcc, s12, v2
	v_cndmask_b32_e32 v3, v3, v4, vcc
.LBB7_404:
	s_or_b64 exec, exec, s[10:11]
	s_waitcnt vmcnt(0)
	global_store_byte v[0:1], v3, off
.LBB7_405:
	s_mov_b64 s[12:13], 0
	s_mov_b64 s[10:11], -1
.LBB7_406:
	s_andn2_b64 vcc, exec, s[12:13]
	s_cbranch_vccnz .LBB7_414
; %bb.407:
	s_cmp_gt_i32 s17, 14
	s_mov_b64 s[12:13], -1
	s_cbranch_scc0 .LBB7_411
; %bb.408:
	s_cmp_eq_u32 s17, 15
	s_mov_b64 s[0:1], -1
	s_cbranch_scc0 .LBB7_410
; %bb.409:
	v_cndmask_b32_e64 v2, 0, 1.0, s[8:9]
	s_waitcnt vmcnt(0)
	v_bfe_u32 v3, v2, 16, 1
	s_movk_i32 s0, 0x7fff
	v_add3_u32 v2, v2, v3, s0
	global_store_short_d16_hi v[0:1], v2, off
	s_mov_b64 s[10:11], -1
	s_mov_b64 s[0:1], 0
.LBB7_410:
	s_mov_b64 s[12:13], 0
.LBB7_411:
	s_and_b64 vcc, exec, s[12:13]
	s_cbranch_vccz .LBB7_414
; %bb.412:
	s_cmp_eq_u32 s17, 11
	s_mov_b64 s[0:1], -1
	s_cbranch_scc0 .LBB7_414
; %bb.413:
	v_cndmask_b32_e64 v2, 0, 1, s[8:9]
	s_mov_b64 s[10:11], -1
	s_mov_b64 s[0:1], 0
	global_store_byte v[0:1], v2, off
.LBB7_414:
	s_mov_b64 s[12:13], 0
.LBB7_415:
	s_and_b64 vcc, exec, s[12:13]
	s_cbranch_vccz .LBB7_454
; %bb.416:
	s_and_b32 s12, 0xffff, s16
	s_cmp_lt_i32 s12, 5
	s_mov_b64 s[10:11], -1
	s_cbranch_scc1 .LBB7_437
; %bb.417:
	s_cmp_lt_i32 s12, 8
	s_cbranch_scc1 .LBB7_427
; %bb.418:
	s_cmp_lt_i32 s12, 9
	s_cbranch_scc1 .LBB7_424
; %bb.419:
	s_cmp_gt_i32 s12, 9
	s_cbranch_scc0 .LBB7_421
; %bb.420:
	v_cndmask_b32_e64 v2, 0, 1, s[8:9]
	s_waitcnt vmcnt(0)
	v_cvt_f64_u32_e32 v[2:3], v2
	v_mov_b32_e32 v4, 0
	v_mov_b32_e32 v5, v4
	s_mov_b64 s[10:11], 0
	global_store_dwordx4 v[0:1], v[2:5], off
.LBB7_421:
	s_andn2_b64 vcc, exec, s[10:11]
	s_cbranch_vccnz .LBB7_423
; %bb.422:
	v_cndmask_b32_e64 v2, 0, 1.0, s[8:9]
	s_waitcnt vmcnt(0)
	v_mov_b32_e32 v3, 0
	global_store_dwordx2 v[0:1], v[2:3], off
.LBB7_423:
	s_mov_b64 s[10:11], 0
.LBB7_424:
	s_andn2_b64 vcc, exec, s[10:11]
	s_cbranch_vccnz .LBB7_426
; %bb.425:
	v_cndmask_b32_e64 v2, 0, 1.0, s[8:9]
	v_cvt_f16_f32_e32 v2, v2
	global_store_dword v[0:1], v2, off
.LBB7_426:
	s_mov_b64 s[10:11], 0
.LBB7_427:
	s_andn2_b64 vcc, exec, s[10:11]
	s_cbranch_vccnz .LBB7_436
; %bb.428:
	s_cmp_lt_i32 s12, 6
	s_mov_b64 s[10:11], -1
	s_cbranch_scc1 .LBB7_434
; %bb.429:
	s_cmp_gt_i32 s12, 6
	s_cbranch_scc0 .LBB7_431
; %bb.430:
	v_cndmask_b32_e64 v2, 0, 1, s[8:9]
	s_waitcnt vmcnt(0)
	v_cvt_f64_u32_e32 v[2:3], v2
	s_mov_b64 s[10:11], 0
	global_store_dwordx2 v[0:1], v[2:3], off
.LBB7_431:
	s_andn2_b64 vcc, exec, s[10:11]
	s_cbranch_vccnz .LBB7_433
; %bb.432:
	v_cndmask_b32_e64 v2, 0, 1.0, s[8:9]
	global_store_dword v[0:1], v2, off
.LBB7_433:
	s_mov_b64 s[10:11], 0
.LBB7_434:
	s_andn2_b64 vcc, exec, s[10:11]
	s_cbranch_vccnz .LBB7_436
; %bb.435:
	v_cndmask_b32_e64 v2, 0, 1.0, s[8:9]
	v_cvt_f16_f32_e32 v2, v2
	global_store_short v[0:1], v2, off
.LBB7_436:
	s_mov_b64 s[10:11], 0
.LBB7_437:
	s_andn2_b64 vcc, exec, s[10:11]
	s_cbranch_vccnz .LBB7_453
; %bb.438:
	s_cmp_lt_i32 s12, 2
	s_mov_b64 s[10:11], -1
	s_cbranch_scc1 .LBB7_448
; %bb.439:
	s_cmp_lt_i32 s12, 3
	s_cbranch_scc1 .LBB7_445
; %bb.440:
	s_cmp_gt_i32 s12, 3
	s_cbranch_scc0 .LBB7_442
; %bb.441:
	s_mov_b32 s10, 0
	v_cndmask_b32_e64 v2, 0, 1, s[8:9]
	s_waitcnt vmcnt(0)
	v_mov_b32_e32 v3, s10
	s_mov_b64 s[10:11], 0
	global_store_dwordx2 v[0:1], v[2:3], off
.LBB7_442:
	s_andn2_b64 vcc, exec, s[10:11]
	s_cbranch_vccnz .LBB7_444
; %bb.443:
	v_cndmask_b32_e64 v2, 0, 1, s[8:9]
	global_store_dword v[0:1], v2, off
.LBB7_444:
	s_mov_b64 s[10:11], 0
.LBB7_445:
	s_andn2_b64 vcc, exec, s[10:11]
	s_cbranch_vccnz .LBB7_447
; %bb.446:
	v_cndmask_b32_e64 v2, 0, 1, s[8:9]
	global_store_short v[0:1], v2, off
.LBB7_447:
	s_mov_b64 s[10:11], 0
.LBB7_448:
	s_andn2_b64 vcc, exec, s[10:11]
	s_cbranch_vccnz .LBB7_453
; %bb.449:
	s_mov_b64 s[10:11], -1
	s_cmp_gt_i32 s12, 0
	v_cndmask_b32_e64 v2, 0, 1, s[8:9]
	s_cbranch_scc0 .LBB7_451
; %bb.450:
	s_mov_b64 s[10:11], 0
	global_store_byte v[0:1], v2, off
.LBB7_451:
	s_andn2_b64 vcc, exec, s[10:11]
	s_cbranch_vccnz .LBB7_453
; %bb.452:
	global_store_byte v[0:1], v2, off
.LBB7_453:
	s_mov_b64 s[10:11], -1
.LBB7_454:
	s_andn2_b64 vcc, exec, s[10:11]
	s_cbranch_vccnz .LBB7_456
; %bb.455:
	v_add_u32_e32 v8, 0x80, v8
	s_mov_b64 s[8:9], -1
	s_branch .LBB7_565
.LBB7_456:
	s_mov_b64 s[8:9], 0
	s_branch .LBB7_564
.LBB7_457:
	s_mov_b64 s[2:3], -1
                                        ; implicit-def: $vgpr3
.LBB7_458:
	s_mov_b64 s[8:9], 0
.LBB7_459:
	s_and_b64 vcc, exec, s[8:9]
	s_cbranch_vccz .LBB7_463
; %bb.460:
	s_cmp_eq_u32 s10, 29
	s_cbranch_scc0 .LBB7_462
; %bb.461:
	global_load_dwordx2 v[3:4], v[1:2], off
	s_mov_b64 s[0:1], -1
	s_mov_b64 s[2:3], 0
	s_branch .LBB7_463
.LBB7_462:
	s_mov_b64 s[2:3], -1
                                        ; implicit-def: $vgpr3
.LBB7_463:
	s_mov_b64 s[8:9], 0
.LBB7_464:
	s_and_b64 vcc, exec, s[8:9]
	s_cbranch_vccz .LBB7_480
; %bb.465:
	s_cmp_lt_i32 s10, 27
	s_cbranch_scc1 .LBB7_468
; %bb.466:
	s_cmp_gt_i32 s10, 27
	s_cbranch_scc0 .LBB7_469
; %bb.467:
	global_load_dword v3, v[1:2], off
	s_mov_b64 s[0:1], 0
	s_branch .LBB7_470
.LBB7_468:
	s_mov_b64 s[0:1], -1
                                        ; implicit-def: $vgpr3
	s_branch .LBB7_473
.LBB7_469:
	s_mov_b64 s[0:1], -1
                                        ; implicit-def: $vgpr3
.LBB7_470:
	s_andn2_b64 vcc, exec, s[0:1]
	s_cbranch_vccnz .LBB7_472
; %bb.471:
	global_load_ushort v3, v[1:2], off
.LBB7_472:
	s_mov_b64 s[0:1], 0
.LBB7_473:
	s_andn2_b64 vcc, exec, s[0:1]
	s_cbranch_vccnz .LBB7_479
; %bb.474:
	global_load_ubyte v4, v[1:2], off
	s_movk_i32 s0, 0x7f
	s_mov_b64 s[8:9], 0
	s_waitcnt vmcnt(0)
	v_cmp_lt_i16_e32 vcc, s0, v4
	s_and_saveexec_b64 s[0:1], vcc
	s_xor_b64 s[0:1], exec, s[0:1]
	s_cbranch_execz .LBB7_491
; %bb.475:
	s_movk_i32 s8, 0x80
	v_cmp_ne_u16_e32 vcc, s8, v4
	s_and_b64 s[8:9], vcc, exec
	s_andn2_saveexec_b64 s[0:1], s[0:1]
	s_cbranch_execnz .LBB7_492
.LBB7_476:
	s_or_b64 exec, exec, s[0:1]
	v_mov_b32_e32 v3, 0
	s_and_saveexec_b64 s[0:1], s[8:9]
	s_cbranch_execz .LBB7_478
.LBB7_477:
	v_lshlrev_b32_e32 v3, 24, v4
	v_and_b32_e32 v4, 0xffff, v4
	v_and_b32_e32 v5, 7, v4
	v_ffbh_u32_e32 v7, v5
	v_min_u32_e32 v7, 32, v7
	v_subrev_u32_e32 v9, 28, v7
	v_bfe_u32 v6, v4, 3, 4
	v_lshlrev_b32_e32 v4, v9, v4
	v_sub_u32_e32 v7, 29, v7
	v_and_b32_e32 v4, 7, v4
	v_cmp_eq_u32_e32 vcc, 0, v6
	v_cndmask_b32_e32 v6, v6, v7, vcc
	v_cndmask_b32_e32 v4, v5, v4, vcc
	v_mov_b32_e32 v5, 0x3b800000
	v_lshlrev_b32_e32 v4, 20, v4
	v_and_b32_e32 v3, 0x80000000, v3
	v_lshl_add_u32 v5, v6, 23, v5
	v_or3_b32 v3, v3, v5, v4
	v_trunc_f32_e32 v3, v3
	s_mov_b32 s8, 0x2f800000
	v_mul_f32_e64 v4, |v3|, s8
	v_floor_f32_e32 v4, v4
	s_mov_b32 s8, 0xcf800000
	v_fma_f32 v4, v4, s8, |v3|
	v_cvt_u32_f32_e32 v4, v4
	v_ashrrev_i32_e32 v3, 31, v3
	v_xor_b32_e32 v4, v4, v3
	v_sub_u32_e32 v3, v4, v3
.LBB7_478:
	s_or_b64 exec, exec, s[0:1]
.LBB7_479:
	s_mov_b64 s[0:1], -1
.LBB7_480:
	s_mov_b64 s[8:9], 0
.LBB7_481:
	s_and_b64 vcc, exec, s[8:9]
	s_cbranch_vccz .LBB7_514
; %bb.482:
	s_cmp_gt_i32 s10, 22
	s_cbranch_scc0 .LBB7_490
; %bb.483:
	s_cmp_lt_i32 s10, 24
	s_cbranch_scc1 .LBB7_493
; %bb.484:
	s_cmp_gt_i32 s10, 24
	s_cbranch_scc0 .LBB7_494
; %bb.485:
	global_load_ubyte v4, v[1:2], off
	s_movk_i32 s0, 0x7f
	s_mov_b64 s[8:9], 0
	s_waitcnt vmcnt(0)
	v_cmp_lt_i16_e32 vcc, s0, v4
	s_and_saveexec_b64 s[0:1], vcc
	s_xor_b64 s[0:1], exec, s[0:1]
	s_cbranch_execz .LBB7_506
; %bb.486:
	s_movk_i32 s8, 0x80
	v_cmp_ne_u16_e32 vcc, s8, v4
	s_and_b64 s[8:9], vcc, exec
	s_andn2_saveexec_b64 s[0:1], s[0:1]
	s_cbranch_execnz .LBB7_507
.LBB7_487:
	s_or_b64 exec, exec, s[0:1]
	v_mov_b32_e32 v3, 0
	s_and_saveexec_b64 s[0:1], s[8:9]
	s_cbranch_execz .LBB7_489
.LBB7_488:
	v_lshlrev_b32_e32 v3, 24, v4
	v_and_b32_e32 v4, 0xffff, v4
	v_and_b32_e32 v5, 3, v4
	v_ffbh_u32_e32 v7, v5
	v_min_u32_e32 v7, 32, v7
	v_subrev_u32_e32 v9, 29, v7
	v_bfe_u32 v6, v4, 2, 5
	v_lshlrev_b32_e32 v4, v9, v4
	v_sub_u32_e32 v7, 30, v7
	v_and_b32_e32 v4, 3, v4
	v_cmp_eq_u32_e32 vcc, 0, v6
	v_cndmask_b32_e32 v6, v6, v7, vcc
	v_cndmask_b32_e32 v4, v5, v4, vcc
	v_mov_b32_e32 v5, 0x37800000
	v_lshlrev_b32_e32 v4, 21, v4
	v_and_b32_e32 v3, 0x80000000, v3
	v_lshl_add_u32 v5, v6, 23, v5
	v_or3_b32 v3, v3, v5, v4
	v_trunc_f32_e32 v3, v3
	s_mov_b32 s8, 0x2f800000
	v_mul_f32_e64 v4, |v3|, s8
	v_floor_f32_e32 v4, v4
	s_mov_b32 s8, 0xcf800000
	v_fma_f32 v4, v4, s8, |v3|
	v_cvt_u32_f32_e32 v4, v4
	v_ashrrev_i32_e32 v3, 31, v3
	v_xor_b32_e32 v4, v4, v3
	v_sub_u32_e32 v3, v4, v3
.LBB7_489:
	s_or_b64 exec, exec, s[0:1]
	s_mov_b64 s[0:1], 0
	s_branch .LBB7_495
.LBB7_490:
	s_mov_b64 s[8:9], -1
                                        ; implicit-def: $vgpr3
	s_branch .LBB7_501
.LBB7_491:
	s_andn2_saveexec_b64 s[0:1], s[0:1]
	s_cbranch_execz .LBB7_476
.LBB7_492:
	v_cmp_ne_u16_e32 vcc, 0, v4
	s_andn2_b64 s[8:9], s[8:9], exec
	s_and_b64 s[12:13], vcc, exec
	s_or_b64 s[8:9], s[8:9], s[12:13]
	s_or_b64 exec, exec, s[0:1]
	v_mov_b32_e32 v3, 0
	s_and_saveexec_b64 s[0:1], s[8:9]
	s_cbranch_execnz .LBB7_477
	s_branch .LBB7_478
.LBB7_493:
	s_mov_b64 s[0:1], -1
                                        ; implicit-def: $vgpr3
	s_branch .LBB7_498
.LBB7_494:
	s_mov_b64 s[0:1], -1
                                        ; implicit-def: $vgpr3
.LBB7_495:
	s_and_b64 vcc, exec, s[0:1]
	s_cbranch_vccz .LBB7_497
; %bb.496:
	global_load_ubyte v3, v[1:2], off
	s_mov_b32 s0, 0x7f800000
	s_brev_b32 s1, 1
	s_mov_b32 s8, 0x2f800000
	s_waitcnt vmcnt(0)
	v_lshlrev_b32_e32 v3, 24, v3
	v_and_b32_e32 v4, 0x7f000000, v3
	v_ffbh_u32_e32 v5, v4
	v_min_u32_e32 v5, 32, v5
	v_sub_u32_e64 v5, v5, 4 clamp
	v_lshlrev_b32_e32 v7, v5, v4
	v_lshlrev_b32_e32 v5, 23, v5
	v_lshrrev_b32_e32 v7, 4, v7
	v_add_u32_e32 v6, 0x1000000, v4
	v_sub_u32_e32 v5, v7, v5
	v_ashrrev_i32_e32 v6, 8, v6
	v_add_u32_e32 v5, 0x3c000000, v5
	v_and_or_b32 v5, v6, s0, v5
	v_cmp_ne_u32_e32 vcc, 0, v4
	v_cndmask_b32_e32 v4, 0, v5, vcc
	v_and_or_b32 v3, v3, s1, v4
	v_trunc_f32_e32 v3, v3
	v_mul_f32_e64 v4, |v3|, s8
	v_floor_f32_e32 v4, v4
	s_mov_b32 s0, 0xcf800000
	v_fma_f32 v4, v4, s0, |v3|
	v_cvt_u32_f32_e32 v4, v4
	v_ashrrev_i32_e32 v3, 31, v3
	v_xor_b32_e32 v4, v4, v3
	v_sub_u32_e32 v3, v4, v3
.LBB7_497:
	s_mov_b64 s[0:1], 0
.LBB7_498:
	s_andn2_b64 vcc, exec, s[0:1]
	s_cbranch_vccnz .LBB7_500
; %bb.499:
	global_load_ubyte v3, v[1:2], off
	s_movk_i32 s0, 0x7f00
	s_brev_b32 s1, 16
	s_brev_b32 s8, 1
	s_mov_b32 s9, 0x2f800000
	s_waitcnt vmcnt(0)
	v_lshlrev_b16_e32 v4, 8, v3
	v_lshlrev_b32_e32 v3, 25, v3
	v_lshrrev_b32_e32 v5, 4, v3
	v_and_or_b32 v6, v4, s0, 0.5
	v_or_b32_e32 v5, 0x70000000, v5
	v_add_f32_e32 v6, -0.5, v6
	v_mul_f32_e32 v5, 0x7800000, v5
	v_cmp_gt_u32_e32 vcc, s1, v3
	v_bfe_i32 v4, v4, 0, 16
	v_cndmask_b32_e32 v3, v5, v6, vcc
	v_and_or_b32 v3, v4, s8, v3
	v_trunc_f32_e32 v3, v3
	v_mul_f32_e64 v4, |v3|, s9
	v_floor_f32_e32 v4, v4
	s_mov_b32 s0, 0xcf800000
	v_fma_f32 v4, v4, s0, |v3|
	v_cvt_u32_f32_e32 v4, v4
	v_ashrrev_i32_e32 v3, 31, v3
	v_xor_b32_e32 v4, v4, v3
	v_sub_u32_e32 v3, v4, v3
.LBB7_500:
	s_mov_b64 s[8:9], 0
	s_mov_b64 s[0:1], -1
.LBB7_501:
	s_andn2_b64 vcc, exec, s[8:9]
	s_cbranch_vccnz .LBB7_514
; %bb.502:
	s_cmp_gt_i32 s10, 14
	s_cbranch_scc0 .LBB7_505
; %bb.503:
	s_cmp_eq_u32 s10, 15
	s_cbranch_scc0 .LBB7_508
; %bb.504:
	global_load_ushort v3, v[1:2], off
	s_mov_b32 s0, 0x2f800000
	s_mov_b32 s1, 0xcf800000
	s_mov_b64 s[2:3], 0
	s_waitcnt vmcnt(0)
	v_lshlrev_b32_e32 v3, 16, v3
	v_trunc_f32_e32 v3, v3
	v_mul_f32_e64 v4, |v3|, s0
	v_floor_f32_e32 v4, v4
	v_fma_f32 v4, v4, s1, |v3|
	v_cvt_u32_f32_e32 v4, v4
	v_ashrrev_i32_e32 v3, 31, v3
	s_mov_b64 s[0:1], -1
	v_xor_b32_e32 v4, v4, v3
	v_sub_u32_e32 v3, v4, v3
	s_branch .LBB7_509
.LBB7_505:
	s_mov_b64 s[8:9], -1
                                        ; implicit-def: $vgpr3
	s_branch .LBB7_510
.LBB7_506:
	s_andn2_saveexec_b64 s[0:1], s[0:1]
	s_cbranch_execz .LBB7_487
.LBB7_507:
	v_cmp_ne_u16_e32 vcc, 0, v4
	s_andn2_b64 s[8:9], s[8:9], exec
	s_and_b64 s[12:13], vcc, exec
	s_or_b64 s[8:9], s[8:9], s[12:13]
	s_or_b64 exec, exec, s[0:1]
	v_mov_b32_e32 v3, 0
	s_and_saveexec_b64 s[0:1], s[8:9]
	s_cbranch_execnz .LBB7_488
	s_branch .LBB7_489
.LBB7_508:
	s_mov_b64 s[2:3], -1
                                        ; implicit-def: $vgpr3
.LBB7_509:
	s_mov_b64 s[8:9], 0
.LBB7_510:
	s_and_b64 vcc, exec, s[8:9]
	s_cbranch_vccz .LBB7_514
; %bb.511:
	s_cmp_eq_u32 s10, 11
	s_cbranch_scc0 .LBB7_513
; %bb.512:
	global_load_ubyte v3, v[1:2], off
	s_mov_b64 s[0:1], -1
	s_mov_b64 s[2:3], 0
	s_waitcnt vmcnt(0)
	v_cmp_ne_u16_e32 vcc, 0, v3
	v_cndmask_b32_e64 v3, 0, 1, vcc
	s_branch .LBB7_514
.LBB7_513:
	s_mov_b64 s[2:3], -1
                                        ; implicit-def: $vgpr3
.LBB7_514:
	s_branch .LBB7_305
.LBB7_515:
	s_cmp_lt_i32 s10, 5
	s_cbranch_scc1 .LBB7_520
; %bb.516:
	s_cmp_lt_i32 s10, 8
	s_cbranch_scc1 .LBB7_521
; %bb.517:
	;; [unrolled: 3-line block ×3, first 2 shown]
	s_cmp_gt_i32 s10, 9
	s_cbranch_scc0 .LBB7_523
; %bb.519:
	global_load_dwordx2 v[3:4], v[1:2], off
	s_movk_i32 s0, 0xffe0
	s_waitcnt vmcnt(0)
	v_trunc_f64_e32 v[3:4], v[3:4]
	v_ldexp_f64 v[5:6], v[3:4], s0
	s_mov_b32 s0, 0
	s_mov_b32 s1, 0xc1f00000
	v_floor_f64_e32 v[5:6], v[5:6]
	v_fma_f64 v[3:4], v[5:6], s[0:1], v[3:4]
	s_mov_b64 s[0:1], 0
	v_cvt_u32_f64_e32 v3, v[3:4]
	s_branch .LBB7_524
.LBB7_520:
	s_mov_b64 s[0:1], -1
                                        ; implicit-def: $vgpr3
	s_branch .LBB7_542
.LBB7_521:
	s_mov_b64 s[0:1], -1
                                        ; implicit-def: $vgpr3
	s_branch .LBB7_530
.LBB7_522:
	s_mov_b64 s[0:1], -1
                                        ; implicit-def: $vgpr3
	s_branch .LBB7_527
.LBB7_523:
	s_mov_b64 s[0:1], -1
                                        ; implicit-def: $vgpr3
.LBB7_524:
	s_andn2_b64 vcc, exec, s[0:1]
	s_cbranch_vccnz .LBB7_526
; %bb.525:
	global_load_dword v3, v[1:2], off
	s_mov_b32 s0, 0x2f800000
	s_waitcnt vmcnt(0)
	v_trunc_f32_e32 v3, v3
	v_mul_f32_e64 v4, |v3|, s0
	v_floor_f32_e32 v4, v4
	s_mov_b32 s0, 0xcf800000
	v_fma_f32 v4, v4, s0, |v3|
	v_cvt_u32_f32_e32 v4, v4
	v_ashrrev_i32_e32 v3, 31, v3
	v_xor_b32_e32 v4, v4, v3
	v_sub_u32_e32 v3, v4, v3
.LBB7_526:
	s_mov_b64 s[0:1], 0
.LBB7_527:
	s_andn2_b64 vcc, exec, s[0:1]
	s_cbranch_vccnz .LBB7_529
; %bb.528:
	global_load_dword v3, v[1:2], off
	s_waitcnt vmcnt(0)
	v_cvt_f32_f16_e32 v3, v3
	v_cvt_i32_f32_e32 v3, v3
.LBB7_529:
	s_mov_b64 s[0:1], 0
.LBB7_530:
	s_andn2_b64 vcc, exec, s[0:1]
	s_cbranch_vccnz .LBB7_541
; %bb.531:
	s_cmp_lt_i32 s10, 6
	s_cbranch_scc1 .LBB7_534
; %bb.532:
	s_cmp_gt_i32 s10, 6
	s_cbranch_scc0 .LBB7_535
; %bb.533:
	global_load_dwordx2 v[3:4], v[1:2], off
	s_movk_i32 s0, 0xffe0
	s_waitcnt vmcnt(0)
	v_trunc_f64_e32 v[3:4], v[3:4]
	v_ldexp_f64 v[5:6], v[3:4], s0
	s_mov_b32 s0, 0
	s_mov_b32 s1, 0xc1f00000
	v_floor_f64_e32 v[5:6], v[5:6]
	v_fma_f64 v[3:4], v[5:6], s[0:1], v[3:4]
	s_mov_b64 s[0:1], 0
	v_cvt_u32_f64_e32 v3, v[3:4]
	s_branch .LBB7_536
.LBB7_534:
	s_mov_b64 s[0:1], -1
                                        ; implicit-def: $vgpr3
	s_branch .LBB7_539
.LBB7_535:
	s_mov_b64 s[0:1], -1
                                        ; implicit-def: $vgpr3
.LBB7_536:
	s_andn2_b64 vcc, exec, s[0:1]
	s_cbranch_vccnz .LBB7_538
; %bb.537:
	global_load_dword v3, v[1:2], off
	s_mov_b32 s0, 0x2f800000
	s_waitcnt vmcnt(0)
	v_trunc_f32_e32 v3, v3
	v_mul_f32_e64 v4, |v3|, s0
	v_floor_f32_e32 v4, v4
	s_mov_b32 s0, 0xcf800000
	v_fma_f32 v4, v4, s0, |v3|
	v_cvt_u32_f32_e32 v4, v4
	v_ashrrev_i32_e32 v3, 31, v3
	v_xor_b32_e32 v4, v4, v3
	v_sub_u32_e32 v3, v4, v3
.LBB7_538:
	s_mov_b64 s[0:1], 0
.LBB7_539:
	s_andn2_b64 vcc, exec, s[0:1]
	s_cbranch_vccnz .LBB7_541
; %bb.540:
	global_load_ushort v3, v[1:2], off
	s_waitcnt vmcnt(0)
	v_cvt_f32_f16_e32 v3, v3
	v_cvt_i32_f32_e32 v3, v3
.LBB7_541:
	s_mov_b64 s[0:1], 0
.LBB7_542:
	s_andn2_b64 vcc, exec, s[0:1]
	s_cbranch_vccnz .LBB7_562
; %bb.543:
	s_cmp_lt_i32 s10, 2
	s_cbranch_scc1 .LBB7_547
; %bb.544:
	s_cmp_lt_i32 s10, 3
	s_cbranch_scc1 .LBB7_548
; %bb.545:
	s_cmp_gt_i32 s10, 3
	s_cbranch_scc0 .LBB7_549
; %bb.546:
	global_load_dwordx2 v[3:4], v[1:2], off
	s_mov_b64 s[0:1], 0
	s_branch .LBB7_550
.LBB7_547:
	s_mov_b64 s[0:1], -1
                                        ; implicit-def: $vgpr3
	s_branch .LBB7_556
.LBB7_548:
	s_mov_b64 s[0:1], -1
                                        ; implicit-def: $vgpr3
	s_branch .LBB7_553
.LBB7_549:
	s_mov_b64 s[0:1], -1
                                        ; implicit-def: $vgpr3
.LBB7_550:
	s_andn2_b64 vcc, exec, s[0:1]
	s_cbranch_vccnz .LBB7_552
; %bb.551:
	global_load_dword v3, v[1:2], off
.LBB7_552:
	s_mov_b64 s[0:1], 0
.LBB7_553:
	s_andn2_b64 vcc, exec, s[0:1]
	s_cbranch_vccnz .LBB7_555
; %bb.554:
	global_load_ushort v3, v[1:2], off
.LBB7_555:
	s_mov_b64 s[0:1], 0
.LBB7_556:
	s_andn2_b64 vcc, exec, s[0:1]
	s_cbranch_vccnz .LBB7_562
; %bb.557:
	s_cmp_gt_i32 s10, 0
	s_cbranch_scc0 .LBB7_559
; %bb.558:
	global_load_ubyte v3, v[1:2], off
	s_mov_b64 s[0:1], 0
	s_branch .LBB7_560
.LBB7_559:
	s_mov_b64 s[0:1], -1
                                        ; implicit-def: $vgpr3
.LBB7_560:
	s_andn2_b64 vcc, exec, s[0:1]
	s_cbranch_vccnz .LBB7_562
; %bb.561:
	global_load_ubyte v3, v[1:2], off
.LBB7_562:
	s_branch .LBB7_306
.LBB7_563:
	s_mov_b64 s[8:9], 0
	s_mov_b64 s[0:1], s[54:55]
.LBB7_564:
                                        ; implicit-def: $vgpr8
.LBB7_565:
	s_andn2_b64 s[10:11], s[54:55], exec
	s_and_b64 s[0:1], s[0:1], exec
	s_or_b64 s[62:63], s[10:11], s[0:1]
	s_andn2_b64 s[0:1], s[56:57], exec
	s_and_b64 s[2:3], s[2:3], exec
	s_or_b64 s[60:61], s[0:1], s[2:3]
	s_orn2_b64 s[0:1], s[8:9], exec
.LBB7_566:
	s_or_b64 exec, exec, s[64:65]
	s_mov_b64 s[2:3], 0
	s_mov_b64 s[8:9], 0
	;; [unrolled: 1-line block ×3, first 2 shown]
                                        ; implicit-def: $vgpr1_vgpr2
                                        ; implicit-def: $vgpr0
                                        ; implicit-def: $vgpr3
	s_and_saveexec_b64 s[64:65], s[0:1]
	s_cbranch_execz .LBB7_950
; %bb.567:
	v_cmp_gt_i32_e32 vcc, s72, v8
	s_mov_b64 s[2:3], -1
	s_mov_b64 s[68:69], s[60:61]
	s_mov_b64 s[70:71], s[62:63]
	s_and_saveexec_b64 s[66:67], vcc
	s_cbranch_execz .LBB7_854
; %bb.568:
	s_andn2_b64 vcc, exec, s[40:41]
	s_cbranch_vccnz .LBB7_573
; %bb.569:
	s_andn2_b64 vcc, exec, s[52:53]
	s_cbranch_vccnz .LBB7_574
; %bb.570:
	s_add_i32 s78, s77, 1
	s_cmp_eq_u32 s74, 2
	s_cbranch_scc1 .LBB7_575
; %bb.571:
	s_and_b32 s73, s78, 28
	v_mov_b32_e32 v2, 0
	s_mov_b32 s79, 0
	s_mov_b64 s[68:69], s[34:35]
	s_mov_b64 s[70:71], s[50:51]
	v_mov_b32_e32 v0, 0
	v_mov_b32_e32 v1, v8
.LBB7_572:                              ; =>This Inner Loop Header: Depth=1
	s_load_dwordx8 s[16:23], s[68:69], 0x4
	s_load_dwordx4 s[0:3], s[68:69], 0x24
	s_load_dwordx8 s[8:15], s[70:71], 0x0
	s_add_u32 s68, s68, 48
	s_addc_u32 s69, s69, 0
	s_waitcnt vmcnt(0) lgkmcnt(0)
	v_mul_hi_u32 v3, s17, v1
	s_add_i32 s79, s79, 4
	s_add_u32 s70, s70, 32
	s_addc_u32 s71, s71, 0
	v_add_u32_e32 v3, v1, v3
	v_lshrrev_b32_e32 v3, s18, v3
	v_mul_lo_u32 v4, v3, s16
	v_mul_hi_u32 v5, s20, v3
	s_cmp_eq_u32 s73, s79
	v_sub_u32_e32 v1, v1, v4
	v_add_u32_e32 v4, v3, v5
	v_mul_lo_u32 v5, v1, s8
	v_mul_lo_u32 v6, v1, s9
	v_lshrrev_b32_e32 v1, s21, v4
	v_mul_lo_u32 v4, v1, s19
	v_mul_hi_u32 v7, s23, v1
	v_sub_u32_e32 v3, v3, v4
	v_add_u32_e32 v4, v1, v7
	v_lshrrev_b32_e32 v4, s0, v4
	v_mul_hi_u32 v9, s2, v4
	v_mul_lo_u32 v10, v4, s22
	v_mul_lo_u32 v7, v3, s10
	;; [unrolled: 1-line block ×3, first 2 shown]
	v_sub_u32_e32 v10, v1, v10
	v_add_u32_e32 v1, v4, v9
	v_lshrrev_b32_e32 v1, s3, v1
	v_mul_lo_u32 v9, v1, s1
	v_mul_lo_u32 v11, v10, s12
	;; [unrolled: 1-line block ×3, first 2 shown]
	v_add3_u32 v0, v5, v0, v7
	v_sub_u32_e32 v4, v4, v9
	v_mul_lo_u32 v9, v4, s14
	v_mul_lo_u32 v4, v4, s15
	v_add3_u32 v2, v6, v2, v3
	v_add3_u32 v0, v11, v0, v9
	;; [unrolled: 1-line block ×3, first 2 shown]
	s_cbranch_scc0 .LBB7_572
	s_branch .LBB7_576
.LBB7_573:
	s_mov_b64 s[0:1], -1
                                        ; implicit-def: $vgpr0
                                        ; implicit-def: $vgpr2
	s_branch .LBB7_580
.LBB7_574:
	v_mov_b32_e32 v0, 0
	v_mov_b32_e32 v2, 0
	s_branch .LBB7_579
.LBB7_575:
	s_mov_b32 s73, 0
	v_mov_b32_e32 v0, 0
	v_mov_b32_e32 v2, 0
	;; [unrolled: 1-line block ×3, first 2 shown]
.LBB7_576:
	s_and_b32 s8, s78, 3
	s_cmp_eq_u32 s8, 0
	s_cbranch_scc1 .LBB7_579
; %bb.577:
	s_lshl_b32 s0, s73, 3
	s_add_u32 s0, s34, s0
	s_addc_u32 s1, s35, 0
	s_add_u32 s0, s0, 0xc4
	s_addc_u32 s1, s1, 0
	s_mul_i32 s2, s73, 12
	s_add_u32 s2, s34, s2
	s_addc_u32 s3, s35, 0
.LBB7_578:                              ; =>This Inner Loop Header: Depth=1
	s_load_dwordx2 s[10:11], s[2:3], 0x4
	s_load_dword s9, s[2:3], 0xc
	s_load_dwordx2 s[12:13], s[0:1], 0x0
	s_add_u32 s2, s2, 12
	s_addc_u32 s3, s3, 0
	s_waitcnt vmcnt(0) lgkmcnt(0)
	v_mul_hi_u32 v3, s11, v1
	s_add_u32 s0, s0, 8
	s_addc_u32 s1, s1, 0
	s_add_i32 s8, s8, -1
	v_add_u32_e32 v3, v1, v3
	v_lshrrev_b32_e32 v4, s9, v3
	v_mul_lo_u32 v3, v4, s10
	s_cmp_lg_u32 s8, 0
	v_sub_u32_e32 v3, v1, v3
	v_mad_u64_u32 v[0:1], s[10:11], v3, s12, v[0:1]
	v_mad_u64_u32 v[2:3], s[10:11], v3, s13, v[2:3]
	v_mov_b32_e32 v1, v4
	s_cbranch_scc1 .LBB7_578
.LBB7_579:
	s_mov_b64 s[0:1], 0
.LBB7_580:
	s_andn2_b64 vcc, exec, s[0:1]
	s_cbranch_vccnz .LBB7_583
; %bb.581:
	v_mul_hi_u32 v0, s29, v8
	s_andn2_b64 vcc, exec, s[48:49]
	v_add_u32_e32 v0, v8, v0
	v_lshrrev_b32_e32 v1, s30, v0
	v_mul_lo_u32 v0, v1, s28
	v_sub_u32_e32 v2, v8, v0
	v_mul_lo_u32 v0, v2, s36
	v_mul_lo_u32 v2, v2, s37
	s_cbranch_vccnz .LBB7_583
; %bb.582:
	s_waitcnt vmcnt(0)
	v_mul_hi_u32 v3, s46, v1
	v_add_u32_e32 v3, v1, v3
	v_lshrrev_b32_e32 v3, s47, v3
	v_mul_lo_u32 v3, v3, s31
	v_sub_u32_e32 v3, v1, v3
	v_mad_u64_u32 v[0:1], s[0:1], v3, s38, v[0:1]
	v_mad_u64_u32 v[2:3], s[0:1], v3, s39, v[2:3]
.LBB7_583:
	s_waitcnt vmcnt(0)
	v_mov_b32_e32 v3, s27
	s_and_b32 s10, 0xffff, s76
	v_add_co_u32_e32 v1, vcc, s26, v2
	s_cmp_lt_i32 s10, 11
	v_addc_co_u32_e32 v2, vcc, 0, v3, vcc
	s_cbranch_scc1 .LBB7_590
; %bb.584:
	s_cmp_gt_i32 s10, 25
	s_cbranch_scc0 .LBB7_591
; %bb.585:
	s_cmp_gt_i32 s10, 28
	s_cbranch_scc0 .LBB7_592
	;; [unrolled: 3-line block ×4, first 2 shown]
; %bb.588:
	s_cmp_eq_u32 s10, 46
	s_mov_b64 s[8:9], 0
	s_cbranch_scc0 .LBB7_599
; %bb.589:
	global_load_dword v3, v[1:2], off
	s_mov_b32 s0, 0x2f800000
	s_mov_b32 s1, 0xcf800000
	s_mov_b64 s[2:3], 0
	s_waitcnt vmcnt(0)
	v_lshlrev_b32_e32 v3, 16, v3
	v_trunc_f32_e32 v3, v3
	v_mul_f32_e64 v4, |v3|, s0
	v_floor_f32_e32 v4, v4
	v_fma_f32 v4, v4, s1, |v3|
	v_cvt_u32_f32_e32 v4, v4
	v_ashrrev_i32_e32 v3, 31, v3
	s_mov_b64 s[0:1], -1
	v_xor_b32_e32 v4, v4, v3
	v_sub_u32_e32 v3, v4, v3
	s_branch .LBB7_600
.LBB7_590:
	s_mov_b64 s[8:9], -1
	s_mov_b64 s[0:1], 0
                                        ; implicit-def: $vgpr3
	s_mov_b64 s[2:3], s[60:61]
	s_branch .LBB7_661
.LBB7_591:
	s_mov_b64 s[8:9], -1
	s_mov_b64 s[0:1], 0
	s_mov_b64 s[2:3], s[60:61]
                                        ; implicit-def: $vgpr3
	s_branch .LBB7_627
.LBB7_592:
	s_mov_b64 s[8:9], -1
	s_mov_b64 s[0:1], 0
	s_mov_b64 s[2:3], s[60:61]
                                        ; implicit-def: $vgpr3
	s_branch .LBB7_610
.LBB7_593:
	s_mov_b64 s[8:9], -1
	s_mov_b64 s[0:1], 0
	s_mov_b64 s[2:3], s[60:61]
                                        ; implicit-def: $vgpr3
	s_branch .LBB7_605
.LBB7_594:
	s_andn2_saveexec_b64 s[14:15], s[14:15]
	s_cbranch_execz .LBB7_367
.LBB7_595:
	v_add_f32_e32 v2, 0x46000000, v3
	v_and_b32_e32 v2, 0xff, v2
	v_cmp_ne_u32_e32 vcc, 0, v2
	s_andn2_b64 s[12:13], s[12:13], exec
	s_and_b64 s[18:19], vcc, exec
	s_or_b64 s[12:13], s[12:13], s[18:19]
	s_or_b64 exec, exec, s[14:15]
	v_mov_b32_e32 v4, 0
	s_and_saveexec_b64 s[14:15], s[12:13]
	s_cbranch_execnz .LBB7_368
	s_branch .LBB7_369
.LBB7_596:
	s_mov_b64 s[8:9], -1
	s_mov_b64 s[0:1], 0
	s_mov_b64 s[2:3], s[60:61]
                                        ; implicit-def: $vgpr3
	s_branch .LBB7_600
.LBB7_597:
	s_andn2_saveexec_b64 s[14:15], s[14:15]
	s_cbranch_execz .LBB7_380
.LBB7_598:
	v_add_f32_e32 v2, 0x42800000, v3
	v_and_b32_e32 v2, 0xff, v2
	v_cmp_ne_u32_e32 vcc, 0, v2
	s_andn2_b64 s[12:13], s[12:13], exec
	s_and_b64 s[18:19], vcc, exec
	s_or_b64 s[12:13], s[12:13], s[18:19]
	s_or_b64 exec, exec, s[14:15]
	v_mov_b32_e32 v4, 0
	s_and_saveexec_b64 s[14:15], s[12:13]
	s_cbranch_execnz .LBB7_381
	s_branch .LBB7_382
.LBB7_599:
	s_mov_b64 s[2:3], -1
                                        ; implicit-def: $vgpr3
	s_mov_b64 s[0:1], 0
.LBB7_600:
	s_and_b64 vcc, exec, s[8:9]
	s_cbranch_vccz .LBB7_604
; %bb.601:
	s_cmp_eq_u32 s10, 44
	s_cbranch_scc0 .LBB7_603
; %bb.602:
	global_load_ubyte v3, v[1:2], off
	s_mov_b32 s0, 0x2f800000
	s_mov_b32 s1, 0xcf800000
	s_mov_b64 s[2:3], 0
	s_waitcnt vmcnt(0)
	v_lshlrev_b32_e32 v4, 23, v3
	v_trunc_f32_e32 v4, v4
	v_mul_f32_e64 v5, |v4|, s0
	v_floor_f32_e32 v5, v5
	v_fma_f32 v5, v5, s1, |v4|
	v_cvt_u32_f32_e32 v5, v5
	v_ashrrev_i32_e32 v4, 31, v4
	v_cmp_ne_u32_e32 vcc, 0, v3
	s_mov_b64 s[0:1], -1
	v_xor_b32_e32 v5, v5, v4
	v_sub_u32_e32 v4, v5, v4
	v_cndmask_b32_e32 v3, 0, v4, vcc
	s_branch .LBB7_604
.LBB7_603:
	s_mov_b64 s[2:3], -1
                                        ; implicit-def: $vgpr3
.LBB7_604:
	s_mov_b64 s[8:9], 0
.LBB7_605:
	s_and_b64 vcc, exec, s[8:9]
	s_cbranch_vccz .LBB7_609
; %bb.606:
	s_cmp_eq_u32 s10, 29
	s_cbranch_scc0 .LBB7_608
; %bb.607:
	global_load_dwordx2 v[3:4], v[1:2], off
	s_mov_b64 s[0:1], -1
	s_mov_b64 s[2:3], 0
	s_branch .LBB7_609
.LBB7_608:
	s_mov_b64 s[2:3], -1
                                        ; implicit-def: $vgpr3
.LBB7_609:
	s_mov_b64 s[8:9], 0
.LBB7_610:
	s_and_b64 vcc, exec, s[8:9]
	s_cbranch_vccz .LBB7_626
; %bb.611:
	s_cmp_lt_i32 s10, 27
	s_cbranch_scc1 .LBB7_614
; %bb.612:
	s_cmp_gt_i32 s10, 27
	s_cbranch_scc0 .LBB7_615
; %bb.613:
	global_load_dword v3, v[1:2], off
	s_mov_b64 s[0:1], 0
	s_branch .LBB7_616
.LBB7_614:
	s_mov_b64 s[0:1], -1
                                        ; implicit-def: $vgpr3
	s_branch .LBB7_619
.LBB7_615:
	s_mov_b64 s[0:1], -1
                                        ; implicit-def: $vgpr3
.LBB7_616:
	s_andn2_b64 vcc, exec, s[0:1]
	s_cbranch_vccnz .LBB7_618
; %bb.617:
	global_load_ushort v3, v[1:2], off
.LBB7_618:
	s_mov_b64 s[0:1], 0
.LBB7_619:
	s_andn2_b64 vcc, exec, s[0:1]
	s_cbranch_vccnz .LBB7_625
; %bb.620:
	global_load_ubyte v4, v[1:2], off
	s_movk_i32 s0, 0x7f
	s_mov_b64 s[8:9], 0
	s_waitcnt vmcnt(0)
	v_cmp_lt_i16_e32 vcc, s0, v4
	s_and_saveexec_b64 s[0:1], vcc
	s_xor_b64 s[0:1], exec, s[0:1]
	s_cbranch_execz .LBB7_637
; %bb.621:
	s_movk_i32 s8, 0x80
	v_cmp_ne_u16_e32 vcc, s8, v4
	s_and_b64 s[8:9], vcc, exec
	s_andn2_saveexec_b64 s[0:1], s[0:1]
	s_cbranch_execnz .LBB7_638
.LBB7_622:
	s_or_b64 exec, exec, s[0:1]
	v_mov_b32_e32 v3, 0
	s_and_saveexec_b64 s[0:1], s[8:9]
	s_cbranch_execz .LBB7_624
.LBB7_623:
	v_lshlrev_b32_e32 v3, 24, v4
	v_and_b32_e32 v4, 0xffff, v4
	v_and_b32_e32 v5, 7, v4
	v_ffbh_u32_e32 v7, v5
	v_min_u32_e32 v7, 32, v7
	v_subrev_u32_e32 v9, 28, v7
	v_bfe_u32 v6, v4, 3, 4
	v_lshlrev_b32_e32 v4, v9, v4
	v_sub_u32_e32 v7, 29, v7
	v_and_b32_e32 v4, 7, v4
	v_cmp_eq_u32_e32 vcc, 0, v6
	v_cndmask_b32_e32 v6, v6, v7, vcc
	v_cndmask_b32_e32 v4, v5, v4, vcc
	v_mov_b32_e32 v5, 0x3b800000
	v_lshlrev_b32_e32 v4, 20, v4
	v_and_b32_e32 v3, 0x80000000, v3
	v_lshl_add_u32 v5, v6, 23, v5
	v_or3_b32 v3, v3, v5, v4
	v_trunc_f32_e32 v3, v3
	s_mov_b32 s8, 0x2f800000
	v_mul_f32_e64 v4, |v3|, s8
	v_floor_f32_e32 v4, v4
	s_mov_b32 s8, 0xcf800000
	v_fma_f32 v4, v4, s8, |v3|
	v_cvt_u32_f32_e32 v4, v4
	v_ashrrev_i32_e32 v3, 31, v3
	v_xor_b32_e32 v4, v4, v3
	v_sub_u32_e32 v3, v4, v3
.LBB7_624:
	s_or_b64 exec, exec, s[0:1]
.LBB7_625:
	s_mov_b64 s[0:1], -1
.LBB7_626:
	s_mov_b64 s[8:9], 0
.LBB7_627:
	s_and_b64 vcc, exec, s[8:9]
	s_cbranch_vccz .LBB7_660
; %bb.628:
	s_cmp_gt_i32 s10, 22
	s_cbranch_scc0 .LBB7_636
; %bb.629:
	s_cmp_lt_i32 s10, 24
	s_cbranch_scc1 .LBB7_639
; %bb.630:
	s_cmp_gt_i32 s10, 24
	s_cbranch_scc0 .LBB7_640
; %bb.631:
	global_load_ubyte v4, v[1:2], off
	s_movk_i32 s0, 0x7f
	s_mov_b64 s[8:9], 0
	s_waitcnt vmcnt(0)
	v_cmp_lt_i16_e32 vcc, s0, v4
	s_and_saveexec_b64 s[0:1], vcc
	s_xor_b64 s[0:1], exec, s[0:1]
	s_cbranch_execz .LBB7_652
; %bb.632:
	s_movk_i32 s8, 0x80
	v_cmp_ne_u16_e32 vcc, s8, v4
	s_and_b64 s[8:9], vcc, exec
	s_andn2_saveexec_b64 s[0:1], s[0:1]
	s_cbranch_execnz .LBB7_653
.LBB7_633:
	s_or_b64 exec, exec, s[0:1]
	v_mov_b32_e32 v3, 0
	s_and_saveexec_b64 s[0:1], s[8:9]
	s_cbranch_execz .LBB7_635
.LBB7_634:
	v_lshlrev_b32_e32 v3, 24, v4
	v_and_b32_e32 v4, 0xffff, v4
	v_and_b32_e32 v5, 3, v4
	v_ffbh_u32_e32 v7, v5
	v_min_u32_e32 v7, 32, v7
	v_subrev_u32_e32 v9, 29, v7
	v_bfe_u32 v6, v4, 2, 5
	v_lshlrev_b32_e32 v4, v9, v4
	v_sub_u32_e32 v7, 30, v7
	v_and_b32_e32 v4, 3, v4
	v_cmp_eq_u32_e32 vcc, 0, v6
	v_cndmask_b32_e32 v6, v6, v7, vcc
	v_cndmask_b32_e32 v4, v5, v4, vcc
	v_mov_b32_e32 v5, 0x37800000
	v_lshlrev_b32_e32 v4, 21, v4
	v_and_b32_e32 v3, 0x80000000, v3
	v_lshl_add_u32 v5, v6, 23, v5
	v_or3_b32 v3, v3, v5, v4
	v_trunc_f32_e32 v3, v3
	s_mov_b32 s8, 0x2f800000
	v_mul_f32_e64 v4, |v3|, s8
	v_floor_f32_e32 v4, v4
	s_mov_b32 s8, 0xcf800000
	v_fma_f32 v4, v4, s8, |v3|
	v_cvt_u32_f32_e32 v4, v4
	v_ashrrev_i32_e32 v3, 31, v3
	v_xor_b32_e32 v4, v4, v3
	v_sub_u32_e32 v3, v4, v3
.LBB7_635:
	s_or_b64 exec, exec, s[0:1]
	s_mov_b64 s[0:1], 0
	s_branch .LBB7_641
.LBB7_636:
	s_mov_b64 s[8:9], -1
                                        ; implicit-def: $vgpr3
	s_branch .LBB7_647
.LBB7_637:
	s_andn2_saveexec_b64 s[0:1], s[0:1]
	s_cbranch_execz .LBB7_622
.LBB7_638:
	v_cmp_ne_u16_e32 vcc, 0, v4
	s_andn2_b64 s[8:9], s[8:9], exec
	s_and_b64 s[12:13], vcc, exec
	s_or_b64 s[8:9], s[8:9], s[12:13]
	s_or_b64 exec, exec, s[0:1]
	v_mov_b32_e32 v3, 0
	s_and_saveexec_b64 s[0:1], s[8:9]
	s_cbranch_execnz .LBB7_623
	s_branch .LBB7_624
.LBB7_639:
	s_mov_b64 s[0:1], -1
                                        ; implicit-def: $vgpr3
	s_branch .LBB7_644
.LBB7_640:
	s_mov_b64 s[0:1], -1
                                        ; implicit-def: $vgpr3
.LBB7_641:
	s_and_b64 vcc, exec, s[0:1]
	s_cbranch_vccz .LBB7_643
; %bb.642:
	global_load_ubyte v3, v[1:2], off
	s_mov_b32 s0, 0x7f800000
	s_brev_b32 s1, 1
	s_mov_b32 s8, 0x2f800000
	s_waitcnt vmcnt(0)
	v_lshlrev_b32_e32 v3, 24, v3
	v_and_b32_e32 v4, 0x7f000000, v3
	v_ffbh_u32_e32 v5, v4
	v_min_u32_e32 v5, 32, v5
	v_sub_u32_e64 v5, v5, 4 clamp
	v_lshlrev_b32_e32 v7, v5, v4
	v_lshlrev_b32_e32 v5, 23, v5
	v_lshrrev_b32_e32 v7, 4, v7
	v_add_u32_e32 v6, 0x1000000, v4
	v_sub_u32_e32 v5, v7, v5
	v_ashrrev_i32_e32 v6, 8, v6
	v_add_u32_e32 v5, 0x3c000000, v5
	v_and_or_b32 v5, v6, s0, v5
	v_cmp_ne_u32_e32 vcc, 0, v4
	v_cndmask_b32_e32 v4, 0, v5, vcc
	v_and_or_b32 v3, v3, s1, v4
	v_trunc_f32_e32 v3, v3
	v_mul_f32_e64 v4, |v3|, s8
	v_floor_f32_e32 v4, v4
	s_mov_b32 s0, 0xcf800000
	v_fma_f32 v4, v4, s0, |v3|
	v_cvt_u32_f32_e32 v4, v4
	v_ashrrev_i32_e32 v3, 31, v3
	v_xor_b32_e32 v4, v4, v3
	v_sub_u32_e32 v3, v4, v3
.LBB7_643:
	s_mov_b64 s[0:1], 0
.LBB7_644:
	s_andn2_b64 vcc, exec, s[0:1]
	s_cbranch_vccnz .LBB7_646
; %bb.645:
	global_load_ubyte v3, v[1:2], off
	s_movk_i32 s0, 0x7f00
	s_brev_b32 s1, 16
	s_brev_b32 s8, 1
	s_mov_b32 s9, 0x2f800000
	s_waitcnt vmcnt(0)
	v_lshlrev_b16_e32 v4, 8, v3
	v_lshlrev_b32_e32 v3, 25, v3
	v_lshrrev_b32_e32 v5, 4, v3
	v_and_or_b32 v6, v4, s0, 0.5
	v_or_b32_e32 v5, 0x70000000, v5
	v_add_f32_e32 v6, -0.5, v6
	v_mul_f32_e32 v5, 0x7800000, v5
	v_cmp_gt_u32_e32 vcc, s1, v3
	v_bfe_i32 v4, v4, 0, 16
	v_cndmask_b32_e32 v3, v5, v6, vcc
	v_and_or_b32 v3, v4, s8, v3
	v_trunc_f32_e32 v3, v3
	v_mul_f32_e64 v4, |v3|, s9
	v_floor_f32_e32 v4, v4
	s_mov_b32 s0, 0xcf800000
	v_fma_f32 v4, v4, s0, |v3|
	v_cvt_u32_f32_e32 v4, v4
	v_ashrrev_i32_e32 v3, 31, v3
	v_xor_b32_e32 v4, v4, v3
	v_sub_u32_e32 v3, v4, v3
.LBB7_646:
	s_mov_b64 s[8:9], 0
	s_mov_b64 s[0:1], -1
.LBB7_647:
	s_andn2_b64 vcc, exec, s[8:9]
	s_cbranch_vccnz .LBB7_660
; %bb.648:
	s_cmp_gt_i32 s10, 14
	s_cbranch_scc0 .LBB7_651
; %bb.649:
	s_cmp_eq_u32 s10, 15
	s_cbranch_scc0 .LBB7_654
; %bb.650:
	global_load_ushort v3, v[1:2], off
	s_mov_b32 s0, 0x2f800000
	s_mov_b32 s1, 0xcf800000
	s_mov_b64 s[2:3], 0
	s_waitcnt vmcnt(0)
	v_lshlrev_b32_e32 v3, 16, v3
	v_trunc_f32_e32 v3, v3
	v_mul_f32_e64 v4, |v3|, s0
	v_floor_f32_e32 v4, v4
	v_fma_f32 v4, v4, s1, |v3|
	v_cvt_u32_f32_e32 v4, v4
	v_ashrrev_i32_e32 v3, 31, v3
	s_mov_b64 s[0:1], -1
	v_xor_b32_e32 v4, v4, v3
	v_sub_u32_e32 v3, v4, v3
	s_branch .LBB7_655
.LBB7_651:
	s_mov_b64 s[8:9], -1
                                        ; implicit-def: $vgpr3
	s_branch .LBB7_656
.LBB7_652:
	s_andn2_saveexec_b64 s[0:1], s[0:1]
	s_cbranch_execz .LBB7_633
.LBB7_653:
	v_cmp_ne_u16_e32 vcc, 0, v4
	s_andn2_b64 s[8:9], s[8:9], exec
	s_and_b64 s[12:13], vcc, exec
	s_or_b64 s[8:9], s[8:9], s[12:13]
	s_or_b64 exec, exec, s[0:1]
	v_mov_b32_e32 v3, 0
	s_and_saveexec_b64 s[0:1], s[8:9]
	s_cbranch_execnz .LBB7_634
	s_branch .LBB7_635
.LBB7_654:
	s_mov_b64 s[2:3], -1
                                        ; implicit-def: $vgpr3
.LBB7_655:
	s_mov_b64 s[8:9], 0
.LBB7_656:
	s_and_b64 vcc, exec, s[8:9]
	s_cbranch_vccz .LBB7_660
; %bb.657:
	s_cmp_eq_u32 s10, 11
	s_cbranch_scc0 .LBB7_659
; %bb.658:
	global_load_ubyte v3, v[1:2], off
	s_mov_b64 s[0:1], -1
	s_mov_b64 s[2:3], 0
	s_waitcnt vmcnt(0)
	v_cmp_ne_u16_e32 vcc, 0, v3
	v_cndmask_b32_e64 v3, 0, 1, vcc
	s_branch .LBB7_660
.LBB7_659:
	s_mov_b64 s[2:3], -1
                                        ; implicit-def: $vgpr3
.LBB7_660:
	s_mov_b64 s[8:9], 0
.LBB7_661:
	s_and_b64 vcc, exec, s[8:9]
	s_cbranch_vccz .LBB7_710
; %bb.662:
	s_cmp_lt_i32 s10, 5
	s_cbranch_scc1 .LBB7_667
; %bb.663:
	s_cmp_lt_i32 s10, 8
	s_cbranch_scc1 .LBB7_668
	;; [unrolled: 3-line block ×3, first 2 shown]
; %bb.665:
	s_cmp_gt_i32 s10, 9
	s_cbranch_scc0 .LBB7_670
; %bb.666:
	global_load_dwordx2 v[3:4], v[1:2], off
	s_movk_i32 s0, 0xffe0
	s_waitcnt vmcnt(0)
	v_trunc_f64_e32 v[3:4], v[3:4]
	v_ldexp_f64 v[5:6], v[3:4], s0
	s_mov_b32 s0, 0
	s_mov_b32 s1, 0xc1f00000
	v_floor_f64_e32 v[5:6], v[5:6]
	v_fma_f64 v[3:4], v[5:6], s[0:1], v[3:4]
	s_mov_b64 s[0:1], 0
	v_cvt_u32_f64_e32 v3, v[3:4]
	s_branch .LBB7_671
.LBB7_667:
	s_mov_b64 s[0:1], -1
                                        ; implicit-def: $vgpr3
	s_branch .LBB7_689
.LBB7_668:
	s_mov_b64 s[0:1], -1
                                        ; implicit-def: $vgpr3
	s_branch .LBB7_677
.LBB7_669:
	s_mov_b64 s[0:1], -1
                                        ; implicit-def: $vgpr3
	s_branch .LBB7_674
.LBB7_670:
	s_mov_b64 s[0:1], -1
                                        ; implicit-def: $vgpr3
.LBB7_671:
	s_andn2_b64 vcc, exec, s[0:1]
	s_cbranch_vccnz .LBB7_673
; %bb.672:
	global_load_dword v3, v[1:2], off
	s_mov_b32 s0, 0x2f800000
	s_waitcnt vmcnt(0)
	v_trunc_f32_e32 v3, v3
	v_mul_f32_e64 v4, |v3|, s0
	v_floor_f32_e32 v4, v4
	s_mov_b32 s0, 0xcf800000
	v_fma_f32 v4, v4, s0, |v3|
	v_cvt_u32_f32_e32 v4, v4
	v_ashrrev_i32_e32 v3, 31, v3
	v_xor_b32_e32 v4, v4, v3
	v_sub_u32_e32 v3, v4, v3
.LBB7_673:
	s_mov_b64 s[0:1], 0
.LBB7_674:
	s_andn2_b64 vcc, exec, s[0:1]
	s_cbranch_vccnz .LBB7_676
; %bb.675:
	global_load_dword v3, v[1:2], off
	s_waitcnt vmcnt(0)
	v_cvt_f32_f16_e32 v3, v3
	v_cvt_i32_f32_e32 v3, v3
.LBB7_676:
	s_mov_b64 s[0:1], 0
.LBB7_677:
	s_andn2_b64 vcc, exec, s[0:1]
	s_cbranch_vccnz .LBB7_688
; %bb.678:
	s_cmp_lt_i32 s10, 6
	s_cbranch_scc1 .LBB7_681
; %bb.679:
	s_cmp_gt_i32 s10, 6
	s_cbranch_scc0 .LBB7_682
; %bb.680:
	global_load_dwordx2 v[3:4], v[1:2], off
	s_movk_i32 s0, 0xffe0
	s_waitcnt vmcnt(0)
	v_trunc_f64_e32 v[3:4], v[3:4]
	v_ldexp_f64 v[5:6], v[3:4], s0
	s_mov_b32 s0, 0
	s_mov_b32 s1, 0xc1f00000
	v_floor_f64_e32 v[5:6], v[5:6]
	v_fma_f64 v[3:4], v[5:6], s[0:1], v[3:4]
	s_mov_b64 s[0:1], 0
	v_cvt_u32_f64_e32 v3, v[3:4]
	s_branch .LBB7_683
.LBB7_681:
	s_mov_b64 s[0:1], -1
                                        ; implicit-def: $vgpr3
	s_branch .LBB7_686
.LBB7_682:
	s_mov_b64 s[0:1], -1
                                        ; implicit-def: $vgpr3
.LBB7_683:
	s_andn2_b64 vcc, exec, s[0:1]
	s_cbranch_vccnz .LBB7_685
; %bb.684:
	global_load_dword v3, v[1:2], off
	s_mov_b32 s0, 0x2f800000
	s_waitcnt vmcnt(0)
	v_trunc_f32_e32 v3, v3
	v_mul_f32_e64 v4, |v3|, s0
	v_floor_f32_e32 v4, v4
	s_mov_b32 s0, 0xcf800000
	v_fma_f32 v4, v4, s0, |v3|
	v_cvt_u32_f32_e32 v4, v4
	v_ashrrev_i32_e32 v3, 31, v3
	v_xor_b32_e32 v4, v4, v3
	v_sub_u32_e32 v3, v4, v3
.LBB7_685:
	s_mov_b64 s[0:1], 0
.LBB7_686:
	s_andn2_b64 vcc, exec, s[0:1]
	s_cbranch_vccnz .LBB7_688
; %bb.687:
	global_load_ushort v3, v[1:2], off
	s_waitcnt vmcnt(0)
	v_cvt_f32_f16_e32 v3, v3
	v_cvt_i32_f32_e32 v3, v3
.LBB7_688:
	s_mov_b64 s[0:1], 0
.LBB7_689:
	s_andn2_b64 vcc, exec, s[0:1]
	s_cbranch_vccnz .LBB7_709
; %bb.690:
	s_cmp_lt_i32 s10, 2
	s_cbranch_scc1 .LBB7_694
; %bb.691:
	s_cmp_lt_i32 s10, 3
	s_cbranch_scc1 .LBB7_695
; %bb.692:
	s_cmp_gt_i32 s10, 3
	s_cbranch_scc0 .LBB7_696
; %bb.693:
	global_load_dwordx2 v[3:4], v[1:2], off
	s_mov_b64 s[0:1], 0
	s_branch .LBB7_697
.LBB7_694:
	s_mov_b64 s[0:1], -1
                                        ; implicit-def: $vgpr3
	s_branch .LBB7_703
.LBB7_695:
	s_mov_b64 s[0:1], -1
                                        ; implicit-def: $vgpr3
	s_branch .LBB7_700
.LBB7_696:
	s_mov_b64 s[0:1], -1
                                        ; implicit-def: $vgpr3
.LBB7_697:
	s_andn2_b64 vcc, exec, s[0:1]
	s_cbranch_vccnz .LBB7_699
; %bb.698:
	global_load_dword v3, v[1:2], off
.LBB7_699:
	s_mov_b64 s[0:1], 0
.LBB7_700:
	s_andn2_b64 vcc, exec, s[0:1]
	s_cbranch_vccnz .LBB7_702
; %bb.701:
	global_load_ushort v3, v[1:2], off
.LBB7_702:
	s_mov_b64 s[0:1], 0
.LBB7_703:
	s_andn2_b64 vcc, exec, s[0:1]
	s_cbranch_vccnz .LBB7_709
; %bb.704:
	s_cmp_gt_i32 s10, 0
	s_cbranch_scc0 .LBB7_706
; %bb.705:
	global_load_ubyte v3, v[1:2], off
	s_mov_b64 s[0:1], 0
	s_branch .LBB7_707
.LBB7_706:
	s_mov_b64 s[0:1], -1
                                        ; implicit-def: $vgpr3
.LBB7_707:
	s_andn2_b64 vcc, exec, s[0:1]
	s_cbranch_vccnz .LBB7_709
; %bb.708:
	global_load_ubyte v3, v[1:2], off
.LBB7_709:
	s_mov_b64 s[0:1], -1
.LBB7_710:
	s_andn2_b64 vcc, exec, s[0:1]
	s_cbranch_vccnz .LBB7_715
; %bb.711:
	s_cmp_lt_i32 s44, 1
	s_mov_b64 s[0:1], 0
	s_cbranch_scc1 .LBB7_716
; %bb.712:
	s_cmp_gt_i32 s44, 1
	s_cbranch_scc0 .LBB7_717
; %bb.713:
	s_cmp_eq_u32 s44, 2
	s_cbranch_scc0 .LBB7_718
; %bb.714:
	s_and_b32 s8, s45, 0xff
	s_waitcnt vmcnt(0)
	v_cmp_le_u16_sdwa s[8:9], v3, s8 src0_sel:BYTE_0 src1_sel:DWORD
	s_mov_b64 s[10:11], 0
	s_branch .LBB7_719
.LBB7_715:
	s_mov_b64 s[8:9], 0
	s_mov_b64 s[0:1], s[62:63]
	s_branch .LBB7_852
.LBB7_716:
	s_mov_b64 s[12:13], -1
                                        ; implicit-def: $sgpr8_sgpr9
	s_mov_b64 s[10:11], 0
	s_branch .LBB7_723
.LBB7_717:
	s_mov_b64 s[12:13], -1
	s_mov_b64 s[10:11], 0
                                        ; implicit-def: $sgpr8_sgpr9
	s_branch .LBB7_720
.LBB7_718:
	s_mov_b64 s[10:11], -1
                                        ; implicit-def: $sgpr8_sgpr9
.LBB7_719:
	s_mov_b64 s[12:13], 0
.LBB7_720:
	s_and_b64 vcc, exec, s[12:13]
	s_cbranch_vccz .LBB7_722
; %bb.721:
	s_and_b32 s12, s45, 0xff
	s_waitcnt vmcnt(0)
	v_cmp_gt_u16_sdwa s[12:13], v3, s12 src0_sel:BYTE_0 src1_sel:DWORD
	s_andn2_b64 s[8:9], s[8:9], exec
	s_and_b64 s[12:13], s[12:13], exec
	s_or_b64 s[8:9], s[8:9], s[12:13]
.LBB7_722:
	s_mov_b64 s[12:13], 0
.LBB7_723:
	s_and_b64 vcc, exec, s[12:13]
	s_cbranch_vccz .LBB7_734
; %bb.724:
	s_cmp_lg_u32 s44, 0
	s_mov_b64 s[0:1], -1
	s_cselect_b64 s[10:11], -1, 0
	s_andn2_b64 vcc, exec, s[10:11]
	s_cbranch_vccz .LBB7_735
.LBB7_725:
	s_andn2_b64 vcc, exec, s[0:1]
	s_cbranch_vccnz .LBB7_727
.LBB7_726:
	s_and_b32 s0, s45, 0xff
	s_waitcnt vmcnt(0)
	v_cmp_ge_u16_sdwa s[0:1], v3, s0 src0_sel:BYTE_0 src1_sel:DWORD
	s_andn2_b64 s[8:9], s[8:9], exec
	s_and_b64 s[0:1], s[0:1], exec
	s_or_b64 s[8:9], s[8:9], s[0:1]
.LBB7_727:
	v_mov_b32_e32 v1, s25
	s_and_b32 s16, s75, 0xff
	v_add_co_u32_e32 v0, vcc, s24, v0
	s_cmp_lt_i32 s16, 11
	v_addc_co_u32_e32 v1, vcc, 0, v1, vcc
	s_cbranch_scc1 .LBB7_736
; %bb.728:
	s_and_b32 s17, 0xffff, s16
	s_cmp_gt_i32 s17, 25
	s_cbranch_scc0 .LBB7_737
; %bb.729:
	s_cmp_gt_i32 s17, 28
	s_cbranch_scc0 .LBB7_738
; %bb.730:
	;; [unrolled: 3-line block ×4, first 2 shown]
	s_mov_b64 s[12:13], 0
	s_mov_b64 s[0:1], -1
	s_cmp_eq_u32 s17, 46
	s_mov_b64 s[10:11], 0
	s_cbranch_scc0 .LBB7_741
; %bb.733:
	v_cndmask_b32_e64 v2, 0, 1.0, s[8:9]
	s_waitcnt vmcnt(0)
	v_bfe_u32 v3, v2, 16, 1
	s_movk_i32 s0, 0x7fff
	v_add3_u32 v2, v2, v3, s0
	v_lshrrev_b32_e32 v2, 16, v2
	global_store_dword v[0:1], v2, off
	s_mov_b64 s[10:11], -1
	s_mov_b64 s[0:1], 0
	s_branch .LBB7_741
.LBB7_734:
	s_andn2_b64 vcc, exec, s[10:11]
	s_cbranch_vccnz .LBB7_725
.LBB7_735:
	s_and_b32 s0, s45, 0xff
	s_waitcnt vmcnt(0)
	v_cmp_lt_u16_sdwa s[10:11], v3, s0 src0_sel:BYTE_0 src1_sel:DWORD
	s_andn2_b64 s[8:9], s[8:9], exec
	s_and_b64 s[10:11], s[10:11], exec
	s_or_b64 s[8:9], s[8:9], s[10:11]
	s_cbranch_execz .LBB7_726
	s_branch .LBB7_727
.LBB7_736:
	s_mov_b64 s[12:13], -1
	s_mov_b64 s[10:11], 0
	s_mov_b64 s[0:1], s[62:63]
	s_branch .LBB7_810
.LBB7_737:
	s_mov_b64 s[12:13], -1
	s_mov_b64 s[10:11], 0
	s_mov_b64 s[0:1], s[62:63]
	s_branch .LBB7_768
.LBB7_738:
	s_mov_b64 s[12:13], -1
	s_mov_b64 s[10:11], 0
	s_mov_b64 s[0:1], s[62:63]
	s_branch .LBB7_751
.LBB7_739:
	s_mov_b64 s[12:13], -1
	s_mov_b64 s[10:11], 0
	s_mov_b64 s[0:1], s[62:63]
	s_branch .LBB7_747
.LBB7_740:
	s_mov_b64 s[12:13], -1
	s_mov_b64 s[10:11], 0
	s_mov_b64 s[0:1], s[62:63]
.LBB7_741:
	s_and_b64 vcc, exec, s[12:13]
	s_cbranch_vccz .LBB7_746
; %bb.742:
	s_cmp_eq_u32 s17, 44
	s_mov_b64 s[0:1], -1
	s_cbranch_scc0 .LBB7_746
; %bb.743:
	s_waitcnt vmcnt(0)
	v_cndmask_b32_e64 v3, 0, 1.0, s[8:9]
	v_lshrrev_b32_e32 v2, 23, v3
	s_movk_i32 s0, 0xff
	v_cmp_ne_u32_e32 vcc, s0, v2
	v_mov_b32_e32 v4, 0xff
	s_and_saveexec_b64 s[10:11], vcc
; %bb.744:
	s_mov_b32 s0, 0x3fffff
	v_and_b32_e32 v4, 0x400000, v3
	v_and_or_b32 v3, v3, s0, v2
	v_cmp_ne_u32_e32 vcc, 0, v4
	v_cmp_ne_u32_e64 s[0:1], 0, v3
	s_and_b64 s[0:1], vcc, s[0:1]
	v_cndmask_b32_e64 v3, 0, 1, s[0:1]
	v_add_u32_e32 v4, v2, v3
; %bb.745:
	s_or_b64 exec, exec, s[10:11]
	s_mov_b64 s[10:11], -1
	s_mov_b64 s[0:1], 0
	global_store_byte v[0:1], v4, off
.LBB7_746:
	s_mov_b64 s[12:13], 0
.LBB7_747:
	s_and_b64 vcc, exec, s[12:13]
	s_cbranch_vccz .LBB7_750
; %bb.748:
	s_cmp_eq_u32 s17, 29
	s_mov_b64 s[0:1], -1
	s_cbranch_scc0 .LBB7_750
; %bb.749:
	s_mov_b32 s0, 0
	v_cndmask_b32_e64 v2, 0, 1, s[8:9]
	s_waitcnt vmcnt(0)
	v_mov_b32_e32 v3, s0
	global_store_dwordx2 v[0:1], v[2:3], off
	s_mov_b64 s[10:11], -1
	s_mov_b64 s[0:1], 0
.LBB7_750:
	s_mov_b64 s[12:13], 0
.LBB7_751:
	s_and_b64 vcc, exec, s[12:13]
	s_cbranch_vccz .LBB7_767
; %bb.752:
	s_cmp_lt_i32 s17, 27
	s_mov_b64 s[10:11], -1
	s_cbranch_scc1 .LBB7_758
; %bb.753:
	s_cmp_gt_i32 s17, 27
	s_cbranch_scc0 .LBB7_755
; %bb.754:
	v_cndmask_b32_e64 v2, 0, 1, s[8:9]
	s_mov_b64 s[10:11], 0
	global_store_dword v[0:1], v2, off
.LBB7_755:
	s_andn2_b64 vcc, exec, s[10:11]
	s_cbranch_vccnz .LBB7_757
; %bb.756:
	v_cndmask_b32_e64 v2, 0, 1, s[8:9]
	global_store_short v[0:1], v2, off
.LBB7_757:
	s_mov_b64 s[10:11], 0
.LBB7_758:
	s_andn2_b64 vcc, exec, s[10:11]
	s_cbranch_vccnz .LBB7_766
; %bb.759:
	s_waitcnt vmcnt(0)
	v_cndmask_b32_e64 v3, 0, 1.0, s[8:9]
	s_mov_b32 s10, 0x43800000
	v_cmp_gt_u32_e32 vcc, s10, v3
	v_mov_b32_e32 v4, 0x80
	s_and_saveexec_b64 s[10:11], vcc
	s_cbranch_execz .LBB7_765
; %bb.760:
	s_mov_b32 s12, 0x3bffffff
	v_cmp_lt_u32_e32 vcc, s12, v3
	s_mov_b64 s[12:13], 0
                                        ; implicit-def: $vgpr2
	s_and_saveexec_b64 s[14:15], vcc
	s_xor_b64 s[14:15], exec, s[14:15]
	s_cbranch_execz .LBB7_882
; %bb.761:
	v_bfe_u32 v2, v3, 20, 1
	s_mov_b32 s18, 0x487ffff
	v_add3_u32 v2, v3, v2, s18
	s_mov_b64 s[12:13], exec
	v_lshrrev_b32_e32 v2, 20, v2
                                        ; implicit-def: $vgpr3
	s_andn2_saveexec_b64 s[14:15], s[14:15]
	s_cbranch_execnz .LBB7_883
.LBB7_762:
	s_or_b64 exec, exec, s[14:15]
	v_mov_b32_e32 v4, 0
	s_and_saveexec_b64 s[14:15], s[12:13]
.LBB7_763:
	v_mov_b32_e32 v4, v2
.LBB7_764:
	s_or_b64 exec, exec, s[14:15]
.LBB7_765:
	s_or_b64 exec, exec, s[10:11]
	global_store_byte v[0:1], v4, off
.LBB7_766:
	s_mov_b64 s[10:11], -1
.LBB7_767:
	s_mov_b64 s[12:13], 0
.LBB7_768:
	s_and_b64 vcc, exec, s[12:13]
	s_cbranch_vccz .LBB7_809
; %bb.769:
	s_cmp_gt_i32 s17, 22
	s_mov_b64 s[12:13], -1
	s_cbranch_scc0 .LBB7_801
; %bb.770:
	s_cmp_lt_i32 s17, 24
	s_mov_b64 s[10:11], -1
	s_cbranch_scc1 .LBB7_790
; %bb.771:
	s_cmp_gt_i32 s17, 24
	s_cbranch_scc0 .LBB7_779
; %bb.772:
	s_waitcnt vmcnt(0)
	v_cndmask_b32_e64 v3, 0, 1.0, s[8:9]
	s_mov_b32 s10, 0x47800000
	v_cmp_gt_u32_e32 vcc, s10, v3
	v_mov_b32_e32 v4, 0x80
	s_and_saveexec_b64 s[10:11], vcc
	s_cbranch_execz .LBB7_778
; %bb.773:
	s_mov_b32 s12, 0x37ffffff
	v_cmp_lt_u32_e32 vcc, s12, v3
	s_mov_b64 s[12:13], 0
                                        ; implicit-def: $vgpr2
	s_and_saveexec_b64 s[14:15], vcc
	s_xor_b64 s[14:15], exec, s[14:15]
	s_cbranch_execz .LBB7_885
; %bb.774:
	v_bfe_u32 v2, v3, 21, 1
	s_mov_b32 s18, 0x88fffff
	v_add3_u32 v2, v3, v2, s18
	s_mov_b64 s[12:13], exec
	v_lshrrev_b32_e32 v2, 21, v2
                                        ; implicit-def: $vgpr3
	s_andn2_saveexec_b64 s[14:15], s[14:15]
	s_cbranch_execnz .LBB7_886
.LBB7_775:
	s_or_b64 exec, exec, s[14:15]
	v_mov_b32_e32 v4, 0
	s_and_saveexec_b64 s[14:15], s[12:13]
.LBB7_776:
	v_mov_b32_e32 v4, v2
.LBB7_777:
	s_or_b64 exec, exec, s[14:15]
.LBB7_778:
	s_or_b64 exec, exec, s[10:11]
	s_mov_b64 s[10:11], 0
	global_store_byte v[0:1], v4, off
.LBB7_779:
	s_and_b64 vcc, exec, s[10:11]
	s_cbranch_vccz .LBB7_789
; %bb.780:
	v_cndmask_b32_e64 v2, 0, 1.0, s[8:9]
	s_mov_b32 s10, 0x43f00000
	v_cmp_gt_u32_e32 vcc, s10, v2
                                        ; implicit-def: $vgpr3
	s_and_saveexec_b64 s[10:11], vcc
	s_xor_b64 s[10:11], exec, s[10:11]
	s_cbranch_execz .LBB7_786
; %bb.781:
	s_mov_b32 s12, 0x3c7fffff
	v_cmp_lt_u32_e32 vcc, s12, v2
                                        ; implicit-def: $vgpr3
	s_and_saveexec_b64 s[12:13], vcc
	s_xor_b64 s[12:13], exec, s[12:13]
	s_cbranch_execz .LBB7_783
; %bb.782:
	s_waitcnt vmcnt(0)
	v_bfe_u32 v3, v2, 20, 1
	s_mov_b32 s14, 0x407ffff
	v_add3_u32 v2, v2, v3, s14
	v_lshrrev_b32_e32 v3, 20, v2
	v_and_b32_e32 v2, 0xff00000, v2
	s_mov_b32 s14, 0x7f00000
	v_mov_b32_e32 v4, 0x7e
	v_cmp_ne_u32_e32 vcc, s14, v2
	v_cndmask_b32_e32 v3, v4, v3, vcc
                                        ; implicit-def: $vgpr2
.LBB7_783:
	s_andn2_saveexec_b64 s[12:13], s[12:13]
	s_cbranch_execz .LBB7_785
; %bb.784:
	s_waitcnt vmcnt(0)
	v_add_f32_e32 v3, 0x46800000, v2
.LBB7_785:
	s_or_b64 exec, exec, s[12:13]
                                        ; implicit-def: $vgpr2
.LBB7_786:
	s_andn2_saveexec_b64 s[10:11], s[10:11]
	s_cbranch_execz .LBB7_788
; %bb.787:
	s_mov_b32 s12, 0x7f800000
	s_waitcnt vmcnt(0)
	v_mov_b32_e32 v3, 0x7e
	v_mov_b32_e32 v4, 0x7f
	v_cmp_lt_u32_e32 vcc, s12, v2
	v_cndmask_b32_e32 v3, v3, v4, vcc
.LBB7_788:
	s_or_b64 exec, exec, s[10:11]
	s_waitcnt vmcnt(0)
	global_store_byte v[0:1], v3, off
.LBB7_789:
	s_mov_b64 s[10:11], 0
.LBB7_790:
	s_andn2_b64 vcc, exec, s[10:11]
	s_cbranch_vccnz .LBB7_800
; %bb.791:
	v_cndmask_b32_e64 v2, 0, 1.0, s[8:9]
	s_mov_b32 s10, 0x47800000
	v_cmp_gt_u32_e32 vcc, s10, v2
                                        ; implicit-def: $vgpr3
	s_and_saveexec_b64 s[10:11], vcc
	s_xor_b64 s[10:11], exec, s[10:11]
	s_cbranch_execz .LBB7_797
; %bb.792:
	s_mov_b32 s12, 0x387fffff
	v_cmp_lt_u32_e32 vcc, s12, v2
                                        ; implicit-def: $vgpr3
	s_and_saveexec_b64 s[12:13], vcc
	s_xor_b64 s[12:13], exec, s[12:13]
	s_cbranch_execz .LBB7_794
; %bb.793:
	s_waitcnt vmcnt(0)
	v_bfe_u32 v3, v2, 21, 1
	s_mov_b32 s14, 0x80fffff
	v_add3_u32 v2, v2, v3, s14
	v_lshrrev_b32_e32 v3, 21, v2
                                        ; implicit-def: $vgpr2
.LBB7_794:
	s_andn2_saveexec_b64 s[12:13], s[12:13]
	s_cbranch_execz .LBB7_796
; %bb.795:
	s_waitcnt vmcnt(0)
	v_add_f32_e32 v3, 0x43000000, v2
.LBB7_796:
	s_or_b64 exec, exec, s[12:13]
                                        ; implicit-def: $vgpr2
.LBB7_797:
	s_andn2_saveexec_b64 s[10:11], s[10:11]
	s_cbranch_execz .LBB7_799
; %bb.798:
	s_mov_b32 s12, 0x7f800000
	s_waitcnt vmcnt(0)
	v_mov_b32_e32 v3, 0x7c
	v_mov_b32_e32 v4, 0x7f
	v_cmp_lt_u32_e32 vcc, s12, v2
	v_cndmask_b32_e32 v3, v3, v4, vcc
.LBB7_799:
	s_or_b64 exec, exec, s[10:11]
	s_waitcnt vmcnt(0)
	global_store_byte v[0:1], v3, off
.LBB7_800:
	s_mov_b64 s[12:13], 0
	s_mov_b64 s[10:11], -1
.LBB7_801:
	s_andn2_b64 vcc, exec, s[12:13]
	s_cbranch_vccnz .LBB7_809
; %bb.802:
	s_cmp_gt_i32 s17, 14
	s_mov_b64 s[12:13], -1
	s_cbranch_scc0 .LBB7_806
; %bb.803:
	s_cmp_eq_u32 s17, 15
	s_mov_b64 s[0:1], -1
	s_cbranch_scc0 .LBB7_805
; %bb.804:
	v_cndmask_b32_e64 v2, 0, 1.0, s[8:9]
	s_waitcnt vmcnt(0)
	v_bfe_u32 v3, v2, 16, 1
	s_movk_i32 s0, 0x7fff
	v_add3_u32 v2, v2, v3, s0
	global_store_short_d16_hi v[0:1], v2, off
	s_mov_b64 s[10:11], -1
	s_mov_b64 s[0:1], 0
.LBB7_805:
	s_mov_b64 s[12:13], 0
.LBB7_806:
	s_and_b64 vcc, exec, s[12:13]
	s_cbranch_vccz .LBB7_809
; %bb.807:
	s_cmp_eq_u32 s17, 11
	s_mov_b64 s[0:1], -1
	s_cbranch_scc0 .LBB7_809
; %bb.808:
	v_cndmask_b32_e64 v2, 0, 1, s[8:9]
	s_mov_b64 s[10:11], -1
	s_mov_b64 s[0:1], 0
	global_store_byte v[0:1], v2, off
.LBB7_809:
	s_mov_b64 s[12:13], 0
.LBB7_810:
	s_and_b64 vcc, exec, s[12:13]
	s_cbranch_vccz .LBB7_849
; %bb.811:
	s_and_b32 s12, 0xffff, s16
	s_cmp_lt_i32 s12, 5
	s_mov_b64 s[10:11], -1
	s_cbranch_scc1 .LBB7_832
; %bb.812:
	s_cmp_lt_i32 s12, 8
	s_cbranch_scc1 .LBB7_822
; %bb.813:
	s_cmp_lt_i32 s12, 9
	s_cbranch_scc1 .LBB7_819
; %bb.814:
	s_cmp_gt_i32 s12, 9
	s_cbranch_scc0 .LBB7_816
; %bb.815:
	v_cndmask_b32_e64 v2, 0, 1, s[8:9]
	s_waitcnt vmcnt(0)
	v_cvt_f64_u32_e32 v[2:3], v2
	v_mov_b32_e32 v4, 0
	v_mov_b32_e32 v5, v4
	s_mov_b64 s[10:11], 0
	global_store_dwordx4 v[0:1], v[2:5], off
.LBB7_816:
	s_andn2_b64 vcc, exec, s[10:11]
	s_cbranch_vccnz .LBB7_818
; %bb.817:
	v_cndmask_b32_e64 v2, 0, 1.0, s[8:9]
	s_waitcnt vmcnt(0)
	v_mov_b32_e32 v3, 0
	global_store_dwordx2 v[0:1], v[2:3], off
.LBB7_818:
	s_mov_b64 s[10:11], 0
.LBB7_819:
	s_andn2_b64 vcc, exec, s[10:11]
	s_cbranch_vccnz .LBB7_821
; %bb.820:
	v_cndmask_b32_e64 v2, 0, 1.0, s[8:9]
	v_cvt_f16_f32_e32 v2, v2
	global_store_dword v[0:1], v2, off
.LBB7_821:
	s_mov_b64 s[10:11], 0
.LBB7_822:
	s_andn2_b64 vcc, exec, s[10:11]
	s_cbranch_vccnz .LBB7_831
; %bb.823:
	s_cmp_lt_i32 s12, 6
	s_mov_b64 s[10:11], -1
	s_cbranch_scc1 .LBB7_829
; %bb.824:
	s_cmp_gt_i32 s12, 6
	s_cbranch_scc0 .LBB7_826
; %bb.825:
	v_cndmask_b32_e64 v2, 0, 1, s[8:9]
	s_waitcnt vmcnt(0)
	v_cvt_f64_u32_e32 v[2:3], v2
	s_mov_b64 s[10:11], 0
	global_store_dwordx2 v[0:1], v[2:3], off
.LBB7_826:
	s_andn2_b64 vcc, exec, s[10:11]
	s_cbranch_vccnz .LBB7_828
; %bb.827:
	v_cndmask_b32_e64 v2, 0, 1.0, s[8:9]
	global_store_dword v[0:1], v2, off
.LBB7_828:
	s_mov_b64 s[10:11], 0
.LBB7_829:
	s_andn2_b64 vcc, exec, s[10:11]
	s_cbranch_vccnz .LBB7_831
; %bb.830:
	v_cndmask_b32_e64 v2, 0, 1.0, s[8:9]
	v_cvt_f16_f32_e32 v2, v2
	global_store_short v[0:1], v2, off
.LBB7_831:
	s_mov_b64 s[10:11], 0
.LBB7_832:
	s_andn2_b64 vcc, exec, s[10:11]
	s_cbranch_vccnz .LBB7_848
; %bb.833:
	s_cmp_lt_i32 s12, 2
	s_mov_b64 s[10:11], -1
	s_cbranch_scc1 .LBB7_843
; %bb.834:
	s_cmp_lt_i32 s12, 3
	s_cbranch_scc1 .LBB7_840
; %bb.835:
	s_cmp_gt_i32 s12, 3
	s_cbranch_scc0 .LBB7_837
; %bb.836:
	s_mov_b32 s10, 0
	v_cndmask_b32_e64 v2, 0, 1, s[8:9]
	s_waitcnt vmcnt(0)
	v_mov_b32_e32 v3, s10
	s_mov_b64 s[10:11], 0
	global_store_dwordx2 v[0:1], v[2:3], off
.LBB7_837:
	s_andn2_b64 vcc, exec, s[10:11]
	s_cbranch_vccnz .LBB7_839
; %bb.838:
	v_cndmask_b32_e64 v2, 0, 1, s[8:9]
	global_store_dword v[0:1], v2, off
.LBB7_839:
	s_mov_b64 s[10:11], 0
.LBB7_840:
	s_andn2_b64 vcc, exec, s[10:11]
	s_cbranch_vccnz .LBB7_842
; %bb.841:
	v_cndmask_b32_e64 v2, 0, 1, s[8:9]
	global_store_short v[0:1], v2, off
.LBB7_842:
	s_mov_b64 s[10:11], 0
.LBB7_843:
	s_andn2_b64 vcc, exec, s[10:11]
	s_cbranch_vccnz .LBB7_848
; %bb.844:
	s_mov_b64 s[10:11], -1
	s_cmp_gt_i32 s12, 0
	v_cndmask_b32_e64 v2, 0, 1, s[8:9]
	s_cbranch_scc0 .LBB7_846
; %bb.845:
	s_mov_b64 s[10:11], 0
	global_store_byte v[0:1], v2, off
.LBB7_846:
	s_andn2_b64 vcc, exec, s[10:11]
	s_cbranch_vccnz .LBB7_848
; %bb.847:
	global_store_byte v[0:1], v2, off
.LBB7_848:
	s_mov_b64 s[10:11], -1
.LBB7_849:
	s_andn2_b64 vcc, exec, s[10:11]
	s_cbranch_vccnz .LBB7_851
; %bb.850:
	v_add_u32_e32 v8, 0x80, v8
	s_mov_b64 s[8:9], -1
	s_branch .LBB7_853
.LBB7_851:
	s_mov_b64 s[8:9], 0
.LBB7_852:
                                        ; implicit-def: $vgpr8
.LBB7_853:
	s_andn2_b64 s[10:11], s[62:63], exec
	s_and_b64 s[0:1], s[0:1], exec
	s_or_b64 s[70:71], s[10:11], s[0:1]
	s_andn2_b64 s[0:1], s[60:61], exec
	s_and_b64 s[2:3], s[2:3], exec
	s_or_b64 s[68:69], s[0:1], s[2:3]
	s_orn2_b64 s[2:3], s[8:9], exec
.LBB7_854:
	s_or_b64 exec, exec, s[66:67]
	s_mov_b64 s[0:1], 0
	s_mov_b64 s[8:9], 0
	;; [unrolled: 1-line block ×3, first 2 shown]
                                        ; implicit-def: $vgpr1_vgpr2
                                        ; implicit-def: $vgpr0
                                        ; implicit-def: $vgpr3
	s_and_saveexec_b64 s[66:67], s[2:3]
	s_cbranch_execz .LBB7_949
; %bb.855:
	v_cmp_gt_i32_e32 vcc, s72, v8
	s_mov_b64 s[2:3], 0
	s_mov_b64 s[12:13], s[68:69]
                                        ; implicit-def: $vgpr1_vgpr2
                                        ; implicit-def: $vgpr0
                                        ; implicit-def: $vgpr3
	s_and_saveexec_b64 s[72:73], vcc
	s_cbranch_execz .LBB7_948
; %bb.856:
	s_andn2_b64 vcc, exec, s[40:41]
	s_cbranch_vccnz .LBB7_861
; %bb.857:
	s_andn2_b64 vcc, exec, s[52:53]
	s_cbranch_vccnz .LBB7_862
; %bb.858:
	s_add_i32 s78, s77, 1
	s_cmp_eq_u32 s74, 2
	s_cbranch_scc1 .LBB7_863
; %bb.859:
	s_and_b32 s77, s78, 28
	v_mov_b32_e32 v2, 0
	s_mov_b32 s79, 0
	s_mov_b64 s[52:53], s[34:35]
	v_mov_b32_e32 v0, 0
	v_mov_b32_e32 v1, v8
.LBB7_860:                              ; =>This Inner Loop Header: Depth=1
	s_load_dwordx8 s[16:23], s[52:53], 0x4
	s_load_dwordx4 s[0:3], s[52:53], 0x24
	s_load_dwordx8 s[8:15], s[50:51], 0x0
	s_add_u32 s52, s52, 48
	s_addc_u32 s53, s53, 0
	s_waitcnt vmcnt(0) lgkmcnt(0)
	v_mul_hi_u32 v3, s17, v1
	s_add_i32 s79, s79, 4
	s_add_u32 s50, s50, 32
	s_addc_u32 s51, s51, 0
	v_add_u32_e32 v3, v1, v3
	v_lshrrev_b32_e32 v3, s18, v3
	v_mul_lo_u32 v4, v3, s16
	v_mul_hi_u32 v5, s20, v3
	s_cmp_eq_u32 s77, s79
	v_sub_u32_e32 v1, v1, v4
	v_add_u32_e32 v4, v3, v5
	v_mul_lo_u32 v5, v1, s8
	v_mul_lo_u32 v6, v1, s9
	v_lshrrev_b32_e32 v1, s21, v4
	v_mul_lo_u32 v4, v1, s19
	v_mul_hi_u32 v7, s23, v1
	v_sub_u32_e32 v3, v3, v4
	v_add_u32_e32 v4, v1, v7
	v_lshrrev_b32_e32 v4, s0, v4
	v_mul_hi_u32 v9, s2, v4
	v_mul_lo_u32 v10, v4, s22
	v_mul_lo_u32 v7, v3, s10
	;; [unrolled: 1-line block ×3, first 2 shown]
	v_sub_u32_e32 v10, v1, v10
	v_add_u32_e32 v1, v4, v9
	v_lshrrev_b32_e32 v1, s3, v1
	v_mul_lo_u32 v9, v1, s1
	v_mul_lo_u32 v11, v10, s12
	;; [unrolled: 1-line block ×3, first 2 shown]
	v_add3_u32 v0, v5, v0, v7
	v_sub_u32_e32 v4, v4, v9
	v_mul_lo_u32 v9, v4, s14
	v_mul_lo_u32 v4, v4, s15
	v_add3_u32 v2, v6, v2, v3
	v_add3_u32 v0, v11, v0, v9
	;; [unrolled: 1-line block ×3, first 2 shown]
	s_cbranch_scc0 .LBB7_860
	s_branch .LBB7_864
.LBB7_861:
	s_mov_b64 s[0:1], -1
                                        ; implicit-def: $vgpr0
                                        ; implicit-def: $vgpr2
	s_branch .LBB7_868
.LBB7_862:
	v_mov_b32_e32 v0, 0
	v_mov_b32_e32 v2, 0
	s_branch .LBB7_867
.LBB7_863:
	s_mov_b32 s77, 0
	v_mov_b32_e32 v0, 0
	v_mov_b32_e32 v2, 0
	;; [unrolled: 1-line block ×3, first 2 shown]
.LBB7_864:
	s_and_b32 s8, s78, 3
	s_cmp_eq_u32 s8, 0
	s_cbranch_scc1 .LBB7_867
; %bb.865:
	s_lshl_b32 s0, s77, 3
	s_add_u32 s0, s34, s0
	s_addc_u32 s1, s35, 0
	s_add_u32 s0, s0, 0xc4
	s_addc_u32 s1, s1, 0
	s_mul_i32 s2, s77, 12
	s_add_u32 s2, s34, s2
	s_addc_u32 s3, s35, 0
.LBB7_866:                              ; =>This Inner Loop Header: Depth=1
	s_load_dwordx2 s[10:11], s[2:3], 0x4
	s_load_dword s9, s[2:3], 0xc
	s_load_dwordx2 s[12:13], s[0:1], 0x0
	s_add_u32 s2, s2, 12
	s_addc_u32 s3, s3, 0
	s_waitcnt vmcnt(0) lgkmcnt(0)
	v_mul_hi_u32 v3, s11, v1
	s_add_u32 s0, s0, 8
	s_addc_u32 s1, s1, 0
	s_add_i32 s8, s8, -1
	v_add_u32_e32 v3, v1, v3
	v_lshrrev_b32_e32 v4, s9, v3
	v_mul_lo_u32 v3, v4, s10
	s_cmp_lg_u32 s8, 0
	v_sub_u32_e32 v3, v1, v3
	v_mad_u64_u32 v[0:1], s[10:11], v3, s12, v[0:1]
	v_mad_u64_u32 v[2:3], s[10:11], v3, s13, v[2:3]
	v_mov_b32_e32 v1, v4
	s_cbranch_scc1 .LBB7_866
.LBB7_867:
	s_mov_b64 s[0:1], 0
.LBB7_868:
	s_andn2_b64 vcc, exec, s[0:1]
	s_cbranch_vccnz .LBB7_871
; %bb.869:
	v_mul_hi_u32 v0, s29, v8
	s_andn2_b64 vcc, exec, s[48:49]
	v_add_u32_e32 v0, v8, v0
	v_lshrrev_b32_e32 v1, s30, v0
	v_mul_lo_u32 v0, v1, s28
	v_sub_u32_e32 v2, v8, v0
	v_mul_lo_u32 v0, v2, s36
	v_mul_lo_u32 v2, v2, s37
	s_cbranch_vccnz .LBB7_871
; %bb.870:
	s_waitcnt vmcnt(0)
	v_mul_hi_u32 v3, s46, v1
	v_add_u32_e32 v3, v1, v3
	v_lshrrev_b32_e32 v3, s47, v3
	v_mul_lo_u32 v3, v3, s31
	v_sub_u32_e32 v3, v1, v3
	v_mad_u64_u32 v[0:1], s[0:1], v3, s38, v[0:1]
	v_mad_u64_u32 v[2:3], s[0:1], v3, s39, v[2:3]
.LBB7_871:
	s_waitcnt vmcnt(0)
	v_mov_b32_e32 v3, s27
	s_and_b32 s12, 0xffff, s76
	v_add_co_u32_e32 v1, vcc, s26, v2
	s_cmp_lt_i32 s12, 11
	v_addc_co_u32_e32 v2, vcc, 0, v3, vcc
	s_cbranch_scc1 .LBB7_878
; %bb.872:
	s_cmp_gt_i32 s12, 25
	s_mov_b64 s[2:3], 0
	s_cbranch_scc0 .LBB7_879
; %bb.873:
	s_cmp_gt_i32 s12, 28
	s_cbranch_scc0 .LBB7_880
; %bb.874:
	s_cmp_gt_i32 s12, 43
	;; [unrolled: 3-line block ×3, first 2 shown]
	s_cbranch_scc0 .LBB7_884
; %bb.876:
	s_cmp_eq_u32 s12, 46
	s_mov_b64 s[10:11], 0
	s_cbranch_scc0 .LBB7_887
; %bb.877:
	global_load_dword v3, v[1:2], off
	s_mov_b32 s0, 0x2f800000
	s_mov_b32 s1, 0xcf800000
	s_mov_b64 s[8:9], -1
	s_waitcnt vmcnt(0)
	v_lshlrev_b32_e32 v3, 16, v3
	v_trunc_f32_e32 v3, v3
	v_mul_f32_e64 v4, |v3|, s0
	v_floor_f32_e32 v4, v4
	v_fma_f32 v4, v4, s1, |v3|
	v_cvt_u32_f32_e32 v4, v4
	v_ashrrev_i32_e32 v3, 31, v3
	s_mov_b64 s[0:1], 0
	v_xor_b32_e32 v4, v4, v3
	v_sub_u32_e32 v3, v4, v3
	s_branch .LBB7_888
.LBB7_878:
	s_mov_b64 s[12:13], -1
	s_mov_b64 s[8:9], 0
	s_mov_b64 s[2:3], 0
	;; [unrolled: 1-line block ×3, first 2 shown]
                                        ; implicit-def: $vgpr3
	s_branch .LBB7_947
.LBB7_879:
	s_mov_b64 s[10:11], -1
	s_mov_b64 s[8:9], 0
	s_mov_b64 s[0:1], s[68:69]
                                        ; implicit-def: $vgpr3
	s_branch .LBB7_915
.LBB7_880:
	s_mov_b64 s[10:11], -1
	s_mov_b64 s[8:9], 0
	s_mov_b64 s[0:1], s[68:69]
                                        ; implicit-def: $vgpr3
	s_branch .LBB7_898
.LBB7_881:
	s_mov_b64 s[10:11], -1
	s_mov_b64 s[8:9], 0
	s_mov_b64 s[0:1], s[68:69]
                                        ; implicit-def: $vgpr3
	s_branch .LBB7_893
.LBB7_882:
	s_andn2_saveexec_b64 s[14:15], s[14:15]
	s_cbranch_execz .LBB7_762
.LBB7_883:
	v_add_f32_e32 v2, 0x46000000, v3
	v_and_b32_e32 v2, 0xff, v2
	v_cmp_ne_u32_e32 vcc, 0, v2
	s_andn2_b64 s[12:13], s[12:13], exec
	s_and_b64 s[18:19], vcc, exec
	s_or_b64 s[12:13], s[12:13], s[18:19]
	s_or_b64 exec, exec, s[14:15]
	v_mov_b32_e32 v4, 0
	s_and_saveexec_b64 s[14:15], s[12:13]
	s_cbranch_execnz .LBB7_763
	s_branch .LBB7_764
.LBB7_884:
	s_mov_b64 s[10:11], -1
	s_mov_b64 s[8:9], 0
	s_mov_b64 s[0:1], s[68:69]
                                        ; implicit-def: $vgpr3
	s_branch .LBB7_888
.LBB7_885:
	s_andn2_saveexec_b64 s[14:15], s[14:15]
	s_cbranch_execz .LBB7_775
.LBB7_886:
	v_add_f32_e32 v2, 0x42800000, v3
	v_and_b32_e32 v2, 0xff, v2
	v_cmp_ne_u32_e32 vcc, 0, v2
	s_andn2_b64 s[12:13], s[12:13], exec
	s_and_b64 s[18:19], vcc, exec
	s_or_b64 s[12:13], s[12:13], s[18:19]
	s_or_b64 exec, exec, s[14:15]
	v_mov_b32_e32 v4, 0
	s_and_saveexec_b64 s[14:15], s[12:13]
	s_cbranch_execnz .LBB7_776
	s_branch .LBB7_777
.LBB7_887:
	s_mov_b64 s[0:1], -1
                                        ; implicit-def: $vgpr3
	s_mov_b64 s[8:9], 0
.LBB7_888:
	s_and_b64 vcc, exec, s[10:11]
	s_cbranch_vccz .LBB7_892
; %bb.889:
	s_cmp_eq_u32 s12, 44
	s_cbranch_scc0 .LBB7_891
; %bb.890:
	global_load_ubyte v3, v[1:2], off
	s_mov_b32 s0, 0x2f800000
	s_mov_b32 s1, 0xcf800000
	s_mov_b64 s[8:9], -1
	s_waitcnt vmcnt(0)
	v_lshlrev_b32_e32 v4, 23, v3
	v_trunc_f32_e32 v4, v4
	v_mul_f32_e64 v5, |v4|, s0
	v_floor_f32_e32 v5, v5
	v_fma_f32 v5, v5, s1, |v4|
	v_cvt_u32_f32_e32 v5, v5
	v_ashrrev_i32_e32 v4, 31, v4
	v_cmp_ne_u32_e32 vcc, 0, v3
	s_mov_b64 s[0:1], 0
	v_xor_b32_e32 v5, v5, v4
	v_sub_u32_e32 v4, v5, v4
	v_cndmask_b32_e32 v3, 0, v4, vcc
	s_branch .LBB7_892
.LBB7_891:
	s_mov_b64 s[0:1], -1
                                        ; implicit-def: $vgpr3
.LBB7_892:
	s_mov_b64 s[10:11], 0
.LBB7_893:
	s_and_b64 vcc, exec, s[10:11]
	s_cbranch_vccz .LBB7_897
; %bb.894:
	s_cmp_eq_u32 s12, 29
	s_cbranch_scc0 .LBB7_896
; %bb.895:
	global_load_dwordx2 v[3:4], v[1:2], off
	s_mov_b64 s[0:1], 0
	s_mov_b64 s[8:9], -1
	s_branch .LBB7_897
.LBB7_896:
	s_mov_b64 s[0:1], -1
                                        ; implicit-def: $vgpr3
.LBB7_897:
	s_mov_b64 s[10:11], 0
.LBB7_898:
	s_and_b64 vcc, exec, s[10:11]
	s_cbranch_vccz .LBB7_914
; %bb.899:
	s_cmp_lt_i32 s12, 27
	s_cbranch_scc1 .LBB7_902
; %bb.900:
	s_cmp_gt_i32 s12, 27
	s_cbranch_scc0 .LBB7_903
; %bb.901:
	global_load_dword v3, v[1:2], off
	s_mov_b64 s[8:9], 0
	s_branch .LBB7_904
.LBB7_902:
	s_mov_b64 s[8:9], -1
                                        ; implicit-def: $vgpr3
	s_branch .LBB7_907
.LBB7_903:
	s_mov_b64 s[8:9], -1
                                        ; implicit-def: $vgpr3
.LBB7_904:
	s_andn2_b64 vcc, exec, s[8:9]
	s_cbranch_vccnz .LBB7_906
; %bb.905:
	global_load_ushort v3, v[1:2], off
.LBB7_906:
	s_mov_b64 s[8:9], 0
.LBB7_907:
	s_andn2_b64 vcc, exec, s[8:9]
	s_cbranch_vccnz .LBB7_913
; %bb.908:
	global_load_ubyte v4, v[1:2], off
	s_movk_i32 s8, 0x7f
	s_mov_b64 s[10:11], 0
	s_waitcnt vmcnt(0)
	v_cmp_lt_i16_e32 vcc, s8, v4
	s_and_saveexec_b64 s[8:9], vcc
	s_xor_b64 s[8:9], exec, s[8:9]
	s_cbranch_execz .LBB7_925
; %bb.909:
	s_movk_i32 s10, 0x80
	v_cmp_ne_u16_e32 vcc, s10, v4
	s_and_b64 s[10:11], vcc, exec
	s_andn2_saveexec_b64 s[8:9], s[8:9]
	s_cbranch_execnz .LBB7_926
.LBB7_910:
	s_or_b64 exec, exec, s[8:9]
	v_mov_b32_e32 v3, 0
	s_and_saveexec_b64 s[8:9], s[10:11]
	s_cbranch_execz .LBB7_912
.LBB7_911:
	v_lshlrev_b32_e32 v3, 24, v4
	v_and_b32_e32 v4, 0xffff, v4
	v_and_b32_e32 v5, 7, v4
	v_ffbh_u32_e32 v7, v5
	v_min_u32_e32 v7, 32, v7
	v_subrev_u32_e32 v8, 28, v7
	v_bfe_u32 v6, v4, 3, 4
	v_lshlrev_b32_e32 v4, v8, v4
	v_sub_u32_e32 v7, 29, v7
	v_and_b32_e32 v4, 7, v4
	v_cmp_eq_u32_e32 vcc, 0, v6
	v_cndmask_b32_e32 v6, v6, v7, vcc
	v_cndmask_b32_e32 v4, v5, v4, vcc
	v_mov_b32_e32 v5, 0x3b800000
	v_lshlrev_b32_e32 v4, 20, v4
	v_and_b32_e32 v3, 0x80000000, v3
	v_lshl_add_u32 v5, v6, 23, v5
	v_or3_b32 v3, v3, v5, v4
	v_trunc_f32_e32 v3, v3
	s_mov_b32 s10, 0x2f800000
	v_mul_f32_e64 v4, |v3|, s10
	v_floor_f32_e32 v4, v4
	s_mov_b32 s10, 0xcf800000
	v_fma_f32 v4, v4, s10, |v3|
	v_cvt_u32_f32_e32 v4, v4
	v_ashrrev_i32_e32 v3, 31, v3
	v_xor_b32_e32 v4, v4, v3
	v_sub_u32_e32 v3, v4, v3
.LBB7_912:
	s_or_b64 exec, exec, s[8:9]
.LBB7_913:
	s_mov_b64 s[8:9], -1
.LBB7_914:
	s_mov_b64 s[10:11], 0
.LBB7_915:
	s_and_b64 vcc, exec, s[10:11]
	s_cbranch_vccz .LBB7_946
; %bb.916:
	s_cmp_gt_i32 s12, 22
	s_cbranch_scc0 .LBB7_924
; %bb.917:
	s_cmp_lt_i32 s12, 24
	s_cbranch_scc1 .LBB7_927
; %bb.918:
	s_cmp_gt_i32 s12, 24
	s_cbranch_scc0 .LBB7_928
; %bb.919:
	global_load_ubyte v4, v[1:2], off
	s_movk_i32 s2, 0x7f
	s_mov_b64 s[8:9], 0
	s_waitcnt vmcnt(0)
	v_cmp_lt_i16_e32 vcc, s2, v4
	s_and_saveexec_b64 s[2:3], vcc
	s_xor_b64 s[2:3], exec, s[2:3]
	s_cbranch_execz .LBB7_940
; %bb.920:
	s_movk_i32 s8, 0x80
	v_cmp_ne_u16_e32 vcc, s8, v4
	s_and_b64 s[8:9], vcc, exec
	s_andn2_saveexec_b64 s[2:3], s[2:3]
	s_cbranch_execnz .LBB7_941
.LBB7_921:
	s_or_b64 exec, exec, s[2:3]
	v_mov_b32_e32 v3, 0
	s_and_saveexec_b64 s[2:3], s[8:9]
	s_cbranch_execz .LBB7_923
.LBB7_922:
	v_lshlrev_b32_e32 v3, 24, v4
	v_and_b32_e32 v4, 0xffff, v4
	v_and_b32_e32 v5, 3, v4
	v_ffbh_u32_e32 v7, v5
	v_min_u32_e32 v7, 32, v7
	v_subrev_u32_e32 v8, 29, v7
	v_bfe_u32 v6, v4, 2, 5
	v_lshlrev_b32_e32 v4, v8, v4
	v_sub_u32_e32 v7, 30, v7
	v_and_b32_e32 v4, 3, v4
	v_cmp_eq_u32_e32 vcc, 0, v6
	v_cndmask_b32_e32 v6, v6, v7, vcc
	v_cndmask_b32_e32 v4, v5, v4, vcc
	v_mov_b32_e32 v5, 0x37800000
	v_lshlrev_b32_e32 v4, 21, v4
	v_and_b32_e32 v3, 0x80000000, v3
	v_lshl_add_u32 v5, v6, 23, v5
	v_or3_b32 v3, v3, v5, v4
	v_trunc_f32_e32 v3, v3
	s_mov_b32 s8, 0x2f800000
	v_mul_f32_e64 v4, |v3|, s8
	v_floor_f32_e32 v4, v4
	s_mov_b32 s8, 0xcf800000
	v_fma_f32 v4, v4, s8, |v3|
	v_cvt_u32_f32_e32 v4, v4
	v_ashrrev_i32_e32 v3, 31, v3
	v_xor_b32_e32 v4, v4, v3
	v_sub_u32_e32 v3, v4, v3
.LBB7_923:
	s_or_b64 exec, exec, s[2:3]
	s_mov_b64 s[2:3], 0
	s_branch .LBB7_929
.LBB7_924:
	s_mov_b64 s[2:3], -1
                                        ; implicit-def: $vgpr3
	s_branch .LBB7_935
.LBB7_925:
	s_andn2_saveexec_b64 s[8:9], s[8:9]
	s_cbranch_execz .LBB7_910
.LBB7_926:
	v_cmp_ne_u16_e32 vcc, 0, v4
	s_andn2_b64 s[10:11], s[10:11], exec
	s_and_b64 s[14:15], vcc, exec
	s_or_b64 s[10:11], s[10:11], s[14:15]
	s_or_b64 exec, exec, s[8:9]
	v_mov_b32_e32 v3, 0
	s_and_saveexec_b64 s[8:9], s[10:11]
	s_cbranch_execnz .LBB7_911
	s_branch .LBB7_912
.LBB7_927:
	s_mov_b64 s[2:3], -1
                                        ; implicit-def: $vgpr3
	s_branch .LBB7_932
.LBB7_928:
	s_mov_b64 s[2:3], -1
                                        ; implicit-def: $vgpr3
.LBB7_929:
	s_and_b64 vcc, exec, s[2:3]
	s_cbranch_vccz .LBB7_931
; %bb.930:
	global_load_ubyte v3, v[1:2], off
	s_mov_b32 s2, 0x7f800000
	s_brev_b32 s3, 1
	s_mov_b32 s8, 0x2f800000
	s_waitcnt vmcnt(0)
	v_lshlrev_b32_e32 v3, 24, v3
	v_and_b32_e32 v4, 0x7f000000, v3
	v_ffbh_u32_e32 v5, v4
	v_min_u32_e32 v5, 32, v5
	v_sub_u32_e64 v5, v5, 4 clamp
	v_lshlrev_b32_e32 v7, v5, v4
	v_lshlrev_b32_e32 v5, 23, v5
	v_lshrrev_b32_e32 v7, 4, v7
	v_add_u32_e32 v6, 0x1000000, v4
	v_sub_u32_e32 v5, v7, v5
	v_ashrrev_i32_e32 v6, 8, v6
	v_add_u32_e32 v5, 0x3c000000, v5
	v_and_or_b32 v5, v6, s2, v5
	v_cmp_ne_u32_e32 vcc, 0, v4
	v_cndmask_b32_e32 v4, 0, v5, vcc
	v_and_or_b32 v3, v3, s3, v4
	v_trunc_f32_e32 v3, v3
	v_mul_f32_e64 v4, |v3|, s8
	v_floor_f32_e32 v4, v4
	s_mov_b32 s2, 0xcf800000
	v_fma_f32 v4, v4, s2, |v3|
	v_cvt_u32_f32_e32 v4, v4
	v_ashrrev_i32_e32 v3, 31, v3
	v_xor_b32_e32 v4, v4, v3
	v_sub_u32_e32 v3, v4, v3
.LBB7_931:
	s_mov_b64 s[2:3], 0
.LBB7_932:
	s_andn2_b64 vcc, exec, s[2:3]
	s_cbranch_vccnz .LBB7_934
; %bb.933:
	global_load_ubyte v3, v[1:2], off
	s_movk_i32 s2, 0x7f00
	s_brev_b32 s3, 16
	s_brev_b32 s8, 1
	s_mov_b32 s9, 0x2f800000
	s_waitcnt vmcnt(0)
	v_lshlrev_b16_e32 v4, 8, v3
	v_lshlrev_b32_e32 v3, 25, v3
	v_lshrrev_b32_e32 v5, 4, v3
	v_and_or_b32 v6, v4, s2, 0.5
	v_or_b32_e32 v5, 0x70000000, v5
	v_add_f32_e32 v6, -0.5, v6
	v_mul_f32_e32 v5, 0x7800000, v5
	v_cmp_gt_u32_e32 vcc, s3, v3
	v_bfe_i32 v4, v4, 0, 16
	v_cndmask_b32_e32 v3, v5, v6, vcc
	v_and_or_b32 v3, v4, s8, v3
	v_trunc_f32_e32 v3, v3
	v_mul_f32_e64 v4, |v3|, s9
	v_floor_f32_e32 v4, v4
	s_mov_b32 s2, 0xcf800000
	v_fma_f32 v4, v4, s2, |v3|
	v_cvt_u32_f32_e32 v4, v4
	v_ashrrev_i32_e32 v3, 31, v3
	v_xor_b32_e32 v4, v4, v3
	v_sub_u32_e32 v3, v4, v3
.LBB7_934:
	s_mov_b64 s[2:3], 0
	s_mov_b64 s[8:9], -1
.LBB7_935:
	s_andn2_b64 vcc, exec, s[2:3]
	s_mov_b64 s[2:3], 0
	s_cbranch_vccnz .LBB7_946
; %bb.936:
	s_cmp_gt_i32 s12, 14
	s_cbranch_scc0 .LBB7_939
; %bb.937:
	s_cmp_eq_u32 s12, 15
	s_cbranch_scc0 .LBB7_942
; %bb.938:
	global_load_ushort v3, v[1:2], off
	s_mov_b32 s0, 0x2f800000
	s_mov_b32 s1, 0xcf800000
	s_mov_b64 s[8:9], -1
	s_waitcnt vmcnt(0)
	v_lshlrev_b32_e32 v3, 16, v3
	v_trunc_f32_e32 v3, v3
	v_mul_f32_e64 v4, |v3|, s0
	v_floor_f32_e32 v4, v4
	v_fma_f32 v4, v4, s1, |v3|
	v_cvt_u32_f32_e32 v4, v4
	v_ashrrev_i32_e32 v3, 31, v3
	s_mov_b64 s[0:1], 0
	v_xor_b32_e32 v4, v4, v3
	v_sub_u32_e32 v3, v4, v3
	s_branch .LBB7_943
.LBB7_939:
	s_mov_b64 s[10:11], -1
                                        ; implicit-def: $vgpr3
	s_branch .LBB7_944
.LBB7_940:
	s_andn2_saveexec_b64 s[2:3], s[2:3]
	s_cbranch_execz .LBB7_921
.LBB7_941:
	v_cmp_ne_u16_e32 vcc, 0, v4
	s_andn2_b64 s[8:9], s[8:9], exec
	s_and_b64 s[10:11], vcc, exec
	s_or_b64 s[8:9], s[8:9], s[10:11]
	s_or_b64 exec, exec, s[2:3]
	v_mov_b32_e32 v3, 0
	s_and_saveexec_b64 s[2:3], s[8:9]
	s_cbranch_execnz .LBB7_922
	s_branch .LBB7_923
.LBB7_942:
	s_mov_b64 s[0:1], -1
                                        ; implicit-def: $vgpr3
.LBB7_943:
	s_mov_b64 s[10:11], 0
.LBB7_944:
	s_and_b64 vcc, exec, s[10:11]
	s_cbranch_vccz .LBB7_946
; %bb.945:
	s_cmp_lg_u32 s12, 11
	s_cselect_b64 s[10:11], -1, 0
	s_andn2_b64 s[0:1], s[0:1], exec
	s_and_b64 s[10:11], s[10:11], exec
	s_mov_b64 s[2:3], -1
	s_or_b64 s[0:1], s[0:1], s[10:11]
.LBB7_946:
	s_mov_b64 s[12:13], 0
.LBB7_947:
	s_and_b64 s[10:11], s[8:9], exec
	s_and_b64 s[8:9], s[12:13], exec
	s_andn2_b64 s[12:13], s[68:69], exec
	s_and_b64 s[0:1], s[0:1], exec
	s_and_b64 s[2:3], s[2:3], exec
	s_or_b64 s[12:13], s[12:13], s[0:1]
.LBB7_948:
	s_or_b64 exec, exec, s[72:73]
	s_and_b64 s[0:1], s[2:3], exec
	s_andn2_b64 s[2:3], s[68:69], exec
	s_and_b64 s[12:13], s[12:13], exec
	s_and_b64 s[10:11], s[10:11], exec
	;; [unrolled: 1-line block ×3, first 2 shown]
	s_or_b64 s[68:69], s[2:3], s[12:13]
.LBB7_949:
	s_or_b64 exec, exec, s[66:67]
	s_andn2_b64 s[2:3], s[62:63], exec
	s_and_b64 s[12:13], s[70:71], exec
	s_or_b64 s[62:63], s[2:3], s[12:13]
	s_and_b64 s[2:3], s[0:1], exec
	s_andn2_b64 s[0:1], s[60:61], exec
	s_and_b64 s[12:13], s[68:69], exec
	s_and_b64 s[10:11], s[10:11], exec
	;; [unrolled: 1-line block ×3, first 2 shown]
	s_or_b64 s[60:61], s[0:1], s[12:13]
.LBB7_950:
	s_or_b64 exec, exec, s[64:65]
	s_andn2_b64 s[0:1], s[54:55], exec
	s_and_b64 s[12:13], s[62:63], exec
	s_or_b64 s[54:55], s[0:1], s[12:13]
	s_and_b64 s[0:1], s[10:11], exec
	s_and_b64 s[10:11], s[8:9], exec
	;; [unrolled: 1-line block ×3, first 2 shown]
	s_andn2_b64 s[2:3], s[56:57], exec
	s_and_b64 s[8:9], s[60:61], exec
	s_or_b64 s[56:57], s[2:3], s[8:9]
	s_or_b64 exec, exec, s[58:59]
	s_mov_b64 s[2:3], 0
	s_and_saveexec_b64 s[8:9], s[56:57]
	s_cbranch_execz .LBB7_286
.LBB7_951:
	s_mov_b64 s[2:3], exec
	s_andn2_b64 s[62:63], s[62:63], exec
	s_trap 2
	s_or_b64 exec, exec, s[8:9]
	s_and_saveexec_b64 s[8:9], s[62:63]
	s_xor_b64 s[8:9], exec, s[8:9]
	s_cbranch_execnz .LBB7_287
.LBB7_952:
	s_or_b64 exec, exec, s[8:9]
	s_and_saveexec_b64 s[8:9], s[10:11]
	s_cbranch_execz .LBB7_998
.LBB7_953:
	s_sext_i32_i16 s10, s76
	s_cmp_lt_i32 s10, 5
	s_cbranch_scc1 .LBB7_958
; %bb.954:
	s_cmp_lt_i32 s10, 8
	s_cbranch_scc1 .LBB7_959
; %bb.955:
	s_cmp_lt_i32 s10, 9
	s_cbranch_scc1 .LBB7_960
; %bb.956:
	s_cmp_gt_i32 s10, 9
	s_cbranch_scc0 .LBB7_961
; %bb.957:
	global_load_dwordx2 v[3:4], v[1:2], off
	s_movk_i32 s10, 0xffe0
	s_waitcnt vmcnt(0)
	v_trunc_f64_e32 v[3:4], v[3:4]
	v_ldexp_f64 v[5:6], v[3:4], s10
	s_mov_b32 s10, 0
	s_mov_b32 s11, 0xc1f00000
	v_floor_f64_e32 v[5:6], v[5:6]
	v_fma_f64 v[3:4], v[5:6], s[10:11], v[3:4]
	s_mov_b64 s[10:11], 0
	v_cvt_u32_f64_e32 v3, v[3:4]
	s_branch .LBB7_962
.LBB7_958:
                                        ; implicit-def: $vgpr3
	s_branch .LBB7_979
.LBB7_959:
                                        ; implicit-def: $vgpr3
	s_branch .LBB7_968
.LBB7_960:
	s_mov_b64 s[10:11], -1
                                        ; implicit-def: $vgpr3
	s_branch .LBB7_965
.LBB7_961:
	s_mov_b64 s[10:11], -1
                                        ; implicit-def: $vgpr3
.LBB7_962:
	s_andn2_b64 vcc, exec, s[10:11]
	s_cbranch_vccnz .LBB7_964
; %bb.963:
	global_load_dword v3, v[1:2], off
	s_mov_b32 s10, 0x2f800000
	s_waitcnt vmcnt(0)
	v_trunc_f32_e32 v3, v3
	v_mul_f32_e64 v4, |v3|, s10
	v_floor_f32_e32 v4, v4
	s_mov_b32 s10, 0xcf800000
	v_fma_f32 v4, v4, s10, |v3|
	v_cvt_u32_f32_e32 v4, v4
	v_ashrrev_i32_e32 v3, 31, v3
	v_xor_b32_e32 v4, v4, v3
	v_sub_u32_e32 v3, v4, v3
.LBB7_964:
	s_mov_b64 s[10:11], 0
.LBB7_965:
	s_andn2_b64 vcc, exec, s[10:11]
	s_cbranch_vccnz .LBB7_967
; %bb.966:
	global_load_dword v3, v[1:2], off
	s_waitcnt vmcnt(0)
	v_cvt_f32_f16_e32 v3, v3
	v_cvt_i32_f32_e32 v3, v3
.LBB7_967:
	s_cbranch_execnz .LBB7_978
.LBB7_968:
	s_sext_i32_i16 s10, s76
	s_cmp_lt_i32 s10, 6
	s_cbranch_scc1 .LBB7_971
; %bb.969:
	s_cmp_gt_i32 s10, 6
	s_cbranch_scc0 .LBB7_972
; %bb.970:
	global_load_dwordx2 v[3:4], v[1:2], off
	s_movk_i32 s10, 0xffe0
	s_waitcnt vmcnt(0)
	v_trunc_f64_e32 v[3:4], v[3:4]
	v_ldexp_f64 v[5:6], v[3:4], s10
	s_mov_b32 s10, 0
	s_mov_b32 s11, 0xc1f00000
	v_floor_f64_e32 v[5:6], v[5:6]
	v_fma_f64 v[3:4], v[5:6], s[10:11], v[3:4]
	s_mov_b64 s[10:11], 0
	v_cvt_u32_f64_e32 v3, v[3:4]
	s_branch .LBB7_973
.LBB7_971:
	s_mov_b64 s[10:11], -1
                                        ; implicit-def: $vgpr3
	s_branch .LBB7_976
.LBB7_972:
	s_mov_b64 s[10:11], -1
                                        ; implicit-def: $vgpr3
.LBB7_973:
	s_andn2_b64 vcc, exec, s[10:11]
	s_cbranch_vccnz .LBB7_975
; %bb.974:
	global_load_dword v3, v[1:2], off
	s_mov_b32 s10, 0x2f800000
	s_waitcnt vmcnt(0)
	v_trunc_f32_e32 v3, v3
	v_mul_f32_e64 v4, |v3|, s10
	v_floor_f32_e32 v4, v4
	s_mov_b32 s10, 0xcf800000
	v_fma_f32 v4, v4, s10, |v3|
	v_cvt_u32_f32_e32 v4, v4
	v_ashrrev_i32_e32 v3, 31, v3
	v_xor_b32_e32 v4, v4, v3
	v_sub_u32_e32 v3, v4, v3
.LBB7_975:
	s_mov_b64 s[10:11], 0
.LBB7_976:
	s_andn2_b64 vcc, exec, s[10:11]
	s_cbranch_vccnz .LBB7_978
; %bb.977:
	global_load_ushort v3, v[1:2], off
	s_waitcnt vmcnt(0)
	v_cvt_f32_f16_e32 v3, v3
	v_cvt_i32_f32_e32 v3, v3
.LBB7_978:
	s_cbranch_execnz .LBB7_997
.LBB7_979:
	s_sext_i32_i16 s10, s76
	s_cmp_lt_i32 s10, 2
	s_cbranch_scc1 .LBB7_983
; %bb.980:
	s_cmp_lt_i32 s10, 3
	s_cbranch_scc1 .LBB7_984
; %bb.981:
	s_cmp_gt_i32 s10, 3
	s_cbranch_scc0 .LBB7_985
; %bb.982:
	global_load_dwordx2 v[3:4], v[1:2], off
	s_mov_b64 s[10:11], 0
	s_branch .LBB7_986
.LBB7_983:
                                        ; implicit-def: $vgpr3
	s_branch .LBB7_992
.LBB7_984:
	s_mov_b64 s[10:11], -1
                                        ; implicit-def: $vgpr3
	s_branch .LBB7_989
.LBB7_985:
	s_mov_b64 s[10:11], -1
                                        ; implicit-def: $vgpr3
.LBB7_986:
	s_andn2_b64 vcc, exec, s[10:11]
	s_cbranch_vccnz .LBB7_988
; %bb.987:
	global_load_dword v3, v[1:2], off
.LBB7_988:
	s_mov_b64 s[10:11], 0
.LBB7_989:
	s_andn2_b64 vcc, exec, s[10:11]
	s_cbranch_vccnz .LBB7_991
; %bb.990:
	global_load_ushort v3, v[1:2], off
.LBB7_991:
	s_cbranch_execnz .LBB7_997
.LBB7_992:
	s_sext_i32_i16 s10, s76
	s_cmp_gt_i32 s10, 0
	s_cbranch_scc0 .LBB7_994
; %bb.993:
	global_load_ubyte v3, v[1:2], off
	s_mov_b64 s[10:11], 0
	s_branch .LBB7_995
.LBB7_994:
	s_mov_b64 s[10:11], -1
                                        ; implicit-def: $vgpr3
.LBB7_995:
	s_andn2_b64 vcc, exec, s[10:11]
	s_cbranch_vccnz .LBB7_997
; %bb.996:
	global_load_ubyte v3, v[1:2], off
.LBB7_997:
	s_or_b64 s[0:1], s[0:1], exec
.LBB7_998:
	s_or_b64 exec, exec, s[8:9]
	s_mov_b64 s[14:15], 0
	s_mov_b64 s[12:13], 0
                                        ; implicit-def: $sgpr8_sgpr9
                                        ; implicit-def: $sgpr20
                                        ; implicit-def: $vgpr1_vgpr2
	s_and_saveexec_b64 s[10:11], s[0:1]
	s_cbranch_execz .LBB7_1003
; %bb.999:
	s_cmp_lt_i32 s44, 1
	s_mov_b64 s[0:1], 0
	s_cbranch_scc1 .LBB7_1006
; %bb.1000:
	s_cmp_gt_i32 s44, 1
	s_cbranch_scc0 .LBB7_1007
; %bb.1001:
	s_cmp_eq_u32 s44, 2
	s_cbranch_scc0 .LBB7_1008
; %bb.1002:
	s_and_b32 s8, s45, 0xff
	s_waitcnt vmcnt(0)
	v_cmp_le_u16_sdwa s[8:9], v3, s8 src0_sel:BYTE_0 src1_sel:DWORD
	s_branch .LBB7_1010
.LBB7_1003:
	s_or_b64 exec, exec, s[10:11]
	s_and_saveexec_b64 s[0:1], s[54:55]
	s_cbranch_execnz .LBB7_1095
.LBB7_1004:
	s_or_b64 exec, exec, s[0:1]
	s_and_saveexec_b64 s[0:1], s[14:15]
	s_xor_b64 s[0:1], exec, s[0:1]
	s_cbranch_execz .LBB7_1096
.LBB7_1005:
	v_cndmask_b32_e64 v0, 0, 1, s[8:9]
	global_store_byte v[1:2], v0, off
	s_or_b64 exec, exec, s[0:1]
	s_and_saveexec_b64 s[0:1], s[12:13]
	s_xor_b64 s[0:1], exec, s[0:1]
	s_cbranch_execz .LBB7_1134
	s_branch .LBB7_1097
.LBB7_1006:
                                        ; implicit-def: $sgpr8_sgpr9
	s_cbranch_execnz .LBB7_1013
	s_branch .LBB7_1014
.LBB7_1007:
	s_mov_b64 s[14:15], -1
	s_branch .LBB7_1009
.LBB7_1008:
	s_mov_b64 s[12:13], -1
.LBB7_1009:
                                        ; implicit-def: $sgpr8_sgpr9
.LBB7_1010:
	s_and_b64 vcc, exec, s[14:15]
	s_cbranch_vccz .LBB7_1012
; %bb.1011:
	s_and_b32 s14, s45, 0xff
	s_waitcnt vmcnt(0)
	v_cmp_gt_u16_sdwa s[14:15], v3, s14 src0_sel:BYTE_0 src1_sel:DWORD
	s_andn2_b64 s[8:9], s[8:9], exec
	s_and_b64 s[14:15], s[14:15], exec
	s_or_b64 s[8:9], s[8:9], s[14:15]
.LBB7_1012:
	s_branch .LBB7_1014
.LBB7_1013:
	s_cmp_lg_u32 s44, 0
	s_mov_b64 s[0:1], -1
	s_cselect_b64 s[12:13], -1, 0
.LBB7_1014:
	s_andn2_b64 vcc, exec, s[12:13]
	s_cbranch_vccnz .LBB7_1016
; %bb.1015:
	s_and_b32 s0, s45, 0xff
	s_waitcnt vmcnt(0)
	v_cmp_lt_u16_sdwa s[12:13], v3, s0 src0_sel:BYTE_0 src1_sel:DWORD
	s_andn2_b64 s[8:9], s[8:9], exec
	s_and_b64 s[12:13], s[12:13], exec
	s_or_b64 s[8:9], s[8:9], s[12:13]
	s_cbranch_execz .LBB7_1017
	s_branch .LBB7_1018
.LBB7_1016:
	s_andn2_b64 vcc, exec, s[0:1]
	s_cbranch_vccnz .LBB7_1018
.LBB7_1017:
	s_and_b32 s0, s45, 0xff
	s_waitcnt vmcnt(0)
	v_cmp_ge_u16_sdwa s[0:1], v3, s0 src0_sel:BYTE_0 src1_sel:DWORD
	s_andn2_b64 s[8:9], s[8:9], exec
	s_and_b64 s[0:1], s[0:1], exec
	s_or_b64 s[8:9], s[8:9], s[0:1]
.LBB7_1018:
	v_mov_b32_e32 v2, s25
	s_and_b32 s20, s75, 0xff
	v_add_co_u32_e32 v1, vcc, s24, v0
	s_cmp_lt_i32 s20, 11
	v_addc_co_u32_e32 v2, vcc, 0, v2, vcc
	s_cbranch_scc1 .LBB7_1092
; %bb.1019:
	s_and_b32 s21, 0xffff, s20
	s_mov_b64 s[14:15], -1
	s_cmp_gt_i32 s21, 25
	s_mov_b64 s[0:1], s[54:55]
	s_cbranch_scc0 .LBB7_1052
; %bb.1020:
	s_mov_b64 s[12:13], -1
	s_cmp_gt_i32 s21, 28
	s_mov_b64 s[0:1], s[54:55]
	s_cbranch_scc0 .LBB7_1036
; %bb.1021:
	s_cmp_gt_i32 s21, 43
	s_mov_b64 s[0:1], s[54:55]
	s_cbranch_scc0 .LBB7_1032
; %bb.1022:
	;; [unrolled: 4-line block ×3, first 2 shown]
	s_cmp_eq_u32 s21, 46
	s_mov_b64 s[0:1], -1
	s_cbranch_scc0 .LBB7_1025
; %bb.1024:
	v_cndmask_b32_e64 v0, 0, 1.0, s[8:9]
	s_waitcnt vmcnt(0)
	v_bfe_u32 v3, v0, 16, 1
	s_movk_i32 s0, 0x7fff
	v_add3_u32 v0, v0, v3, s0
	v_lshrrev_b32_e32 v0, 16, v0
	global_store_dword v[1:2], v0, off
	s_mov_b64 s[0:1], 0
.LBB7_1025:
	s_mov_b64 s[12:13], 0
.LBB7_1026:
	s_and_b64 vcc, exec, s[12:13]
	s_cbranch_vccz .LBB7_1031
; %bb.1027:
	s_cmp_eq_u32 s21, 44
	s_mov_b64 s[0:1], -1
	s_cbranch_scc0 .LBB7_1031
; %bb.1028:
	s_waitcnt vmcnt(0)
	v_cndmask_b32_e64 v3, 0, 1.0, s[8:9]
	v_lshrrev_b32_e32 v0, 23, v3
	s_movk_i32 s0, 0xff
	v_cmp_ne_u32_e32 vcc, s0, v0
	v_mov_b32_e32 v4, 0xff
	s_and_saveexec_b64 s[12:13], vcc
; %bb.1029:
	s_mov_b32 s0, 0x3fffff
	v_and_b32_e32 v4, 0x400000, v3
	v_and_or_b32 v3, v3, s0, v0
	v_cmp_ne_u32_e32 vcc, 0, v4
	v_cmp_ne_u32_e64 s[0:1], 0, v3
	s_and_b64 s[0:1], vcc, s[0:1]
	v_cndmask_b32_e64 v3, 0, 1, s[0:1]
	v_add_u32_e32 v4, v0, v3
; %bb.1030:
	s_or_b64 exec, exec, s[12:13]
	s_mov_b64 s[0:1], 0
	global_store_byte v[1:2], v4, off
.LBB7_1031:
	s_mov_b64 s[12:13], 0
.LBB7_1032:
	s_and_b64 vcc, exec, s[12:13]
	s_cbranch_vccz .LBB7_1035
; %bb.1033:
	s_cmp_eq_u32 s21, 29
	s_mov_b64 s[0:1], -1
	s_cbranch_scc0 .LBB7_1035
; %bb.1034:
	s_mov_b32 s0, 0
	s_waitcnt vmcnt(0)
	v_cndmask_b32_e64 v3, 0, 1, s[8:9]
	v_mov_b32_e32 v4, s0
	global_store_dwordx2 v[1:2], v[3:4], off
	s_mov_b64 s[0:1], 0
.LBB7_1035:
	s_mov_b64 s[12:13], 0
.LBB7_1036:
	s_and_b64 vcc, exec, s[12:13]
	s_cbranch_vccz .LBB7_1051
; %bb.1037:
	s_cmp_lt_i32 s21, 27
	s_mov_b64 s[12:13], -1
	s_cbranch_scc1 .LBB7_1043
; %bb.1038:
	s_cmp_gt_i32 s21, 27
	s_cbranch_scc0 .LBB7_1040
; %bb.1039:
	v_cndmask_b32_e64 v0, 0, 1, s[8:9]
	s_mov_b64 s[12:13], 0
	global_store_dword v[1:2], v0, off
.LBB7_1040:
	s_andn2_b64 vcc, exec, s[12:13]
	s_cbranch_vccnz .LBB7_1042
; %bb.1041:
	v_cndmask_b32_e64 v0, 0, 1, s[8:9]
	global_store_short v[1:2], v0, off
.LBB7_1042:
	s_mov_b64 s[12:13], 0
.LBB7_1043:
	s_andn2_b64 vcc, exec, s[12:13]
	s_cbranch_vccnz .LBB7_1051
; %bb.1044:
	s_waitcnt vmcnt(0)
	v_cndmask_b32_e64 v3, 0, 1.0, s[8:9]
	s_mov_b32 s12, 0x43800000
	v_cmp_gt_u32_e32 vcc, s12, v3
	v_mov_b32_e32 v4, 0x80
	s_and_saveexec_b64 s[12:13], vcc
	s_cbranch_execz .LBB7_1050
; %bb.1045:
	s_mov_b32 s14, 0x3bffffff
	v_cmp_lt_u32_e32 vcc, s14, v3
	s_mov_b64 s[14:15], 0
                                        ; implicit-def: $vgpr0
	s_and_saveexec_b64 s[16:17], vcc
	s_xor_b64 s[16:17], exec, s[16:17]
	s_cbranch_execz .LBB7_1205
; %bb.1046:
	v_bfe_u32 v0, v3, 20, 1
	s_mov_b32 s18, 0x487ffff
	v_add3_u32 v0, v3, v0, s18
	s_mov_b64 s[14:15], exec
	v_lshrrev_b32_e32 v0, 20, v0
                                        ; implicit-def: $vgpr3
	s_andn2_saveexec_b64 s[16:17], s[16:17]
	s_cbranch_execnz .LBB7_1206
.LBB7_1047:
	s_or_b64 exec, exec, s[16:17]
	v_mov_b32_e32 v4, 0
	s_and_saveexec_b64 s[16:17], s[14:15]
.LBB7_1048:
	v_mov_b32_e32 v4, v0
.LBB7_1049:
	s_or_b64 exec, exec, s[16:17]
.LBB7_1050:
	s_or_b64 exec, exec, s[12:13]
	global_store_byte v[1:2], v4, off
.LBB7_1051:
	s_mov_b64 s[14:15], 0
.LBB7_1052:
	s_mov_b64 s[12:13], 0
	s_and_b64 vcc, exec, s[14:15]
	s_cbranch_vccz .LBB7_1093
; %bb.1053:
	s_cmp_gt_i32 s21, 22
	s_mov_b64 s[14:15], -1
	s_cbranch_scc0 .LBB7_1085
; %bb.1054:
	s_cmp_lt_i32 s21, 24
	s_cbranch_scc1 .LBB7_1074
; %bb.1055:
	s_cmp_gt_i32 s21, 24
	s_cbranch_scc0 .LBB7_1063
; %bb.1056:
	s_waitcnt vmcnt(0)
	v_cndmask_b32_e64 v3, 0, 1.0, s[8:9]
	s_mov_b32 s14, 0x47800000
	v_cmp_gt_u32_e32 vcc, s14, v3
	v_mov_b32_e32 v4, 0x80
	s_and_saveexec_b64 s[14:15], vcc
	s_cbranch_execz .LBB7_1062
; %bb.1057:
	s_mov_b32 s16, 0x37ffffff
	v_cmp_lt_u32_e32 vcc, s16, v3
	s_mov_b64 s[16:17], 0
                                        ; implicit-def: $vgpr0
	s_and_saveexec_b64 s[18:19], vcc
	s_xor_b64 s[18:19], exec, s[18:19]
	s_cbranch_execz .LBB7_1340
; %bb.1058:
	v_bfe_u32 v0, v3, 21, 1
	s_mov_b32 s22, 0x88fffff
	v_add3_u32 v0, v3, v0, s22
	s_mov_b64 s[16:17], exec
	v_lshrrev_b32_e32 v0, 21, v0
                                        ; implicit-def: $vgpr3
	s_andn2_saveexec_b64 s[18:19], s[18:19]
	s_cbranch_execnz .LBB7_1341
.LBB7_1059:
	s_or_b64 exec, exec, s[18:19]
	v_mov_b32_e32 v4, 0
	s_and_saveexec_b64 s[18:19], s[16:17]
.LBB7_1060:
	v_mov_b32_e32 v4, v0
.LBB7_1061:
	s_or_b64 exec, exec, s[18:19]
.LBB7_1062:
	s_or_b64 exec, exec, s[14:15]
	s_mov_b64 s[14:15], 0
	global_store_byte v[1:2], v4, off
.LBB7_1063:
	s_and_b64 vcc, exec, s[14:15]
	s_cbranch_vccz .LBB7_1073
; %bb.1064:
	v_cndmask_b32_e64 v0, 0, 1.0, s[8:9]
	s_mov_b32 s14, 0x43f00000
	v_cmp_gt_u32_e32 vcc, s14, v0
                                        ; implicit-def: $vgpr3
	s_and_saveexec_b64 s[14:15], vcc
	s_xor_b64 s[14:15], exec, s[14:15]
	s_cbranch_execz .LBB7_1070
; %bb.1065:
	s_mov_b32 s16, 0x3c7fffff
	v_cmp_lt_u32_e32 vcc, s16, v0
                                        ; implicit-def: $vgpr3
	s_and_saveexec_b64 s[16:17], vcc
	s_xor_b64 s[16:17], exec, s[16:17]
	s_cbranch_execz .LBB7_1067
; %bb.1066:
	s_waitcnt vmcnt(0)
	v_bfe_u32 v3, v0, 20, 1
	s_mov_b32 s18, 0x407ffff
	v_add3_u32 v0, v0, v3, s18
	v_lshrrev_b32_e32 v3, 20, v0
	v_and_b32_e32 v0, 0xff00000, v0
	s_mov_b32 s18, 0x7f00000
	v_mov_b32_e32 v4, 0x7e
	v_cmp_ne_u32_e32 vcc, s18, v0
	v_cndmask_b32_e32 v3, v4, v3, vcc
                                        ; implicit-def: $vgpr0
.LBB7_1067:
	s_andn2_saveexec_b64 s[16:17], s[16:17]
	s_cbranch_execz .LBB7_1069
; %bb.1068:
	s_waitcnt vmcnt(0)
	v_add_f32_e32 v3, 0x46800000, v0
.LBB7_1069:
	s_or_b64 exec, exec, s[16:17]
                                        ; implicit-def: $vgpr0
.LBB7_1070:
	s_andn2_saveexec_b64 s[14:15], s[14:15]
	s_cbranch_execz .LBB7_1072
; %bb.1071:
	s_mov_b32 s16, 0x7f800000
	s_waitcnt vmcnt(0)
	v_mov_b32_e32 v3, 0x7e
	v_mov_b32_e32 v4, 0x7f
	v_cmp_lt_u32_e32 vcc, s16, v0
	v_cndmask_b32_e32 v3, v3, v4, vcc
.LBB7_1072:
	s_or_b64 exec, exec, s[14:15]
	s_waitcnt vmcnt(0)
	global_store_byte v[1:2], v3, off
.LBB7_1073:
	s_mov_b64 s[14:15], 0
.LBB7_1074:
	s_andn2_b64 vcc, exec, s[14:15]
	s_cbranch_vccnz .LBB7_1084
; %bb.1075:
	v_cndmask_b32_e64 v0, 0, 1.0, s[8:9]
	s_mov_b32 s14, 0x47800000
	v_cmp_gt_u32_e32 vcc, s14, v0
                                        ; implicit-def: $vgpr3
	s_and_saveexec_b64 s[14:15], vcc
	s_xor_b64 s[14:15], exec, s[14:15]
	s_cbranch_execz .LBB7_1081
; %bb.1076:
	s_mov_b32 s16, 0x387fffff
	v_cmp_lt_u32_e32 vcc, s16, v0
                                        ; implicit-def: $vgpr3
	s_and_saveexec_b64 s[16:17], vcc
	s_xor_b64 s[16:17], exec, s[16:17]
	s_cbranch_execz .LBB7_1078
; %bb.1077:
	s_waitcnt vmcnt(0)
	v_bfe_u32 v3, v0, 21, 1
	s_mov_b32 s18, 0x80fffff
	v_add3_u32 v0, v0, v3, s18
	v_lshrrev_b32_e32 v3, 21, v0
                                        ; implicit-def: $vgpr0
.LBB7_1078:
	s_andn2_saveexec_b64 s[16:17], s[16:17]
	s_cbranch_execz .LBB7_1080
; %bb.1079:
	s_waitcnt vmcnt(0)
	v_add_f32_e32 v3, 0x43000000, v0
.LBB7_1080:
	s_or_b64 exec, exec, s[16:17]
                                        ; implicit-def: $vgpr0
.LBB7_1081:
	s_andn2_saveexec_b64 s[14:15], s[14:15]
	s_cbranch_execz .LBB7_1083
; %bb.1082:
	s_mov_b32 s16, 0x7f800000
	s_waitcnt vmcnt(0)
	v_mov_b32_e32 v3, 0x7c
	v_mov_b32_e32 v4, 0x7f
	v_cmp_lt_u32_e32 vcc, s16, v0
	v_cndmask_b32_e32 v3, v3, v4, vcc
.LBB7_1083:
	s_or_b64 exec, exec, s[14:15]
	s_waitcnt vmcnt(0)
	global_store_byte v[1:2], v3, off
.LBB7_1084:
	s_mov_b64 s[14:15], 0
.LBB7_1085:
	s_andn2_b64 vcc, exec, s[14:15]
	s_mov_b64 s[14:15], 0
	s_cbranch_vccnz .LBB7_1094
; %bb.1086:
	s_cmp_gt_i32 s21, 14
	s_mov_b64 s[16:17], -1
	s_cbranch_scc0 .LBB7_1090
; %bb.1087:
	s_cmp_eq_u32 s21, 15
	s_mov_b64 s[0:1], -1
	s_cbranch_scc0 .LBB7_1089
; %bb.1088:
	v_cndmask_b32_e64 v0, 0, 1.0, s[8:9]
	s_waitcnt vmcnt(0)
	v_bfe_u32 v3, v0, 16, 1
	s_movk_i32 s0, 0x7fff
	v_add3_u32 v0, v0, v3, s0
	global_store_short_d16_hi v[1:2], v0, off
	s_mov_b64 s[0:1], 0
.LBB7_1089:
	s_mov_b64 s[16:17], 0
.LBB7_1090:
	s_and_b64 vcc, exec, s[16:17]
	s_cbranch_vccz .LBB7_1094
; %bb.1091:
	s_cmp_lg_u32 s21, 11
	s_cselect_b64 s[16:17], -1, 0
	s_andn2_b64 s[0:1], s[0:1], exec
	s_and_b64 s[16:17], s[16:17], exec
	s_mov_b64 s[14:15], -1
	s_or_b64 s[0:1], s[0:1], s[16:17]
	s_branch .LBB7_1094
.LBB7_1092:
	s_mov_b64 s[14:15], 0
	s_mov_b64 s[12:13], -1
	s_mov_b64 s[0:1], s[54:55]
	s_branch .LBB7_1094
.LBB7_1093:
	s_mov_b64 s[14:15], 0
.LBB7_1094:
	s_andn2_b64 s[16:17], s[54:55], exec
	s_and_b64 s[0:1], s[0:1], exec
	s_and_b64 s[12:13], s[12:13], exec
	;; [unrolled: 1-line block ×3, first 2 shown]
	s_or_b64 s[54:55], s[16:17], s[0:1]
	s_or_b64 exec, exec, s[10:11]
	s_and_saveexec_b64 s[0:1], s[54:55]
	s_cbranch_execz .LBB7_1004
.LBB7_1095:
	s_or_b64 s[2:3], s[2:3], exec
	s_andn2_b64 s[14:15], s[14:15], exec
	s_trap 2
	s_or_b64 exec, exec, s[0:1]
	s_and_saveexec_b64 s[0:1], s[14:15]
	s_xor_b64 s[0:1], exec, s[0:1]
	s_cbranch_execnz .LBB7_1005
.LBB7_1096:
	s_or_b64 exec, exec, s[0:1]
	s_and_saveexec_b64 s[0:1], s[12:13]
	s_xor_b64 s[0:1], exec, s[0:1]
	s_cbranch_execz .LBB7_1134
.LBB7_1097:
	s_sext_i32_i16 s12, s20
	s_cmp_lt_i32 s12, 5
	s_mov_b64 s[10:11], -1
	s_cbranch_scc1 .LBB7_1118
; %bb.1098:
	s_cmp_lt_i32 s12, 8
	s_cbranch_scc1 .LBB7_1108
; %bb.1099:
	s_cmp_lt_i32 s12, 9
	s_cbranch_scc1 .LBB7_1105
; %bb.1100:
	s_cmp_gt_i32 s12, 9
	s_cbranch_scc0 .LBB7_1102
; %bb.1101:
	v_cndmask_b32_e64 v0, 0, 1, s[8:9]
	s_waitcnt vmcnt(0)
	v_cvt_f64_u32_e32 v[3:4], v0
	v_mov_b32_e32 v5, 0
	v_mov_b32_e32 v6, v5
	s_mov_b64 s[10:11], 0
	global_store_dwordx4 v[1:2], v[3:6], off
.LBB7_1102:
	s_andn2_b64 vcc, exec, s[10:11]
	s_cbranch_vccnz .LBB7_1104
; %bb.1103:
	s_waitcnt vmcnt(0)
	v_cndmask_b32_e64 v3, 0, 1.0, s[8:9]
	v_mov_b32_e32 v4, 0
	global_store_dwordx2 v[1:2], v[3:4], off
.LBB7_1104:
	s_mov_b64 s[10:11], 0
.LBB7_1105:
	s_andn2_b64 vcc, exec, s[10:11]
	s_cbranch_vccnz .LBB7_1107
; %bb.1106:
	v_cndmask_b32_e64 v0, 0, 1.0, s[8:9]
	v_cvt_f16_f32_e32 v0, v0
	global_store_dword v[1:2], v0, off
.LBB7_1107:
	s_mov_b64 s[10:11], 0
.LBB7_1108:
	s_andn2_b64 vcc, exec, s[10:11]
	s_cbranch_vccnz .LBB7_1117
; %bb.1109:
	s_sext_i32_i16 s12, s20
	s_cmp_lt_i32 s12, 6
	s_mov_b64 s[10:11], -1
	s_cbranch_scc1 .LBB7_1115
; %bb.1110:
	s_cmp_gt_i32 s12, 6
	s_cbranch_scc0 .LBB7_1112
; %bb.1111:
	v_cndmask_b32_e64 v0, 0, 1, s[8:9]
	s_waitcnt vmcnt(0)
	v_cvt_f64_u32_e32 v[3:4], v0
	s_mov_b64 s[10:11], 0
	global_store_dwordx2 v[1:2], v[3:4], off
.LBB7_1112:
	s_andn2_b64 vcc, exec, s[10:11]
	s_cbranch_vccnz .LBB7_1114
; %bb.1113:
	v_cndmask_b32_e64 v0, 0, 1.0, s[8:9]
	global_store_dword v[1:2], v0, off
.LBB7_1114:
	s_mov_b64 s[10:11], 0
.LBB7_1115:
	s_andn2_b64 vcc, exec, s[10:11]
	s_cbranch_vccnz .LBB7_1117
; %bb.1116:
	v_cndmask_b32_e64 v0, 0, 1.0, s[8:9]
	v_cvt_f16_f32_e32 v0, v0
	global_store_short v[1:2], v0, off
.LBB7_1117:
	s_mov_b64 s[10:11], 0
.LBB7_1118:
	s_andn2_b64 vcc, exec, s[10:11]
	s_cbranch_vccnz .LBB7_1134
; %bb.1119:
	s_sext_i32_i16 s12, s20
	s_cmp_lt_i32 s12, 2
	s_mov_b64 s[10:11], -1
	s_cbranch_scc1 .LBB7_1129
; %bb.1120:
	s_cmp_lt_i32 s12, 3
	s_cbranch_scc1 .LBB7_1126
; %bb.1121:
	s_cmp_gt_i32 s12, 3
	s_cbranch_scc0 .LBB7_1123
; %bb.1122:
	s_mov_b32 s10, 0
	s_waitcnt vmcnt(0)
	v_cndmask_b32_e64 v3, 0, 1, s[8:9]
	v_mov_b32_e32 v4, s10
	s_mov_b64 s[10:11], 0
	global_store_dwordx2 v[1:2], v[3:4], off
.LBB7_1123:
	s_andn2_b64 vcc, exec, s[10:11]
	s_cbranch_vccnz .LBB7_1125
; %bb.1124:
	v_cndmask_b32_e64 v0, 0, 1, s[8:9]
	global_store_dword v[1:2], v0, off
.LBB7_1125:
	s_mov_b64 s[10:11], 0
.LBB7_1126:
	s_andn2_b64 vcc, exec, s[10:11]
	s_cbranch_vccnz .LBB7_1128
; %bb.1127:
	v_cndmask_b32_e64 v0, 0, 1, s[8:9]
	global_store_short v[1:2], v0, off
.LBB7_1128:
	s_mov_b64 s[10:11], 0
.LBB7_1129:
	s_andn2_b64 vcc, exec, s[10:11]
	s_cbranch_vccnz .LBB7_1134
; %bb.1130:
	s_sext_i32_i16 s10, s20
	s_cmp_gt_i32 s10, 0
	s_mov_b64 s[10:11], -1
	s_cbranch_scc0 .LBB7_1132
; %bb.1131:
	v_cndmask_b32_e64 v0, 0, 1, s[8:9]
	s_mov_b64 s[10:11], 0
	global_store_byte v[1:2], v0, off
.LBB7_1132:
	s_andn2_b64 vcc, exec, s[10:11]
	s_cbranch_vccnz .LBB7_1134
; %bb.1133:
	v_cndmask_b32_e64 v0, 0, 1, s[8:9]
	global_store_byte v[1:2], v0, off
.LBB7_1134:
	s_or_b64 exec, exec, s[0:1]
	s_and_b64 s[28:29], s[2:3], exec
                                        ; implicit-def: $vgpr15
                                        ; implicit-def: $vgpr8
.LBB7_1135:
	s_or_saveexec_b64 s[30:31], s[42:43]
	s_mov_b64 s[0:1], 0
                                        ; implicit-def: $sgpr10_sgpr11
                                        ; implicit-def: $vgpr0_vgpr1
                                        ; implicit-def: $sgpr22
	s_xor_b64 exec, exec, s[30:31]
	s_cbranch_execz .LBB7_1741
; %bb.1136:
	v_cndmask_b32_e64 v0, 0, 1, s[40:41]
	v_cmp_ne_u32_e64 s[0:1], 1, v0
	s_andn2_b64 vcc, exec, s[40:41]
	s_cbranch_vccnz .LBB7_1142
; %bb.1137:
	s_cmp_lg_u32 s33, 0
	s_mov_b32 s36, 0
	s_cbranch_scc0 .LBB7_1143
; %bb.1138:
	s_min_u32 s37, s74, 15
	s_add_i32 s37, s37, 1
	s_cmp_eq_u32 s74, 2
	s_cbranch_scc1 .LBB7_1144
; %bb.1139:
	s_and_b32 s36, s37, 28
	s_add_u32 s2, s34, 0xc4
	s_addc_u32 s3, s35, 0
	v_mov_b32_e32 v13, 0
	s_mov_b32 s38, 0
	s_mov_b64 s[6:7], s[34:35]
	v_mov_b32_e32 v6, 0
	v_mov_b32_e32 v0, v8
.LBB7_1140:                             ; =>This Inner Loop Header: Depth=1
	s_load_dwordx8 s[16:23], s[6:7], 0x4
	s_load_dwordx4 s[24:27], s[6:7], 0x24
	s_load_dwordx8 s[8:15], s[2:3], 0x0
	s_add_u32 s6, s6, 48
	s_addc_u32 s7, s7, 0
	s_waitcnt lgkmcnt(0)
	v_mul_hi_u32 v1, s17, v0
	s_add_i32 s38, s38, 4
	s_add_u32 s2, s2, 32
	s_addc_u32 s3, s3, 0
	v_add_u32_e32 v1, v0, v1
	v_lshrrev_b32_e32 v1, s18, v1
	v_mul_lo_u32 v2, v1, s16
	s_waitcnt vmcnt(0)
	v_mul_hi_u32 v3, s20, v1
	s_cmp_lg_u32 s36, s38
	v_sub_u32_e32 v0, v0, v2
	v_add_u32_e32 v2, v1, v3
	v_mul_lo_u32 v3, v0, s8
	v_mul_lo_u32 v4, v0, s9
	v_lshrrev_b32_e32 v0, s21, v2
	v_mul_lo_u32 v2, v0, s19
	v_mul_hi_u32 v5, s23, v0
	v_sub_u32_e32 v1, v1, v2
	v_add_u32_e32 v2, v0, v5
	v_lshrrev_b32_e32 v2, s24, v2
	v_mul_hi_u32 v7, s26, v2
	v_mul_lo_u32 v9, v2, s22
	v_mul_lo_u32 v5, v1, s10
	;; [unrolled: 1-line block ×3, first 2 shown]
	v_sub_u32_e32 v9, v0, v9
	v_add_u32_e32 v0, v2, v7
	v_lshrrev_b32_e32 v0, s27, v0
	v_mul_lo_u32 v7, v0, s25
	v_mul_lo_u32 v10, v9, s12
	;; [unrolled: 1-line block ×3, first 2 shown]
	v_add3_u32 v3, v3, v6, v5
	v_sub_u32_e32 v2, v2, v7
	v_mul_lo_u32 v7, v2, s14
	v_mul_lo_u32 v2, v2, s15
	v_add3_u32 v1, v4, v13, v1
	v_add3_u32 v6, v10, v3, v7
	;; [unrolled: 1-line block ×3, first 2 shown]
	s_cbranch_scc1 .LBB7_1140
; %bb.1141:
	s_and_b32 s8, s37, 3
	s_cmp_eq_u32 s8, 0
	s_cbranch_scc0 .LBB7_1145
	s_branch .LBB7_1147
.LBB7_1142:
                                        ; implicit-def: $vgpr6
                                        ; implicit-def: $vgpr13
	s_branch .LBB7_1148
.LBB7_1143:
	v_mov_b32_e32 v6, 0
	v_mov_b32_e32 v13, 0
	s_branch .LBB7_1147
.LBB7_1144:
	v_mov_b32_e32 v6, 0
	v_mov_b32_e32 v13, 0
	;; [unrolled: 1-line block ×3, first 2 shown]
	s_and_b32 s8, s37, 3
	s_cmp_eq_u32 s8, 0
	s_cbranch_scc1 .LBB7_1147
.LBB7_1145:
	s_lshl_b32 s2, s36, 3
	s_add_u32 s2, s34, s2
	s_addc_u32 s3, s35, 0
	s_add_u32 s2, s2, 0xc4
	s_addc_u32 s3, s3, 0
	s_mul_i32 s6, s36, 12
	s_add_u32 s6, s34, s6
	s_addc_u32 s7, s35, 0
.LBB7_1146:                             ; =>This Inner Loop Header: Depth=1
	s_load_dwordx2 s[10:11], s[6:7], 0x4
	s_load_dword s9, s[6:7], 0xc
	s_load_dwordx2 s[12:13], s[2:3], 0x0
	s_add_u32 s6, s6, 12
	s_addc_u32 s7, s7, 0
	s_waitcnt lgkmcnt(0)
	v_mul_hi_u32 v1, s11, v0
	s_add_u32 s2, s2, 8
	s_addc_u32 s3, s3, 0
	s_add_i32 s8, s8, -1
	v_add_u32_e32 v1, v0, v1
	v_lshrrev_b32_e32 v1, s9, v1
	v_mul_lo_u32 v2, v1, s10
	s_cmp_lg_u32 s8, 0
	v_sub_u32_e32 v0, v0, v2
	v_mad_u64_u32 v[6:7], s[10:11], v0, s12, v[6:7]
	v_mad_u64_u32 v[13:14], s[10:11], v0, s13, v[13:14]
	v_mov_b32_e32 v0, v1
	s_cbranch_scc1 .LBB7_1146
.LBB7_1147:
	s_cbranch_execnz .LBB7_1150
.LBB7_1148:
	s_load_dwordx4 s[8:11], s[34:35], 0x4
	s_load_dwordx2 s[2:3], s[34:35], 0xc4
	s_cmp_lt_u32 s33, 2
	s_waitcnt lgkmcnt(0)
	v_mul_hi_u32 v0, s9, v8
	v_add_u32_e32 v0, v8, v0
	v_lshrrev_b32_e32 v0, s10, v0
	v_mul_lo_u32 v1, v0, s8
	v_sub_u32_e32 v1, v8, v1
	v_mul_lo_u32 v6, v1, s2
	v_mul_lo_u32 v13, v1, s3
	s_cbranch_scc1 .LBB7_1150
; %bb.1149:
	s_load_dwordx4 s[8:11], s[34:35], 0x10
	s_load_dwordx2 s[2:3], s[34:35], 0xcc
	s_waitcnt lgkmcnt(0)
	v_mul_hi_u32 v1, s9, v0
	v_add_u32_e32 v1, v0, v1
	v_lshrrev_b32_e32 v1, s10, v1
	v_mul_lo_u32 v1, v1, s8
	v_sub_u32_e32 v0, v0, v1
	v_mad_u64_u32 v[6:7], s[6:7], v0, s2, v[6:7]
	v_mad_u64_u32 v[13:14], s[2:3], v0, s3, v[13:14]
.LBB7_1150:
	s_and_b64 vcc, exec, s[0:1]
	v_add_u32_e32 v0, 0x80, v8
	s_cbranch_vccnz .LBB7_1156
; %bb.1151:
	s_cmp_lg_u32 s33, 0
	s_mov_b32 s36, 0
	s_cbranch_scc0 .LBB7_1157
; %bb.1152:
	s_min_u32 s37, s74, 15
	s_add_i32 s37, s37, 1
	s_cmp_eq_u32 s74, 2
	s_cbranch_scc1 .LBB7_1158
; %bb.1153:
	s_and_b32 s36, s37, 28
	s_add_u32 s2, s34, 0xc4
	s_addc_u32 s3, s35, 0
	v_mov_b32_e32 v11, 0
	s_mov_b32 s38, 0
	s_mov_b64 s[6:7], s[34:35]
	s_waitcnt vmcnt(0)
	v_mov_b32_e32 v4, 0
	v_mov_b32_e32 v1, v0
.LBB7_1154:                             ; =>This Inner Loop Header: Depth=1
	s_load_dwordx8 s[16:23], s[6:7], 0x4
	s_load_dwordx4 s[24:27], s[6:7], 0x24
	s_load_dwordx8 s[8:15], s[2:3], 0x0
	s_add_u32 s6, s6, 48
	s_addc_u32 s7, s7, 0
	s_waitcnt lgkmcnt(0)
	v_mul_hi_u32 v2, s17, v1
	s_add_i32 s38, s38, 4
	s_add_u32 s2, s2, 32
	s_addc_u32 s3, s3, 0
	v_add_u32_e32 v2, v1, v2
	v_lshrrev_b32_e32 v2, s18, v2
	v_mul_lo_u32 v3, v2, s16
	v_mul_hi_u32 v5, s20, v2
	s_cmp_lg_u32 s36, s38
	v_sub_u32_e32 v1, v1, v3
	v_add_u32_e32 v3, v2, v5
	v_mul_lo_u32 v5, v1, s8
	v_mul_lo_u32 v7, v1, s9
	v_lshrrev_b32_e32 v1, s21, v3
	v_mul_lo_u32 v3, v1, s19
	v_mul_hi_u32 v9, s23, v1
	v_sub_u32_e32 v2, v2, v3
	v_add_u32_e32 v3, v1, v9
	v_lshrrev_b32_e32 v3, s24, v3
	v_mul_hi_u32 v10, s26, v3
	v_mul_lo_u32 v12, v3, s22
	v_mul_lo_u32 v9, v2, s10
	;; [unrolled: 1-line block ×3, first 2 shown]
	v_sub_u32_e32 v12, v1, v12
	v_add_u32_e32 v1, v3, v10
	v_lshrrev_b32_e32 v1, s27, v1
	v_mul_lo_u32 v10, v1, s25
	v_mul_lo_u32 v14, v12, s12
	;; [unrolled: 1-line block ×3, first 2 shown]
	v_add3_u32 v4, v5, v4, v9
	v_sub_u32_e32 v3, v3, v10
	v_mul_lo_u32 v10, v3, s14
	v_mul_lo_u32 v3, v3, s15
	v_add3_u32 v2, v7, v11, v2
	v_add3_u32 v4, v14, v4, v10
	;; [unrolled: 1-line block ×3, first 2 shown]
	s_cbranch_scc1 .LBB7_1154
; %bb.1155:
	s_and_b32 s8, s37, 3
	s_cmp_eq_u32 s8, 0
	s_cbranch_scc0 .LBB7_1159
	s_branch .LBB7_1161
.LBB7_1156:
                                        ; implicit-def: $vgpr4
                                        ; implicit-def: $vgpr11
	s_branch .LBB7_1162
.LBB7_1157:
	s_waitcnt vmcnt(0)
	v_mov_b32_e32 v4, 0
	v_mov_b32_e32 v11, 0
	s_branch .LBB7_1161
.LBB7_1158:
	s_waitcnt vmcnt(0)
	v_mov_b32_e32 v4, 0
	v_mov_b32_e32 v11, 0
	v_mov_b32_e32 v1, v0
	s_and_b32 s8, s37, 3
	s_cmp_eq_u32 s8, 0
	s_cbranch_scc1 .LBB7_1161
.LBB7_1159:
	s_lshl_b32 s2, s36, 3
	s_add_u32 s2, s34, s2
	s_addc_u32 s3, s35, 0
	s_add_u32 s2, s2, 0xc4
	s_addc_u32 s3, s3, 0
	s_mul_i32 s6, s36, 12
	s_add_u32 s6, s34, s6
	s_addc_u32 s7, s35, 0
.LBB7_1160:                             ; =>This Inner Loop Header: Depth=1
	s_load_dwordx2 s[10:11], s[6:7], 0x4
	s_load_dword s9, s[6:7], 0xc
	s_load_dwordx2 s[12:13], s[2:3], 0x0
	s_add_u32 s6, s6, 12
	s_addc_u32 s7, s7, 0
	s_waitcnt lgkmcnt(0)
	v_mul_hi_u32 v2, s11, v1
	s_add_u32 s2, s2, 8
	s_addc_u32 s3, s3, 0
	s_add_i32 s8, s8, -1
	v_add_u32_e32 v2, v1, v2
	v_lshrrev_b32_e32 v2, s9, v2
	v_mul_lo_u32 v3, v2, s10
	s_cmp_lg_u32 s8, 0
	v_sub_u32_e32 v1, v1, v3
	v_mad_u64_u32 v[4:5], s[10:11], v1, s12, v[4:5]
	v_mad_u64_u32 v[11:12], s[10:11], v1, s13, v[11:12]
	v_mov_b32_e32 v1, v2
	s_cbranch_scc1 .LBB7_1160
.LBB7_1161:
	s_cbranch_execnz .LBB7_1164
.LBB7_1162:
	s_load_dwordx4 s[8:11], s[34:35], 0x4
	s_load_dwordx2 s[2:3], s[34:35], 0xc4
	s_cmp_lt_u32 s33, 2
	s_waitcnt lgkmcnt(0)
	v_mul_hi_u32 v1, s9, v0
	v_add_u32_e32 v1, v0, v1
	v_lshrrev_b32_e32 v1, s10, v1
	v_mul_lo_u32 v2, v1, s8
	v_sub_u32_e32 v0, v0, v2
	s_waitcnt vmcnt(0)
	v_mul_lo_u32 v4, v0, s2
	v_mul_lo_u32 v11, v0, s3
	s_cbranch_scc1 .LBB7_1164
; %bb.1163:
	s_load_dwordx4 s[8:11], s[34:35], 0x10
	s_load_dwordx2 s[2:3], s[34:35], 0xcc
	s_waitcnt lgkmcnt(0)
	v_mul_hi_u32 v0, s9, v1
	v_add_u32_e32 v0, v1, v0
	v_lshrrev_b32_e32 v0, s10, v0
	v_mul_lo_u32 v0, v0, s8
	v_sub_u32_e32 v0, v1, v0
	v_mad_u64_u32 v[4:5], s[6:7], v0, s2, v[4:5]
	v_mad_u64_u32 v[11:12], s[2:3], v0, s3, v[11:12]
.LBB7_1164:
	s_and_b64 vcc, exec, s[0:1]
	v_add_u32_e32 v0, 0x100, v8
	s_cbranch_vccnz .LBB7_1170
; %bb.1165:
	s_cmp_lg_u32 s33, 0
	s_mov_b32 s36, 0
	s_cbranch_scc0 .LBB7_1171
; %bb.1166:
	s_min_u32 s37, s74, 15
	s_add_i32 s37, s37, 1
	s_cmp_eq_u32 s74, 2
	s_cbranch_scc1 .LBB7_1172
; %bb.1167:
	s_and_b32 s36, s37, 28
	s_add_u32 s2, s34, 0xc4
	s_addc_u32 s3, s35, 0
	v_mov_b32_e32 v9, 0
	s_mov_b32 s38, 0
	s_mov_b64 s[6:7], s[34:35]
	v_mov_b32_e32 v2, 0
	v_mov_b32_e32 v1, v0
.LBB7_1168:                             ; =>This Inner Loop Header: Depth=1
	s_load_dwordx8 s[16:23], s[6:7], 0x4
	s_load_dwordx4 s[24:27], s[6:7], 0x24
	s_load_dwordx8 s[8:15], s[2:3], 0x0
	s_add_u32 s6, s6, 48
	s_addc_u32 s7, s7, 0
	s_waitcnt vmcnt(0) lgkmcnt(0)
	v_mul_hi_u32 v3, s17, v1
	s_add_i32 s38, s38, 4
	s_add_u32 s2, s2, 32
	s_addc_u32 s3, s3, 0
	v_add_u32_e32 v3, v1, v3
	v_lshrrev_b32_e32 v3, s18, v3
	v_mul_lo_u32 v5, v3, s16
	v_mul_hi_u32 v7, s20, v3
	s_cmp_lg_u32 s36, s38
	v_sub_u32_e32 v1, v1, v5
	v_add_u32_e32 v5, v3, v7
	v_mul_lo_u32 v7, v1, s8
	v_mul_lo_u32 v8, v1, s9
	v_lshrrev_b32_e32 v1, s21, v5
	v_mul_lo_u32 v5, v1, s19
	v_mul_hi_u32 v10, s23, v1
	v_sub_u32_e32 v3, v3, v5
	v_add_u32_e32 v5, v1, v10
	v_lshrrev_b32_e32 v5, s24, v5
	v_mul_hi_u32 v12, s26, v5
	v_mul_lo_u32 v14, v5, s22
	v_mul_lo_u32 v10, v3, s10
	v_mul_lo_u32 v3, v3, s11
	v_sub_u32_e32 v14, v1, v14
	v_add_u32_e32 v1, v5, v12
	v_lshrrev_b32_e32 v1, s27, v1
	v_mul_lo_u32 v12, v1, s25
	v_mul_lo_u32 v16, v14, s12
	;; [unrolled: 1-line block ×3, first 2 shown]
	v_add3_u32 v2, v7, v2, v10
	v_sub_u32_e32 v5, v5, v12
	v_mul_lo_u32 v12, v5, s14
	v_mul_lo_u32 v5, v5, s15
	v_add3_u32 v3, v8, v9, v3
	v_add3_u32 v2, v16, v2, v12
	;; [unrolled: 1-line block ×3, first 2 shown]
	s_cbranch_scc1 .LBB7_1168
; %bb.1169:
	s_and_b32 s8, s37, 3
	s_cmp_eq_u32 s8, 0
	s_cbranch_scc0 .LBB7_1173
	s_branch .LBB7_1175
.LBB7_1170:
                                        ; implicit-def: $vgpr2
                                        ; implicit-def: $vgpr9
	s_branch .LBB7_1176
.LBB7_1171:
	v_mov_b32_e32 v2, 0
	v_mov_b32_e32 v9, 0
	s_branch .LBB7_1175
.LBB7_1172:
	v_mov_b32_e32 v2, 0
	v_mov_b32_e32 v9, 0
	;; [unrolled: 1-line block ×3, first 2 shown]
	s_and_b32 s8, s37, 3
	s_cmp_eq_u32 s8, 0
	s_cbranch_scc1 .LBB7_1175
.LBB7_1173:
	s_lshl_b32 s2, s36, 3
	s_add_u32 s2, s34, s2
	s_addc_u32 s3, s35, 0
	s_add_u32 s2, s2, 0xc4
	s_addc_u32 s3, s3, 0
	s_mul_i32 s6, s36, 12
	s_add_u32 s6, s34, s6
	s_addc_u32 s7, s35, 0
.LBB7_1174:                             ; =>This Inner Loop Header: Depth=1
	s_load_dwordx2 s[10:11], s[6:7], 0x4
	s_load_dword s9, s[6:7], 0xc
	s_load_dwordx2 s[12:13], s[2:3], 0x0
	s_add_u32 s6, s6, 12
	s_addc_u32 s7, s7, 0
	s_waitcnt vmcnt(0) lgkmcnt(0)
	v_mul_hi_u32 v3, s11, v1
	s_add_u32 s2, s2, 8
	s_addc_u32 s3, s3, 0
	s_add_i32 s8, s8, -1
	v_add_u32_e32 v3, v1, v3
	v_lshrrev_b32_e32 v5, s9, v3
	v_mul_lo_u32 v3, v5, s10
	s_cmp_lg_u32 s8, 0
	v_sub_u32_e32 v1, v1, v3
	v_mad_u64_u32 v[2:3], s[10:11], v1, s12, v[2:3]
	v_mad_u64_u32 v[9:10], s[10:11], v1, s13, v[9:10]
	v_mov_b32_e32 v1, v5
	s_cbranch_scc1 .LBB7_1174
.LBB7_1175:
	s_cbranch_execnz .LBB7_1178
.LBB7_1176:
	s_load_dwordx4 s[8:11], s[34:35], 0x4
	s_load_dwordx2 s[2:3], s[34:35], 0xc4
	s_cmp_lt_u32 s33, 2
	s_waitcnt lgkmcnt(0)
	v_mul_hi_u32 v1, s9, v0
	v_add_u32_e32 v1, v0, v1
	v_lshrrev_b32_e32 v1, s10, v1
	v_mul_lo_u32 v2, v1, s8
	v_sub_u32_e32 v0, v0, v2
	v_mul_lo_u32 v2, v0, s2
	v_mul_lo_u32 v9, v0, s3
	s_cbranch_scc1 .LBB7_1178
; %bb.1177:
	s_load_dwordx4 s[8:11], s[34:35], 0x10
	s_load_dwordx2 s[2:3], s[34:35], 0xcc
	s_waitcnt lgkmcnt(0)
	v_mul_hi_u32 v0, s9, v1
	v_add_u32_e32 v0, v1, v0
	v_lshrrev_b32_e32 v0, s10, v0
	v_mul_lo_u32 v0, v0, s8
	v_sub_u32_e32 v0, v1, v0
	s_waitcnt vmcnt(0)
	v_mad_u64_u32 v[2:3], s[6:7], v0, s2, v[2:3]
	v_mad_u64_u32 v[9:10], s[2:3], v0, s3, v[9:10]
.LBB7_1178:
	s_and_b64 vcc, exec, s[0:1]
	s_cbranch_vccnz .LBB7_1184
; %bb.1179:
	s_cmp_lg_u32 s33, 0
	s_mov_b32 s26, 0
	s_cbranch_scc0 .LBB7_1185
; %bb.1180:
	s_min_u32 s27, s74, 15
	s_add_i32 s27, s27, 1
	s_cmp_eq_u32 s74, 2
	s_cbranch_scc1 .LBB7_1186
; %bb.1181:
	s_and_b32 s26, s27, 28
	s_add_u32 s6, s34, 0xc4
	s_addc_u32 s7, s35, 0
	v_mov_b32_e32 v7, 0
	s_mov_b32 s36, 0
	s_mov_b64 s[24:25], s[34:35]
	v_mov_b32_e32 v0, 0
	v_mov_b32_e32 v1, v15
.LBB7_1182:                             ; =>This Inner Loop Header: Depth=1
	s_load_dwordx8 s[16:23], s[24:25], 0x4
	s_load_dwordx4 s[0:3], s[24:25], 0x24
	s_load_dwordx8 s[8:15], s[6:7], 0x0
	s_add_u32 s24, s24, 48
	s_addc_u32 s25, s25, 0
	s_waitcnt vmcnt(0) lgkmcnt(0)
	v_mul_hi_u32 v3, s17, v1
	s_add_i32 s36, s36, 4
	s_add_u32 s6, s6, 32
	s_addc_u32 s7, s7, 0
	v_add_u32_e32 v3, v1, v3
	v_lshrrev_b32_e32 v3, s18, v3
	v_mul_lo_u32 v5, v3, s16
	v_mul_hi_u32 v8, s20, v3
	s_cmp_lg_u32 s26, s36
	v_sub_u32_e32 v1, v1, v5
	v_add_u32_e32 v5, v3, v8
	v_mul_lo_u32 v8, v1, s8
	v_mul_lo_u32 v10, v1, s9
	v_lshrrev_b32_e32 v1, s21, v5
	v_mul_lo_u32 v5, v1, s19
	v_mul_hi_u32 v12, s23, v1
	v_sub_u32_e32 v3, v3, v5
	v_add_u32_e32 v5, v1, v12
	v_lshrrev_b32_e32 v5, s0, v5
	v_mul_hi_u32 v14, s2, v5
	v_mul_lo_u32 v16, v5, s22
	v_mul_lo_u32 v12, v3, s10
	v_mul_lo_u32 v3, v3, s11
	v_sub_u32_e32 v16, v1, v16
	v_add_u32_e32 v1, v5, v14
	v_lshrrev_b32_e32 v1, s3, v1
	v_mul_lo_u32 v14, v1, s1
	v_mul_lo_u32 v17, v16, s12
	;; [unrolled: 1-line block ×3, first 2 shown]
	v_add3_u32 v0, v8, v0, v12
	v_sub_u32_e32 v5, v5, v14
	v_mul_lo_u32 v14, v5, s14
	v_mul_lo_u32 v5, v5, s15
	v_add3_u32 v3, v10, v7, v3
	v_add3_u32 v0, v17, v0, v14
	v_add3_u32 v7, v16, v3, v5
	s_cbranch_scc1 .LBB7_1182
; %bb.1183:
	s_and_b32 s6, s27, 3
	s_cmp_eq_u32 s6, 0
	s_cbranch_scc0 .LBB7_1187
	s_branch .LBB7_1189
.LBB7_1184:
                                        ; implicit-def: $vgpr0
                                        ; implicit-def: $vgpr7
	s_branch .LBB7_1190
.LBB7_1185:
	v_mov_b32_e32 v0, 0
	v_mov_b32_e32 v7, 0
	s_branch .LBB7_1189
.LBB7_1186:
	v_mov_b32_e32 v0, 0
	v_mov_b32_e32 v7, 0
	v_mov_b32_e32 v1, v15
	s_and_b32 s6, s27, 3
	s_cmp_eq_u32 s6, 0
	s_cbranch_scc1 .LBB7_1189
.LBB7_1187:
	s_lshl_b32 s0, s26, 3
	s_add_u32 s0, s34, s0
	s_addc_u32 s1, s35, 0
	s_add_u32 s0, s0, 0xc4
	s_addc_u32 s1, s1, 0
	s_mul_i32 s2, s26, 12
	s_add_u32 s2, s34, s2
	s_addc_u32 s3, s35, 0
.LBB7_1188:                             ; =>This Inner Loop Header: Depth=1
	s_load_dwordx2 s[8:9], s[2:3], 0x4
	s_load_dword s7, s[2:3], 0xc
	s_load_dwordx2 s[10:11], s[0:1], 0x0
	s_add_u32 s2, s2, 12
	s_addc_u32 s3, s3, 0
	s_waitcnt vmcnt(0) lgkmcnt(0)
	v_mul_hi_u32 v3, s9, v1
	s_add_u32 s0, s0, 8
	s_addc_u32 s1, s1, 0
	s_add_i32 s6, s6, -1
	v_add_u32_e32 v3, v1, v3
	v_lshrrev_b32_e32 v3, s7, v3
	v_mul_lo_u32 v5, v3, s8
	s_cmp_lg_u32 s6, 0
	v_sub_u32_e32 v5, v1, v5
	v_mad_u64_u32 v[0:1], s[8:9], v5, s10, v[0:1]
	v_mad_u64_u32 v[7:8], s[8:9], v5, s11, v[7:8]
	v_mov_b32_e32 v1, v3
	s_cbranch_scc1 .LBB7_1188
.LBB7_1189:
	s_cbranch_execnz .LBB7_1192
.LBB7_1190:
	s_load_dwordx4 s[0:3], s[34:35], 0x4
	s_load_dwordx2 s[6:7], s[34:35], 0xc4
	s_cmp_lt_u32 s33, 2
	s_waitcnt lgkmcnt(0)
	v_mul_hi_u32 v0, s1, v15
	v_add_u32_e32 v0, v15, v0
	v_lshrrev_b32_e32 v1, s2, v0
	v_mul_lo_u32 v0, v1, s0
	s_waitcnt vmcnt(0)
	v_sub_u32_e32 v3, v15, v0
	v_mul_lo_u32 v0, v3, s6
	v_mul_lo_u32 v7, v3, s7
	s_cbranch_scc1 .LBB7_1192
; %bb.1191:
	s_load_dwordx4 s[0:3], s[34:35], 0x10
	s_load_dwordx2 s[6:7], s[34:35], 0xcc
	s_waitcnt lgkmcnt(0)
	v_mul_hi_u32 v3, s1, v1
	v_add_u32_e32 v3, v1, v3
	v_lshrrev_b32_e32 v3, s2, v3
	v_mul_lo_u32 v3, v3, s0
	v_sub_u32_e32 v3, v1, v3
	v_mad_u64_u32 v[0:1], s[0:1], v3, s6, v[0:1]
	v_mad_u64_u32 v[7:8], s[0:1], v3, s7, v[7:8]
.LBB7_1192:
	s_load_dwordx4 s[8:11], s[34:35], 0x148
	s_load_dword s16, s[4:5], 0x168
	s_waitcnt lgkmcnt(0)
	v_mov_b32_e32 v1, s11
	s_bfe_u32 s12, s16, 0x80008
	v_add_co_u32_e32 v12, vcc, s10, v13
	s_cmp_lt_i32 s12, 11
	v_addc_co_u32_e32 v13, vcc, 0, v1, vcc
	s_cbranch_scc1 .LBB7_1199
; %bb.1193:
	s_and_b32 s13, 0xffff, s12
	s_cmp_gt_i32 s13, 25
	s_mov_b64 s[4:5], 0
	s_cbranch_scc0 .LBB7_1201
; %bb.1194:
	s_cmp_gt_i32 s13, 28
	s_cbranch_scc0 .LBB7_1202
; %bb.1195:
	s_cmp_gt_i32 s13, 43
	s_cbranch_scc0 .LBB7_1203
; %bb.1196:
	s_cmp_gt_i32 s13, 45
	s_cbranch_scc0 .LBB7_1204
; %bb.1197:
	s_cmp_eq_u32 s13, 46
	s_mov_b64 s[2:3], 0
	s_cbranch_scc0 .LBB7_1207
; %bb.1198:
	global_load_dword v1, v[12:13], off
	s_mov_b32 s0, 0x2f800000
	s_mov_b32 s1, 0xcf800000
	s_mov_b64 s[6:7], -1
	s_waitcnt vmcnt(0)
	v_lshlrev_b32_e32 v1, 16, v1
	v_trunc_f32_e32 v1, v1
	v_mul_f32_e64 v3, |v1|, s0
	v_floor_f32_e32 v3, v3
	v_fma_f32 v3, v3, s1, |v1|
	v_cvt_u32_f32_e32 v3, v3
	v_ashrrev_i32_e32 v1, 31, v1
	s_mov_b64 s[0:1], 0
	v_xor_b32_e32 v3, v3, v1
	v_sub_u32_e32 v14, v3, v1
	s_branch .LBB7_1208
.LBB7_1199:
	s_mov_b64 s[6:7], 0
                                        ; implicit-def: $vgpr14
	s_mov_b64 s[2:3], s[28:29]
	s_cbranch_execnz .LBB7_1266
.LBB7_1200:
	s_andn2_b64 vcc, exec, s[6:7]
	s_cbranch_vccz .LBB7_1311
	s_branch .LBB7_1738
.LBB7_1201:
	s_mov_b64 s[6:7], 0
	s_mov_b64 s[0:1], 0
                                        ; implicit-def: $vgpr14
	s_cbranch_execnz .LBB7_1233
	s_branch .LBB7_1262
.LBB7_1202:
	s_mov_b64 s[6:7], 0
	s_mov_b64 s[0:1], 0
                                        ; implicit-def: $vgpr14
	s_cbranch_execz .LBB7_1232
	s_branch .LBB7_1217
.LBB7_1203:
	s_mov_b64 s[6:7], 0
	s_mov_b64 s[0:1], 0
                                        ; implicit-def: $vgpr14
	s_cbranch_execnz .LBB7_1213
	s_branch .LBB7_1216
.LBB7_1204:
	s_mov_b64 s[2:3], -1
	s_mov_b64 s[6:7], 0
	s_mov_b64 s[0:1], 0
                                        ; implicit-def: $vgpr14
	s_branch .LBB7_1208
.LBB7_1205:
	s_andn2_saveexec_b64 s[16:17], s[16:17]
	s_cbranch_execz .LBB7_1047
.LBB7_1206:
	v_add_f32_e32 v0, 0x46000000, v3
	v_and_b32_e32 v0, 0xff, v0
	v_cmp_ne_u32_e32 vcc, 0, v0
	s_andn2_b64 s[14:15], s[14:15], exec
	s_and_b64 s[18:19], vcc, exec
	s_or_b64 s[14:15], s[14:15], s[18:19]
	s_or_b64 exec, exec, s[16:17]
	v_mov_b32_e32 v4, 0
	s_and_saveexec_b64 s[16:17], s[14:15]
	s_cbranch_execnz .LBB7_1048
	s_branch .LBB7_1049
.LBB7_1207:
	s_mov_b64 s[0:1], -1
                                        ; implicit-def: $vgpr14
	s_mov_b64 s[6:7], 0
.LBB7_1208:
	s_and_b64 vcc, exec, s[2:3]
	s_cbranch_vccz .LBB7_1211
; %bb.1209:
	s_cmp_eq_u32 s13, 44
	s_cbranch_scc0 .LBB7_1212
; %bb.1210:
	global_load_ubyte v1, v[12:13], off
	s_mov_b32 s0, 0x2f800000
	s_mov_b32 s1, 0xcf800000
	s_mov_b64 s[6:7], -1
	s_waitcnt vmcnt(0)
	v_lshlrev_b32_e32 v3, 23, v1
	v_trunc_f32_e32 v3, v3
	v_mul_f32_e64 v5, |v3|, s0
	v_floor_f32_e32 v5, v5
	v_fma_f32 v5, v5, s1, |v3|
	v_cvt_u32_f32_e32 v5, v5
	v_ashrrev_i32_e32 v3, 31, v3
	v_cmp_ne_u32_e32 vcc, 0, v1
	s_mov_b64 s[0:1], 0
	v_xor_b32_e32 v5, v5, v3
	v_sub_u32_e32 v3, v5, v3
	v_cndmask_b32_e32 v14, 0, v3, vcc
.LBB7_1211:
	s_branch .LBB7_1216
.LBB7_1212:
	s_mov_b64 s[0:1], -1
                                        ; implicit-def: $vgpr14
	s_branch .LBB7_1216
.LBB7_1213:
	s_cmp_eq_u32 s13, 29
	s_cbranch_scc0 .LBB7_1215
; %bb.1214:
	global_load_dwordx2 v[14:15], v[12:13], off
	s_mov_b64 s[0:1], 0
	s_mov_b64 s[6:7], -1
	s_branch .LBB7_1216
.LBB7_1215:
	s_mov_b64 s[0:1], -1
                                        ; implicit-def: $vgpr14
.LBB7_1216:
	s_branch .LBB7_1232
.LBB7_1217:
	s_cmp_lt_i32 s13, 27
	s_cbranch_scc1 .LBB7_1220
; %bb.1218:
	s_cmp_gt_i32 s13, 27
	s_cbranch_scc0 .LBB7_1221
; %bb.1219:
	global_load_dword v14, v[12:13], off
	s_mov_b64 s[2:3], 0
	s_branch .LBB7_1222
.LBB7_1220:
	s_mov_b64 s[2:3], -1
                                        ; implicit-def: $vgpr14
	s_branch .LBB7_1225
.LBB7_1221:
	s_mov_b64 s[2:3], -1
                                        ; implicit-def: $vgpr14
.LBB7_1222:
	s_andn2_b64 vcc, exec, s[2:3]
	s_cbranch_vccnz .LBB7_1224
; %bb.1223:
	global_load_ushort v14, v[12:13], off
.LBB7_1224:
	s_mov_b64 s[2:3], 0
.LBB7_1225:
	s_andn2_b64 vcc, exec, s[2:3]
	s_cbranch_vccnz .LBB7_1231
; %bb.1226:
	global_load_ubyte v1, v[12:13], off
	s_movk_i32 s2, 0x7f
	s_mov_b64 s[6:7], 0
	s_waitcnt vmcnt(0)
	v_cmp_lt_i16_e32 vcc, s2, v1
	s_and_saveexec_b64 s[2:3], vcc
	s_xor_b64 s[2:3], exec, s[2:3]
	s_cbranch_execz .LBB7_1242
; %bb.1227:
	s_movk_i32 s6, 0x80
	v_cmp_ne_u16_e32 vcc, s6, v1
	s_and_b64 s[6:7], vcc, exec
	s_andn2_saveexec_b64 s[2:3], s[2:3]
	s_cbranch_execnz .LBB7_1243
.LBB7_1228:
	s_or_b64 exec, exec, s[2:3]
	v_mov_b32_e32 v14, 0
	s_and_saveexec_b64 s[2:3], s[6:7]
	s_cbranch_execz .LBB7_1230
.LBB7_1229:
	v_lshlrev_b32_e32 v3, 24, v1
	v_and_b32_e32 v1, 0xffff, v1
	v_and_b32_e32 v5, 7, v1
	v_ffbh_u32_e32 v10, v5
	v_min_u32_e32 v10, 32, v10
	v_subrev_u32_e32 v14, 28, v10
	v_bfe_u32 v8, v1, 3, 4
	v_lshlrev_b32_e32 v1, v14, v1
	v_sub_u32_e32 v10, 29, v10
	v_and_b32_e32 v1, 7, v1
	v_cmp_eq_u32_e32 vcc, 0, v8
	v_cndmask_b32_e32 v8, v8, v10, vcc
	v_cndmask_b32_e32 v1, v5, v1, vcc
	v_mov_b32_e32 v5, 0x3b800000
	v_lshlrev_b32_e32 v1, 20, v1
	v_and_b32_e32 v3, 0x80000000, v3
	v_lshl_add_u32 v5, v8, 23, v5
	v_or3_b32 v1, v3, v5, v1
	v_trunc_f32_e32 v1, v1
	s_mov_b32 s6, 0x2f800000
	v_mul_f32_e64 v3, |v1|, s6
	v_floor_f32_e32 v3, v3
	s_mov_b32 s6, 0xcf800000
	v_fma_f32 v3, v3, s6, |v1|
	v_cvt_u32_f32_e32 v3, v3
	v_ashrrev_i32_e32 v1, 31, v1
	v_xor_b32_e32 v3, v3, v1
	v_sub_u32_e32 v14, v3, v1
.LBB7_1230:
	s_or_b64 exec, exec, s[2:3]
.LBB7_1231:
	s_mov_b64 s[6:7], -1
.LBB7_1232:
	s_branch .LBB7_1262
.LBB7_1233:
	s_cmp_gt_i32 s13, 22
	s_cbranch_scc0 .LBB7_1241
; %bb.1234:
	s_cmp_lt_i32 s13, 24
	s_cbranch_scc1 .LBB7_1244
; %bb.1235:
	s_cmp_gt_i32 s13, 24
	s_cbranch_scc0 .LBB7_1245
; %bb.1236:
	global_load_ubyte v1, v[12:13], off
	s_movk_i32 s2, 0x7f
	s_waitcnt vmcnt(0)
	v_cmp_lt_i16_e32 vcc, s2, v1
	s_and_saveexec_b64 s[2:3], vcc
	s_xor_b64 s[2:3], exec, s[2:3]
	s_cbranch_execz .LBB7_1256
; %bb.1237:
	s_movk_i32 s4, 0x80
	v_cmp_ne_u16_e32 vcc, s4, v1
	s_and_b64 s[4:5], vcc, exec
	s_andn2_saveexec_b64 s[2:3], s[2:3]
	s_cbranch_execnz .LBB7_1257
.LBB7_1238:
	s_or_b64 exec, exec, s[2:3]
	v_mov_b32_e32 v14, 0
	s_and_saveexec_b64 s[2:3], s[4:5]
	s_cbranch_execz .LBB7_1240
.LBB7_1239:
	v_lshlrev_b32_e32 v3, 24, v1
	v_and_b32_e32 v1, 0xffff, v1
	v_and_b32_e32 v5, 3, v1
	v_ffbh_u32_e32 v10, v5
	v_min_u32_e32 v10, 32, v10
	v_subrev_u32_e32 v14, 29, v10
	v_bfe_u32 v8, v1, 2, 5
	v_lshlrev_b32_e32 v1, v14, v1
	v_sub_u32_e32 v10, 30, v10
	v_and_b32_e32 v1, 3, v1
	v_cmp_eq_u32_e32 vcc, 0, v8
	v_cndmask_b32_e32 v8, v8, v10, vcc
	v_cndmask_b32_e32 v1, v5, v1, vcc
	v_mov_b32_e32 v5, 0x37800000
	v_lshlrev_b32_e32 v1, 21, v1
	v_and_b32_e32 v3, 0x80000000, v3
	v_lshl_add_u32 v5, v8, 23, v5
	v_or3_b32 v1, v3, v5, v1
	v_trunc_f32_e32 v1, v1
	s_mov_b32 s4, 0x2f800000
	v_mul_f32_e64 v3, |v1|, s4
	v_floor_f32_e32 v3, v3
	s_mov_b32 s4, 0xcf800000
	v_fma_f32 v3, v3, s4, |v1|
	v_cvt_u32_f32_e32 v3, v3
	v_ashrrev_i32_e32 v1, 31, v1
	v_xor_b32_e32 v3, v3, v1
	v_sub_u32_e32 v14, v3, v1
.LBB7_1240:
	s_or_b64 exec, exec, s[2:3]
	s_mov_b64 s[2:3], 0
	s_branch .LBB7_1246
.LBB7_1241:
                                        ; implicit-def: $vgpr14
	s_mov_b64 s[4:5], 0
	s_branch .LBB7_1252
.LBB7_1242:
	s_andn2_saveexec_b64 s[2:3], s[2:3]
	s_cbranch_execz .LBB7_1228
.LBB7_1243:
	v_cmp_ne_u16_e32 vcc, 0, v1
	s_andn2_b64 s[6:7], s[6:7], exec
	s_and_b64 s[14:15], vcc, exec
	s_or_b64 s[6:7], s[6:7], s[14:15]
	s_or_b64 exec, exec, s[2:3]
	v_mov_b32_e32 v14, 0
	s_and_saveexec_b64 s[2:3], s[6:7]
	s_cbranch_execnz .LBB7_1229
	s_branch .LBB7_1230
.LBB7_1244:
	s_mov_b64 s[2:3], -1
                                        ; implicit-def: $vgpr14
	s_branch .LBB7_1249
.LBB7_1245:
	s_mov_b64 s[2:3], -1
                                        ; implicit-def: $vgpr14
.LBB7_1246:
	s_and_b64 vcc, exec, s[2:3]
	s_cbranch_vccz .LBB7_1248
; %bb.1247:
	global_load_ubyte v1, v[12:13], off
	s_mov_b32 s2, 0x7f800000
	s_brev_b32 s3, 1
	s_mov_b32 s4, 0x2f800000
	s_waitcnt vmcnt(0)
	v_lshlrev_b32_e32 v1, 24, v1
	v_and_b32_e32 v3, 0x7f000000, v1
	v_ffbh_u32_e32 v5, v3
	v_min_u32_e32 v5, 32, v5
	v_sub_u32_e64 v5, v5, 4 clamp
	v_lshlrev_b32_e32 v10, v5, v3
	v_lshlrev_b32_e32 v5, 23, v5
	v_lshrrev_b32_e32 v10, 4, v10
	v_add_u32_e32 v8, 0x1000000, v3
	v_sub_u32_e32 v5, v10, v5
	v_ashrrev_i32_e32 v8, 8, v8
	v_add_u32_e32 v5, 0x3c000000, v5
	v_and_or_b32 v5, v8, s2, v5
	v_cmp_ne_u32_e32 vcc, 0, v3
	v_cndmask_b32_e32 v3, 0, v5, vcc
	v_and_or_b32 v1, v1, s3, v3
	v_trunc_f32_e32 v1, v1
	v_mul_f32_e64 v3, |v1|, s4
	v_floor_f32_e32 v3, v3
	s_mov_b32 s2, 0xcf800000
	v_fma_f32 v3, v3, s2, |v1|
	v_cvt_u32_f32_e32 v3, v3
	v_ashrrev_i32_e32 v1, 31, v1
	v_xor_b32_e32 v3, v3, v1
	v_sub_u32_e32 v14, v3, v1
.LBB7_1248:
	s_mov_b64 s[2:3], 0
.LBB7_1249:
	s_andn2_b64 vcc, exec, s[2:3]
	s_cbranch_vccnz .LBB7_1251
; %bb.1250:
	global_load_ubyte v1, v[12:13], off
	s_movk_i32 s2, 0x7f00
	s_brev_b32 s3, 16
	s_brev_b32 s4, 1
	s_mov_b32 s5, 0x2f800000
	s_waitcnt vmcnt(0)
	v_lshlrev_b16_e32 v3, 8, v1
	v_lshlrev_b32_e32 v1, 25, v1
	v_lshrrev_b32_e32 v5, 4, v1
	v_and_or_b32 v8, v3, s2, 0.5
	v_or_b32_e32 v5, 0x70000000, v5
	v_add_f32_e32 v8, -0.5, v8
	v_mul_f32_e32 v5, 0x7800000, v5
	v_cmp_gt_u32_e32 vcc, s3, v1
	v_bfe_i32 v3, v3, 0, 16
	v_cndmask_b32_e32 v1, v5, v8, vcc
	v_and_or_b32 v1, v3, s4, v1
	v_trunc_f32_e32 v1, v1
	v_mul_f32_e64 v3, |v1|, s5
	v_floor_f32_e32 v3, v3
	s_mov_b32 s2, 0xcf800000
	v_fma_f32 v3, v3, s2, |v1|
	v_cvt_u32_f32_e32 v3, v3
	v_ashrrev_i32_e32 v1, 31, v1
	v_xor_b32_e32 v3, v3, v1
	v_sub_u32_e32 v14, v3, v1
.LBB7_1251:
	s_mov_b64 s[6:7], -1
	s_mov_b64 s[4:5], 0
	s_cbranch_execnz .LBB7_1262
.LBB7_1252:
	s_cmp_gt_i32 s13, 14
	s_cbranch_scc0 .LBB7_1255
; %bb.1253:
	s_cmp_eq_u32 s13, 15
	s_cbranch_scc0 .LBB7_1258
; %bb.1254:
	global_load_ushort v1, v[12:13], off
	s_mov_b32 s0, 0x2f800000
	s_mov_b32 s1, 0xcf800000
	s_mov_b64 s[6:7], -1
	s_waitcnt vmcnt(0)
	v_lshlrev_b32_e32 v1, 16, v1
	v_trunc_f32_e32 v1, v1
	v_mul_f32_e64 v3, |v1|, s0
	v_floor_f32_e32 v3, v3
	v_fma_f32 v3, v3, s1, |v1|
	v_cvt_u32_f32_e32 v3, v3
	v_ashrrev_i32_e32 v1, 31, v1
	s_mov_b64 s[0:1], 0
	v_xor_b32_e32 v3, v3, v1
	v_sub_u32_e32 v14, v3, v1
	s_branch .LBB7_1259
.LBB7_1255:
	s_mov_b64 s[2:3], -1
                                        ; implicit-def: $vgpr14
	s_branch .LBB7_1260
.LBB7_1256:
	s_andn2_saveexec_b64 s[2:3], s[2:3]
	s_cbranch_execz .LBB7_1238
.LBB7_1257:
	v_cmp_ne_u16_e32 vcc, 0, v1
	s_andn2_b64 s[4:5], s[4:5], exec
	s_and_b64 s[6:7], vcc, exec
	s_or_b64 s[4:5], s[4:5], s[6:7]
	s_or_b64 exec, exec, s[2:3]
	v_mov_b32_e32 v14, 0
	s_and_saveexec_b64 s[2:3], s[4:5]
	s_cbranch_execnz .LBB7_1239
	s_branch .LBB7_1240
.LBB7_1258:
	s_mov_b64 s[0:1], -1
                                        ; implicit-def: $vgpr14
.LBB7_1259:
	s_mov_b64 s[2:3], 0
.LBB7_1260:
	s_and_b64 vcc, exec, s[2:3]
	s_cbranch_vccz .LBB7_1262
; %bb.1261:
	s_cmp_lg_u32 s13, 11
	s_mov_b64 s[4:5], -1
	s_cselect_b64 s[0:1], -1, 0
.LBB7_1262:
	s_and_b64 vcc, exec, s[0:1]
	s_mov_b64 s[2:3], s[28:29]
	s_cbranch_vccnz .LBB7_1338
; %bb.1263:
	s_andn2_b64 vcc, exec, s[4:5]
	s_cbranch_vccnz .LBB7_1265
.LBB7_1264:
	global_load_ubyte v1, v[12:13], off
	s_mov_b64 s[6:7], -1
	s_waitcnt vmcnt(0)
	v_cmp_ne_u16_e32 vcc, 0, v1
	v_cndmask_b32_e64 v14, 0, 1, vcc
.LBB7_1265:
	s_branch .LBB7_1200
.LBB7_1266:
	s_and_b32 s4, 0xffff, s12
	s_cmp_lt_i32 s4, 5
	s_cbranch_scc1 .LBB7_1271
; %bb.1267:
	s_cmp_lt_i32 s4, 8
	s_cbranch_scc1 .LBB7_1272
; %bb.1268:
	;; [unrolled: 3-line block ×3, first 2 shown]
	s_cmp_gt_i32 s4, 9
	s_cbranch_scc0 .LBB7_1274
; %bb.1270:
	global_load_dwordx2 v[14:15], v[12:13], off
	s_movk_i32 s0, 0xffe0
	s_waitcnt vmcnt(0)
	v_trunc_f64_e32 v[14:15], v[14:15]
	v_ldexp_f64 v[16:17], v[14:15], s0
	s_mov_b32 s0, 0
	s_mov_b32 s1, 0xc1f00000
	v_floor_f64_e32 v[16:17], v[16:17]
	v_fma_f64 v[14:15], v[16:17], s[0:1], v[14:15]
	s_mov_b64 s[0:1], 0
	v_cvt_u32_f64_e32 v14, v[14:15]
	s_branch .LBB7_1275
.LBB7_1271:
                                        ; implicit-def: $vgpr14
	s_branch .LBB7_1292
.LBB7_1272:
                                        ; implicit-def: $vgpr14
	s_branch .LBB7_1281
.LBB7_1273:
	s_mov_b64 s[0:1], -1
                                        ; implicit-def: $vgpr14
	s_branch .LBB7_1278
.LBB7_1274:
	s_mov_b64 s[0:1], -1
                                        ; implicit-def: $vgpr14
.LBB7_1275:
	s_andn2_b64 vcc, exec, s[0:1]
	s_cbranch_vccnz .LBB7_1277
; %bb.1276:
	global_load_dword v1, v[12:13], off
	s_mov_b32 s0, 0x2f800000
	s_waitcnt vmcnt(0)
	v_trunc_f32_e32 v1, v1
	v_mul_f32_e64 v3, |v1|, s0
	v_floor_f32_e32 v3, v3
	s_mov_b32 s0, 0xcf800000
	v_fma_f32 v3, v3, s0, |v1|
	v_cvt_u32_f32_e32 v3, v3
	v_ashrrev_i32_e32 v1, 31, v1
	v_xor_b32_e32 v3, v3, v1
	v_sub_u32_e32 v14, v3, v1
.LBB7_1277:
	s_mov_b64 s[0:1], 0
.LBB7_1278:
	s_andn2_b64 vcc, exec, s[0:1]
	s_cbranch_vccnz .LBB7_1280
; %bb.1279:
	global_load_dword v1, v[12:13], off
	s_waitcnt vmcnt(0)
	v_cvt_f32_f16_e32 v1, v1
	v_cvt_i32_f32_e32 v14, v1
.LBB7_1280:
	s_cbranch_execnz .LBB7_1291
.LBB7_1281:
	s_cmp_lt_i32 s4, 6
	s_cbranch_scc1 .LBB7_1284
; %bb.1282:
	s_cmp_gt_i32 s4, 6
	s_cbranch_scc0 .LBB7_1285
; %bb.1283:
	global_load_dwordx2 v[14:15], v[12:13], off
	s_movk_i32 s0, 0xffe0
	s_waitcnt vmcnt(0)
	v_trunc_f64_e32 v[14:15], v[14:15]
	v_ldexp_f64 v[16:17], v[14:15], s0
	s_mov_b32 s0, 0
	s_mov_b32 s1, 0xc1f00000
	v_floor_f64_e32 v[16:17], v[16:17]
	v_fma_f64 v[14:15], v[16:17], s[0:1], v[14:15]
	s_mov_b64 s[0:1], 0
	v_cvt_u32_f64_e32 v14, v[14:15]
	s_branch .LBB7_1286
.LBB7_1284:
	s_mov_b64 s[0:1], -1
                                        ; implicit-def: $vgpr14
	s_branch .LBB7_1289
.LBB7_1285:
	s_mov_b64 s[0:1], -1
                                        ; implicit-def: $vgpr14
.LBB7_1286:
	s_andn2_b64 vcc, exec, s[0:1]
	s_cbranch_vccnz .LBB7_1288
; %bb.1287:
	global_load_dword v1, v[12:13], off
	s_mov_b32 s0, 0x2f800000
	s_waitcnt vmcnt(0)
	v_trunc_f32_e32 v1, v1
	v_mul_f32_e64 v3, |v1|, s0
	v_floor_f32_e32 v3, v3
	s_mov_b32 s0, 0xcf800000
	v_fma_f32 v3, v3, s0, |v1|
	v_cvt_u32_f32_e32 v3, v3
	v_ashrrev_i32_e32 v1, 31, v1
	v_xor_b32_e32 v3, v3, v1
	v_sub_u32_e32 v14, v3, v1
.LBB7_1288:
	s_mov_b64 s[0:1], 0
.LBB7_1289:
	s_andn2_b64 vcc, exec, s[0:1]
	s_cbranch_vccnz .LBB7_1291
; %bb.1290:
	global_load_ushort v1, v[12:13], off
	s_waitcnt vmcnt(0)
	v_cvt_f32_f16_e32 v1, v1
	v_cvt_i32_f32_e32 v14, v1
.LBB7_1291:
	s_cbranch_execnz .LBB7_1310
.LBB7_1292:
	s_cmp_lt_i32 s4, 2
	s_cbranch_scc1 .LBB7_1296
; %bb.1293:
	s_cmp_lt_i32 s4, 3
	s_cbranch_scc1 .LBB7_1297
; %bb.1294:
	s_cmp_gt_i32 s4, 3
	s_cbranch_scc0 .LBB7_1298
; %bb.1295:
	global_load_dwordx2 v[14:15], v[12:13], off
	s_mov_b64 s[0:1], 0
	s_branch .LBB7_1299
.LBB7_1296:
                                        ; implicit-def: $vgpr14
	s_branch .LBB7_1305
.LBB7_1297:
	s_mov_b64 s[0:1], -1
                                        ; implicit-def: $vgpr14
	s_branch .LBB7_1302
.LBB7_1298:
	s_mov_b64 s[0:1], -1
                                        ; implicit-def: $vgpr14
.LBB7_1299:
	s_andn2_b64 vcc, exec, s[0:1]
	s_cbranch_vccnz .LBB7_1301
; %bb.1300:
	global_load_dword v14, v[12:13], off
.LBB7_1301:
	s_mov_b64 s[0:1], 0
.LBB7_1302:
	s_andn2_b64 vcc, exec, s[0:1]
	s_cbranch_vccnz .LBB7_1304
; %bb.1303:
	global_load_ushort v14, v[12:13], off
.LBB7_1304:
	s_cbranch_execnz .LBB7_1310
.LBB7_1305:
	s_cmp_gt_i32 s4, 0
	s_cbranch_scc0 .LBB7_1307
; %bb.1306:
	global_load_ubyte v14, v[12:13], off
	s_mov_b64 s[0:1], 0
	s_branch .LBB7_1308
.LBB7_1307:
	s_mov_b64 s[0:1], -1
                                        ; implicit-def: $vgpr14
.LBB7_1308:
	s_andn2_b64 vcc, exec, s[0:1]
	s_cbranch_vccnz .LBB7_1310
; %bb.1309:
	global_load_ubyte v14, v[12:13], off
.LBB7_1310:
.LBB7_1311:
	s_load_dwordx2 s[0:1], s[34:35], 0x158
	s_mov_b64 s[6:7], 0
	s_waitcnt lgkmcnt(0)
	s_cmp_lt_i32 s0, 1
	s_cbranch_scc1 .LBB7_1315
; %bb.1312:
	s_cmp_gt_i32 s0, 1
	s_cbranch_scc0 .LBB7_1316
; %bb.1313:
	s_cmp_eq_u32 s0, 2
	s_cbranch_scc0 .LBB7_1317
; %bb.1314:
	s_and_b32 s4, s1, 0xff
	s_waitcnt vmcnt(0)
	v_cmp_le_u16_sdwa s[4:5], v14, s4 src0_sel:BYTE_0 src1_sel:DWORD
	s_mov_b64 s[12:13], 0
	s_branch .LBB7_1318
.LBB7_1315:
                                        ; implicit-def: $sgpr4_sgpr5
	s_mov_b64 s[12:13], 0
	s_cbranch_execnz .LBB7_1321
	s_branch .LBB7_1322
.LBB7_1316:
	s_mov_b64 s[12:13], 0
                                        ; implicit-def: $sgpr4_sgpr5
	s_cbranch_execnz .LBB7_1319
	s_branch .LBB7_1320
.LBB7_1317:
	s_mov_b64 s[12:13], -1
                                        ; implicit-def: $sgpr4_sgpr5
.LBB7_1318:
	s_branch .LBB7_1320
.LBB7_1319:
	s_and_b32 s14, s1, 0xff
	s_waitcnt vmcnt(0)
	v_cmp_gt_u16_sdwa s[14:15], v14, s14 src0_sel:BYTE_0 src1_sel:DWORD
	s_andn2_b64 s[4:5], s[4:5], exec
	s_and_b64 s[14:15], s[14:15], exec
	s_or_b64 s[4:5], s[4:5], s[14:15]
.LBB7_1320:
	s_branch .LBB7_1322
.LBB7_1321:
	s_cmp_lg_u32 s0, 0
	s_mov_b64 s[6:7], -1
	s_cselect_b64 s[12:13], -1, 0
.LBB7_1322:
	s_andn2_b64 vcc, exec, s[12:13]
	s_cbranch_vccnz .LBB7_1324
; %bb.1323:
	s_and_b32 s6, s1, 0xff
	s_waitcnt vmcnt(0)
	v_cmp_lt_u16_sdwa s[12:13], v14, s6 src0_sel:BYTE_0 src1_sel:DWORD
	s_andn2_b64 s[4:5], s[4:5], exec
	s_and_b64 s[12:13], s[12:13], exec
	s_or_b64 s[4:5], s[4:5], s[12:13]
	s_cbranch_execz .LBB7_1325
	s_branch .LBB7_1326
.LBB7_1324:
	s_andn2_b64 vcc, exec, s[6:7]
	s_cbranch_vccnz .LBB7_1326
.LBB7_1325:
	s_and_b32 s6, s1, 0xff
	s_waitcnt vmcnt(0)
	v_cmp_ge_u16_sdwa s[6:7], v14, s6 src0_sel:BYTE_0 src1_sel:DWORD
	s_andn2_b64 s[4:5], s[4:5], exec
	s_and_b64 s[6:7], s[6:7], exec
	s_or_b64 s[4:5], s[4:5], s[6:7]
.LBB7_1326:
	s_lshr_b32 s6, s16, 8
	v_mov_b32_e32 v1, s11
	s_and_b32 s20, s6, 0xff
	v_add_co_u32_e32 v10, vcc, s10, v11
	s_cmp_lt_i32 s20, 11
	v_addc_co_u32_e32 v11, vcc, 0, v1, vcc
	s_cbranch_scc1 .LBB7_1333
; %bb.1327:
	s_and_b32 s18, 0xffff, s20
	s_cmp_gt_i32 s18, 25
	s_mov_b64 s[12:13], 0
	s_cbranch_scc0 .LBB7_1335
; %bb.1328:
	s_cmp_gt_i32 s18, 28
	s_cbranch_scc0 .LBB7_1336
; %bb.1329:
	s_cmp_gt_i32 s18, 43
	;; [unrolled: 3-line block ×3, first 2 shown]
	s_cbranch_scc0 .LBB7_1339
; %bb.1331:
	s_cmp_eq_u32 s18, 46
	s_mov_b64 s[16:17], 0
	s_cbranch_scc0 .LBB7_1342
; %bb.1332:
	global_load_dword v1, v[10:11], off
	s_mov_b32 s6, 0x2f800000
	s_mov_b32 s7, 0xcf800000
	s_mov_b64 s[14:15], -1
	s_waitcnt vmcnt(0)
	v_lshlrev_b32_e32 v1, 16, v1
	v_trunc_f32_e32 v1, v1
	v_mul_f32_e64 v3, |v1|, s6
	v_floor_f32_e32 v3, v3
	v_fma_f32 v3, v3, s7, |v1|
	v_cvt_u32_f32_e32 v3, v3
	v_ashrrev_i32_e32 v1, 31, v1
	s_mov_b64 s[6:7], 0
	v_xor_b32_e32 v3, v3, v1
	v_sub_u32_e32 v12, v3, v1
	s_branch .LBB7_1343
.LBB7_1333:
	s_mov_b64 s[14:15], 0
                                        ; implicit-def: $vgpr12
	s_cbranch_execnz .LBB7_1404
.LBB7_1334:
	s_andn2_b64 vcc, exec, s[14:15]
	s_cbranch_vccnz .LBB7_1738
	s_branch .LBB7_1451
.LBB7_1335:
	s_mov_b64 s[14:15], 0
	s_mov_b64 s[6:7], 0
                                        ; implicit-def: $vgpr12
	s_cbranch_execnz .LBB7_1370
	s_branch .LBB7_1400
.LBB7_1336:
	s_mov_b64 s[16:17], -1
	s_mov_b64 s[14:15], 0
	s_mov_b64 s[6:7], 0
                                        ; implicit-def: $vgpr12
	s_branch .LBB7_1353
.LBB7_1337:
	s_mov_b64 s[16:17], -1
	s_mov_b64 s[14:15], 0
	s_mov_b64 s[6:7], 0
                                        ; implicit-def: $vgpr12
	s_branch .LBB7_1348
.LBB7_1338:
	s_or_b64 s[2:3], s[28:29], exec
	s_trap 2
	s_cbranch_execz .LBB7_1264
	s_branch .LBB7_1265
.LBB7_1339:
	s_mov_b64 s[16:17], -1
	s_mov_b64 s[14:15], 0
	s_mov_b64 s[6:7], 0
                                        ; implicit-def: $vgpr12
	s_branch .LBB7_1343
.LBB7_1340:
	s_andn2_saveexec_b64 s[18:19], s[18:19]
	s_cbranch_execz .LBB7_1059
.LBB7_1341:
	v_add_f32_e32 v0, 0x42800000, v3
	v_and_b32_e32 v0, 0xff, v0
	v_cmp_ne_u32_e32 vcc, 0, v0
	s_andn2_b64 s[16:17], s[16:17], exec
	s_and_b64 s[22:23], vcc, exec
	s_or_b64 s[16:17], s[16:17], s[22:23]
	s_or_b64 exec, exec, s[18:19]
	v_mov_b32_e32 v4, 0
	s_and_saveexec_b64 s[18:19], s[16:17]
	s_cbranch_execnz .LBB7_1060
	s_branch .LBB7_1061
.LBB7_1342:
	s_mov_b64 s[6:7], -1
                                        ; implicit-def: $vgpr12
	s_mov_b64 s[14:15], 0
.LBB7_1343:
	s_and_b64 vcc, exec, s[16:17]
	s_cbranch_vccz .LBB7_1347
; %bb.1344:
	s_cmp_eq_u32 s18, 44
	s_cbranch_scc0 .LBB7_1346
; %bb.1345:
	global_load_ubyte v1, v[10:11], off
	s_mov_b32 s6, 0x2f800000
	s_mov_b32 s7, 0xcf800000
	s_mov_b64 s[14:15], -1
	s_waitcnt vmcnt(0)
	v_lshlrev_b32_e32 v3, 23, v1
	v_trunc_f32_e32 v3, v3
	v_mul_f32_e64 v5, |v3|, s6
	v_floor_f32_e32 v5, v5
	v_fma_f32 v5, v5, s7, |v3|
	v_cvt_u32_f32_e32 v5, v5
	v_ashrrev_i32_e32 v3, 31, v3
	v_cmp_ne_u32_e32 vcc, 0, v1
	s_mov_b64 s[6:7], 0
	v_xor_b32_e32 v5, v5, v3
	v_sub_u32_e32 v3, v5, v3
	v_cndmask_b32_e32 v12, 0, v3, vcc
	s_branch .LBB7_1347
.LBB7_1346:
	s_mov_b64 s[6:7], -1
                                        ; implicit-def: $vgpr12
.LBB7_1347:
	s_mov_b64 s[16:17], 0
.LBB7_1348:
	s_and_b64 vcc, exec, s[16:17]
	s_cbranch_vccz .LBB7_1352
; %bb.1349:
	s_cmp_eq_u32 s18, 29
	s_cbranch_scc0 .LBB7_1351
; %bb.1350:
	global_load_dwordx2 v[12:13], v[10:11], off
	s_mov_b64 s[6:7], 0
	s_mov_b64 s[14:15], -1
	s_branch .LBB7_1352
.LBB7_1351:
	s_mov_b64 s[6:7], -1
                                        ; implicit-def: $vgpr12
.LBB7_1352:
	s_mov_b64 s[16:17], 0
.LBB7_1353:
	s_and_b64 vcc, exec, s[16:17]
	s_cbranch_vccz .LBB7_1369
; %bb.1354:
	s_cmp_lt_i32 s18, 27
	s_cbranch_scc1 .LBB7_1357
; %bb.1355:
	s_cmp_gt_i32 s18, 27
	s_cbranch_scc0 .LBB7_1358
; %bb.1356:
	global_load_dword v12, v[10:11], off
	s_mov_b64 s[14:15], 0
	s_branch .LBB7_1359
.LBB7_1357:
	s_mov_b64 s[14:15], -1
                                        ; implicit-def: $vgpr12
	s_branch .LBB7_1362
.LBB7_1358:
	s_mov_b64 s[14:15], -1
                                        ; implicit-def: $vgpr12
.LBB7_1359:
	s_andn2_b64 vcc, exec, s[14:15]
	s_cbranch_vccnz .LBB7_1361
; %bb.1360:
	global_load_ushort v12, v[10:11], off
.LBB7_1361:
	s_mov_b64 s[14:15], 0
.LBB7_1362:
	s_andn2_b64 vcc, exec, s[14:15]
	s_cbranch_vccnz .LBB7_1368
; %bb.1363:
	global_load_ubyte v1, v[10:11], off
	s_movk_i32 s14, 0x7f
	s_mov_b64 s[16:17], 0
	s_waitcnt vmcnt(0)
	v_cmp_lt_i16_e32 vcc, s14, v1
	s_and_saveexec_b64 s[14:15], vcc
	s_xor_b64 s[14:15], exec, s[14:15]
	s_cbranch_execz .LBB7_1379
; %bb.1364:
	s_movk_i32 s16, 0x80
	v_cmp_ne_u16_e32 vcc, s16, v1
	s_and_b64 s[16:17], vcc, exec
	s_andn2_saveexec_b64 s[14:15], s[14:15]
	s_cbranch_execnz .LBB7_1380
.LBB7_1365:
	s_or_b64 exec, exec, s[14:15]
	v_mov_b32_e32 v12, 0
	s_and_saveexec_b64 s[14:15], s[16:17]
	s_cbranch_execz .LBB7_1367
.LBB7_1366:
	v_lshlrev_b32_e32 v3, 24, v1
	v_and_b32_e32 v1, 0xffff, v1
	v_and_b32_e32 v5, 7, v1
	v_ffbh_u32_e32 v12, v5
	v_min_u32_e32 v12, 32, v12
	v_subrev_u32_e32 v13, 28, v12
	v_bfe_u32 v8, v1, 3, 4
	v_lshlrev_b32_e32 v1, v13, v1
	v_sub_u32_e32 v12, 29, v12
	v_and_b32_e32 v1, 7, v1
	v_cmp_eq_u32_e32 vcc, 0, v8
	v_cndmask_b32_e32 v8, v8, v12, vcc
	v_cndmask_b32_e32 v1, v5, v1, vcc
	v_mov_b32_e32 v5, 0x3b800000
	v_lshlrev_b32_e32 v1, 20, v1
	v_and_b32_e32 v3, 0x80000000, v3
	v_lshl_add_u32 v5, v8, 23, v5
	v_or3_b32 v1, v3, v5, v1
	v_trunc_f32_e32 v1, v1
	s_mov_b32 s16, 0x2f800000
	v_mul_f32_e64 v3, |v1|, s16
	v_floor_f32_e32 v3, v3
	s_mov_b32 s16, 0xcf800000
	v_fma_f32 v3, v3, s16, |v1|
	v_cvt_u32_f32_e32 v3, v3
	v_ashrrev_i32_e32 v1, 31, v1
	v_xor_b32_e32 v3, v3, v1
	v_sub_u32_e32 v12, v3, v1
.LBB7_1367:
	s_or_b64 exec, exec, s[14:15]
.LBB7_1368:
	s_mov_b64 s[14:15], -1
.LBB7_1369:
	s_branch .LBB7_1400
.LBB7_1370:
	s_cmp_gt_i32 s18, 22
	s_cbranch_scc0 .LBB7_1378
; %bb.1371:
	s_cmp_lt_i32 s18, 24
	s_cbranch_scc1 .LBB7_1381
; %bb.1372:
	s_cmp_gt_i32 s18, 24
	s_cbranch_scc0 .LBB7_1382
; %bb.1373:
	global_load_ubyte v1, v[10:11], off
	s_movk_i32 s12, 0x7f
	s_mov_b64 s[14:15], 0
	s_waitcnt vmcnt(0)
	v_cmp_lt_i16_e32 vcc, s12, v1
	s_and_saveexec_b64 s[12:13], vcc
	s_xor_b64 s[12:13], exec, s[12:13]
	s_cbranch_execz .LBB7_1394
; %bb.1374:
	s_movk_i32 s14, 0x80
	v_cmp_ne_u16_e32 vcc, s14, v1
	s_and_b64 s[14:15], vcc, exec
	s_andn2_saveexec_b64 s[12:13], s[12:13]
	s_cbranch_execnz .LBB7_1395
.LBB7_1375:
	s_or_b64 exec, exec, s[12:13]
	v_mov_b32_e32 v12, 0
	s_and_saveexec_b64 s[12:13], s[14:15]
	s_cbranch_execz .LBB7_1377
.LBB7_1376:
	v_lshlrev_b32_e32 v3, 24, v1
	v_and_b32_e32 v1, 0xffff, v1
	v_and_b32_e32 v5, 3, v1
	v_ffbh_u32_e32 v12, v5
	v_min_u32_e32 v12, 32, v12
	v_subrev_u32_e32 v13, 29, v12
	v_bfe_u32 v8, v1, 2, 5
	v_lshlrev_b32_e32 v1, v13, v1
	v_sub_u32_e32 v12, 30, v12
	v_and_b32_e32 v1, 3, v1
	v_cmp_eq_u32_e32 vcc, 0, v8
	v_cndmask_b32_e32 v8, v8, v12, vcc
	v_cndmask_b32_e32 v1, v5, v1, vcc
	v_mov_b32_e32 v5, 0x37800000
	v_lshlrev_b32_e32 v1, 21, v1
	v_and_b32_e32 v3, 0x80000000, v3
	v_lshl_add_u32 v5, v8, 23, v5
	v_or3_b32 v1, v3, v5, v1
	v_trunc_f32_e32 v1, v1
	s_mov_b32 s14, 0x2f800000
	v_mul_f32_e64 v3, |v1|, s14
	v_floor_f32_e32 v3, v3
	s_mov_b32 s14, 0xcf800000
	v_fma_f32 v3, v3, s14, |v1|
	v_cvt_u32_f32_e32 v3, v3
	v_ashrrev_i32_e32 v1, 31, v1
	v_xor_b32_e32 v3, v3, v1
	v_sub_u32_e32 v12, v3, v1
.LBB7_1377:
	s_or_b64 exec, exec, s[12:13]
	s_mov_b64 s[12:13], 0
	s_branch .LBB7_1383
.LBB7_1378:
	s_mov_b64 s[12:13], -1
                                        ; implicit-def: $vgpr12
	s_branch .LBB7_1389
.LBB7_1379:
	s_andn2_saveexec_b64 s[14:15], s[14:15]
	s_cbranch_execz .LBB7_1365
.LBB7_1380:
	v_cmp_ne_u16_e32 vcc, 0, v1
	s_andn2_b64 s[16:17], s[16:17], exec
	s_and_b64 s[22:23], vcc, exec
	s_or_b64 s[16:17], s[16:17], s[22:23]
	s_or_b64 exec, exec, s[14:15]
	v_mov_b32_e32 v12, 0
	s_and_saveexec_b64 s[14:15], s[16:17]
	s_cbranch_execnz .LBB7_1366
	s_branch .LBB7_1367
.LBB7_1381:
	s_mov_b64 s[12:13], -1
                                        ; implicit-def: $vgpr12
	s_branch .LBB7_1386
.LBB7_1382:
	s_mov_b64 s[12:13], -1
                                        ; implicit-def: $vgpr12
.LBB7_1383:
	s_and_b64 vcc, exec, s[12:13]
	s_cbranch_vccz .LBB7_1385
; %bb.1384:
	global_load_ubyte v1, v[10:11], off
	s_mov_b32 s12, 0x7f800000
	s_brev_b32 s13, 1
	s_mov_b32 s14, 0x2f800000
	s_waitcnt vmcnt(0)
	v_lshlrev_b32_e32 v1, 24, v1
	v_and_b32_e32 v3, 0x7f000000, v1
	v_ffbh_u32_e32 v5, v3
	v_min_u32_e32 v5, 32, v5
	v_sub_u32_e64 v5, v5, 4 clamp
	v_lshlrev_b32_e32 v12, v5, v3
	v_lshlrev_b32_e32 v5, 23, v5
	v_lshrrev_b32_e32 v12, 4, v12
	v_add_u32_e32 v8, 0x1000000, v3
	v_sub_u32_e32 v5, v12, v5
	v_ashrrev_i32_e32 v8, 8, v8
	v_add_u32_e32 v5, 0x3c000000, v5
	v_and_or_b32 v5, v8, s12, v5
	v_cmp_ne_u32_e32 vcc, 0, v3
	v_cndmask_b32_e32 v3, 0, v5, vcc
	v_and_or_b32 v1, v1, s13, v3
	v_trunc_f32_e32 v1, v1
	v_mul_f32_e64 v3, |v1|, s14
	v_floor_f32_e32 v3, v3
	s_mov_b32 s12, 0xcf800000
	v_fma_f32 v3, v3, s12, |v1|
	v_cvt_u32_f32_e32 v3, v3
	v_ashrrev_i32_e32 v1, 31, v1
	v_xor_b32_e32 v3, v3, v1
	v_sub_u32_e32 v12, v3, v1
.LBB7_1385:
	s_mov_b64 s[12:13], 0
.LBB7_1386:
	s_andn2_b64 vcc, exec, s[12:13]
	s_cbranch_vccnz .LBB7_1388
; %bb.1387:
	global_load_ubyte v1, v[10:11], off
	s_movk_i32 s12, 0x7f00
	s_brev_b32 s13, 16
	s_brev_b32 s14, 1
	s_mov_b32 s15, 0x2f800000
	s_waitcnt vmcnt(0)
	v_lshlrev_b16_e32 v3, 8, v1
	v_lshlrev_b32_e32 v1, 25, v1
	v_lshrrev_b32_e32 v5, 4, v1
	v_and_or_b32 v8, v3, s12, 0.5
	v_or_b32_e32 v5, 0x70000000, v5
	v_add_f32_e32 v8, -0.5, v8
	v_mul_f32_e32 v5, 0x7800000, v5
	v_cmp_gt_u32_e32 vcc, s13, v1
	v_bfe_i32 v3, v3, 0, 16
	v_cndmask_b32_e32 v1, v5, v8, vcc
	v_and_or_b32 v1, v3, s14, v1
	v_trunc_f32_e32 v1, v1
	v_mul_f32_e64 v3, |v1|, s15
	v_floor_f32_e32 v3, v3
	s_mov_b32 s12, 0xcf800000
	v_fma_f32 v3, v3, s12, |v1|
	v_cvt_u32_f32_e32 v3, v3
	v_ashrrev_i32_e32 v1, 31, v1
	v_xor_b32_e32 v3, v3, v1
	v_sub_u32_e32 v12, v3, v1
.LBB7_1388:
	s_mov_b64 s[12:13], 0
	s_mov_b64 s[14:15], -1
.LBB7_1389:
	s_andn2_b64 vcc, exec, s[12:13]
	s_mov_b64 s[12:13], 0
	s_cbranch_vccnz .LBB7_1400
; %bb.1390:
	s_cmp_gt_i32 s18, 14
	s_cbranch_scc0 .LBB7_1393
; %bb.1391:
	s_cmp_eq_u32 s18, 15
	s_cbranch_scc0 .LBB7_1396
; %bb.1392:
	global_load_ushort v1, v[10:11], off
	s_mov_b32 s6, 0x2f800000
	s_mov_b32 s7, 0xcf800000
	s_mov_b64 s[14:15], -1
	s_waitcnt vmcnt(0)
	v_lshlrev_b32_e32 v1, 16, v1
	v_trunc_f32_e32 v1, v1
	v_mul_f32_e64 v3, |v1|, s6
	v_floor_f32_e32 v3, v3
	v_fma_f32 v3, v3, s7, |v1|
	v_cvt_u32_f32_e32 v3, v3
	v_ashrrev_i32_e32 v1, 31, v1
	s_mov_b64 s[6:7], 0
	v_xor_b32_e32 v3, v3, v1
	v_sub_u32_e32 v12, v3, v1
	s_branch .LBB7_1397
.LBB7_1393:
	s_mov_b64 s[16:17], -1
                                        ; implicit-def: $vgpr12
	s_branch .LBB7_1398
.LBB7_1394:
	s_andn2_saveexec_b64 s[12:13], s[12:13]
	s_cbranch_execz .LBB7_1375
.LBB7_1395:
	v_cmp_ne_u16_e32 vcc, 0, v1
	s_andn2_b64 s[14:15], s[14:15], exec
	s_and_b64 s[16:17], vcc, exec
	s_or_b64 s[14:15], s[14:15], s[16:17]
	s_or_b64 exec, exec, s[12:13]
	v_mov_b32_e32 v12, 0
	s_and_saveexec_b64 s[12:13], s[14:15]
	s_cbranch_execnz .LBB7_1376
	s_branch .LBB7_1377
.LBB7_1396:
	s_mov_b64 s[6:7], -1
                                        ; implicit-def: $vgpr12
.LBB7_1397:
	s_mov_b64 s[16:17], 0
.LBB7_1398:
	s_and_b64 vcc, exec, s[16:17]
	s_cbranch_vccz .LBB7_1400
; %bb.1399:
	s_cmp_lg_u32 s18, 11
	s_mov_b64 s[12:13], -1
	s_cselect_b64 s[6:7], -1, 0
.LBB7_1400:
	s_and_b64 vcc, exec, s[6:7]
	s_cbranch_vccnz .LBB7_1479
; %bb.1401:
	s_andn2_b64 vcc, exec, s[12:13]
	s_cbranch_vccnz .LBB7_1403
.LBB7_1402:
	global_load_ubyte v1, v[10:11], off
	s_mov_b64 s[14:15], -1
	s_waitcnt vmcnt(0)
	v_cmp_ne_u16_e32 vcc, 0, v1
	v_cndmask_b32_e64 v12, 0, 1, vcc
.LBB7_1403:
	s_branch .LBB7_1334
.LBB7_1404:
	s_and_b32 s12, 0xffff, s20
	s_cmp_lt_i32 s12, 5
	s_cbranch_scc1 .LBB7_1409
; %bb.1405:
	s_cmp_lt_i32 s12, 8
	s_cbranch_scc1 .LBB7_1410
; %bb.1406:
	;; [unrolled: 3-line block ×3, first 2 shown]
	s_cmp_gt_i32 s12, 9
	s_cbranch_scc0 .LBB7_1412
; %bb.1408:
	global_load_dwordx2 v[12:13], v[10:11], off
	s_movk_i32 s6, 0xffe0
	s_waitcnt vmcnt(0)
	v_trunc_f64_e32 v[12:13], v[12:13]
	v_ldexp_f64 v[14:15], v[12:13], s6
	s_mov_b32 s6, 0
	s_mov_b32 s7, 0xc1f00000
	v_floor_f64_e32 v[14:15], v[14:15]
	v_fma_f64 v[12:13], v[14:15], s[6:7], v[12:13]
	s_mov_b64 s[6:7], 0
	v_cvt_u32_f64_e32 v12, v[12:13]
	s_branch .LBB7_1413
.LBB7_1409:
                                        ; implicit-def: $vgpr12
	s_branch .LBB7_1431
.LBB7_1410:
	s_mov_b64 s[6:7], -1
                                        ; implicit-def: $vgpr12
	s_branch .LBB7_1419
.LBB7_1411:
	s_mov_b64 s[6:7], -1
                                        ; implicit-def: $vgpr12
	s_branch .LBB7_1416
.LBB7_1412:
	s_mov_b64 s[6:7], -1
                                        ; implicit-def: $vgpr12
.LBB7_1413:
	s_andn2_b64 vcc, exec, s[6:7]
	s_cbranch_vccnz .LBB7_1415
; %bb.1414:
	global_load_dword v1, v[10:11], off
	s_mov_b32 s6, 0x2f800000
	s_waitcnt vmcnt(0)
	v_trunc_f32_e32 v1, v1
	v_mul_f32_e64 v3, |v1|, s6
	v_floor_f32_e32 v3, v3
	s_mov_b32 s6, 0xcf800000
	v_fma_f32 v3, v3, s6, |v1|
	v_cvt_u32_f32_e32 v3, v3
	v_ashrrev_i32_e32 v1, 31, v1
	v_xor_b32_e32 v3, v3, v1
	v_sub_u32_e32 v12, v3, v1
.LBB7_1415:
	s_mov_b64 s[6:7], 0
.LBB7_1416:
	s_andn2_b64 vcc, exec, s[6:7]
	s_cbranch_vccnz .LBB7_1418
; %bb.1417:
	global_load_dword v1, v[10:11], off
	s_waitcnt vmcnt(0)
	v_cvt_f32_f16_e32 v1, v1
	v_cvt_i32_f32_e32 v12, v1
.LBB7_1418:
	s_mov_b64 s[6:7], 0
.LBB7_1419:
	s_andn2_b64 vcc, exec, s[6:7]
	s_cbranch_vccnz .LBB7_1430
; %bb.1420:
	s_cmp_lt_i32 s12, 6
	s_cbranch_scc1 .LBB7_1423
; %bb.1421:
	s_cmp_gt_i32 s12, 6
	s_cbranch_scc0 .LBB7_1424
; %bb.1422:
	global_load_dwordx2 v[12:13], v[10:11], off
	s_movk_i32 s6, 0xffe0
	s_waitcnt vmcnt(0)
	v_trunc_f64_e32 v[12:13], v[12:13]
	v_ldexp_f64 v[14:15], v[12:13], s6
	s_mov_b32 s6, 0
	s_mov_b32 s7, 0xc1f00000
	v_floor_f64_e32 v[14:15], v[14:15]
	v_fma_f64 v[12:13], v[14:15], s[6:7], v[12:13]
	s_mov_b64 s[6:7], 0
	v_cvt_u32_f64_e32 v12, v[12:13]
	s_branch .LBB7_1425
.LBB7_1423:
	s_mov_b64 s[6:7], -1
                                        ; implicit-def: $vgpr12
	s_branch .LBB7_1428
.LBB7_1424:
	s_mov_b64 s[6:7], -1
                                        ; implicit-def: $vgpr12
.LBB7_1425:
	s_andn2_b64 vcc, exec, s[6:7]
	s_cbranch_vccnz .LBB7_1427
; %bb.1426:
	global_load_dword v1, v[10:11], off
	s_mov_b32 s6, 0x2f800000
	s_waitcnt vmcnt(0)
	v_trunc_f32_e32 v1, v1
	v_mul_f32_e64 v3, |v1|, s6
	v_floor_f32_e32 v3, v3
	s_mov_b32 s6, 0xcf800000
	v_fma_f32 v3, v3, s6, |v1|
	v_cvt_u32_f32_e32 v3, v3
	v_ashrrev_i32_e32 v1, 31, v1
	v_xor_b32_e32 v3, v3, v1
	v_sub_u32_e32 v12, v3, v1
.LBB7_1427:
	s_mov_b64 s[6:7], 0
.LBB7_1428:
	s_andn2_b64 vcc, exec, s[6:7]
	s_cbranch_vccnz .LBB7_1430
; %bb.1429:
	global_load_ushort v1, v[10:11], off
	s_waitcnt vmcnt(0)
	v_cvt_f32_f16_e32 v1, v1
	v_cvt_i32_f32_e32 v12, v1
.LBB7_1430:
	s_cbranch_execnz .LBB7_1450
.LBB7_1431:
	s_cmp_lt_i32 s12, 2
	s_cbranch_scc1 .LBB7_1435
; %bb.1432:
	s_cmp_lt_i32 s12, 3
	s_cbranch_scc1 .LBB7_1436
; %bb.1433:
	s_cmp_gt_i32 s12, 3
	s_cbranch_scc0 .LBB7_1437
; %bb.1434:
	global_load_dwordx2 v[12:13], v[10:11], off
	s_mov_b64 s[6:7], 0
	s_branch .LBB7_1438
.LBB7_1435:
	s_mov_b64 s[6:7], -1
                                        ; implicit-def: $vgpr12
	s_branch .LBB7_1444
.LBB7_1436:
	s_mov_b64 s[6:7], -1
                                        ; implicit-def: $vgpr12
	s_branch .LBB7_1441
.LBB7_1437:
	s_mov_b64 s[6:7], -1
                                        ; implicit-def: $vgpr12
.LBB7_1438:
	s_andn2_b64 vcc, exec, s[6:7]
	s_cbranch_vccnz .LBB7_1440
; %bb.1439:
	global_load_dword v12, v[10:11], off
.LBB7_1440:
	s_mov_b64 s[6:7], 0
.LBB7_1441:
	s_andn2_b64 vcc, exec, s[6:7]
	s_cbranch_vccnz .LBB7_1443
; %bb.1442:
	global_load_ushort v12, v[10:11], off
.LBB7_1443:
	s_mov_b64 s[6:7], 0
.LBB7_1444:
	s_andn2_b64 vcc, exec, s[6:7]
	s_cbranch_vccnz .LBB7_1450
; %bb.1445:
	s_cmp_gt_i32 s12, 0
	s_cbranch_scc0 .LBB7_1447
; %bb.1446:
	global_load_ubyte v12, v[10:11], off
	s_mov_b64 s[6:7], 0
	s_branch .LBB7_1448
.LBB7_1447:
	s_mov_b64 s[6:7], -1
                                        ; implicit-def: $vgpr12
.LBB7_1448:
	s_andn2_b64 vcc, exec, s[6:7]
	s_cbranch_vccnz .LBB7_1450
; %bb.1449:
	global_load_ubyte v12, v[10:11], off
.LBB7_1450:
.LBB7_1451:
	s_cmp_lt_i32 s0, 1
	s_mov_b64 s[12:13], 0
	s_cbranch_scc1 .LBB7_1455
; %bb.1452:
	s_cmp_gt_i32 s0, 1
	s_cbranch_scc0 .LBB7_1456
; %bb.1453:
	s_cmp_eq_u32 s0, 2
	s_cbranch_scc0 .LBB7_1457
; %bb.1454:
	s_and_b32 s6, s1, 0xff
	s_waitcnt vmcnt(0)
	v_cmp_le_u16_sdwa s[6:7], v12, s6 src0_sel:BYTE_0 src1_sel:DWORD
	s_mov_b64 s[14:15], 0
	s_branch .LBB7_1458
.LBB7_1455:
                                        ; implicit-def: $sgpr6_sgpr7
	s_mov_b64 s[14:15], 0
	s_cbranch_execnz .LBB7_1462
	s_branch .LBB7_1463
.LBB7_1456:
	s_mov_b64 s[16:17], -1
	s_mov_b64 s[14:15], 0
                                        ; implicit-def: $sgpr6_sgpr7
	s_branch .LBB7_1459
.LBB7_1457:
	s_mov_b64 s[14:15], -1
                                        ; implicit-def: $sgpr6_sgpr7
.LBB7_1458:
	s_mov_b64 s[16:17], 0
.LBB7_1459:
	s_and_b64 vcc, exec, s[16:17]
	s_cbranch_vccz .LBB7_1461
; %bb.1460:
	s_and_b32 s16, s1, 0xff
	s_waitcnt vmcnt(0)
	v_cmp_gt_u16_sdwa s[16:17], v12, s16 src0_sel:BYTE_0 src1_sel:DWORD
	s_andn2_b64 s[6:7], s[6:7], exec
	s_and_b64 s[16:17], s[16:17], exec
	s_or_b64 s[6:7], s[6:7], s[16:17]
.LBB7_1461:
	s_branch .LBB7_1463
.LBB7_1462:
	s_cmp_lg_u32 s0, 0
	s_mov_b64 s[12:13], -1
	s_cselect_b64 s[14:15], -1, 0
.LBB7_1463:
	s_andn2_b64 vcc, exec, s[14:15]
	s_cbranch_vccnz .LBB7_1465
; %bb.1464:
	s_and_b32 s12, s1, 0xff
	s_waitcnt vmcnt(0)
	v_cmp_lt_u16_sdwa s[14:15], v12, s12 src0_sel:BYTE_0 src1_sel:DWORD
	s_andn2_b64 s[6:7], s[6:7], exec
	s_and_b64 s[14:15], s[14:15], exec
	s_or_b64 s[6:7], s[6:7], s[14:15]
	s_cbranch_execz .LBB7_1466
	s_branch .LBB7_1467
.LBB7_1465:
	s_andn2_b64 vcc, exec, s[12:13]
	s_cbranch_vccnz .LBB7_1467
.LBB7_1466:
	s_and_b32 s12, s1, 0xff
	s_waitcnt vmcnt(0)
	v_cmp_ge_u16_sdwa s[12:13], v12, s12 src0_sel:BYTE_0 src1_sel:DWORD
	s_andn2_b64 s[6:7], s[6:7], exec
	s_and_b64 s[12:13], s[12:13], exec
	s_or_b64 s[6:7], s[6:7], s[12:13]
.LBB7_1467:
	v_mov_b32_e32 v1, s11
	v_add_co_u32_e32 v8, vcc, s10, v9
	s_cmp_lt_i32 s20, 11
	v_addc_co_u32_e32 v9, vcc, 0, v1, vcc
	s_cbranch_scc1 .LBB7_1474
; %bb.1468:
	s_and_b32 s21, 0xffff, s20
	s_cmp_gt_i32 s21, 25
	s_mov_b64 s[14:15], 0
	s_cbranch_scc0 .LBB7_1476
; %bb.1469:
	s_cmp_gt_i32 s21, 28
	s_cbranch_scc0 .LBB7_1477
; %bb.1470:
	s_cmp_gt_i32 s21, 43
	;; [unrolled: 3-line block ×3, first 2 shown]
	s_cbranch_scc0 .LBB7_1480
; %bb.1472:
	s_cmp_eq_u32 s21, 46
	s_mov_b64 s[18:19], 0
	s_cbranch_scc0 .LBB7_1481
; %bb.1473:
	global_load_dword v1, v[8:9], off
	s_mov_b32 s12, 0x2f800000
	s_mov_b32 s13, 0xcf800000
	s_mov_b64 s[16:17], -1
	s_waitcnt vmcnt(0)
	v_lshlrev_b32_e32 v1, 16, v1
	v_trunc_f32_e32 v1, v1
	v_mul_f32_e64 v3, |v1|, s12
	v_floor_f32_e32 v3, v3
	v_fma_f32 v3, v3, s13, |v1|
	v_cvt_u32_f32_e32 v3, v3
	v_ashrrev_i32_e32 v1, 31, v1
	s_mov_b64 s[12:13], 0
	v_xor_b32_e32 v3, v3, v1
	v_sub_u32_e32 v10, v3, v1
	s_branch .LBB7_1482
.LBB7_1474:
	s_mov_b64 s[16:17], 0
                                        ; implicit-def: $vgpr10
	s_cbranch_execnz .LBB7_1544
.LBB7_1475:
	s_andn2_b64 vcc, exec, s[16:17]
	s_cbranch_vccnz .LBB7_1738
	s_branch .LBB7_1592
.LBB7_1476:
	s_mov_b64 s[18:19], -1
	s_mov_b64 s[16:17], 0
	s_mov_b64 s[12:13], 0
                                        ; implicit-def: $vgpr10
	s_branch .LBB7_1509
.LBB7_1477:
	s_mov_b64 s[18:19], -1
	s_mov_b64 s[16:17], 0
	s_mov_b64 s[12:13], 0
                                        ; implicit-def: $vgpr10
	s_branch .LBB7_1492
.LBB7_1478:
	s_mov_b64 s[18:19], -1
	s_mov_b64 s[16:17], 0
	s_mov_b64 s[12:13], 0
                                        ; implicit-def: $vgpr10
	s_branch .LBB7_1487
.LBB7_1479:
	s_trap 2
	s_or_b64 s[2:3], s[2:3], exec
	s_cbranch_execz .LBB7_1402
	s_branch .LBB7_1403
.LBB7_1480:
	s_mov_b64 s[18:19], -1
	s_mov_b64 s[16:17], 0
	s_mov_b64 s[12:13], 0
                                        ; implicit-def: $vgpr10
	s_branch .LBB7_1482
.LBB7_1481:
	s_mov_b64 s[12:13], -1
                                        ; implicit-def: $vgpr10
	s_mov_b64 s[16:17], 0
.LBB7_1482:
	s_and_b64 vcc, exec, s[18:19]
	s_cbranch_vccz .LBB7_1486
; %bb.1483:
	s_cmp_eq_u32 s21, 44
	s_cbranch_scc0 .LBB7_1485
; %bb.1484:
	global_load_ubyte v1, v[8:9], off
	s_mov_b32 s12, 0x2f800000
	s_mov_b32 s13, 0xcf800000
	s_mov_b64 s[16:17], -1
	s_waitcnt vmcnt(0)
	v_lshlrev_b32_e32 v3, 23, v1
	v_trunc_f32_e32 v3, v3
	v_mul_f32_e64 v5, |v3|, s12
	v_floor_f32_e32 v5, v5
	v_fma_f32 v5, v5, s13, |v3|
	v_cvt_u32_f32_e32 v5, v5
	v_ashrrev_i32_e32 v3, 31, v3
	v_cmp_ne_u32_e32 vcc, 0, v1
	s_mov_b64 s[12:13], 0
	v_xor_b32_e32 v5, v5, v3
	v_sub_u32_e32 v3, v5, v3
	v_cndmask_b32_e32 v10, 0, v3, vcc
	s_branch .LBB7_1486
.LBB7_1485:
	s_mov_b64 s[12:13], -1
                                        ; implicit-def: $vgpr10
.LBB7_1486:
	s_mov_b64 s[18:19], 0
.LBB7_1487:
	s_and_b64 vcc, exec, s[18:19]
	s_cbranch_vccz .LBB7_1491
; %bb.1488:
	s_cmp_eq_u32 s21, 29
	s_cbranch_scc0 .LBB7_1490
; %bb.1489:
	global_load_dwordx2 v[10:11], v[8:9], off
	s_mov_b64 s[12:13], 0
	s_mov_b64 s[16:17], -1
	s_branch .LBB7_1491
.LBB7_1490:
	s_mov_b64 s[12:13], -1
                                        ; implicit-def: $vgpr10
.LBB7_1491:
	s_mov_b64 s[18:19], 0
.LBB7_1492:
	s_and_b64 vcc, exec, s[18:19]
	s_cbranch_vccz .LBB7_1508
; %bb.1493:
	s_cmp_lt_i32 s21, 27
	s_cbranch_scc1 .LBB7_1496
; %bb.1494:
	s_cmp_gt_i32 s21, 27
	s_cbranch_scc0 .LBB7_1497
; %bb.1495:
	global_load_dword v10, v[8:9], off
	s_mov_b64 s[16:17], 0
	s_branch .LBB7_1498
.LBB7_1496:
	s_mov_b64 s[16:17], -1
                                        ; implicit-def: $vgpr10
	s_branch .LBB7_1501
.LBB7_1497:
	s_mov_b64 s[16:17], -1
                                        ; implicit-def: $vgpr10
.LBB7_1498:
	s_andn2_b64 vcc, exec, s[16:17]
	s_cbranch_vccnz .LBB7_1500
; %bb.1499:
	global_load_ushort v10, v[8:9], off
.LBB7_1500:
	s_mov_b64 s[16:17], 0
.LBB7_1501:
	s_andn2_b64 vcc, exec, s[16:17]
	s_cbranch_vccnz .LBB7_1507
; %bb.1502:
	global_load_ubyte v1, v[8:9], off
	s_movk_i32 s16, 0x7f
	s_mov_b64 s[18:19], 0
	s_waitcnt vmcnt(0)
	v_cmp_lt_i16_e32 vcc, s16, v1
	s_and_saveexec_b64 s[16:17], vcc
	s_xor_b64 s[16:17], exec, s[16:17]
	s_cbranch_execz .LBB7_1519
; %bb.1503:
	s_movk_i32 s18, 0x80
	v_cmp_ne_u16_e32 vcc, s18, v1
	s_and_b64 s[18:19], vcc, exec
	s_andn2_saveexec_b64 s[16:17], s[16:17]
	s_cbranch_execnz .LBB7_1520
.LBB7_1504:
	s_or_b64 exec, exec, s[16:17]
	v_mov_b32_e32 v10, 0
	s_and_saveexec_b64 s[16:17], s[18:19]
	s_cbranch_execz .LBB7_1506
.LBB7_1505:
	v_lshlrev_b32_e32 v3, 24, v1
	v_and_b32_e32 v1, 0xffff, v1
	v_and_b32_e32 v5, 7, v1
	v_ffbh_u32_e32 v11, v5
	v_min_u32_e32 v11, 32, v11
	v_subrev_u32_e32 v12, 28, v11
	v_bfe_u32 v10, v1, 3, 4
	v_lshlrev_b32_e32 v1, v12, v1
	v_sub_u32_e32 v11, 29, v11
	v_and_b32_e32 v1, 7, v1
	v_cmp_eq_u32_e32 vcc, 0, v10
	v_cndmask_b32_e32 v10, v10, v11, vcc
	v_cndmask_b32_e32 v1, v5, v1, vcc
	v_mov_b32_e32 v5, 0x3b800000
	v_lshlrev_b32_e32 v1, 20, v1
	v_and_b32_e32 v3, 0x80000000, v3
	v_lshl_add_u32 v5, v10, 23, v5
	v_or3_b32 v1, v3, v5, v1
	v_trunc_f32_e32 v1, v1
	s_mov_b32 s18, 0x2f800000
	v_mul_f32_e64 v3, |v1|, s18
	v_floor_f32_e32 v3, v3
	s_mov_b32 s18, 0xcf800000
	v_fma_f32 v3, v3, s18, |v1|
	v_cvt_u32_f32_e32 v3, v3
	v_ashrrev_i32_e32 v1, 31, v1
	v_xor_b32_e32 v3, v3, v1
	v_sub_u32_e32 v10, v3, v1
.LBB7_1506:
	s_or_b64 exec, exec, s[16:17]
.LBB7_1507:
	s_mov_b64 s[16:17], -1
.LBB7_1508:
	s_mov_b64 s[18:19], 0
.LBB7_1509:
	s_and_b64 vcc, exec, s[18:19]
	s_cbranch_vccz .LBB7_1540
; %bb.1510:
	s_cmp_gt_i32 s21, 22
	s_cbranch_scc0 .LBB7_1518
; %bb.1511:
	s_cmp_lt_i32 s21, 24
	s_cbranch_scc1 .LBB7_1521
; %bb.1512:
	s_cmp_gt_i32 s21, 24
	s_cbranch_scc0 .LBB7_1522
; %bb.1513:
	global_load_ubyte v1, v[8:9], off
	s_movk_i32 s14, 0x7f
	s_mov_b64 s[16:17], 0
	s_waitcnt vmcnt(0)
	v_cmp_lt_i16_e32 vcc, s14, v1
	s_and_saveexec_b64 s[14:15], vcc
	s_xor_b64 s[14:15], exec, s[14:15]
	s_cbranch_execz .LBB7_1534
; %bb.1514:
	s_movk_i32 s16, 0x80
	v_cmp_ne_u16_e32 vcc, s16, v1
	s_and_b64 s[16:17], vcc, exec
	s_andn2_saveexec_b64 s[14:15], s[14:15]
	s_cbranch_execnz .LBB7_1535
.LBB7_1515:
	s_or_b64 exec, exec, s[14:15]
	v_mov_b32_e32 v10, 0
	s_and_saveexec_b64 s[14:15], s[16:17]
	s_cbranch_execz .LBB7_1517
.LBB7_1516:
	v_lshlrev_b32_e32 v3, 24, v1
	v_and_b32_e32 v1, 0xffff, v1
	v_and_b32_e32 v5, 3, v1
	v_ffbh_u32_e32 v11, v5
	v_min_u32_e32 v11, 32, v11
	v_subrev_u32_e32 v12, 29, v11
	v_bfe_u32 v10, v1, 2, 5
	v_lshlrev_b32_e32 v1, v12, v1
	v_sub_u32_e32 v11, 30, v11
	v_and_b32_e32 v1, 3, v1
	v_cmp_eq_u32_e32 vcc, 0, v10
	v_cndmask_b32_e32 v10, v10, v11, vcc
	v_cndmask_b32_e32 v1, v5, v1, vcc
	v_mov_b32_e32 v5, 0x37800000
	v_lshlrev_b32_e32 v1, 21, v1
	v_and_b32_e32 v3, 0x80000000, v3
	v_lshl_add_u32 v5, v10, 23, v5
	v_or3_b32 v1, v3, v5, v1
	v_trunc_f32_e32 v1, v1
	s_mov_b32 s16, 0x2f800000
	v_mul_f32_e64 v3, |v1|, s16
	v_floor_f32_e32 v3, v3
	s_mov_b32 s16, 0xcf800000
	v_fma_f32 v3, v3, s16, |v1|
	v_cvt_u32_f32_e32 v3, v3
	v_ashrrev_i32_e32 v1, 31, v1
	v_xor_b32_e32 v3, v3, v1
	v_sub_u32_e32 v10, v3, v1
.LBB7_1517:
	s_or_b64 exec, exec, s[14:15]
	s_mov_b64 s[14:15], 0
	s_branch .LBB7_1523
.LBB7_1518:
	s_mov_b64 s[14:15], -1
                                        ; implicit-def: $vgpr10
	s_branch .LBB7_1529
.LBB7_1519:
	s_andn2_saveexec_b64 s[16:17], s[16:17]
	s_cbranch_execz .LBB7_1504
.LBB7_1520:
	v_cmp_ne_u16_e32 vcc, 0, v1
	s_andn2_b64 s[18:19], s[18:19], exec
	s_and_b64 s[22:23], vcc, exec
	s_or_b64 s[18:19], s[18:19], s[22:23]
	s_or_b64 exec, exec, s[16:17]
	v_mov_b32_e32 v10, 0
	s_and_saveexec_b64 s[16:17], s[18:19]
	s_cbranch_execnz .LBB7_1505
	s_branch .LBB7_1506
.LBB7_1521:
	s_mov_b64 s[14:15], -1
                                        ; implicit-def: $vgpr10
	s_branch .LBB7_1526
.LBB7_1522:
	s_mov_b64 s[14:15], -1
                                        ; implicit-def: $vgpr10
.LBB7_1523:
	s_and_b64 vcc, exec, s[14:15]
	s_cbranch_vccz .LBB7_1525
; %bb.1524:
	global_load_ubyte v1, v[8:9], off
	s_mov_b32 s14, 0x7f800000
	s_brev_b32 s15, 1
	s_mov_b32 s16, 0x2f800000
	s_waitcnt vmcnt(0)
	v_lshlrev_b32_e32 v1, 24, v1
	v_and_b32_e32 v3, 0x7f000000, v1
	v_ffbh_u32_e32 v5, v3
	v_min_u32_e32 v5, 32, v5
	v_sub_u32_e64 v5, v5, 4 clamp
	v_lshlrev_b32_e32 v11, v5, v3
	v_lshlrev_b32_e32 v5, 23, v5
	v_lshrrev_b32_e32 v11, 4, v11
	v_add_u32_e32 v10, 0x1000000, v3
	v_sub_u32_e32 v5, v11, v5
	v_ashrrev_i32_e32 v10, 8, v10
	v_add_u32_e32 v5, 0x3c000000, v5
	v_and_or_b32 v5, v10, s14, v5
	v_cmp_ne_u32_e32 vcc, 0, v3
	v_cndmask_b32_e32 v3, 0, v5, vcc
	v_and_or_b32 v1, v1, s15, v3
	v_trunc_f32_e32 v1, v1
	v_mul_f32_e64 v3, |v1|, s16
	v_floor_f32_e32 v3, v3
	s_mov_b32 s14, 0xcf800000
	v_fma_f32 v3, v3, s14, |v1|
	v_cvt_u32_f32_e32 v3, v3
	v_ashrrev_i32_e32 v1, 31, v1
	v_xor_b32_e32 v3, v3, v1
	v_sub_u32_e32 v10, v3, v1
.LBB7_1525:
	s_mov_b64 s[14:15], 0
.LBB7_1526:
	s_andn2_b64 vcc, exec, s[14:15]
	s_cbranch_vccnz .LBB7_1528
; %bb.1527:
	global_load_ubyte v1, v[8:9], off
	s_movk_i32 s14, 0x7f00
	s_brev_b32 s15, 16
	s_brev_b32 s16, 1
	s_mov_b32 s17, 0x2f800000
	s_waitcnt vmcnt(0)
	v_lshlrev_b16_e32 v3, 8, v1
	v_lshlrev_b32_e32 v1, 25, v1
	v_lshrrev_b32_e32 v5, 4, v1
	v_and_or_b32 v10, v3, s14, 0.5
	v_or_b32_e32 v5, 0x70000000, v5
	v_add_f32_e32 v10, -0.5, v10
	v_mul_f32_e32 v5, 0x7800000, v5
	v_cmp_gt_u32_e32 vcc, s15, v1
	v_bfe_i32 v3, v3, 0, 16
	v_cndmask_b32_e32 v1, v5, v10, vcc
	v_and_or_b32 v1, v3, s16, v1
	v_trunc_f32_e32 v1, v1
	v_mul_f32_e64 v3, |v1|, s17
	v_floor_f32_e32 v3, v3
	s_mov_b32 s14, 0xcf800000
	v_fma_f32 v3, v3, s14, |v1|
	v_cvt_u32_f32_e32 v3, v3
	v_ashrrev_i32_e32 v1, 31, v1
	v_xor_b32_e32 v3, v3, v1
	v_sub_u32_e32 v10, v3, v1
.LBB7_1528:
	s_mov_b64 s[14:15], 0
	s_mov_b64 s[16:17], -1
.LBB7_1529:
	s_andn2_b64 vcc, exec, s[14:15]
	s_mov_b64 s[14:15], 0
	s_cbranch_vccnz .LBB7_1540
; %bb.1530:
	s_cmp_gt_i32 s21, 14
	s_cbranch_scc0 .LBB7_1533
; %bb.1531:
	s_cmp_eq_u32 s21, 15
	s_cbranch_scc0 .LBB7_1536
; %bb.1532:
	global_load_ushort v1, v[8:9], off
	s_mov_b32 s12, 0x2f800000
	s_mov_b32 s13, 0xcf800000
	s_mov_b64 s[16:17], -1
	s_waitcnt vmcnt(0)
	v_lshlrev_b32_e32 v1, 16, v1
	v_trunc_f32_e32 v1, v1
	v_mul_f32_e64 v3, |v1|, s12
	v_floor_f32_e32 v3, v3
	v_fma_f32 v3, v3, s13, |v1|
	v_cvt_u32_f32_e32 v3, v3
	v_ashrrev_i32_e32 v1, 31, v1
	s_mov_b64 s[12:13], 0
	v_xor_b32_e32 v3, v3, v1
	v_sub_u32_e32 v10, v3, v1
	s_branch .LBB7_1537
.LBB7_1533:
	s_mov_b64 s[18:19], -1
                                        ; implicit-def: $vgpr10
	s_branch .LBB7_1538
.LBB7_1534:
	s_andn2_saveexec_b64 s[14:15], s[14:15]
	s_cbranch_execz .LBB7_1515
.LBB7_1535:
	v_cmp_ne_u16_e32 vcc, 0, v1
	s_andn2_b64 s[16:17], s[16:17], exec
	s_and_b64 s[18:19], vcc, exec
	s_or_b64 s[16:17], s[16:17], s[18:19]
	s_or_b64 exec, exec, s[14:15]
	v_mov_b32_e32 v10, 0
	s_and_saveexec_b64 s[14:15], s[16:17]
	s_cbranch_execnz .LBB7_1516
	s_branch .LBB7_1517
.LBB7_1536:
	s_mov_b64 s[12:13], -1
                                        ; implicit-def: $vgpr10
.LBB7_1537:
	s_mov_b64 s[18:19], 0
.LBB7_1538:
	s_and_b64 vcc, exec, s[18:19]
	s_cbranch_vccz .LBB7_1540
; %bb.1539:
	s_cmp_lg_u32 s21, 11
	s_mov_b64 s[14:15], -1
	s_cselect_b64 s[12:13], -1, 0
.LBB7_1540:
	s_and_b64 vcc, exec, s[12:13]
	s_cbranch_vccnz .LBB7_1619
; %bb.1541:
	s_andn2_b64 vcc, exec, s[14:15]
	s_cbranch_vccnz .LBB7_1543
.LBB7_1542:
	global_load_ubyte v1, v[8:9], off
	s_mov_b64 s[16:17], -1
	s_waitcnt vmcnt(0)
	v_cmp_ne_u16_e32 vcc, 0, v1
	v_cndmask_b32_e64 v10, 0, 1, vcc
.LBB7_1543:
	s_branch .LBB7_1475
.LBB7_1544:
	s_and_b32 s14, 0xffff, s20
	s_cmp_lt_i32 s14, 5
	s_cbranch_scc1 .LBB7_1549
; %bb.1545:
	s_cmp_lt_i32 s14, 8
	s_cbranch_scc1 .LBB7_1550
; %bb.1546:
	;; [unrolled: 3-line block ×3, first 2 shown]
	s_cmp_gt_i32 s14, 9
	s_cbranch_scc0 .LBB7_1552
; %bb.1548:
	global_load_dwordx2 v[10:11], v[8:9], off
	s_movk_i32 s12, 0xffe0
	s_waitcnt vmcnt(0)
	v_trunc_f64_e32 v[10:11], v[10:11]
	v_ldexp_f64 v[12:13], v[10:11], s12
	s_mov_b32 s12, 0
	s_mov_b32 s13, 0xc1f00000
	v_floor_f64_e32 v[12:13], v[12:13]
	v_fma_f64 v[10:11], v[12:13], s[12:13], v[10:11]
	s_mov_b64 s[12:13], 0
	v_cvt_u32_f64_e32 v10, v[10:11]
	s_branch .LBB7_1553
.LBB7_1549:
	s_mov_b64 s[12:13], -1
                                        ; implicit-def: $vgpr10
	s_branch .LBB7_1571
.LBB7_1550:
	s_mov_b64 s[12:13], -1
                                        ; implicit-def: $vgpr10
	s_branch .LBB7_1559
.LBB7_1551:
	s_mov_b64 s[12:13], -1
                                        ; implicit-def: $vgpr10
	s_branch .LBB7_1556
.LBB7_1552:
	s_mov_b64 s[12:13], -1
                                        ; implicit-def: $vgpr10
.LBB7_1553:
	s_andn2_b64 vcc, exec, s[12:13]
	s_cbranch_vccnz .LBB7_1555
; %bb.1554:
	global_load_dword v1, v[8:9], off
	s_mov_b32 s12, 0x2f800000
	s_waitcnt vmcnt(0)
	v_trunc_f32_e32 v1, v1
	v_mul_f32_e64 v3, |v1|, s12
	v_floor_f32_e32 v3, v3
	s_mov_b32 s12, 0xcf800000
	v_fma_f32 v3, v3, s12, |v1|
	v_cvt_u32_f32_e32 v3, v3
	v_ashrrev_i32_e32 v1, 31, v1
	v_xor_b32_e32 v3, v3, v1
	v_sub_u32_e32 v10, v3, v1
.LBB7_1555:
	s_mov_b64 s[12:13], 0
.LBB7_1556:
	s_andn2_b64 vcc, exec, s[12:13]
	s_cbranch_vccnz .LBB7_1558
; %bb.1557:
	global_load_dword v1, v[8:9], off
	s_waitcnt vmcnt(0)
	v_cvt_f32_f16_e32 v1, v1
	v_cvt_i32_f32_e32 v10, v1
.LBB7_1558:
	s_mov_b64 s[12:13], 0
.LBB7_1559:
	s_andn2_b64 vcc, exec, s[12:13]
	s_cbranch_vccnz .LBB7_1570
; %bb.1560:
	s_cmp_lt_i32 s14, 6
	s_cbranch_scc1 .LBB7_1563
; %bb.1561:
	s_cmp_gt_i32 s14, 6
	s_cbranch_scc0 .LBB7_1564
; %bb.1562:
	global_load_dwordx2 v[10:11], v[8:9], off
	s_movk_i32 s12, 0xffe0
	s_waitcnt vmcnt(0)
	v_trunc_f64_e32 v[10:11], v[10:11]
	v_ldexp_f64 v[12:13], v[10:11], s12
	s_mov_b32 s12, 0
	s_mov_b32 s13, 0xc1f00000
	v_floor_f64_e32 v[12:13], v[12:13]
	v_fma_f64 v[10:11], v[12:13], s[12:13], v[10:11]
	s_mov_b64 s[12:13], 0
	v_cvt_u32_f64_e32 v10, v[10:11]
	s_branch .LBB7_1565
.LBB7_1563:
	s_mov_b64 s[12:13], -1
                                        ; implicit-def: $vgpr10
	s_branch .LBB7_1568
.LBB7_1564:
	s_mov_b64 s[12:13], -1
                                        ; implicit-def: $vgpr10
.LBB7_1565:
	s_andn2_b64 vcc, exec, s[12:13]
	s_cbranch_vccnz .LBB7_1567
; %bb.1566:
	global_load_dword v1, v[8:9], off
	s_mov_b32 s12, 0x2f800000
	s_waitcnt vmcnt(0)
	v_trunc_f32_e32 v1, v1
	v_mul_f32_e64 v3, |v1|, s12
	v_floor_f32_e32 v3, v3
	s_mov_b32 s12, 0xcf800000
	v_fma_f32 v3, v3, s12, |v1|
	v_cvt_u32_f32_e32 v3, v3
	v_ashrrev_i32_e32 v1, 31, v1
	v_xor_b32_e32 v3, v3, v1
	v_sub_u32_e32 v10, v3, v1
.LBB7_1567:
	s_mov_b64 s[12:13], 0
.LBB7_1568:
	s_andn2_b64 vcc, exec, s[12:13]
	s_cbranch_vccnz .LBB7_1570
; %bb.1569:
	global_load_ushort v1, v[8:9], off
	s_waitcnt vmcnt(0)
	v_cvt_f32_f16_e32 v1, v1
	v_cvt_i32_f32_e32 v10, v1
.LBB7_1570:
	s_mov_b64 s[12:13], 0
.LBB7_1571:
	s_andn2_b64 vcc, exec, s[12:13]
	s_cbranch_vccnz .LBB7_1591
; %bb.1572:
	s_cmp_lt_i32 s14, 2
	s_cbranch_scc1 .LBB7_1576
; %bb.1573:
	s_cmp_lt_i32 s14, 3
	s_cbranch_scc1 .LBB7_1577
; %bb.1574:
	s_cmp_gt_i32 s14, 3
	s_cbranch_scc0 .LBB7_1578
; %bb.1575:
	global_load_dwordx2 v[10:11], v[8:9], off
	s_mov_b64 s[12:13], 0
	s_branch .LBB7_1579
.LBB7_1576:
	s_mov_b64 s[12:13], -1
                                        ; implicit-def: $vgpr10
	s_branch .LBB7_1585
.LBB7_1577:
	s_mov_b64 s[12:13], -1
                                        ; implicit-def: $vgpr10
	s_branch .LBB7_1582
.LBB7_1578:
	s_mov_b64 s[12:13], -1
                                        ; implicit-def: $vgpr10
.LBB7_1579:
	s_andn2_b64 vcc, exec, s[12:13]
	s_cbranch_vccnz .LBB7_1581
; %bb.1580:
	global_load_dword v10, v[8:9], off
.LBB7_1581:
	s_mov_b64 s[12:13], 0
.LBB7_1582:
	s_andn2_b64 vcc, exec, s[12:13]
	s_cbranch_vccnz .LBB7_1584
; %bb.1583:
	global_load_ushort v10, v[8:9], off
.LBB7_1584:
	s_mov_b64 s[12:13], 0
.LBB7_1585:
	s_andn2_b64 vcc, exec, s[12:13]
	s_cbranch_vccnz .LBB7_1591
; %bb.1586:
	s_cmp_gt_i32 s14, 0
	s_cbranch_scc0 .LBB7_1588
; %bb.1587:
	global_load_ubyte v10, v[8:9], off
	s_mov_b64 s[12:13], 0
	s_branch .LBB7_1589
.LBB7_1588:
	s_mov_b64 s[12:13], -1
                                        ; implicit-def: $vgpr10
.LBB7_1589:
	s_andn2_b64 vcc, exec, s[12:13]
	s_cbranch_vccnz .LBB7_1591
; %bb.1590:
	global_load_ubyte v10, v[8:9], off
.LBB7_1591:
.LBB7_1592:
	s_cmp_lt_i32 s0, 1
	s_mov_b64 s[14:15], 0
	s_cbranch_scc1 .LBB7_1596
; %bb.1593:
	s_cmp_gt_i32 s0, 1
	s_cbranch_scc0 .LBB7_1599
; %bb.1594:
	s_cmp_eq_u32 s0, 2
	s_cbranch_scc0 .LBB7_1600
; %bb.1595:
	s_and_b32 s12, s1, 0xff
	s_waitcnt vmcnt(0)
	v_cmp_le_u16_sdwa s[12:13], v10, s12 src0_sel:BYTE_0 src1_sel:DWORD
	s_mov_b64 s[16:17], 0
	s_branch .LBB7_1601
.LBB7_1596:
                                        ; implicit-def: $sgpr12_sgpr13
	s_mov_b64 s[16:17], 0
	s_cbranch_execnz .LBB7_1605
.LBB7_1597:
	s_andn2_b64 vcc, exec, s[16:17]
	s_cbranch_vccnz .LBB7_1606
.LBB7_1598:
	s_and_b32 s14, s1, 0xff
	s_waitcnt vmcnt(0)
	v_cmp_lt_u16_sdwa s[16:17], v10, s14 src0_sel:BYTE_0 src1_sel:DWORD
	s_andn2_b64 s[12:13], s[12:13], exec
	s_and_b64 s[16:17], s[16:17], exec
	s_or_b64 s[12:13], s[12:13], s[16:17]
	s_cbranch_execz .LBB7_1607
	s_branch .LBB7_1608
.LBB7_1599:
	s_mov_b64 s[18:19], -1
	s_mov_b64 s[16:17], 0
                                        ; implicit-def: $sgpr12_sgpr13
	s_branch .LBB7_1602
.LBB7_1600:
	s_mov_b64 s[16:17], -1
                                        ; implicit-def: $sgpr12_sgpr13
.LBB7_1601:
	s_mov_b64 s[18:19], 0
.LBB7_1602:
	s_and_b64 vcc, exec, s[18:19]
	s_cbranch_vccz .LBB7_1604
; %bb.1603:
	s_and_b32 s18, s1, 0xff
	s_waitcnt vmcnt(0)
	v_cmp_gt_u16_sdwa s[18:19], v10, s18 src0_sel:BYTE_0 src1_sel:DWORD
	s_andn2_b64 s[12:13], s[12:13], exec
	s_and_b64 s[18:19], s[18:19], exec
	s_or_b64 s[12:13], s[12:13], s[18:19]
.LBB7_1604:
	s_branch .LBB7_1597
.LBB7_1605:
	s_cmp_lg_u32 s0, 0
	s_mov_b64 s[14:15], -1
	s_cselect_b64 s[16:17], -1, 0
	s_andn2_b64 vcc, exec, s[16:17]
	s_cbranch_vccz .LBB7_1598
.LBB7_1606:
	s_andn2_b64 vcc, exec, s[14:15]
	s_cbranch_vccnz .LBB7_1608
.LBB7_1607:
	s_and_b32 s14, s1, 0xff
	s_waitcnt vmcnt(0)
	v_cmp_ge_u16_sdwa s[14:15], v10, s14 src0_sel:BYTE_0 src1_sel:DWORD
	s_andn2_b64 s[12:13], s[12:13], exec
	s_and_b64 s[14:15], s[14:15], exec
	s_or_b64 s[12:13], s[12:13], s[14:15]
.LBB7_1608:
	v_mov_b32_e32 v1, s11
	v_add_co_u32_e32 v7, vcc, s10, v7
	s_cmp_lt_i32 s20, 11
	v_addc_co_u32_e32 v8, vcc, 0, v1, vcc
	s_cbranch_scc1 .LBB7_1615
; %bb.1609:
	s_and_b32 s21, 0xffff, s20
	s_cmp_gt_i32 s21, 25
	s_mov_b64 s[14:15], 0
	s_cbranch_scc0 .LBB7_1616
; %bb.1610:
	s_cmp_gt_i32 s21, 28
	s_cbranch_scc0 .LBB7_1617
; %bb.1611:
	s_cmp_gt_i32 s21, 43
	;; [unrolled: 3-line block ×3, first 2 shown]
	s_cbranch_scc0 .LBB7_1620
; %bb.1613:
	s_cmp_eq_u32 s21, 46
	s_mov_b64 s[18:19], 0
	s_cbranch_scc0 .LBB7_1621
; %bb.1614:
	global_load_dword v1, v[7:8], off
	s_mov_b32 s10, 0x2f800000
	s_mov_b32 s11, 0xcf800000
	s_mov_b64 s[16:17], -1
	s_waitcnt vmcnt(0)
	v_lshlrev_b32_e32 v1, 16, v1
	v_trunc_f32_e32 v1, v1
	v_mul_f32_e64 v3, |v1|, s10
	v_floor_f32_e32 v3, v3
	v_fma_f32 v3, v3, s11, |v1|
	v_cvt_u32_f32_e32 v3, v3
	v_ashrrev_i32_e32 v1, 31, v1
	s_mov_b64 s[10:11], 0
	v_xor_b32_e32 v3, v3, v1
	v_sub_u32_e32 v9, v3, v1
	s_branch .LBB7_1622
.LBB7_1615:
	s_mov_b64 s[10:11], -1
	s_mov_b64 s[16:17], 0
                                        ; implicit-def: $vgpr9
	s_branch .LBB7_1684
.LBB7_1616:
	s_mov_b64 s[18:19], -1
	s_mov_b64 s[16:17], 0
	s_mov_b64 s[10:11], 0
                                        ; implicit-def: $vgpr9
	s_branch .LBB7_1649
.LBB7_1617:
	s_mov_b64 s[18:19], -1
	s_mov_b64 s[16:17], 0
	s_mov_b64 s[10:11], 0
                                        ; implicit-def: $vgpr9
	s_branch .LBB7_1632
.LBB7_1618:
	s_mov_b64 s[18:19], -1
	s_mov_b64 s[16:17], 0
	s_mov_b64 s[10:11], 0
                                        ; implicit-def: $vgpr9
	s_branch .LBB7_1627
.LBB7_1619:
	s_trap 2
	s_or_b64 s[2:3], s[2:3], exec
	s_cbranch_execz .LBB7_1542
	s_branch .LBB7_1543
.LBB7_1620:
	s_mov_b64 s[18:19], -1
	s_mov_b64 s[16:17], 0
	s_mov_b64 s[10:11], 0
                                        ; implicit-def: $vgpr9
	s_branch .LBB7_1622
.LBB7_1621:
	s_mov_b64 s[10:11], -1
                                        ; implicit-def: $vgpr9
	s_mov_b64 s[16:17], 0
.LBB7_1622:
	s_and_b64 vcc, exec, s[18:19]
	s_cbranch_vccz .LBB7_1626
; %bb.1623:
	s_cmp_eq_u32 s21, 44
	s_cbranch_scc0 .LBB7_1625
; %bb.1624:
	global_load_ubyte v1, v[7:8], off
	s_mov_b32 s10, 0x2f800000
	s_mov_b32 s11, 0xcf800000
	s_mov_b64 s[16:17], -1
	s_waitcnt vmcnt(0)
	v_lshlrev_b32_e32 v3, 23, v1
	v_trunc_f32_e32 v3, v3
	v_mul_f32_e64 v5, |v3|, s10
	v_floor_f32_e32 v5, v5
	v_fma_f32 v5, v5, s11, |v3|
	v_cvt_u32_f32_e32 v5, v5
	v_ashrrev_i32_e32 v3, 31, v3
	v_cmp_ne_u32_e32 vcc, 0, v1
	s_mov_b64 s[10:11], 0
	v_xor_b32_e32 v5, v5, v3
	v_sub_u32_e32 v3, v5, v3
	v_cndmask_b32_e32 v9, 0, v3, vcc
	s_branch .LBB7_1626
.LBB7_1625:
	s_mov_b64 s[10:11], -1
                                        ; implicit-def: $vgpr9
.LBB7_1626:
	s_mov_b64 s[18:19], 0
.LBB7_1627:
	s_and_b64 vcc, exec, s[18:19]
	s_cbranch_vccz .LBB7_1631
; %bb.1628:
	s_cmp_eq_u32 s21, 29
	s_cbranch_scc0 .LBB7_1630
; %bb.1629:
	global_load_dwordx2 v[9:10], v[7:8], off
	s_mov_b64 s[10:11], 0
	s_mov_b64 s[16:17], -1
	s_branch .LBB7_1631
.LBB7_1630:
	s_mov_b64 s[10:11], -1
                                        ; implicit-def: $vgpr9
.LBB7_1631:
	s_mov_b64 s[18:19], 0
.LBB7_1632:
	s_and_b64 vcc, exec, s[18:19]
	s_cbranch_vccz .LBB7_1648
; %bb.1633:
	s_cmp_lt_i32 s21, 27
	s_cbranch_scc1 .LBB7_1636
; %bb.1634:
	s_cmp_gt_i32 s21, 27
	s_cbranch_scc0 .LBB7_1637
; %bb.1635:
	global_load_dword v9, v[7:8], off
	s_mov_b64 s[16:17], 0
	s_branch .LBB7_1638
.LBB7_1636:
	s_mov_b64 s[16:17], -1
                                        ; implicit-def: $vgpr9
	s_branch .LBB7_1641
.LBB7_1637:
	s_mov_b64 s[16:17], -1
                                        ; implicit-def: $vgpr9
.LBB7_1638:
	s_andn2_b64 vcc, exec, s[16:17]
	s_cbranch_vccnz .LBB7_1640
; %bb.1639:
	global_load_ushort v9, v[7:8], off
.LBB7_1640:
	s_mov_b64 s[16:17], 0
.LBB7_1641:
	s_andn2_b64 vcc, exec, s[16:17]
	s_cbranch_vccnz .LBB7_1647
; %bb.1642:
	global_load_ubyte v1, v[7:8], off
	s_movk_i32 s16, 0x7f
	s_mov_b64 s[18:19], 0
	s_waitcnt vmcnt(0)
	v_cmp_lt_i16_e32 vcc, s16, v1
	s_and_saveexec_b64 s[16:17], vcc
	s_xor_b64 s[16:17], exec, s[16:17]
	s_cbranch_execz .LBB7_1659
; %bb.1643:
	s_movk_i32 s18, 0x80
	v_cmp_ne_u16_e32 vcc, s18, v1
	s_and_b64 s[18:19], vcc, exec
	s_andn2_saveexec_b64 s[16:17], s[16:17]
	s_cbranch_execnz .LBB7_1660
.LBB7_1644:
	s_or_b64 exec, exec, s[16:17]
	v_mov_b32_e32 v9, 0
	s_and_saveexec_b64 s[16:17], s[18:19]
	s_cbranch_execz .LBB7_1646
.LBB7_1645:
	v_lshlrev_b32_e32 v3, 24, v1
	v_and_b32_e32 v1, 0xffff, v1
	v_and_b32_e32 v5, 7, v1
	v_ffbh_u32_e32 v10, v5
	v_min_u32_e32 v10, 32, v10
	v_subrev_u32_e32 v11, 28, v10
	v_bfe_u32 v9, v1, 3, 4
	v_lshlrev_b32_e32 v1, v11, v1
	v_sub_u32_e32 v10, 29, v10
	v_and_b32_e32 v1, 7, v1
	v_cmp_eq_u32_e32 vcc, 0, v9
	v_cndmask_b32_e32 v9, v9, v10, vcc
	v_cndmask_b32_e32 v1, v5, v1, vcc
	v_mov_b32_e32 v5, 0x3b800000
	v_lshlrev_b32_e32 v1, 20, v1
	v_and_b32_e32 v3, 0x80000000, v3
	v_lshl_add_u32 v5, v9, 23, v5
	v_or3_b32 v1, v3, v5, v1
	v_trunc_f32_e32 v1, v1
	s_mov_b32 s18, 0x2f800000
	v_mul_f32_e64 v3, |v1|, s18
	v_floor_f32_e32 v3, v3
	s_mov_b32 s18, 0xcf800000
	v_fma_f32 v3, v3, s18, |v1|
	v_cvt_u32_f32_e32 v3, v3
	v_ashrrev_i32_e32 v1, 31, v1
	v_xor_b32_e32 v3, v3, v1
	v_sub_u32_e32 v9, v3, v1
.LBB7_1646:
	s_or_b64 exec, exec, s[16:17]
.LBB7_1647:
	s_mov_b64 s[16:17], -1
.LBB7_1648:
	s_mov_b64 s[18:19], 0
.LBB7_1649:
	s_and_b64 vcc, exec, s[18:19]
	s_cbranch_vccz .LBB7_1680
; %bb.1650:
	s_cmp_gt_i32 s21, 22
	s_cbranch_scc0 .LBB7_1658
; %bb.1651:
	s_cmp_lt_i32 s21, 24
	s_cbranch_scc1 .LBB7_1661
; %bb.1652:
	s_cmp_gt_i32 s21, 24
	s_cbranch_scc0 .LBB7_1662
; %bb.1653:
	global_load_ubyte v1, v[7:8], off
	s_movk_i32 s14, 0x7f
	s_mov_b64 s[16:17], 0
	s_waitcnt vmcnt(0)
	v_cmp_lt_i16_e32 vcc, s14, v1
	s_and_saveexec_b64 s[14:15], vcc
	s_xor_b64 s[14:15], exec, s[14:15]
	s_cbranch_execz .LBB7_1674
; %bb.1654:
	s_movk_i32 s16, 0x80
	v_cmp_ne_u16_e32 vcc, s16, v1
	s_and_b64 s[16:17], vcc, exec
	s_andn2_saveexec_b64 s[14:15], s[14:15]
	s_cbranch_execnz .LBB7_1675
.LBB7_1655:
	s_or_b64 exec, exec, s[14:15]
	v_mov_b32_e32 v9, 0
	s_and_saveexec_b64 s[14:15], s[16:17]
	s_cbranch_execz .LBB7_1657
.LBB7_1656:
	v_lshlrev_b32_e32 v3, 24, v1
	v_and_b32_e32 v1, 0xffff, v1
	v_and_b32_e32 v5, 3, v1
	v_ffbh_u32_e32 v10, v5
	v_min_u32_e32 v10, 32, v10
	v_subrev_u32_e32 v11, 29, v10
	v_bfe_u32 v9, v1, 2, 5
	v_lshlrev_b32_e32 v1, v11, v1
	v_sub_u32_e32 v10, 30, v10
	v_and_b32_e32 v1, 3, v1
	v_cmp_eq_u32_e32 vcc, 0, v9
	v_cndmask_b32_e32 v9, v9, v10, vcc
	v_cndmask_b32_e32 v1, v5, v1, vcc
	v_mov_b32_e32 v5, 0x37800000
	v_lshlrev_b32_e32 v1, 21, v1
	v_and_b32_e32 v3, 0x80000000, v3
	v_lshl_add_u32 v5, v9, 23, v5
	v_or3_b32 v1, v3, v5, v1
	v_trunc_f32_e32 v1, v1
	s_mov_b32 s16, 0x2f800000
	v_mul_f32_e64 v3, |v1|, s16
	v_floor_f32_e32 v3, v3
	s_mov_b32 s16, 0xcf800000
	v_fma_f32 v3, v3, s16, |v1|
	v_cvt_u32_f32_e32 v3, v3
	v_ashrrev_i32_e32 v1, 31, v1
	v_xor_b32_e32 v3, v3, v1
	v_sub_u32_e32 v9, v3, v1
.LBB7_1657:
	s_or_b64 exec, exec, s[14:15]
	s_mov_b64 s[14:15], 0
	s_branch .LBB7_1663
.LBB7_1658:
	s_mov_b64 s[14:15], -1
                                        ; implicit-def: $vgpr9
	s_branch .LBB7_1669
.LBB7_1659:
	s_andn2_saveexec_b64 s[16:17], s[16:17]
	s_cbranch_execz .LBB7_1644
.LBB7_1660:
	v_cmp_ne_u16_e32 vcc, 0, v1
	s_andn2_b64 s[18:19], s[18:19], exec
	s_and_b64 s[22:23], vcc, exec
	s_or_b64 s[18:19], s[18:19], s[22:23]
	s_or_b64 exec, exec, s[16:17]
	v_mov_b32_e32 v9, 0
	s_and_saveexec_b64 s[16:17], s[18:19]
	s_cbranch_execnz .LBB7_1645
	s_branch .LBB7_1646
.LBB7_1661:
	s_mov_b64 s[14:15], -1
                                        ; implicit-def: $vgpr9
	s_branch .LBB7_1666
.LBB7_1662:
	s_mov_b64 s[14:15], -1
                                        ; implicit-def: $vgpr9
.LBB7_1663:
	s_and_b64 vcc, exec, s[14:15]
	s_cbranch_vccz .LBB7_1665
; %bb.1664:
	global_load_ubyte v1, v[7:8], off
	s_mov_b32 s14, 0x7f800000
	s_brev_b32 s15, 1
	s_mov_b32 s16, 0x2f800000
	s_waitcnt vmcnt(0)
	v_lshlrev_b32_e32 v1, 24, v1
	v_and_b32_e32 v3, 0x7f000000, v1
	v_ffbh_u32_e32 v5, v3
	v_min_u32_e32 v5, 32, v5
	v_sub_u32_e64 v5, v5, 4 clamp
	v_lshlrev_b32_e32 v10, v5, v3
	v_lshlrev_b32_e32 v5, 23, v5
	v_lshrrev_b32_e32 v10, 4, v10
	v_add_u32_e32 v9, 0x1000000, v3
	v_sub_u32_e32 v5, v10, v5
	v_ashrrev_i32_e32 v9, 8, v9
	v_add_u32_e32 v5, 0x3c000000, v5
	v_and_or_b32 v5, v9, s14, v5
	v_cmp_ne_u32_e32 vcc, 0, v3
	v_cndmask_b32_e32 v3, 0, v5, vcc
	v_and_or_b32 v1, v1, s15, v3
	v_trunc_f32_e32 v1, v1
	v_mul_f32_e64 v3, |v1|, s16
	v_floor_f32_e32 v3, v3
	s_mov_b32 s14, 0xcf800000
	v_fma_f32 v3, v3, s14, |v1|
	v_cvt_u32_f32_e32 v3, v3
	v_ashrrev_i32_e32 v1, 31, v1
	v_xor_b32_e32 v3, v3, v1
	v_sub_u32_e32 v9, v3, v1
.LBB7_1665:
	s_mov_b64 s[14:15], 0
.LBB7_1666:
	s_andn2_b64 vcc, exec, s[14:15]
	s_cbranch_vccnz .LBB7_1668
; %bb.1667:
	global_load_ubyte v1, v[7:8], off
	s_movk_i32 s14, 0x7f00
	s_brev_b32 s15, 16
	s_brev_b32 s16, 1
	s_mov_b32 s17, 0x2f800000
	s_waitcnt vmcnt(0)
	v_lshlrev_b16_e32 v3, 8, v1
	v_lshlrev_b32_e32 v1, 25, v1
	v_lshrrev_b32_e32 v5, 4, v1
	v_and_or_b32 v9, v3, s14, 0.5
	v_or_b32_e32 v5, 0x70000000, v5
	v_add_f32_e32 v9, -0.5, v9
	v_mul_f32_e32 v5, 0x7800000, v5
	v_cmp_gt_u32_e32 vcc, s15, v1
	v_bfe_i32 v3, v3, 0, 16
	v_cndmask_b32_e32 v1, v5, v9, vcc
	v_and_or_b32 v1, v3, s16, v1
	v_trunc_f32_e32 v1, v1
	v_mul_f32_e64 v3, |v1|, s17
	v_floor_f32_e32 v3, v3
	s_mov_b32 s14, 0xcf800000
	v_fma_f32 v3, v3, s14, |v1|
	v_cvt_u32_f32_e32 v3, v3
	v_ashrrev_i32_e32 v1, 31, v1
	v_xor_b32_e32 v3, v3, v1
	v_sub_u32_e32 v9, v3, v1
.LBB7_1668:
	s_mov_b64 s[14:15], 0
	s_mov_b64 s[16:17], -1
.LBB7_1669:
	s_andn2_b64 vcc, exec, s[14:15]
	s_mov_b64 s[14:15], 0
	s_cbranch_vccnz .LBB7_1680
; %bb.1670:
	s_cmp_gt_i32 s21, 14
	s_cbranch_scc0 .LBB7_1673
; %bb.1671:
	s_cmp_eq_u32 s21, 15
	s_cbranch_scc0 .LBB7_1676
; %bb.1672:
	global_load_ushort v1, v[7:8], off
	s_mov_b32 s10, 0x2f800000
	s_mov_b32 s11, 0xcf800000
	s_mov_b64 s[16:17], -1
	s_waitcnt vmcnt(0)
	v_lshlrev_b32_e32 v1, 16, v1
	v_trunc_f32_e32 v1, v1
	v_mul_f32_e64 v3, |v1|, s10
	v_floor_f32_e32 v3, v3
	v_fma_f32 v3, v3, s11, |v1|
	v_cvt_u32_f32_e32 v3, v3
	v_ashrrev_i32_e32 v1, 31, v1
	s_mov_b64 s[10:11], 0
	v_xor_b32_e32 v3, v3, v1
	v_sub_u32_e32 v9, v3, v1
	s_branch .LBB7_1677
.LBB7_1673:
	s_mov_b64 s[18:19], -1
                                        ; implicit-def: $vgpr9
	s_branch .LBB7_1678
.LBB7_1674:
	s_andn2_saveexec_b64 s[14:15], s[14:15]
	s_cbranch_execz .LBB7_1655
.LBB7_1675:
	v_cmp_ne_u16_e32 vcc, 0, v1
	s_andn2_b64 s[16:17], s[16:17], exec
	s_and_b64 s[18:19], vcc, exec
	s_or_b64 s[16:17], s[16:17], s[18:19]
	s_or_b64 exec, exec, s[14:15]
	v_mov_b32_e32 v9, 0
	s_and_saveexec_b64 s[14:15], s[16:17]
	s_cbranch_execnz .LBB7_1656
	s_branch .LBB7_1657
.LBB7_1676:
	s_mov_b64 s[10:11], -1
                                        ; implicit-def: $vgpr9
.LBB7_1677:
	s_mov_b64 s[18:19], 0
.LBB7_1678:
	s_and_b64 vcc, exec, s[18:19]
	s_cbranch_vccz .LBB7_1680
; %bb.1679:
	s_cmp_lg_u32 s21, 11
	s_mov_b64 s[14:15], -1
	s_cselect_b64 s[10:11], -1, 0
.LBB7_1680:
	s_and_b64 vcc, exec, s[10:11]
	s_cbranch_vccnz .LBB7_2232
; %bb.1681:
	s_andn2_b64 vcc, exec, s[14:15]
	s_cbranch_vccnz .LBB7_1683
.LBB7_1682:
	global_load_ubyte v1, v[7:8], off
	s_mov_b64 s[16:17], -1
	s_waitcnt vmcnt(0)
	v_cmp_ne_u16_e32 vcc, 0, v1
	v_cndmask_b32_e64 v9, 0, 1, vcc
.LBB7_1683:
	s_mov_b64 s[10:11], 0
.LBB7_1684:
	s_and_b64 vcc, exec, s[10:11]
	s_cbranch_vccz .LBB7_1733
; %bb.1685:
	s_and_b32 s14, 0xffff, s20
	s_cmp_lt_i32 s14, 5
	s_cbranch_scc1 .LBB7_1690
; %bb.1686:
	s_cmp_lt_i32 s14, 8
	s_cbranch_scc1 .LBB7_1691
; %bb.1687:
	;; [unrolled: 3-line block ×3, first 2 shown]
	s_cmp_gt_i32 s14, 9
	s_cbranch_scc0 .LBB7_1693
; %bb.1689:
	global_load_dwordx2 v[9:10], v[7:8], off
	s_movk_i32 s10, 0xffe0
	s_waitcnt vmcnt(0)
	v_trunc_f64_e32 v[9:10], v[9:10]
	v_ldexp_f64 v[11:12], v[9:10], s10
	s_mov_b32 s10, 0
	s_mov_b32 s11, 0xc1f00000
	v_floor_f64_e32 v[11:12], v[11:12]
	v_fma_f64 v[9:10], v[11:12], s[10:11], v[9:10]
	s_mov_b64 s[10:11], 0
	v_cvt_u32_f64_e32 v9, v[9:10]
	s_branch .LBB7_1694
.LBB7_1690:
	s_mov_b64 s[10:11], -1
                                        ; implicit-def: $vgpr9
	s_branch .LBB7_1712
.LBB7_1691:
	s_mov_b64 s[10:11], -1
                                        ; implicit-def: $vgpr9
	s_branch .LBB7_1700
.LBB7_1692:
	s_mov_b64 s[10:11], -1
                                        ; implicit-def: $vgpr9
	s_branch .LBB7_1697
.LBB7_1693:
	s_mov_b64 s[10:11], -1
                                        ; implicit-def: $vgpr9
.LBB7_1694:
	s_andn2_b64 vcc, exec, s[10:11]
	s_cbranch_vccnz .LBB7_1696
; %bb.1695:
	global_load_dword v1, v[7:8], off
	s_mov_b32 s10, 0x2f800000
	s_waitcnt vmcnt(0)
	v_trunc_f32_e32 v1, v1
	v_mul_f32_e64 v3, |v1|, s10
	v_floor_f32_e32 v3, v3
	s_mov_b32 s10, 0xcf800000
	v_fma_f32 v3, v3, s10, |v1|
	v_cvt_u32_f32_e32 v3, v3
	v_ashrrev_i32_e32 v1, 31, v1
	v_xor_b32_e32 v3, v3, v1
	v_sub_u32_e32 v9, v3, v1
.LBB7_1696:
	s_mov_b64 s[10:11], 0
.LBB7_1697:
	s_andn2_b64 vcc, exec, s[10:11]
	s_cbranch_vccnz .LBB7_1699
; %bb.1698:
	global_load_dword v1, v[7:8], off
	s_waitcnt vmcnt(0)
	v_cvt_f32_f16_e32 v1, v1
	v_cvt_i32_f32_e32 v9, v1
.LBB7_1699:
	s_mov_b64 s[10:11], 0
.LBB7_1700:
	s_andn2_b64 vcc, exec, s[10:11]
	s_cbranch_vccnz .LBB7_1711
; %bb.1701:
	s_cmp_lt_i32 s14, 6
	s_cbranch_scc1 .LBB7_1704
; %bb.1702:
	s_cmp_gt_i32 s14, 6
	s_cbranch_scc0 .LBB7_1705
; %bb.1703:
	global_load_dwordx2 v[9:10], v[7:8], off
	s_movk_i32 s10, 0xffe0
	s_waitcnt vmcnt(0)
	v_trunc_f64_e32 v[9:10], v[9:10]
	v_ldexp_f64 v[11:12], v[9:10], s10
	s_mov_b32 s10, 0
	s_mov_b32 s11, 0xc1f00000
	v_floor_f64_e32 v[11:12], v[11:12]
	v_fma_f64 v[9:10], v[11:12], s[10:11], v[9:10]
	s_mov_b64 s[10:11], 0
	v_cvt_u32_f64_e32 v9, v[9:10]
	s_branch .LBB7_1706
.LBB7_1704:
	s_mov_b64 s[10:11], -1
                                        ; implicit-def: $vgpr9
	s_branch .LBB7_1709
.LBB7_1705:
	s_mov_b64 s[10:11], -1
                                        ; implicit-def: $vgpr9
.LBB7_1706:
	s_andn2_b64 vcc, exec, s[10:11]
	s_cbranch_vccnz .LBB7_1708
; %bb.1707:
	global_load_dword v1, v[7:8], off
	s_mov_b32 s10, 0x2f800000
	s_waitcnt vmcnt(0)
	v_trunc_f32_e32 v1, v1
	v_mul_f32_e64 v3, |v1|, s10
	v_floor_f32_e32 v3, v3
	s_mov_b32 s10, 0xcf800000
	v_fma_f32 v3, v3, s10, |v1|
	v_cvt_u32_f32_e32 v3, v3
	v_ashrrev_i32_e32 v1, 31, v1
	v_xor_b32_e32 v3, v3, v1
	v_sub_u32_e32 v9, v3, v1
.LBB7_1708:
	s_mov_b64 s[10:11], 0
.LBB7_1709:
	s_andn2_b64 vcc, exec, s[10:11]
	s_cbranch_vccnz .LBB7_1711
; %bb.1710:
	global_load_ushort v1, v[7:8], off
	s_waitcnt vmcnt(0)
	v_cvt_f32_f16_e32 v1, v1
	v_cvt_i32_f32_e32 v9, v1
.LBB7_1711:
	s_mov_b64 s[10:11], 0
.LBB7_1712:
	s_andn2_b64 vcc, exec, s[10:11]
	s_cbranch_vccnz .LBB7_1732
; %bb.1713:
	s_cmp_lt_i32 s14, 2
	s_cbranch_scc1 .LBB7_1717
; %bb.1714:
	s_cmp_lt_i32 s14, 3
	s_cbranch_scc1 .LBB7_1718
; %bb.1715:
	s_cmp_gt_i32 s14, 3
	s_cbranch_scc0 .LBB7_1719
; %bb.1716:
	global_load_dwordx2 v[9:10], v[7:8], off
	s_mov_b64 s[10:11], 0
	s_branch .LBB7_1720
.LBB7_1717:
	s_mov_b64 s[10:11], -1
                                        ; implicit-def: $vgpr9
	s_branch .LBB7_1726
.LBB7_1718:
	s_mov_b64 s[10:11], -1
                                        ; implicit-def: $vgpr9
	s_branch .LBB7_1723
.LBB7_1719:
	s_mov_b64 s[10:11], -1
                                        ; implicit-def: $vgpr9
.LBB7_1720:
	s_andn2_b64 vcc, exec, s[10:11]
	s_cbranch_vccnz .LBB7_1722
; %bb.1721:
	global_load_dword v9, v[7:8], off
.LBB7_1722:
	s_mov_b64 s[10:11], 0
.LBB7_1723:
	s_andn2_b64 vcc, exec, s[10:11]
	s_cbranch_vccnz .LBB7_1725
; %bb.1724:
	global_load_ushort v9, v[7:8], off
.LBB7_1725:
	s_mov_b64 s[10:11], 0
.LBB7_1726:
	s_andn2_b64 vcc, exec, s[10:11]
	s_cbranch_vccnz .LBB7_1732
; %bb.1727:
	s_cmp_gt_i32 s14, 0
	s_cbranch_scc0 .LBB7_1729
; %bb.1728:
	global_load_ubyte v9, v[7:8], off
	s_mov_b64 s[10:11], 0
	s_branch .LBB7_1730
.LBB7_1729:
	s_mov_b64 s[10:11], -1
                                        ; implicit-def: $vgpr9
.LBB7_1730:
	s_andn2_b64 vcc, exec, s[10:11]
	s_cbranch_vccnz .LBB7_1732
; %bb.1731:
	global_load_ubyte v9, v[7:8], off
.LBB7_1732:
	s_mov_b64 s[16:17], -1
.LBB7_1733:
	s_andn2_b64 vcc, exec, s[16:17]
	s_cbranch_vccnz .LBB7_1738
; %bb.1734:
	s_cmp_lt_i32 s0, 1
	s_mov_b64 s[14:15], 0
	s_cbranch_scc1 .LBB7_1784
; %bb.1735:
	s_cmp_gt_i32 s0, 1
	s_cbranch_scc0 .LBB7_1785
; %bb.1736:
	s_cmp_eq_u32 s0, 2
	s_cbranch_scc0 .LBB7_1786
; %bb.1737:
	s_and_b32 s10, s1, 0xff
	s_waitcnt vmcnt(0)
	v_cmp_le_u16_sdwa s[10:11], v9, s10 src0_sel:BYTE_0 src1_sel:DWORD
	s_mov_b64 s[16:17], 0
	s_branch .LBB7_1787
.LBB7_1738:
	s_mov_b64 s[0:1], 0
                                        ; implicit-def: $sgpr10_sgpr11
.LBB7_1739:
	s_mov_b64 s[4:5], 0
                                        ; implicit-def: $vgpr0_vgpr1
                                        ; implicit-def: $sgpr22
.LBB7_1740:
	s_and_b64 s[6:7], s[4:5], exec
	s_andn2_b64 s[4:5], s[28:29], exec
	s_and_b64 s[2:3], s[2:3], exec
	s_and_b64 s[0:1], s[0:1], exec
	s_or_b64 s[28:29], s[4:5], s[2:3]
.LBB7_1741:
	s_or_b64 exec, exec, s[30:31]
	s_and_saveexec_b64 s[2:3], s[28:29]
	s_cbranch_execz .LBB7_1744
; %bb.1742:
	; divergent unreachable
	s_or_b64 exec, exec, s[2:3]
	s_and_saveexec_b64 s[2:3], s[6:7]
	s_xor_b64 s[2:3], exec, s[2:3]
	s_cbranch_execnz .LBB7_1745
.LBB7_1743:
	s_or_b64 exec, exec, s[2:3]
	s_and_saveexec_b64 s[2:3], s[0:1]
	s_cbranch_execnz .LBB7_1746
	s_branch .LBB7_1783
.LBB7_1744:
	s_or_b64 exec, exec, s[2:3]
	s_and_saveexec_b64 s[2:3], s[6:7]
	s_xor_b64 s[2:3], exec, s[2:3]
	s_cbranch_execz .LBB7_1743
.LBB7_1745:
	v_cndmask_b32_e64 v2, 0, 1, s[10:11]
	global_store_byte v[0:1], v2, off
	s_or_b64 exec, exec, s[2:3]
	s_and_saveexec_b64 s[2:3], s[0:1]
	s_cbranch_execz .LBB7_1783
.LBB7_1746:
	s_sext_i32_i16 s2, s22
	s_cmp_lt_i32 s2, 5
	s_mov_b64 s[0:1], -1
	s_cbranch_scc1 .LBB7_1767
; %bb.1747:
	s_cmp_lt_i32 s2, 8
	s_cbranch_scc1 .LBB7_1757
; %bb.1748:
	s_cmp_lt_i32 s2, 9
	s_cbranch_scc1 .LBB7_1754
; %bb.1749:
	s_cmp_gt_i32 s2, 9
	s_cbranch_scc0 .LBB7_1751
; %bb.1750:
	v_cndmask_b32_e64 v2, 0, 1, s[10:11]
	s_waitcnt vmcnt(0)
	v_cvt_f64_u32_e32 v[2:3], v2
	v_mov_b32_e32 v4, 0
	v_mov_b32_e32 v5, v4
	s_mov_b64 s[0:1], 0
	global_store_dwordx4 v[0:1], v[2:5], off
.LBB7_1751:
	s_andn2_b64 vcc, exec, s[0:1]
	s_cbranch_vccnz .LBB7_1753
; %bb.1752:
	v_cndmask_b32_e64 v2, 0, 1.0, s[10:11]
	s_waitcnt vmcnt(0)
	v_mov_b32_e32 v3, 0
	global_store_dwordx2 v[0:1], v[2:3], off
.LBB7_1753:
	s_mov_b64 s[0:1], 0
.LBB7_1754:
	s_andn2_b64 vcc, exec, s[0:1]
	s_cbranch_vccnz .LBB7_1756
; %bb.1755:
	v_cndmask_b32_e64 v2, 0, 1.0, s[10:11]
	v_cvt_f16_f32_e32 v2, v2
	global_store_dword v[0:1], v2, off
.LBB7_1756:
	s_mov_b64 s[0:1], 0
.LBB7_1757:
	s_andn2_b64 vcc, exec, s[0:1]
	s_cbranch_vccnz .LBB7_1766
; %bb.1758:
	s_sext_i32_i16 s2, s22
	s_cmp_lt_i32 s2, 6
	s_mov_b64 s[0:1], -1
	s_cbranch_scc1 .LBB7_1764
; %bb.1759:
	s_cmp_gt_i32 s2, 6
	s_cbranch_scc0 .LBB7_1761
; %bb.1760:
	v_cndmask_b32_e64 v2, 0, 1, s[10:11]
	s_waitcnt vmcnt(0)
	v_cvt_f64_u32_e32 v[2:3], v2
	s_mov_b64 s[0:1], 0
	global_store_dwordx2 v[0:1], v[2:3], off
.LBB7_1761:
	s_andn2_b64 vcc, exec, s[0:1]
	s_cbranch_vccnz .LBB7_1763
; %bb.1762:
	v_cndmask_b32_e64 v2, 0, 1.0, s[10:11]
	global_store_dword v[0:1], v2, off
.LBB7_1763:
	s_mov_b64 s[0:1], 0
.LBB7_1764:
	s_andn2_b64 vcc, exec, s[0:1]
	s_cbranch_vccnz .LBB7_1766
; %bb.1765:
	v_cndmask_b32_e64 v2, 0, 1.0, s[10:11]
	v_cvt_f16_f32_e32 v2, v2
	global_store_short v[0:1], v2, off
.LBB7_1766:
	s_mov_b64 s[0:1], 0
.LBB7_1767:
	s_andn2_b64 vcc, exec, s[0:1]
	s_cbranch_vccnz .LBB7_1783
; %bb.1768:
	s_sext_i32_i16 s2, s22
	s_cmp_lt_i32 s2, 2
	s_mov_b64 s[0:1], -1
	s_cbranch_scc1 .LBB7_1778
; %bb.1769:
	s_cmp_lt_i32 s2, 3
	s_cbranch_scc1 .LBB7_1775
; %bb.1770:
	s_cmp_gt_i32 s2, 3
	s_cbranch_scc0 .LBB7_1772
; %bb.1771:
	s_mov_b32 s0, 0
	v_cndmask_b32_e64 v2, 0, 1, s[10:11]
	s_waitcnt vmcnt(0)
	v_mov_b32_e32 v3, s0
	global_store_dwordx2 v[0:1], v[2:3], off
	s_mov_b64 s[0:1], 0
.LBB7_1772:
	s_andn2_b64 vcc, exec, s[0:1]
	s_cbranch_vccnz .LBB7_1774
; %bb.1773:
	v_cndmask_b32_e64 v2, 0, 1, s[10:11]
	global_store_dword v[0:1], v2, off
.LBB7_1774:
	s_mov_b64 s[0:1], 0
.LBB7_1775:
	s_andn2_b64 vcc, exec, s[0:1]
	s_cbranch_vccnz .LBB7_1777
; %bb.1776:
	v_cndmask_b32_e64 v2, 0, 1, s[10:11]
	global_store_short v[0:1], v2, off
.LBB7_1777:
	s_mov_b64 s[0:1], 0
.LBB7_1778:
	s_andn2_b64 vcc, exec, s[0:1]
	s_cbranch_vccnz .LBB7_1783
; %bb.1779:
	s_sext_i32_i16 s0, s22
	s_cmp_gt_i32 s0, 0
	s_mov_b64 s[0:1], -1
	s_cbranch_scc0 .LBB7_1781
; %bb.1780:
	v_cndmask_b32_e64 v2, 0, 1, s[10:11]
	global_store_byte v[0:1], v2, off
	s_mov_b64 s[0:1], 0
.LBB7_1781:
	s_andn2_b64 vcc, exec, s[0:1]
	s_cbranch_vccnz .LBB7_1783
; %bb.1782:
	v_cndmask_b32_e64 v2, 0, 1, s[10:11]
	global_store_byte v[0:1], v2, off
	s_endpgm
.LBB7_1783:
	s_endpgm
.LBB7_1784:
	s_mov_b64 s[18:19], -1
                                        ; implicit-def: $sgpr10_sgpr11
	s_mov_b64 s[16:17], 0
	s_branch .LBB7_1791
.LBB7_1785:
	s_mov_b64 s[18:19], -1
	s_mov_b64 s[16:17], 0
                                        ; implicit-def: $sgpr10_sgpr11
	s_branch .LBB7_1788
.LBB7_1786:
	s_mov_b64 s[16:17], -1
                                        ; implicit-def: $sgpr10_sgpr11
.LBB7_1787:
	s_mov_b64 s[18:19], 0
.LBB7_1788:
	s_and_b64 vcc, exec, s[18:19]
	s_cbranch_vccz .LBB7_1790
; %bb.1789:
	s_and_b32 s18, s1, 0xff
	s_waitcnt vmcnt(0)
	v_cmp_gt_u16_sdwa s[18:19], v9, s18 src0_sel:BYTE_0 src1_sel:DWORD
	s_andn2_b64 s[10:11], s[10:11], exec
	s_and_b64 s[18:19], s[18:19], exec
	s_or_b64 s[10:11], s[10:11], s[18:19]
.LBB7_1790:
	s_mov_b64 s[18:19], 0
.LBB7_1791:
	s_and_b64 vcc, exec, s[18:19]
	s_cbranch_vccz .LBB7_1873
; %bb.1792:
	s_cmp_lg_u32 s0, 0
	s_mov_b64 s[14:15], -1
	s_cselect_b64 s[16:17], -1, 0
	s_andn2_b64 vcc, exec, s[16:17]
	s_cbranch_vccz .LBB7_1874
.LBB7_1793:
	s_andn2_b64 vcc, exec, s[14:15]
	s_cbranch_vccnz .LBB7_1795
.LBB7_1794:
	s_and_b32 s0, s1, 0xff
	s_waitcnt vmcnt(0)
	v_cmp_ge_u16_sdwa s[0:1], v9, s0 src0_sel:BYTE_0 src1_sel:DWORD
	s_andn2_b64 s[10:11], s[10:11], exec
	s_and_b64 s[0:1], s[0:1], exec
	s_or_b64 s[10:11], s[10:11], s[0:1]
.LBB7_1795:
	s_load_dword s0, s[34:35], 0x160
	v_mov_b32_e32 v1, s9
	v_add_co_u32_e32 v5, vcc, s8, v6
	v_addc_co_u32_e32 v6, vcc, 0, v1, vcc
	s_waitcnt lgkmcnt(0)
	s_and_b32 s22, s0, 0xff
	s_cmp_lt_i32 s22, 11
	s_cbranch_scc1 .LBB7_1875
; %bb.1796:
	s_and_b32 s23, 0xffff, s22
	s_mov_b64 s[18:19], -1
	s_mov_b64 s[14:15], 0
	s_cmp_gt_i32 s23, 25
	s_mov_b64 s[16:17], 0
	s_mov_b64 s[0:1], 0
	s_cbranch_scc0 .LBB7_1829
; %bb.1797:
	s_cmp_gt_i32 s23, 28
	s_cbranch_scc0 .LBB7_1812
; %bb.1798:
	s_cmp_gt_i32 s23, 43
	;; [unrolled: 3-line block ×3, first 2 shown]
	s_cbranch_scc0 .LBB7_1802
; %bb.1800:
	s_mov_b64 s[0:1], -1
	s_mov_b64 s[18:19], 0
	s_cmp_eq_u32 s23, 46
	s_cbranch_scc0 .LBB7_1802
; %bb.1801:
	v_cndmask_b32_e64 v1, 0, 1.0, s[4:5]
	s_waitcnt vmcnt(0)
	v_bfe_u32 v3, v1, 16, 1
	s_movk_i32 s0, 0x7fff
	v_add3_u32 v1, v1, v3, s0
	v_lshrrev_b32_e32 v1, 16, v1
	global_store_dword v[5:6], v1, off
	s_mov_b64 s[0:1], 0
	s_mov_b64 s[16:17], -1
.LBB7_1802:
	s_and_b64 vcc, exec, s[18:19]
	s_cbranch_vccz .LBB7_1807
; %bb.1803:
	s_cmp_eq_u32 s23, 44
	s_mov_b64 s[0:1], -1
	s_cbranch_scc0 .LBB7_1807
; %bb.1804:
	s_waitcnt vmcnt(0)
	v_cndmask_b32_e64 v3, 0, 1.0, s[4:5]
	v_lshrrev_b32_e32 v1, 23, v3
	s_movk_i32 s0, 0xff
	v_cmp_ne_u32_e32 vcc, s0, v1
	v_mov_b32_e32 v7, 0xff
	s_and_saveexec_b64 s[16:17], vcc
; %bb.1805:
	s_mov_b32 s0, 0x3fffff
	v_and_b32_e32 v7, 0x400000, v3
	v_and_or_b32 v3, v3, s0, v1
	v_cmp_ne_u32_e32 vcc, 0, v7
	v_cmp_ne_u32_e64 s[0:1], 0, v3
	s_and_b64 s[0:1], vcc, s[0:1]
	v_cndmask_b32_e64 v3, 0, 1, s[0:1]
	v_add_u32_e32 v7, v1, v3
; %bb.1806:
	s_or_b64 exec, exec, s[16:17]
	s_mov_b64 s[0:1], 0
	s_mov_b64 s[16:17], -1
	global_store_byte v[5:6], v7, off
.LBB7_1807:
	s_mov_b64 s[18:19], 0
.LBB7_1808:
	s_and_b64 vcc, exec, s[18:19]
	s_cbranch_vccz .LBB7_1811
; %bb.1809:
	s_cmp_eq_u32 s23, 29
	s_mov_b64 s[0:1], -1
	s_cbranch_scc0 .LBB7_1811
; %bb.1810:
	s_mov_b32 s0, 0
	v_cndmask_b32_e64 v7, 0, 1, s[4:5]
	v_mov_b32_e32 v8, s0
	global_store_dwordx2 v[5:6], v[7:8], off
	s_mov_b64 s[0:1], 0
	s_mov_b64 s[16:17], -1
.LBB7_1811:
	s_mov_b64 s[18:19], 0
.LBB7_1812:
	s_and_b64 vcc, exec, s[18:19]
	s_cbranch_vccz .LBB7_1828
; %bb.1813:
	s_cmp_lt_i32 s23, 27
	s_mov_b64 s[16:17], -1
	s_cbranch_scc1 .LBB7_1819
; %bb.1814:
	s_cmp_gt_i32 s23, 27
	s_cbranch_scc0 .LBB7_1816
; %bb.1815:
	v_cndmask_b32_e64 v1, 0, 1, s[4:5]
	s_mov_b64 s[16:17], 0
	global_store_dword v[5:6], v1, off
.LBB7_1816:
	s_andn2_b64 vcc, exec, s[16:17]
	s_cbranch_vccnz .LBB7_1818
; %bb.1817:
	v_cndmask_b32_e64 v1, 0, 1, s[4:5]
	global_store_short v[5:6], v1, off
.LBB7_1818:
	s_mov_b64 s[16:17], 0
.LBB7_1819:
	s_andn2_b64 vcc, exec, s[16:17]
	s_cbranch_vccnz .LBB7_1827
; %bb.1820:
	s_waitcnt vmcnt(0)
	v_cndmask_b32_e64 v3, 0, 1.0, s[4:5]
	s_mov_b32 s16, 0x43800000
	v_cmp_gt_u32_e32 vcc, s16, v3
	v_mov_b32_e32 v7, 0x80
	s_and_saveexec_b64 s[16:17], vcc
	s_cbranch_execz .LBB7_1826
; %bb.1821:
	s_mov_b32 s18, 0x3bffffff
	v_cmp_lt_u32_e32 vcc, s18, v3
	s_mov_b64 s[18:19], 0
                                        ; implicit-def: $vgpr1
	s_and_saveexec_b64 s[20:21], vcc
	s_xor_b64 s[20:21], exec, s[20:21]
	s_cbranch_execz .LBB7_2233
; %bb.1822:
	v_bfe_u32 v1, v3, 20, 1
	s_mov_b32 s24, 0x487ffff
	v_add3_u32 v1, v3, v1, s24
	s_mov_b64 s[18:19], exec
	v_lshrrev_b32_e32 v1, 20, v1
                                        ; implicit-def: $vgpr3
	s_andn2_saveexec_b64 s[20:21], s[20:21]
	s_cbranch_execnz .LBB7_2234
.LBB7_1823:
	s_or_b64 exec, exec, s[20:21]
	v_mov_b32_e32 v7, 0
	s_and_saveexec_b64 s[20:21], s[18:19]
.LBB7_1824:
	v_mov_b32_e32 v7, v1
.LBB7_1825:
	s_or_b64 exec, exec, s[20:21]
.LBB7_1826:
	s_or_b64 exec, exec, s[16:17]
	global_store_byte v[5:6], v7, off
.LBB7_1827:
	s_mov_b64 s[16:17], -1
.LBB7_1828:
	s_mov_b64 s[18:19], 0
.LBB7_1829:
	s_and_b64 vcc, exec, s[18:19]
	s_cbranch_vccz .LBB7_1869
; %bb.1830:
	s_cmp_gt_i32 s23, 22
	s_mov_b64 s[14:15], -1
	s_cbranch_scc0 .LBB7_1862
; %bb.1831:
	s_cmp_lt_i32 s23, 24
	s_cbranch_scc1 .LBB7_1851
; %bb.1832:
	s_cmp_gt_i32 s23, 24
	s_cbranch_scc0 .LBB7_1840
; %bb.1833:
	s_waitcnt vmcnt(0)
	v_cndmask_b32_e64 v3, 0, 1.0, s[4:5]
	s_mov_b32 s14, 0x47800000
	v_cmp_gt_u32_e32 vcc, s14, v3
	v_mov_b32_e32 v7, 0x80
	s_and_saveexec_b64 s[14:15], vcc
	s_cbranch_execz .LBB7_1839
; %bb.1834:
	s_mov_b32 s16, 0x37ffffff
	v_cmp_lt_u32_e32 vcc, s16, v3
	s_mov_b64 s[16:17], 0
                                        ; implicit-def: $vgpr1
	s_and_saveexec_b64 s[18:19], vcc
	s_xor_b64 s[18:19], exec, s[18:19]
	s_cbranch_execz .LBB7_2236
; %bb.1835:
	v_bfe_u32 v1, v3, 21, 1
	s_mov_b32 s20, 0x88fffff
	v_add3_u32 v1, v3, v1, s20
	s_mov_b64 s[16:17], exec
	v_lshrrev_b32_e32 v1, 21, v1
                                        ; implicit-def: $vgpr3
	s_andn2_saveexec_b64 s[18:19], s[18:19]
	s_cbranch_execnz .LBB7_2237
.LBB7_1836:
	s_or_b64 exec, exec, s[18:19]
	v_mov_b32_e32 v7, 0
	s_and_saveexec_b64 s[18:19], s[16:17]
.LBB7_1837:
	v_mov_b32_e32 v7, v1
.LBB7_1838:
	s_or_b64 exec, exec, s[18:19]
.LBB7_1839:
	s_or_b64 exec, exec, s[14:15]
	s_mov_b64 s[14:15], 0
	global_store_byte v[5:6], v7, off
.LBB7_1840:
	s_and_b64 vcc, exec, s[14:15]
	s_cbranch_vccz .LBB7_1850
; %bb.1841:
	v_cndmask_b32_e64 v1, 0, 1.0, s[4:5]
	s_mov_b32 s14, 0x43f00000
	v_cmp_gt_u32_e32 vcc, s14, v1
                                        ; implicit-def: $vgpr3
	s_and_saveexec_b64 s[14:15], vcc
	s_xor_b64 s[14:15], exec, s[14:15]
	s_cbranch_execz .LBB7_1847
; %bb.1842:
	s_mov_b32 s16, 0x3c7fffff
	v_cmp_lt_u32_e32 vcc, s16, v1
                                        ; implicit-def: $vgpr3
	s_and_saveexec_b64 s[16:17], vcc
	s_xor_b64 s[16:17], exec, s[16:17]
	s_cbranch_execz .LBB7_1844
; %bb.1843:
	s_waitcnt vmcnt(0)
	v_bfe_u32 v3, v1, 20, 1
	s_mov_b32 s18, 0x407ffff
	v_add3_u32 v1, v1, v3, s18
	v_lshrrev_b32_e32 v3, 20, v1
	v_and_b32_e32 v1, 0xff00000, v1
	s_mov_b32 s18, 0x7f00000
	v_mov_b32_e32 v7, 0x7e
	v_cmp_ne_u32_e32 vcc, s18, v1
	v_cndmask_b32_e32 v3, v7, v3, vcc
                                        ; implicit-def: $vgpr1
.LBB7_1844:
	s_andn2_saveexec_b64 s[16:17], s[16:17]
	s_cbranch_execz .LBB7_1846
; %bb.1845:
	s_waitcnt vmcnt(0)
	v_add_f32_e32 v3, 0x46800000, v1
.LBB7_1846:
	s_or_b64 exec, exec, s[16:17]
                                        ; implicit-def: $vgpr1
.LBB7_1847:
	s_andn2_saveexec_b64 s[14:15], s[14:15]
	s_cbranch_execz .LBB7_1849
; %bb.1848:
	s_mov_b32 s16, 0x7f800000
	s_waitcnt vmcnt(0)
	v_mov_b32_e32 v3, 0x7e
	v_mov_b32_e32 v7, 0x7f
	v_cmp_lt_u32_e32 vcc, s16, v1
	v_cndmask_b32_e32 v3, v3, v7, vcc
.LBB7_1849:
	s_or_b64 exec, exec, s[14:15]
	s_waitcnt vmcnt(0)
	global_store_byte v[5:6], v3, off
.LBB7_1850:
	s_mov_b64 s[14:15], 0
.LBB7_1851:
	s_andn2_b64 vcc, exec, s[14:15]
	s_cbranch_vccnz .LBB7_1861
; %bb.1852:
	v_cndmask_b32_e64 v1, 0, 1.0, s[4:5]
	s_mov_b32 s14, 0x47800000
	v_cmp_gt_u32_e32 vcc, s14, v1
                                        ; implicit-def: $vgpr3
	s_and_saveexec_b64 s[14:15], vcc
	s_xor_b64 s[14:15], exec, s[14:15]
	s_cbranch_execz .LBB7_1858
; %bb.1853:
	s_mov_b32 s16, 0x387fffff
	v_cmp_lt_u32_e32 vcc, s16, v1
                                        ; implicit-def: $vgpr3
	s_and_saveexec_b64 s[16:17], vcc
	s_xor_b64 s[16:17], exec, s[16:17]
	s_cbranch_execz .LBB7_1855
; %bb.1854:
	s_waitcnt vmcnt(0)
	v_bfe_u32 v3, v1, 21, 1
	s_mov_b32 s18, 0x80fffff
	v_add3_u32 v1, v1, v3, s18
	v_lshrrev_b32_e32 v3, 21, v1
                                        ; implicit-def: $vgpr1
.LBB7_1855:
	s_andn2_saveexec_b64 s[16:17], s[16:17]
	s_cbranch_execz .LBB7_1857
; %bb.1856:
	s_waitcnt vmcnt(0)
	v_add_f32_e32 v3, 0x43000000, v1
.LBB7_1857:
	s_or_b64 exec, exec, s[16:17]
                                        ; implicit-def: $vgpr1
.LBB7_1858:
	s_andn2_saveexec_b64 s[14:15], s[14:15]
	s_cbranch_execz .LBB7_1860
; %bb.1859:
	s_mov_b32 s16, 0x7f800000
	s_waitcnt vmcnt(0)
	v_mov_b32_e32 v3, 0x7c
	v_mov_b32_e32 v7, 0x7f
	v_cmp_lt_u32_e32 vcc, s16, v1
	v_cndmask_b32_e32 v3, v3, v7, vcc
.LBB7_1860:
	s_or_b64 exec, exec, s[14:15]
	s_waitcnt vmcnt(0)
	global_store_byte v[5:6], v3, off
.LBB7_1861:
	s_mov_b64 s[14:15], 0
	s_mov_b64 s[16:17], -1
.LBB7_1862:
	s_andn2_b64 vcc, exec, s[14:15]
	s_mov_b64 s[14:15], 0
	s_cbranch_vccnz .LBB7_1869
; %bb.1863:
	s_cmp_gt_i32 s23, 14
	s_mov_b64 s[18:19], -1
	s_cbranch_scc0 .LBB7_1867
; %bb.1864:
	s_cmp_eq_u32 s23, 15
	s_mov_b64 s[0:1], -1
	s_cbranch_scc0 .LBB7_1866
; %bb.1865:
	v_cndmask_b32_e64 v1, 0, 1.0, s[4:5]
	s_waitcnt vmcnt(0)
	v_bfe_u32 v3, v1, 16, 1
	s_movk_i32 s0, 0x7fff
	v_add3_u32 v1, v1, v3, s0
	global_store_short_d16_hi v[5:6], v1, off
	s_mov_b64 s[0:1], 0
	s_mov_b64 s[16:17], -1
.LBB7_1866:
	s_mov_b64 s[18:19], 0
.LBB7_1867:
	s_and_b64 vcc, exec, s[18:19]
	s_cbranch_vccz .LBB7_1869
; %bb.1868:
	s_cmp_lg_u32 s23, 11
	s_mov_b64 s[14:15], -1
	s_cselect_b64 s[0:1], -1, 0
.LBB7_1869:
	s_and_b64 vcc, exec, s[0:1]
	s_cbranch_vccnz .LBB7_2235
; %bb.1870:
	s_andn2_b64 vcc, exec, s[14:15]
	s_cbranch_vccnz .LBB7_1872
.LBB7_1871:
	v_cndmask_b32_e64 v1, 0, 1, s[4:5]
	s_mov_b64 s[16:17], -1
	global_store_byte v[5:6], v1, off
.LBB7_1872:
	s_mov_b64 s[0:1], 0
	s_branch .LBB7_1876
.LBB7_1873:
	s_andn2_b64 vcc, exec, s[16:17]
	s_cbranch_vccnz .LBB7_1793
.LBB7_1874:
	s_and_b32 s0, s1, 0xff
	s_waitcnt vmcnt(0)
	v_cmp_lt_u16_sdwa s[16:17], v9, s0 src0_sel:BYTE_0 src1_sel:DWORD
	s_andn2_b64 s[10:11], s[10:11], exec
	s_and_b64 s[16:17], s[16:17], exec
	s_or_b64 s[10:11], s[10:11], s[16:17]
	s_cbranch_execz .LBB7_1794
	s_branch .LBB7_1795
.LBB7_1875:
	s_mov_b64 s[0:1], -1
	s_mov_b64 s[16:17], 0
.LBB7_1876:
	s_and_b64 vcc, exec, s[0:1]
	s_cbranch_vccz .LBB7_1915
; %bb.1877:
	s_and_b32 s14, 0xffff, s22
	s_cmp_lt_i32 s14, 5
	s_mov_b64 s[0:1], -1
	s_cbranch_scc1 .LBB7_1898
; %bb.1878:
	s_cmp_lt_i32 s14, 8
	s_cbranch_scc1 .LBB7_1888
; %bb.1879:
	s_cmp_lt_i32 s14, 9
	s_cbranch_scc1 .LBB7_1885
; %bb.1880:
	s_cmp_gt_i32 s14, 9
	s_cbranch_scc0 .LBB7_1882
; %bb.1881:
	v_cndmask_b32_e64 v1, 0, 1, s[4:5]
	v_cvt_f64_u32_e32 v[7:8], v1
	s_waitcnt vmcnt(0)
	v_mov_b32_e32 v9, 0
	v_mov_b32_e32 v10, v9
	s_mov_b64 s[0:1], 0
	global_store_dwordx4 v[5:6], v[7:10], off
.LBB7_1882:
	s_andn2_b64 vcc, exec, s[0:1]
	s_cbranch_vccnz .LBB7_1884
; %bb.1883:
	v_cndmask_b32_e64 v7, 0, 1.0, s[4:5]
	v_mov_b32_e32 v8, 0
	global_store_dwordx2 v[5:6], v[7:8], off
.LBB7_1884:
	s_mov_b64 s[0:1], 0
.LBB7_1885:
	s_andn2_b64 vcc, exec, s[0:1]
	s_cbranch_vccnz .LBB7_1887
; %bb.1886:
	v_cndmask_b32_e64 v1, 0, 1.0, s[4:5]
	v_cvt_f16_f32_e32 v1, v1
	global_store_dword v[5:6], v1, off
.LBB7_1887:
	s_mov_b64 s[0:1], 0
.LBB7_1888:
	s_andn2_b64 vcc, exec, s[0:1]
	s_cbranch_vccnz .LBB7_1897
; %bb.1889:
	s_cmp_lt_i32 s14, 6
	s_mov_b64 s[0:1], -1
	s_cbranch_scc1 .LBB7_1895
; %bb.1890:
	s_cmp_gt_i32 s14, 6
	s_cbranch_scc0 .LBB7_1892
; %bb.1891:
	v_cndmask_b32_e64 v1, 0, 1, s[4:5]
	v_cvt_f64_u32_e32 v[7:8], v1
	s_mov_b64 s[0:1], 0
	global_store_dwordx2 v[5:6], v[7:8], off
.LBB7_1892:
	s_andn2_b64 vcc, exec, s[0:1]
	s_cbranch_vccnz .LBB7_1894
; %bb.1893:
	v_cndmask_b32_e64 v1, 0, 1.0, s[4:5]
	global_store_dword v[5:6], v1, off
.LBB7_1894:
	s_mov_b64 s[0:1], 0
.LBB7_1895:
	s_andn2_b64 vcc, exec, s[0:1]
	s_cbranch_vccnz .LBB7_1897
; %bb.1896:
	v_cndmask_b32_e64 v1, 0, 1.0, s[4:5]
	v_cvt_f16_f32_e32 v1, v1
	global_store_short v[5:6], v1, off
.LBB7_1897:
	s_mov_b64 s[0:1], 0
.LBB7_1898:
	s_andn2_b64 vcc, exec, s[0:1]
	s_cbranch_vccnz .LBB7_1914
; %bb.1899:
	s_cmp_lt_i32 s14, 2
	s_mov_b64 s[0:1], -1
	s_cbranch_scc1 .LBB7_1909
; %bb.1900:
	s_cmp_lt_i32 s14, 3
	s_cbranch_scc1 .LBB7_1906
; %bb.1901:
	s_cmp_gt_i32 s14, 3
	s_cbranch_scc0 .LBB7_1903
; %bb.1902:
	s_mov_b32 s0, 0
	v_cndmask_b32_e64 v7, 0, 1, s[4:5]
	v_mov_b32_e32 v8, s0
	global_store_dwordx2 v[5:6], v[7:8], off
	s_mov_b64 s[0:1], 0
.LBB7_1903:
	s_andn2_b64 vcc, exec, s[0:1]
	s_cbranch_vccnz .LBB7_1905
; %bb.1904:
	v_cndmask_b32_e64 v1, 0, 1, s[4:5]
	global_store_dword v[5:6], v1, off
.LBB7_1905:
	s_mov_b64 s[0:1], 0
.LBB7_1906:
	s_andn2_b64 vcc, exec, s[0:1]
	s_cbranch_vccnz .LBB7_1908
; %bb.1907:
	v_cndmask_b32_e64 v1, 0, 1, s[4:5]
	global_store_short v[5:6], v1, off
.LBB7_1908:
	s_mov_b64 s[0:1], 0
.LBB7_1909:
	s_andn2_b64 vcc, exec, s[0:1]
	s_cbranch_vccnz .LBB7_1914
; %bb.1910:
	s_mov_b64 s[0:1], -1
	s_cmp_gt_i32 s14, 0
	v_cndmask_b32_e64 v1, 0, 1, s[4:5]
	s_cbranch_scc0 .LBB7_1912
; %bb.1911:
	global_store_byte v[5:6], v1, off
	s_mov_b64 s[0:1], 0
.LBB7_1912:
	s_andn2_b64 vcc, exec, s[0:1]
	s_cbranch_vccnz .LBB7_1914
; %bb.1913:
	global_store_byte v[5:6], v1, off
.LBB7_1914:
	s_mov_b64 s[16:17], -1
.LBB7_1915:
	s_andn2_b64 vcc, exec, s[16:17]
	s_cbranch_vccnz .LBB7_2230
; %bb.1916:
	v_mov_b32_e32 v1, s9
	s_and_b32 s20, 0xffff, s22
	s_waitcnt vmcnt(0)
	v_add_co_u32_e32 v3, vcc, s8, v4
	s_cmp_lt_i32 s20, 11
	v_addc_co_u32_e32 v4, vcc, 0, v1, vcc
	s_cbranch_scc1 .LBB7_1994
; %bb.1917:
	s_mov_b64 s[16:17], -1
	s_mov_b64 s[4:5], 0
	s_cmp_gt_i32 s20, 25
	s_mov_b64 s[14:15], 0
	s_mov_b64 s[0:1], 0
	s_cbranch_scc0 .LBB7_1950
; %bb.1918:
	s_cmp_gt_i32 s20, 28
	s_cbranch_scc0 .LBB7_1933
; %bb.1919:
	s_cmp_gt_i32 s20, 43
	;; [unrolled: 3-line block ×3, first 2 shown]
	s_cbranch_scc0 .LBB7_1923
; %bb.1921:
	s_mov_b64 s[0:1], -1
	s_mov_b64 s[16:17], 0
	s_cmp_eq_u32 s20, 46
	s_cbranch_scc0 .LBB7_1923
; %bb.1922:
	v_cndmask_b32_e64 v1, 0, 1.0, s[6:7]
	v_bfe_u32 v5, v1, 16, 1
	s_movk_i32 s0, 0x7fff
	v_add3_u32 v1, v1, v5, s0
	v_lshrrev_b32_e32 v1, 16, v1
	global_store_dword v[3:4], v1, off
	s_mov_b64 s[0:1], 0
	s_mov_b64 s[14:15], -1
.LBB7_1923:
	s_and_b64 vcc, exec, s[16:17]
	s_cbranch_vccz .LBB7_1928
; %bb.1924:
	s_cmp_eq_u32 s20, 44
	s_mov_b64 s[0:1], -1
	s_cbranch_scc0 .LBB7_1928
; %bb.1925:
	v_cndmask_b32_e64 v5, 0, 1.0, s[6:7]
	v_lshrrev_b32_e32 v1, 23, v5
	s_movk_i32 s0, 0xff
	v_cmp_ne_u32_e32 vcc, s0, v1
	v_mov_b32_e32 v6, 0xff
	s_and_saveexec_b64 s[14:15], vcc
; %bb.1926:
	s_mov_b32 s0, 0x3fffff
	v_and_b32_e32 v6, 0x400000, v5
	v_and_or_b32 v5, v5, s0, v1
	v_cmp_ne_u32_e32 vcc, 0, v6
	v_cmp_ne_u32_e64 s[0:1], 0, v5
	s_and_b64 s[0:1], vcc, s[0:1]
	v_cndmask_b32_e64 v5, 0, 1, s[0:1]
	v_add_u32_e32 v6, v1, v5
; %bb.1927:
	s_or_b64 exec, exec, s[14:15]
	s_mov_b64 s[0:1], 0
	s_mov_b64 s[14:15], -1
	global_store_byte v[3:4], v6, off
.LBB7_1928:
	s_mov_b64 s[16:17], 0
.LBB7_1929:
	s_and_b64 vcc, exec, s[16:17]
	s_cbranch_vccz .LBB7_1932
; %bb.1930:
	s_cmp_eq_u32 s20, 29
	s_mov_b64 s[0:1], -1
	s_cbranch_scc0 .LBB7_1932
; %bb.1931:
	s_mov_b32 s0, 0
	v_cndmask_b32_e64 v5, 0, 1, s[6:7]
	v_mov_b32_e32 v6, s0
	global_store_dwordx2 v[3:4], v[5:6], off
	s_mov_b64 s[0:1], 0
	s_mov_b64 s[14:15], -1
.LBB7_1932:
	s_mov_b64 s[16:17], 0
.LBB7_1933:
	s_and_b64 vcc, exec, s[16:17]
	s_cbranch_vccz .LBB7_1949
; %bb.1934:
	s_cmp_lt_i32 s20, 27
	s_mov_b64 s[14:15], -1
	s_cbranch_scc1 .LBB7_1940
; %bb.1935:
	s_cmp_gt_i32 s20, 27
	s_cbranch_scc0 .LBB7_1937
; %bb.1936:
	v_cndmask_b32_e64 v1, 0, 1, s[6:7]
	s_mov_b64 s[14:15], 0
	global_store_dword v[3:4], v1, off
.LBB7_1937:
	s_andn2_b64 vcc, exec, s[14:15]
	s_cbranch_vccnz .LBB7_1939
; %bb.1938:
	v_cndmask_b32_e64 v1, 0, 1, s[6:7]
	global_store_short v[3:4], v1, off
.LBB7_1939:
	s_mov_b64 s[14:15], 0
.LBB7_1940:
	s_andn2_b64 vcc, exec, s[14:15]
	s_cbranch_vccnz .LBB7_1948
; %bb.1941:
	v_cndmask_b32_e64 v5, 0, 1.0, s[6:7]
	s_mov_b32 s14, 0x43800000
	v_cmp_gt_u32_e32 vcc, s14, v5
	v_mov_b32_e32 v6, 0x80
	s_and_saveexec_b64 s[14:15], vcc
	s_cbranch_execz .LBB7_1947
; %bb.1942:
	s_mov_b32 s16, 0x3bffffff
	v_cmp_lt_u32_e32 vcc, s16, v5
	s_mov_b64 s[16:17], 0
                                        ; implicit-def: $vgpr1
	s_and_saveexec_b64 s[18:19], vcc
	s_xor_b64 s[18:19], exec, s[18:19]
	s_cbranch_execz .LBB7_2238
; %bb.1943:
	v_bfe_u32 v1, v5, 20, 1
	s_mov_b32 s21, 0x487ffff
	v_add3_u32 v1, v5, v1, s21
	s_mov_b64 s[16:17], exec
	v_lshrrev_b32_e32 v1, 20, v1
                                        ; implicit-def: $vgpr5
	s_andn2_saveexec_b64 s[18:19], s[18:19]
	s_cbranch_execnz .LBB7_2239
.LBB7_1944:
	s_or_b64 exec, exec, s[18:19]
	v_mov_b32_e32 v6, 0
	s_and_saveexec_b64 s[18:19], s[16:17]
.LBB7_1945:
	v_mov_b32_e32 v6, v1
.LBB7_1946:
	s_or_b64 exec, exec, s[18:19]
.LBB7_1947:
	s_or_b64 exec, exec, s[14:15]
	global_store_byte v[3:4], v6, off
.LBB7_1948:
	s_mov_b64 s[14:15], -1
.LBB7_1949:
	s_mov_b64 s[16:17], 0
.LBB7_1950:
	s_and_b64 vcc, exec, s[16:17]
	s_cbranch_vccz .LBB7_1990
; %bb.1951:
	s_cmp_gt_i32 s20, 22
	s_mov_b64 s[4:5], -1
	s_cbranch_scc0 .LBB7_1983
; %bb.1952:
	s_cmp_lt_i32 s20, 24
	s_cbranch_scc1 .LBB7_1972
; %bb.1953:
	s_cmp_gt_i32 s20, 24
	s_cbranch_scc0 .LBB7_1961
; %bb.1954:
	v_cndmask_b32_e64 v5, 0, 1.0, s[6:7]
	s_mov_b32 s4, 0x47800000
	v_cmp_gt_u32_e32 vcc, s4, v5
	v_mov_b32_e32 v6, 0x80
	s_and_saveexec_b64 s[4:5], vcc
	s_cbranch_execz .LBB7_1960
; %bb.1955:
	s_mov_b32 s14, 0x37ffffff
	v_cmp_lt_u32_e32 vcc, s14, v5
	s_mov_b64 s[14:15], 0
                                        ; implicit-def: $vgpr1
	s_and_saveexec_b64 s[16:17], vcc
	s_xor_b64 s[16:17], exec, s[16:17]
	s_cbranch_execz .LBB7_2241
; %bb.1956:
	v_bfe_u32 v1, v5, 21, 1
	s_mov_b32 s18, 0x88fffff
	v_add3_u32 v1, v5, v1, s18
	s_mov_b64 s[14:15], exec
	v_lshrrev_b32_e32 v1, 21, v1
                                        ; implicit-def: $vgpr5
	s_andn2_saveexec_b64 s[16:17], s[16:17]
	s_cbranch_execnz .LBB7_2242
.LBB7_1957:
	s_or_b64 exec, exec, s[16:17]
	v_mov_b32_e32 v6, 0
	s_and_saveexec_b64 s[16:17], s[14:15]
.LBB7_1958:
	v_mov_b32_e32 v6, v1
.LBB7_1959:
	s_or_b64 exec, exec, s[16:17]
.LBB7_1960:
	s_or_b64 exec, exec, s[4:5]
	s_mov_b64 s[4:5], 0
	global_store_byte v[3:4], v6, off
.LBB7_1961:
	s_and_b64 vcc, exec, s[4:5]
	s_cbranch_vccz .LBB7_1971
; %bb.1962:
	v_cndmask_b32_e64 v1, 0, 1.0, s[6:7]
	s_mov_b32 s4, 0x43f00000
	v_cmp_gt_u32_e32 vcc, s4, v1
                                        ; implicit-def: $vgpr5
	s_and_saveexec_b64 s[4:5], vcc
	s_xor_b64 s[4:5], exec, s[4:5]
	s_cbranch_execz .LBB7_1968
; %bb.1963:
	s_mov_b32 s14, 0x3c7fffff
	v_cmp_lt_u32_e32 vcc, s14, v1
                                        ; implicit-def: $vgpr5
	s_and_saveexec_b64 s[14:15], vcc
	s_xor_b64 s[14:15], exec, s[14:15]
; %bb.1964:
	v_bfe_u32 v5, v1, 20, 1
	s_mov_b32 s16, 0x407ffff
	v_add3_u32 v1, v1, v5, s16
	v_lshrrev_b32_e32 v5, 20, v1
	v_and_b32_e32 v1, 0xff00000, v1
	s_mov_b32 s16, 0x7f00000
	v_mov_b32_e32 v6, 0x7e
	v_cmp_ne_u32_e32 vcc, s16, v1
	v_cndmask_b32_e32 v5, v6, v5, vcc
                                        ; implicit-def: $vgpr1
; %bb.1965:
	s_andn2_saveexec_b64 s[14:15], s[14:15]
; %bb.1966:
	v_add_f32_e32 v5, 0x46800000, v1
; %bb.1967:
	s_or_b64 exec, exec, s[14:15]
                                        ; implicit-def: $vgpr1
.LBB7_1968:
	s_andn2_saveexec_b64 s[4:5], s[4:5]
; %bb.1969:
	s_mov_b32 s14, 0x7f800000
	v_mov_b32_e32 v5, 0x7e
	v_mov_b32_e32 v6, 0x7f
	v_cmp_lt_u32_e32 vcc, s14, v1
	v_cndmask_b32_e32 v5, v5, v6, vcc
; %bb.1970:
	s_or_b64 exec, exec, s[4:5]
	global_store_byte v[3:4], v5, off
.LBB7_1971:
	s_mov_b64 s[4:5], 0
.LBB7_1972:
	s_andn2_b64 vcc, exec, s[4:5]
	s_cbranch_vccnz .LBB7_1982
; %bb.1973:
	v_cndmask_b32_e64 v1, 0, 1.0, s[6:7]
	s_mov_b32 s4, 0x47800000
	v_cmp_gt_u32_e32 vcc, s4, v1
                                        ; implicit-def: $vgpr5
	s_and_saveexec_b64 s[4:5], vcc
	s_xor_b64 s[4:5], exec, s[4:5]
	s_cbranch_execz .LBB7_1979
; %bb.1974:
	s_mov_b32 s14, 0x387fffff
	v_cmp_lt_u32_e32 vcc, s14, v1
                                        ; implicit-def: $vgpr5
	s_and_saveexec_b64 s[14:15], vcc
	s_xor_b64 s[14:15], exec, s[14:15]
; %bb.1975:
	v_bfe_u32 v5, v1, 21, 1
	s_mov_b32 s16, 0x80fffff
	v_add3_u32 v1, v1, v5, s16
	v_lshrrev_b32_e32 v5, 21, v1
                                        ; implicit-def: $vgpr1
; %bb.1976:
	s_andn2_saveexec_b64 s[14:15], s[14:15]
; %bb.1977:
	v_add_f32_e32 v5, 0x43000000, v1
; %bb.1978:
	s_or_b64 exec, exec, s[14:15]
                                        ; implicit-def: $vgpr1
.LBB7_1979:
	s_andn2_saveexec_b64 s[4:5], s[4:5]
; %bb.1980:
	s_mov_b32 s14, 0x7f800000
	v_mov_b32_e32 v5, 0x7c
	v_mov_b32_e32 v6, 0x7f
	v_cmp_lt_u32_e32 vcc, s14, v1
	v_cndmask_b32_e32 v5, v5, v6, vcc
; %bb.1981:
	s_or_b64 exec, exec, s[4:5]
	global_store_byte v[3:4], v5, off
.LBB7_1982:
	s_mov_b64 s[4:5], 0
	s_mov_b64 s[14:15], -1
.LBB7_1983:
	s_andn2_b64 vcc, exec, s[4:5]
	s_mov_b64 s[4:5], 0
	s_cbranch_vccnz .LBB7_1990
; %bb.1984:
	s_cmp_gt_i32 s20, 14
	s_mov_b64 s[16:17], -1
	s_cbranch_scc0 .LBB7_1988
; %bb.1985:
	s_cmp_eq_u32 s20, 15
	s_mov_b64 s[0:1], -1
	s_cbranch_scc0 .LBB7_1987
; %bb.1986:
	v_cndmask_b32_e64 v1, 0, 1.0, s[6:7]
	v_bfe_u32 v5, v1, 16, 1
	s_movk_i32 s0, 0x7fff
	v_add3_u32 v1, v1, v5, s0
	global_store_short_d16_hi v[3:4], v1, off
	s_mov_b64 s[0:1], 0
	s_mov_b64 s[14:15], -1
.LBB7_1987:
	s_mov_b64 s[16:17], 0
.LBB7_1988:
	s_and_b64 vcc, exec, s[16:17]
	s_cbranch_vccz .LBB7_1990
; %bb.1989:
	s_cmp_lg_u32 s20, 11
	s_mov_b64 s[4:5], -1
	s_cselect_b64 s[0:1], -1, 0
.LBB7_1990:
	s_and_b64 vcc, exec, s[0:1]
	s_cbranch_vccnz .LBB7_2240
; %bb.1991:
	s_andn2_b64 vcc, exec, s[4:5]
	s_cbranch_vccnz .LBB7_1993
.LBB7_1992:
	v_cndmask_b32_e64 v1, 0, 1, s[6:7]
	s_mov_b64 s[14:15], -1
	global_store_byte v[3:4], v1, off
.LBB7_1993:
	s_mov_b64 s[0:1], 0
	s_branch .LBB7_1995
.LBB7_1994:
	s_mov_b64 s[0:1], -1
	s_mov_b64 s[14:15], 0
.LBB7_1995:
	s_and_b64 vcc, exec, s[0:1]
	s_cbranch_vccz .LBB7_2034
; %bb.1996:
	s_cmp_lt_i32 s20, 5
	s_mov_b64 s[0:1], -1
	s_cbranch_scc1 .LBB7_2017
; %bb.1997:
	s_cmp_lt_i32 s20, 8
	s_cbranch_scc1 .LBB7_2007
; %bb.1998:
	s_cmp_lt_i32 s20, 9
	s_cbranch_scc1 .LBB7_2004
; %bb.1999:
	s_cmp_gt_i32 s20, 9
	s_cbranch_scc0 .LBB7_2001
; %bb.2000:
	v_cndmask_b32_e64 v1, 0, 1, s[6:7]
	v_cvt_f64_u32_e32 v[5:6], v1
	v_mov_b32_e32 v7, 0
	v_mov_b32_e32 v8, v7
	s_mov_b64 s[0:1], 0
	global_store_dwordx4 v[3:4], v[5:8], off
.LBB7_2001:
	s_andn2_b64 vcc, exec, s[0:1]
	s_cbranch_vccnz .LBB7_2003
; %bb.2002:
	v_cndmask_b32_e64 v5, 0, 1.0, s[6:7]
	v_mov_b32_e32 v6, 0
	global_store_dwordx2 v[3:4], v[5:6], off
.LBB7_2003:
	s_mov_b64 s[0:1], 0
.LBB7_2004:
	s_andn2_b64 vcc, exec, s[0:1]
	s_cbranch_vccnz .LBB7_2006
; %bb.2005:
	v_cndmask_b32_e64 v1, 0, 1.0, s[6:7]
	v_cvt_f16_f32_e32 v1, v1
	global_store_dword v[3:4], v1, off
.LBB7_2006:
	s_mov_b64 s[0:1], 0
.LBB7_2007:
	s_andn2_b64 vcc, exec, s[0:1]
	s_cbranch_vccnz .LBB7_2016
; %bb.2008:
	s_cmp_lt_i32 s20, 6
	s_mov_b64 s[0:1], -1
	s_cbranch_scc1 .LBB7_2014
; %bb.2009:
	s_cmp_gt_i32 s20, 6
	s_cbranch_scc0 .LBB7_2011
; %bb.2010:
	v_cndmask_b32_e64 v1, 0, 1, s[6:7]
	v_cvt_f64_u32_e32 v[5:6], v1
	s_mov_b64 s[0:1], 0
	global_store_dwordx2 v[3:4], v[5:6], off
.LBB7_2011:
	s_andn2_b64 vcc, exec, s[0:1]
	s_cbranch_vccnz .LBB7_2013
; %bb.2012:
	v_cndmask_b32_e64 v1, 0, 1.0, s[6:7]
	global_store_dword v[3:4], v1, off
.LBB7_2013:
	s_mov_b64 s[0:1], 0
.LBB7_2014:
	s_andn2_b64 vcc, exec, s[0:1]
	s_cbranch_vccnz .LBB7_2016
; %bb.2015:
	v_cndmask_b32_e64 v1, 0, 1.0, s[6:7]
	v_cvt_f16_f32_e32 v1, v1
	global_store_short v[3:4], v1, off
.LBB7_2016:
	s_mov_b64 s[0:1], 0
.LBB7_2017:
	s_andn2_b64 vcc, exec, s[0:1]
	s_cbranch_vccnz .LBB7_2033
; %bb.2018:
	s_cmp_lt_i32 s20, 2
	s_mov_b64 s[0:1], -1
	s_cbranch_scc1 .LBB7_2028
; %bb.2019:
	s_cmp_lt_i32 s20, 3
	s_cbranch_scc1 .LBB7_2025
; %bb.2020:
	s_cmp_gt_i32 s20, 3
	s_cbranch_scc0 .LBB7_2022
; %bb.2021:
	s_mov_b32 s0, 0
	v_cndmask_b32_e64 v5, 0, 1, s[6:7]
	v_mov_b32_e32 v6, s0
	global_store_dwordx2 v[3:4], v[5:6], off
	s_mov_b64 s[0:1], 0
.LBB7_2022:
	s_andn2_b64 vcc, exec, s[0:1]
	s_cbranch_vccnz .LBB7_2024
; %bb.2023:
	v_cndmask_b32_e64 v1, 0, 1, s[6:7]
	global_store_dword v[3:4], v1, off
.LBB7_2024:
	s_mov_b64 s[0:1], 0
.LBB7_2025:
	s_andn2_b64 vcc, exec, s[0:1]
	s_cbranch_vccnz .LBB7_2027
; %bb.2026:
	v_cndmask_b32_e64 v1, 0, 1, s[6:7]
	global_store_short v[3:4], v1, off
.LBB7_2027:
	s_mov_b64 s[0:1], 0
.LBB7_2028:
	s_andn2_b64 vcc, exec, s[0:1]
	s_cbranch_vccnz .LBB7_2033
; %bb.2029:
	s_mov_b64 s[0:1], -1
	s_cmp_gt_i32 s20, 0
	v_cndmask_b32_e64 v1, 0, 1, s[6:7]
	s_cbranch_scc0 .LBB7_2031
; %bb.2030:
	global_store_byte v[3:4], v1, off
	s_mov_b64 s[0:1], 0
.LBB7_2031:
	s_andn2_b64 vcc, exec, s[0:1]
	s_cbranch_vccnz .LBB7_2033
; %bb.2032:
	global_store_byte v[3:4], v1, off
.LBB7_2033:
	s_mov_b64 s[14:15], -1
.LBB7_2034:
	s_andn2_b64 vcc, exec, s[14:15]
	s_cbranch_vccnz .LBB7_2230
; %bb.2035:
	v_mov_b32_e32 v3, s9
	v_add_co_u32_e32 v1, vcc, s8, v2
	s_cmp_lt_i32 s20, 11
	v_addc_co_u32_e32 v2, vcc, 0, v3, vcc
	s_cbranch_scc1 .LBB7_2113
; %bb.2036:
	s_mov_b64 s[14:15], -1
	s_mov_b64 s[4:5], 0
	s_cmp_gt_i32 s20, 25
	s_mov_b64 s[6:7], 0
	s_mov_b64 s[0:1], 0
	s_cbranch_scc0 .LBB7_2069
; %bb.2037:
	s_cmp_gt_i32 s20, 28
	s_cbranch_scc0 .LBB7_2052
; %bb.2038:
	s_cmp_gt_i32 s20, 43
	;; [unrolled: 3-line block ×3, first 2 shown]
	s_cbranch_scc0 .LBB7_2042
; %bb.2040:
	s_mov_b64 s[0:1], -1
	s_mov_b64 s[14:15], 0
	s_cmp_eq_u32 s20, 46
	s_cbranch_scc0 .LBB7_2042
; %bb.2041:
	v_cndmask_b32_e64 v3, 0, 1.0, s[12:13]
	v_bfe_u32 v4, v3, 16, 1
	s_movk_i32 s0, 0x7fff
	v_add3_u32 v3, v3, v4, s0
	v_lshrrev_b32_e32 v3, 16, v3
	global_store_dword v[1:2], v3, off
	s_mov_b64 s[0:1], 0
	s_mov_b64 s[6:7], -1
.LBB7_2042:
	s_and_b64 vcc, exec, s[14:15]
	s_cbranch_vccz .LBB7_2047
; %bb.2043:
	s_cmp_eq_u32 s20, 44
	s_mov_b64 s[0:1], -1
	s_cbranch_scc0 .LBB7_2047
; %bb.2044:
	v_cndmask_b32_e64 v4, 0, 1.0, s[12:13]
	v_lshrrev_b32_e32 v3, 23, v4
	s_movk_i32 s0, 0xff
	v_cmp_ne_u32_e32 vcc, s0, v3
	v_mov_b32_e32 v5, 0xff
	s_and_saveexec_b64 s[6:7], vcc
; %bb.2045:
	s_mov_b32 s0, 0x3fffff
	v_and_b32_e32 v5, 0x400000, v4
	v_and_or_b32 v4, v4, s0, v3
	v_cmp_ne_u32_e32 vcc, 0, v5
	v_cmp_ne_u32_e64 s[0:1], 0, v4
	s_and_b64 s[0:1], vcc, s[0:1]
	v_cndmask_b32_e64 v4, 0, 1, s[0:1]
	v_add_u32_e32 v5, v3, v4
; %bb.2046:
	s_or_b64 exec, exec, s[6:7]
	s_mov_b64 s[0:1], 0
	s_mov_b64 s[6:7], -1
	global_store_byte v[1:2], v5, off
.LBB7_2047:
	s_mov_b64 s[14:15], 0
.LBB7_2048:
	s_and_b64 vcc, exec, s[14:15]
	s_cbranch_vccz .LBB7_2051
; %bb.2049:
	s_cmp_eq_u32 s20, 29
	s_mov_b64 s[0:1], -1
	s_cbranch_scc0 .LBB7_2051
; %bb.2050:
	s_mov_b32 s0, 0
	v_cndmask_b32_e64 v3, 0, 1, s[12:13]
	v_mov_b32_e32 v4, s0
	global_store_dwordx2 v[1:2], v[3:4], off
	s_mov_b64 s[0:1], 0
	s_mov_b64 s[6:7], -1
.LBB7_2051:
	s_mov_b64 s[14:15], 0
.LBB7_2052:
	s_and_b64 vcc, exec, s[14:15]
	s_cbranch_vccz .LBB7_2068
; %bb.2053:
	s_cmp_lt_i32 s20, 27
	s_mov_b64 s[6:7], -1
	s_cbranch_scc1 .LBB7_2059
; %bb.2054:
	s_cmp_gt_i32 s20, 27
	s_cbranch_scc0 .LBB7_2056
; %bb.2055:
	v_cndmask_b32_e64 v3, 0, 1, s[12:13]
	s_mov_b64 s[6:7], 0
	global_store_dword v[1:2], v3, off
.LBB7_2056:
	s_andn2_b64 vcc, exec, s[6:7]
	s_cbranch_vccnz .LBB7_2058
; %bb.2057:
	v_cndmask_b32_e64 v3, 0, 1, s[12:13]
	global_store_short v[1:2], v3, off
.LBB7_2058:
	s_mov_b64 s[6:7], 0
.LBB7_2059:
	s_andn2_b64 vcc, exec, s[6:7]
	s_cbranch_vccnz .LBB7_2067
; %bb.2060:
	v_cndmask_b32_e64 v4, 0, 1.0, s[12:13]
	s_mov_b32 s6, 0x43800000
	v_cmp_gt_u32_e32 vcc, s6, v4
	v_mov_b32_e32 v5, 0x80
	s_and_saveexec_b64 s[6:7], vcc
	s_cbranch_execz .LBB7_2066
; %bb.2061:
	s_mov_b32 s14, 0x3bffffff
	v_cmp_lt_u32_e32 vcc, s14, v4
	s_mov_b64 s[14:15], 0
                                        ; implicit-def: $vgpr3
	s_and_saveexec_b64 s[16:17], vcc
	s_xor_b64 s[16:17], exec, s[16:17]
	s_cbranch_execz .LBB7_2243
; %bb.2062:
	v_bfe_u32 v3, v4, 20, 1
	s_mov_b32 s18, 0x487ffff
	v_add3_u32 v3, v4, v3, s18
	s_mov_b64 s[14:15], exec
	v_lshrrev_b32_e32 v3, 20, v3
                                        ; implicit-def: $vgpr4
	s_andn2_saveexec_b64 s[16:17], s[16:17]
	s_cbranch_execnz .LBB7_2244
.LBB7_2063:
	s_or_b64 exec, exec, s[16:17]
	v_mov_b32_e32 v5, 0
	s_and_saveexec_b64 s[16:17], s[14:15]
.LBB7_2064:
	v_mov_b32_e32 v5, v3
.LBB7_2065:
	s_or_b64 exec, exec, s[16:17]
.LBB7_2066:
	s_or_b64 exec, exec, s[6:7]
	global_store_byte v[1:2], v5, off
.LBB7_2067:
	s_mov_b64 s[6:7], -1
.LBB7_2068:
	s_mov_b64 s[14:15], 0
.LBB7_2069:
	s_and_b64 vcc, exec, s[14:15]
	s_cbranch_vccz .LBB7_2109
; %bb.2070:
	s_cmp_gt_i32 s20, 22
	s_mov_b64 s[4:5], -1
	s_cbranch_scc0 .LBB7_2102
; %bb.2071:
	s_cmp_lt_i32 s20, 24
	s_cbranch_scc1 .LBB7_2091
; %bb.2072:
	s_cmp_gt_i32 s20, 24
	s_cbranch_scc0 .LBB7_2080
; %bb.2073:
	v_cndmask_b32_e64 v4, 0, 1.0, s[12:13]
	s_mov_b32 s4, 0x47800000
	v_cmp_gt_u32_e32 vcc, s4, v4
	v_mov_b32_e32 v5, 0x80
	s_and_saveexec_b64 s[4:5], vcc
	s_cbranch_execz .LBB7_2079
; %bb.2074:
	s_mov_b32 s6, 0x37ffffff
	v_cmp_lt_u32_e32 vcc, s6, v4
	s_mov_b64 s[6:7], 0
                                        ; implicit-def: $vgpr3
	s_and_saveexec_b64 s[14:15], vcc
	s_xor_b64 s[14:15], exec, s[14:15]
	s_cbranch_execz .LBB7_2246
; %bb.2075:
	v_bfe_u32 v3, v4, 21, 1
	s_mov_b32 s16, 0x88fffff
	v_add3_u32 v3, v4, v3, s16
	s_mov_b64 s[6:7], exec
	v_lshrrev_b32_e32 v3, 21, v3
                                        ; implicit-def: $vgpr4
	s_andn2_saveexec_b64 s[14:15], s[14:15]
	s_cbranch_execnz .LBB7_2247
.LBB7_2076:
	s_or_b64 exec, exec, s[14:15]
	v_mov_b32_e32 v5, 0
	s_and_saveexec_b64 s[14:15], s[6:7]
.LBB7_2077:
	v_mov_b32_e32 v5, v3
.LBB7_2078:
	s_or_b64 exec, exec, s[14:15]
.LBB7_2079:
	s_or_b64 exec, exec, s[4:5]
	s_mov_b64 s[4:5], 0
	global_store_byte v[1:2], v5, off
.LBB7_2080:
	s_and_b64 vcc, exec, s[4:5]
	s_cbranch_vccz .LBB7_2090
; %bb.2081:
	v_cndmask_b32_e64 v3, 0, 1.0, s[12:13]
	s_mov_b32 s4, 0x43f00000
	v_cmp_gt_u32_e32 vcc, s4, v3
                                        ; implicit-def: $vgpr4
	s_and_saveexec_b64 s[4:5], vcc
	s_xor_b64 s[4:5], exec, s[4:5]
	s_cbranch_execz .LBB7_2087
; %bb.2082:
	s_mov_b32 s6, 0x3c7fffff
	v_cmp_lt_u32_e32 vcc, s6, v3
                                        ; implicit-def: $vgpr4
	s_and_saveexec_b64 s[6:7], vcc
	s_xor_b64 s[6:7], exec, s[6:7]
; %bb.2083:
	v_bfe_u32 v4, v3, 20, 1
	s_mov_b32 s14, 0x407ffff
	v_add3_u32 v3, v3, v4, s14
	v_lshrrev_b32_e32 v4, 20, v3
	v_and_b32_e32 v3, 0xff00000, v3
	s_mov_b32 s14, 0x7f00000
	v_mov_b32_e32 v5, 0x7e
	v_cmp_ne_u32_e32 vcc, s14, v3
	v_cndmask_b32_e32 v4, v5, v4, vcc
                                        ; implicit-def: $vgpr3
; %bb.2084:
	s_andn2_saveexec_b64 s[6:7], s[6:7]
; %bb.2085:
	v_add_f32_e32 v4, 0x46800000, v3
; %bb.2086:
	s_or_b64 exec, exec, s[6:7]
                                        ; implicit-def: $vgpr3
.LBB7_2087:
	s_andn2_saveexec_b64 s[4:5], s[4:5]
; %bb.2088:
	s_mov_b32 s6, 0x7f800000
	v_mov_b32_e32 v4, 0x7e
	v_mov_b32_e32 v5, 0x7f
	v_cmp_lt_u32_e32 vcc, s6, v3
	v_cndmask_b32_e32 v4, v4, v5, vcc
; %bb.2089:
	s_or_b64 exec, exec, s[4:5]
	global_store_byte v[1:2], v4, off
.LBB7_2090:
	s_mov_b64 s[4:5], 0
.LBB7_2091:
	s_andn2_b64 vcc, exec, s[4:5]
	s_cbranch_vccnz .LBB7_2101
; %bb.2092:
	v_cndmask_b32_e64 v3, 0, 1.0, s[12:13]
	s_mov_b32 s4, 0x47800000
	v_cmp_gt_u32_e32 vcc, s4, v3
                                        ; implicit-def: $vgpr4
	s_and_saveexec_b64 s[4:5], vcc
	s_xor_b64 s[4:5], exec, s[4:5]
	s_cbranch_execz .LBB7_2098
; %bb.2093:
	s_mov_b32 s6, 0x387fffff
	v_cmp_lt_u32_e32 vcc, s6, v3
                                        ; implicit-def: $vgpr4
	s_and_saveexec_b64 s[6:7], vcc
	s_xor_b64 s[6:7], exec, s[6:7]
; %bb.2094:
	v_bfe_u32 v4, v3, 21, 1
	s_mov_b32 s14, 0x80fffff
	v_add3_u32 v3, v3, v4, s14
	v_lshrrev_b32_e32 v4, 21, v3
                                        ; implicit-def: $vgpr3
; %bb.2095:
	s_andn2_saveexec_b64 s[6:7], s[6:7]
; %bb.2096:
	v_add_f32_e32 v4, 0x43000000, v3
; %bb.2097:
	s_or_b64 exec, exec, s[6:7]
                                        ; implicit-def: $vgpr3
.LBB7_2098:
	s_andn2_saveexec_b64 s[4:5], s[4:5]
; %bb.2099:
	s_mov_b32 s6, 0x7f800000
	v_mov_b32_e32 v4, 0x7c
	v_mov_b32_e32 v5, 0x7f
	v_cmp_lt_u32_e32 vcc, s6, v3
	v_cndmask_b32_e32 v4, v4, v5, vcc
; %bb.2100:
	s_or_b64 exec, exec, s[4:5]
	global_store_byte v[1:2], v4, off
.LBB7_2101:
	s_mov_b64 s[4:5], 0
	s_mov_b64 s[6:7], -1
.LBB7_2102:
	s_andn2_b64 vcc, exec, s[4:5]
	s_mov_b64 s[4:5], 0
	s_cbranch_vccnz .LBB7_2109
; %bb.2103:
	s_cmp_gt_i32 s20, 14
	s_mov_b64 s[14:15], -1
	s_cbranch_scc0 .LBB7_2107
; %bb.2104:
	s_cmp_eq_u32 s20, 15
	s_mov_b64 s[0:1], -1
	s_cbranch_scc0 .LBB7_2106
; %bb.2105:
	v_cndmask_b32_e64 v3, 0, 1.0, s[12:13]
	v_bfe_u32 v4, v3, 16, 1
	s_movk_i32 s0, 0x7fff
	v_add3_u32 v3, v3, v4, s0
	global_store_short_d16_hi v[1:2], v3, off
	s_mov_b64 s[0:1], 0
	s_mov_b64 s[6:7], -1
.LBB7_2106:
	s_mov_b64 s[14:15], 0
.LBB7_2107:
	s_and_b64 vcc, exec, s[14:15]
	s_cbranch_vccz .LBB7_2109
; %bb.2108:
	s_cmp_lg_u32 s20, 11
	s_mov_b64 s[4:5], -1
	s_cselect_b64 s[0:1], -1, 0
.LBB7_2109:
	s_and_b64 vcc, exec, s[0:1]
	s_cbranch_vccnz .LBB7_2245
; %bb.2110:
	s_andn2_b64 vcc, exec, s[4:5]
	s_cbranch_vccnz .LBB7_2112
.LBB7_2111:
	v_cndmask_b32_e64 v3, 0, 1, s[12:13]
	s_mov_b64 s[6:7], -1
	global_store_byte v[1:2], v3, off
.LBB7_2112:
	s_mov_b64 s[0:1], 0
	s_branch .LBB7_2114
.LBB7_2113:
	s_mov_b64 s[0:1], -1
	s_mov_b64 s[6:7], 0
.LBB7_2114:
	s_and_b64 vcc, exec, s[0:1]
	s_cbranch_vccz .LBB7_2153
; %bb.2115:
	s_cmp_lt_i32 s20, 5
	s_mov_b64 s[0:1], -1
	s_cbranch_scc1 .LBB7_2136
; %bb.2116:
	s_cmp_lt_i32 s20, 8
	s_cbranch_scc1 .LBB7_2126
; %bb.2117:
	s_cmp_lt_i32 s20, 9
	s_cbranch_scc1 .LBB7_2123
; %bb.2118:
	s_cmp_gt_i32 s20, 9
	s_cbranch_scc0 .LBB7_2120
; %bb.2119:
	v_cndmask_b32_e64 v3, 0, 1, s[12:13]
	v_cvt_f64_u32_e32 v[3:4], v3
	v_mov_b32_e32 v5, 0
	v_mov_b32_e32 v6, v5
	s_mov_b64 s[0:1], 0
	global_store_dwordx4 v[1:2], v[3:6], off
.LBB7_2120:
	s_andn2_b64 vcc, exec, s[0:1]
	s_cbranch_vccnz .LBB7_2122
; %bb.2121:
	v_cndmask_b32_e64 v3, 0, 1.0, s[12:13]
	v_mov_b32_e32 v4, 0
	global_store_dwordx2 v[1:2], v[3:4], off
.LBB7_2122:
	s_mov_b64 s[0:1], 0
.LBB7_2123:
	s_andn2_b64 vcc, exec, s[0:1]
	s_cbranch_vccnz .LBB7_2125
; %bb.2124:
	v_cndmask_b32_e64 v3, 0, 1.0, s[12:13]
	v_cvt_f16_f32_e32 v3, v3
	global_store_dword v[1:2], v3, off
.LBB7_2125:
	s_mov_b64 s[0:1], 0
.LBB7_2126:
	s_andn2_b64 vcc, exec, s[0:1]
	s_cbranch_vccnz .LBB7_2135
; %bb.2127:
	s_cmp_lt_i32 s20, 6
	s_mov_b64 s[0:1], -1
	s_cbranch_scc1 .LBB7_2133
; %bb.2128:
	s_cmp_gt_i32 s20, 6
	s_cbranch_scc0 .LBB7_2130
; %bb.2129:
	v_cndmask_b32_e64 v3, 0, 1, s[12:13]
	v_cvt_f64_u32_e32 v[3:4], v3
	s_mov_b64 s[0:1], 0
	global_store_dwordx2 v[1:2], v[3:4], off
.LBB7_2130:
	s_andn2_b64 vcc, exec, s[0:1]
	s_cbranch_vccnz .LBB7_2132
; %bb.2131:
	v_cndmask_b32_e64 v3, 0, 1.0, s[12:13]
	global_store_dword v[1:2], v3, off
.LBB7_2132:
	s_mov_b64 s[0:1], 0
.LBB7_2133:
	s_andn2_b64 vcc, exec, s[0:1]
	s_cbranch_vccnz .LBB7_2135
; %bb.2134:
	v_cndmask_b32_e64 v3, 0, 1.0, s[12:13]
	v_cvt_f16_f32_e32 v3, v3
	global_store_short v[1:2], v3, off
.LBB7_2135:
	s_mov_b64 s[0:1], 0
.LBB7_2136:
	s_andn2_b64 vcc, exec, s[0:1]
	s_cbranch_vccnz .LBB7_2152
; %bb.2137:
	s_cmp_lt_i32 s20, 2
	s_mov_b64 s[0:1], -1
	s_cbranch_scc1 .LBB7_2147
; %bb.2138:
	s_cmp_lt_i32 s20, 3
	s_cbranch_scc1 .LBB7_2144
; %bb.2139:
	s_cmp_gt_i32 s20, 3
	s_cbranch_scc0 .LBB7_2141
; %bb.2140:
	s_mov_b32 s0, 0
	v_cndmask_b32_e64 v3, 0, 1, s[12:13]
	v_mov_b32_e32 v4, s0
	global_store_dwordx2 v[1:2], v[3:4], off
	s_mov_b64 s[0:1], 0
.LBB7_2141:
	s_andn2_b64 vcc, exec, s[0:1]
	s_cbranch_vccnz .LBB7_2143
; %bb.2142:
	v_cndmask_b32_e64 v3, 0, 1, s[12:13]
	global_store_dword v[1:2], v3, off
.LBB7_2143:
	s_mov_b64 s[0:1], 0
.LBB7_2144:
	s_andn2_b64 vcc, exec, s[0:1]
	s_cbranch_vccnz .LBB7_2146
; %bb.2145:
	v_cndmask_b32_e64 v3, 0, 1, s[12:13]
	global_store_short v[1:2], v3, off
.LBB7_2146:
	s_mov_b64 s[0:1], 0
.LBB7_2147:
	s_andn2_b64 vcc, exec, s[0:1]
	s_cbranch_vccnz .LBB7_2152
; %bb.2148:
	s_cmp_gt_i32 s20, 0
	s_mov_b64 s[0:1], -1
	s_cbranch_scc0 .LBB7_2150
; %bb.2149:
	v_cndmask_b32_e64 v3, 0, 1, s[12:13]
	global_store_byte v[1:2], v3, off
	s_mov_b64 s[0:1], 0
.LBB7_2150:
	s_andn2_b64 vcc, exec, s[0:1]
	s_cbranch_vccnz .LBB7_2152
; %bb.2151:
	v_cndmask_b32_e64 v3, 0, 1, s[12:13]
	global_store_byte v[1:2], v3, off
.LBB7_2152:
	s_mov_b64 s[6:7], -1
.LBB7_2153:
	s_andn2_b64 vcc, exec, s[6:7]
	s_cbranch_vccnz .LBB7_2230
; %bb.2154:
	v_mov_b32_e32 v1, s9
	v_add_co_u32_e32 v0, vcc, s8, v0
	s_cmp_lt_i32 s20, 11
	v_addc_co_u32_e32 v1, vcc, 0, v1, vcc
	s_cbranch_scc1 .LBB7_2231
; %bb.2155:
	s_mov_b64 s[6:7], -1
	s_mov_b64 s[4:5], 0
	s_cmp_gt_i32 s20, 25
	s_mov_b64 s[0:1], 0
	s_cbranch_scc0 .LBB7_2188
; %bb.2156:
	s_cmp_gt_i32 s20, 28
	s_cbranch_scc0 .LBB7_2172
; %bb.2157:
	s_cmp_gt_i32 s20, 43
	s_cbranch_scc0 .LBB7_2168
; %bb.2158:
	s_cmp_gt_i32 s20, 45
	s_cbranch_scc0 .LBB7_2162
; %bb.2159:
	s_cmp_eq_u32 s20, 46
	s_mov_b64 s[0:1], -1
	s_cbranch_scc0 .LBB7_2161
; %bb.2160:
	v_cndmask_b32_e64 v2, 0, 1.0, s[10:11]
	v_bfe_u32 v3, v2, 16, 1
	s_movk_i32 s0, 0x7fff
	v_add3_u32 v2, v2, v3, s0
	v_lshrrev_b32_e32 v2, 16, v2
	global_store_dword v[0:1], v2, off
	s_mov_b64 s[0:1], 0
.LBB7_2161:
	s_mov_b64 s[6:7], 0
.LBB7_2162:
	s_and_b64 vcc, exec, s[6:7]
	s_cbranch_vccz .LBB7_2167
; %bb.2163:
	s_cmp_eq_u32 s20, 44
	s_mov_b64 s[0:1], -1
	s_cbranch_scc0 .LBB7_2167
; %bb.2164:
	v_cndmask_b32_e64 v3, 0, 1.0, s[10:11]
	v_lshrrev_b32_e32 v2, 23, v3
	s_movk_i32 s0, 0xff
	v_cmp_ne_u32_e32 vcc, s0, v2
	v_mov_b32_e32 v4, 0xff
	s_and_saveexec_b64 s[6:7], vcc
; %bb.2165:
	s_mov_b32 s0, 0x3fffff
	v_and_b32_e32 v4, 0x400000, v3
	v_and_or_b32 v3, v3, s0, v2
	v_cmp_ne_u32_e32 vcc, 0, v4
	v_cmp_ne_u32_e64 s[0:1], 0, v3
	s_and_b64 s[0:1], vcc, s[0:1]
	v_cndmask_b32_e64 v3, 0, 1, s[0:1]
	v_add_u32_e32 v4, v2, v3
; %bb.2166:
	s_or_b64 exec, exec, s[6:7]
	s_mov_b64 s[0:1], 0
	global_store_byte v[0:1], v4, off
.LBB7_2167:
	s_mov_b64 s[6:7], 0
.LBB7_2168:
	s_and_b64 vcc, exec, s[6:7]
	s_cbranch_vccz .LBB7_2171
; %bb.2169:
	s_cmp_eq_u32 s20, 29
	s_mov_b64 s[0:1], -1
	s_cbranch_scc0 .LBB7_2171
; %bb.2170:
	s_mov_b32 s0, 0
	v_cndmask_b32_e64 v2, 0, 1, s[10:11]
	v_mov_b32_e32 v3, s0
	global_store_dwordx2 v[0:1], v[2:3], off
	s_mov_b64 s[0:1], 0
.LBB7_2171:
	s_mov_b64 s[6:7], 0
.LBB7_2172:
	s_and_b64 vcc, exec, s[6:7]
	s_cbranch_vccz .LBB7_2187
; %bb.2173:
	s_cmp_lt_i32 s20, 27
	s_mov_b64 s[6:7], -1
	s_cbranch_scc1 .LBB7_2179
; %bb.2174:
	s_cmp_gt_i32 s20, 27
	s_cbranch_scc0 .LBB7_2176
; %bb.2175:
	v_cndmask_b32_e64 v2, 0, 1, s[10:11]
	global_store_dword v[0:1], v2, off
	s_mov_b64 s[6:7], 0
.LBB7_2176:
	s_andn2_b64 vcc, exec, s[6:7]
	s_cbranch_vccnz .LBB7_2178
; %bb.2177:
	v_cndmask_b32_e64 v2, 0, 1, s[10:11]
	global_store_short v[0:1], v2, off
.LBB7_2178:
	s_mov_b64 s[6:7], 0
.LBB7_2179:
	s_andn2_b64 vcc, exec, s[6:7]
	s_cbranch_vccnz .LBB7_2187
; %bb.2180:
	v_cndmask_b32_e64 v3, 0, 1.0, s[10:11]
	s_mov_b32 s6, 0x43800000
	v_cmp_gt_u32_e32 vcc, s6, v3
	v_mov_b32_e32 v4, 0x80
	s_and_saveexec_b64 s[6:7], vcc
	s_cbranch_execz .LBB7_2186
; %bb.2181:
	s_mov_b32 s8, 0x3bffffff
	v_cmp_lt_u32_e32 vcc, s8, v3
	s_mov_b64 s[8:9], 0
                                        ; implicit-def: $vgpr2
	s_and_saveexec_b64 s[12:13], vcc
	s_xor_b64 s[12:13], exec, s[12:13]
	s_cbranch_execz .LBB7_2248
; %bb.2182:
	v_bfe_u32 v2, v3, 20, 1
	s_mov_b32 s14, 0x487ffff
	v_add3_u32 v2, v3, v2, s14
	s_mov_b64 s[8:9], exec
	v_lshrrev_b32_e32 v2, 20, v2
                                        ; implicit-def: $vgpr3
	s_andn2_saveexec_b64 s[12:13], s[12:13]
	s_cbranch_execnz .LBB7_2249
.LBB7_2183:
	s_or_b64 exec, exec, s[12:13]
	v_mov_b32_e32 v4, 0
	s_and_saveexec_b64 s[12:13], s[8:9]
.LBB7_2184:
	v_mov_b32_e32 v4, v2
.LBB7_2185:
	s_or_b64 exec, exec, s[12:13]
.LBB7_2186:
	s_or_b64 exec, exec, s[6:7]
	global_store_byte v[0:1], v4, off
.LBB7_2187:
	s_mov_b64 s[6:7], 0
.LBB7_2188:
	s_and_b64 vcc, exec, s[6:7]
	s_cbranch_vccz .LBB7_2228
; %bb.2189:
	s_cmp_gt_i32 s20, 22
	s_mov_b64 s[4:5], -1
	s_cbranch_scc0 .LBB7_2221
; %bb.2190:
	s_cmp_lt_i32 s20, 24
	s_cbranch_scc1 .LBB7_2210
; %bb.2191:
	s_cmp_gt_i32 s20, 24
	s_cbranch_scc0 .LBB7_2199
; %bb.2192:
	v_cndmask_b32_e64 v3, 0, 1.0, s[10:11]
	s_mov_b32 s4, 0x47800000
	v_cmp_gt_u32_e32 vcc, s4, v3
	v_mov_b32_e32 v4, 0x80
	s_and_saveexec_b64 s[4:5], vcc
	s_cbranch_execz .LBB7_2198
; %bb.2193:
	s_mov_b32 s6, 0x37ffffff
	v_cmp_lt_u32_e32 vcc, s6, v3
	s_mov_b64 s[6:7], 0
                                        ; implicit-def: $vgpr2
	s_and_saveexec_b64 s[8:9], vcc
	s_xor_b64 s[8:9], exec, s[8:9]
	s_cbranch_execz .LBB7_2251
; %bb.2194:
	v_bfe_u32 v2, v3, 21, 1
	s_mov_b32 s12, 0x88fffff
	v_add3_u32 v2, v3, v2, s12
	s_mov_b64 s[6:7], exec
	v_lshrrev_b32_e32 v2, 21, v2
                                        ; implicit-def: $vgpr3
	s_andn2_saveexec_b64 s[8:9], s[8:9]
	s_cbranch_execnz .LBB7_2252
.LBB7_2195:
	s_or_b64 exec, exec, s[8:9]
	v_mov_b32_e32 v4, 0
	s_and_saveexec_b64 s[8:9], s[6:7]
.LBB7_2196:
	v_mov_b32_e32 v4, v2
.LBB7_2197:
	s_or_b64 exec, exec, s[8:9]
.LBB7_2198:
	s_or_b64 exec, exec, s[4:5]
	s_mov_b64 s[4:5], 0
	global_store_byte v[0:1], v4, off
.LBB7_2199:
	s_and_b64 vcc, exec, s[4:5]
	s_cbranch_vccz .LBB7_2209
; %bb.2200:
	v_cndmask_b32_e64 v2, 0, 1.0, s[10:11]
	s_mov_b32 s4, 0x43f00000
	v_cmp_gt_u32_e32 vcc, s4, v2
                                        ; implicit-def: $vgpr3
	s_and_saveexec_b64 s[4:5], vcc
	s_xor_b64 s[4:5], exec, s[4:5]
	s_cbranch_execz .LBB7_2206
; %bb.2201:
	s_mov_b32 s6, 0x3c7fffff
	v_cmp_lt_u32_e32 vcc, s6, v2
                                        ; implicit-def: $vgpr3
	s_and_saveexec_b64 s[6:7], vcc
	s_xor_b64 s[6:7], exec, s[6:7]
; %bb.2202:
	v_bfe_u32 v3, v2, 20, 1
	s_mov_b32 s8, 0x407ffff
	v_add3_u32 v2, v2, v3, s8
	v_lshrrev_b32_e32 v3, 20, v2
	v_and_b32_e32 v2, 0xff00000, v2
	s_mov_b32 s8, 0x7f00000
	v_mov_b32_e32 v4, 0x7e
	v_cmp_ne_u32_e32 vcc, s8, v2
	v_cndmask_b32_e32 v3, v4, v3, vcc
                                        ; implicit-def: $vgpr2
; %bb.2203:
	s_andn2_saveexec_b64 s[6:7], s[6:7]
; %bb.2204:
	v_add_f32_e32 v3, 0x46800000, v2
; %bb.2205:
	s_or_b64 exec, exec, s[6:7]
                                        ; implicit-def: $vgpr2
.LBB7_2206:
	s_andn2_saveexec_b64 s[4:5], s[4:5]
; %bb.2207:
	s_mov_b32 s6, 0x7f800000
	v_mov_b32_e32 v3, 0x7e
	v_mov_b32_e32 v4, 0x7f
	v_cmp_lt_u32_e32 vcc, s6, v2
	v_cndmask_b32_e32 v3, v3, v4, vcc
; %bb.2208:
	s_or_b64 exec, exec, s[4:5]
	global_store_byte v[0:1], v3, off
.LBB7_2209:
	s_mov_b64 s[4:5], 0
.LBB7_2210:
	s_andn2_b64 vcc, exec, s[4:5]
	s_cbranch_vccnz .LBB7_2220
; %bb.2211:
	v_cndmask_b32_e64 v2, 0, 1.0, s[10:11]
	s_mov_b32 s4, 0x47800000
	v_cmp_gt_u32_e32 vcc, s4, v2
                                        ; implicit-def: $vgpr3
	s_and_saveexec_b64 s[4:5], vcc
	s_xor_b64 s[4:5], exec, s[4:5]
	s_cbranch_execz .LBB7_2217
; %bb.2212:
	s_mov_b32 s6, 0x387fffff
	v_cmp_lt_u32_e32 vcc, s6, v2
                                        ; implicit-def: $vgpr3
	s_and_saveexec_b64 s[6:7], vcc
	s_xor_b64 s[6:7], exec, s[6:7]
; %bb.2213:
	v_bfe_u32 v3, v2, 21, 1
	s_mov_b32 s8, 0x80fffff
	v_add3_u32 v2, v2, v3, s8
	v_lshrrev_b32_e32 v3, 21, v2
                                        ; implicit-def: $vgpr2
; %bb.2214:
	s_andn2_saveexec_b64 s[6:7], s[6:7]
; %bb.2215:
	v_add_f32_e32 v3, 0x43000000, v2
; %bb.2216:
	s_or_b64 exec, exec, s[6:7]
                                        ; implicit-def: $vgpr2
.LBB7_2217:
	s_andn2_saveexec_b64 s[4:5], s[4:5]
; %bb.2218:
	s_mov_b32 s6, 0x7f800000
	v_mov_b32_e32 v3, 0x7c
	v_mov_b32_e32 v4, 0x7f
	v_cmp_lt_u32_e32 vcc, s6, v2
	v_cndmask_b32_e32 v3, v3, v4, vcc
; %bb.2219:
	s_or_b64 exec, exec, s[4:5]
	global_store_byte v[0:1], v3, off
.LBB7_2220:
	s_mov_b64 s[4:5], 0
.LBB7_2221:
	s_andn2_b64 vcc, exec, s[4:5]
	s_mov_b64 s[4:5], 0
	s_cbranch_vccnz .LBB7_2228
; %bb.2222:
	s_cmp_gt_i32 s20, 14
	s_mov_b64 s[6:7], -1
	s_cbranch_scc0 .LBB7_2226
; %bb.2223:
	s_cmp_eq_u32 s20, 15
	s_mov_b64 s[0:1], -1
	s_cbranch_scc0 .LBB7_2225
; %bb.2224:
	v_cndmask_b32_e64 v2, 0, 1.0, s[10:11]
	v_bfe_u32 v3, v2, 16, 1
	s_movk_i32 s0, 0x7fff
	v_add3_u32 v2, v2, v3, s0
	global_store_short_d16_hi v[0:1], v2, off
	s_mov_b64 s[0:1], 0
.LBB7_2225:
	s_mov_b64 s[6:7], 0
.LBB7_2226:
	s_and_b64 vcc, exec, s[6:7]
	s_cbranch_vccz .LBB7_2228
; %bb.2227:
	s_cmp_lg_u32 s20, 11
	s_mov_b64 s[4:5], -1
	s_cselect_b64 s[0:1], -1, 0
.LBB7_2228:
	s_and_b64 vcc, exec, s[0:1]
	s_cbranch_vccnz .LBB7_2250
.LBB7_2229:
	s_mov_b64 s[0:1], 0
	s_branch .LBB7_1740
.LBB7_2230:
	s_mov_b64 s[0:1], 0
	s_branch .LBB7_1739
.LBB7_2231:
	s_mov_b64 s[4:5], 0
	s_mov_b64 s[0:1], -1
	s_branch .LBB7_1740
.LBB7_2232:
	s_trap 2
	s_or_b64 s[2:3], s[2:3], exec
	s_cbranch_execz .LBB7_1682
	s_branch .LBB7_1683
.LBB7_2233:
	s_andn2_saveexec_b64 s[20:21], s[20:21]
	s_cbranch_execz .LBB7_1823
.LBB7_2234:
	v_add_f32_e32 v1, 0x46000000, v3
	v_and_b32_e32 v1, 0xff, v1
	v_cmp_ne_u32_e32 vcc, 0, v1
	s_andn2_b64 s[18:19], s[18:19], exec
	s_and_b64 s[24:25], vcc, exec
	s_or_b64 s[18:19], s[18:19], s[24:25]
	s_or_b64 exec, exec, s[20:21]
	v_mov_b32_e32 v7, 0
	s_and_saveexec_b64 s[20:21], s[18:19]
	s_cbranch_execnz .LBB7_1824
	s_branch .LBB7_1825
.LBB7_2235:
	s_trap 2
	s_or_b64 s[2:3], s[2:3], exec
	s_cbranch_execz .LBB7_1871
	s_branch .LBB7_1872
.LBB7_2236:
	s_andn2_saveexec_b64 s[18:19], s[18:19]
	s_cbranch_execz .LBB7_1836
.LBB7_2237:
	v_add_f32_e32 v1, 0x42800000, v3
	v_and_b32_e32 v1, 0xff, v1
	v_cmp_ne_u32_e32 vcc, 0, v1
	s_andn2_b64 s[16:17], s[16:17], exec
	s_and_b64 s[20:21], vcc, exec
	s_or_b64 s[16:17], s[16:17], s[20:21]
	s_or_b64 exec, exec, s[18:19]
	v_mov_b32_e32 v7, 0
	s_and_saveexec_b64 s[18:19], s[16:17]
	s_cbranch_execnz .LBB7_1837
	s_branch .LBB7_1838
.LBB7_2238:
	s_andn2_saveexec_b64 s[18:19], s[18:19]
	s_cbranch_execz .LBB7_1944
.LBB7_2239:
	v_add_f32_e32 v1, 0x46000000, v5
	v_and_b32_e32 v1, 0xff, v1
	v_cmp_ne_u32_e32 vcc, 0, v1
	s_andn2_b64 s[16:17], s[16:17], exec
	s_and_b64 s[24:25], vcc, exec
	s_or_b64 s[16:17], s[16:17], s[24:25]
	s_or_b64 exec, exec, s[18:19]
	v_mov_b32_e32 v6, 0
	s_and_saveexec_b64 s[18:19], s[16:17]
	s_cbranch_execnz .LBB7_1945
	s_branch .LBB7_1946
.LBB7_2240:
	s_trap 2
	s_or_b64 s[2:3], s[2:3], exec
	s_cbranch_execz .LBB7_1992
	s_branch .LBB7_1993
.LBB7_2241:
	s_andn2_saveexec_b64 s[16:17], s[16:17]
	s_cbranch_execz .LBB7_1957
.LBB7_2242:
	v_add_f32_e32 v1, 0x42800000, v5
	v_and_b32_e32 v1, 0xff, v1
	v_cmp_ne_u32_e32 vcc, 0, v1
	s_andn2_b64 s[14:15], s[14:15], exec
	s_and_b64 s[18:19], vcc, exec
	s_or_b64 s[14:15], s[14:15], s[18:19]
	s_or_b64 exec, exec, s[16:17]
	v_mov_b32_e32 v6, 0
	s_and_saveexec_b64 s[16:17], s[14:15]
	s_cbranch_execnz .LBB7_1958
	s_branch .LBB7_1959
.LBB7_2243:
	s_andn2_saveexec_b64 s[16:17], s[16:17]
	s_cbranch_execz .LBB7_2063
.LBB7_2244:
	v_add_f32_e32 v3, 0x46000000, v4
	v_and_b32_e32 v3, 0xff, v3
	v_cmp_ne_u32_e32 vcc, 0, v3
	s_andn2_b64 s[14:15], s[14:15], exec
	s_and_b64 s[18:19], vcc, exec
	s_or_b64 s[14:15], s[14:15], s[18:19]
	s_or_b64 exec, exec, s[16:17]
	v_mov_b32_e32 v5, 0
	s_and_saveexec_b64 s[16:17], s[14:15]
	s_cbranch_execnz .LBB7_2064
	s_branch .LBB7_2065
.LBB7_2245:
	s_trap 2
	s_or_b64 s[2:3], s[2:3], exec
	s_cbranch_execz .LBB7_2111
	s_branch .LBB7_2112
.LBB7_2246:
	s_andn2_saveexec_b64 s[14:15], s[14:15]
	s_cbranch_execz .LBB7_2076
.LBB7_2247:
	v_add_f32_e32 v3, 0x42800000, v4
	v_and_b32_e32 v3, 0xff, v3
	v_cmp_ne_u32_e32 vcc, 0, v3
	s_andn2_b64 s[6:7], s[6:7], exec
	s_and_b64 s[16:17], vcc, exec
	s_or_b64 s[6:7], s[6:7], s[16:17]
	s_or_b64 exec, exec, s[14:15]
	v_mov_b32_e32 v5, 0
	s_and_saveexec_b64 s[14:15], s[6:7]
	s_cbranch_execnz .LBB7_2077
	s_branch .LBB7_2078
.LBB7_2248:
	s_andn2_saveexec_b64 s[12:13], s[12:13]
	s_cbranch_execz .LBB7_2183
.LBB7_2249:
	v_add_f32_e32 v2, 0x46000000, v3
	v_and_b32_e32 v2, 0xff, v2
	v_cmp_ne_u32_e32 vcc, 0, v2
	s_andn2_b64 s[8:9], s[8:9], exec
	s_and_b64 s[14:15], vcc, exec
	s_or_b64 s[8:9], s[8:9], s[14:15]
	s_or_b64 exec, exec, s[12:13]
	v_mov_b32_e32 v4, 0
	s_and_saveexec_b64 s[12:13], s[8:9]
	s_cbranch_execnz .LBB7_2184
	s_branch .LBB7_2185
.LBB7_2250:
	s_mov_b64 s[4:5], 0
	s_or_b64 s[2:3], s[2:3], exec
	s_trap 2
	s_branch .LBB7_2229
.LBB7_2251:
	s_andn2_saveexec_b64 s[8:9], s[8:9]
	s_cbranch_execz .LBB7_2195
.LBB7_2252:
	v_add_f32_e32 v2, 0x42800000, v3
	v_and_b32_e32 v2, 0xff, v2
	v_cmp_ne_u32_e32 vcc, 0, v2
	s_andn2_b64 s[6:7], s[6:7], exec
	s_and_b64 s[12:13], vcc, exec
	s_or_b64 s[6:7], s[6:7], s[12:13]
	s_or_b64 exec, exec, s[8:9]
	v_mov_b32_e32 v4, 0
	s_and_saveexec_b64 s[8:9], s[6:7]
	s_cbranch_execnz .LBB7_2196
	s_branch .LBB7_2197
	.section	.rodata,"a",@progbits
	.p2align	6, 0x0
	.amdhsa_kernel _ZN2at6native32elementwise_kernel_manual_unrollILi128ELi4EZNS0_15gpu_kernel_implIZNS0_21compare_scalar_kernelIhEEvRNS_18TensorIteratorBaseENS0_12_GLOBAL__N_16OpTypeET_EUlhE_EEvS5_RKS8_EUlibE0_EEviT1_
		.amdhsa_group_segment_fixed_size 0
		.amdhsa_private_segment_fixed_size 0
		.amdhsa_kernarg_size 368
		.amdhsa_user_sgpr_count 6
		.amdhsa_user_sgpr_private_segment_buffer 1
		.amdhsa_user_sgpr_dispatch_ptr 0
		.amdhsa_user_sgpr_queue_ptr 0
		.amdhsa_user_sgpr_kernarg_segment_ptr 1
		.amdhsa_user_sgpr_dispatch_id 0
		.amdhsa_user_sgpr_flat_scratch_init 0
		.amdhsa_user_sgpr_private_segment_size 0
		.amdhsa_uses_dynamic_stack 0
		.amdhsa_system_sgpr_private_segment_wavefront_offset 0
		.amdhsa_system_sgpr_workgroup_id_x 1
		.amdhsa_system_sgpr_workgroup_id_y 0
		.amdhsa_system_sgpr_workgroup_id_z 0
		.amdhsa_system_sgpr_workgroup_info 0
		.amdhsa_system_vgpr_workitem_id 0
		.amdhsa_next_free_vgpr 18
		.amdhsa_next_free_sgpr 80
		.amdhsa_reserve_vcc 1
		.amdhsa_reserve_flat_scratch 0
		.amdhsa_float_round_mode_32 0
		.amdhsa_float_round_mode_16_64 0
		.amdhsa_float_denorm_mode_32 3
		.amdhsa_float_denorm_mode_16_64 3
		.amdhsa_dx10_clamp 1
		.amdhsa_ieee_mode 1
		.amdhsa_fp16_overflow 0
		.amdhsa_exception_fp_ieee_invalid_op 0
		.amdhsa_exception_fp_denorm_src 0
		.amdhsa_exception_fp_ieee_div_zero 0
		.amdhsa_exception_fp_ieee_overflow 0
		.amdhsa_exception_fp_ieee_underflow 0
		.amdhsa_exception_fp_ieee_inexact 0
		.amdhsa_exception_int_div_zero 0
	.end_amdhsa_kernel
	.section	.text._ZN2at6native32elementwise_kernel_manual_unrollILi128ELi4EZNS0_15gpu_kernel_implIZNS0_21compare_scalar_kernelIhEEvRNS_18TensorIteratorBaseENS0_12_GLOBAL__N_16OpTypeET_EUlhE_EEvS5_RKS8_EUlibE0_EEviT1_,"axG",@progbits,_ZN2at6native32elementwise_kernel_manual_unrollILi128ELi4EZNS0_15gpu_kernel_implIZNS0_21compare_scalar_kernelIhEEvRNS_18TensorIteratorBaseENS0_12_GLOBAL__N_16OpTypeET_EUlhE_EEvS5_RKS8_EUlibE0_EEviT1_,comdat
.Lfunc_end7:
	.size	_ZN2at6native32elementwise_kernel_manual_unrollILi128ELi4EZNS0_15gpu_kernel_implIZNS0_21compare_scalar_kernelIhEEvRNS_18TensorIteratorBaseENS0_12_GLOBAL__N_16OpTypeET_EUlhE_EEvS5_RKS8_EUlibE0_EEviT1_, .Lfunc_end7-_ZN2at6native32elementwise_kernel_manual_unrollILi128ELi4EZNS0_15gpu_kernel_implIZNS0_21compare_scalar_kernelIhEEvRNS_18TensorIteratorBaseENS0_12_GLOBAL__N_16OpTypeET_EUlhE_EEvS5_RKS8_EUlibE0_EEviT1_
                                        ; -- End function
	.set _ZN2at6native32elementwise_kernel_manual_unrollILi128ELi4EZNS0_15gpu_kernel_implIZNS0_21compare_scalar_kernelIhEEvRNS_18TensorIteratorBaseENS0_12_GLOBAL__N_16OpTypeET_EUlhE_EEvS5_RKS8_EUlibE0_EEviT1_.num_vgpr, 18
	.set _ZN2at6native32elementwise_kernel_manual_unrollILi128ELi4EZNS0_15gpu_kernel_implIZNS0_21compare_scalar_kernelIhEEvRNS_18TensorIteratorBaseENS0_12_GLOBAL__N_16OpTypeET_EUlhE_EEvS5_RKS8_EUlibE0_EEviT1_.num_agpr, 0
	.set _ZN2at6native32elementwise_kernel_manual_unrollILi128ELi4EZNS0_15gpu_kernel_implIZNS0_21compare_scalar_kernelIhEEvRNS_18TensorIteratorBaseENS0_12_GLOBAL__N_16OpTypeET_EUlhE_EEvS5_RKS8_EUlibE0_EEviT1_.numbered_sgpr, 80
	.set _ZN2at6native32elementwise_kernel_manual_unrollILi128ELi4EZNS0_15gpu_kernel_implIZNS0_21compare_scalar_kernelIhEEvRNS_18TensorIteratorBaseENS0_12_GLOBAL__N_16OpTypeET_EUlhE_EEvS5_RKS8_EUlibE0_EEviT1_.num_named_barrier, 0
	.set _ZN2at6native32elementwise_kernel_manual_unrollILi128ELi4EZNS0_15gpu_kernel_implIZNS0_21compare_scalar_kernelIhEEvRNS_18TensorIteratorBaseENS0_12_GLOBAL__N_16OpTypeET_EUlhE_EEvS5_RKS8_EUlibE0_EEviT1_.private_seg_size, 0
	.set _ZN2at6native32elementwise_kernel_manual_unrollILi128ELi4EZNS0_15gpu_kernel_implIZNS0_21compare_scalar_kernelIhEEvRNS_18TensorIteratorBaseENS0_12_GLOBAL__N_16OpTypeET_EUlhE_EEvS5_RKS8_EUlibE0_EEviT1_.uses_vcc, 1
	.set _ZN2at6native32elementwise_kernel_manual_unrollILi128ELi4EZNS0_15gpu_kernel_implIZNS0_21compare_scalar_kernelIhEEvRNS_18TensorIteratorBaseENS0_12_GLOBAL__N_16OpTypeET_EUlhE_EEvS5_RKS8_EUlibE0_EEviT1_.uses_flat_scratch, 0
	.set _ZN2at6native32elementwise_kernel_manual_unrollILi128ELi4EZNS0_15gpu_kernel_implIZNS0_21compare_scalar_kernelIhEEvRNS_18TensorIteratorBaseENS0_12_GLOBAL__N_16OpTypeET_EUlhE_EEvS5_RKS8_EUlibE0_EEviT1_.has_dyn_sized_stack, 0
	.set _ZN2at6native32elementwise_kernel_manual_unrollILi128ELi4EZNS0_15gpu_kernel_implIZNS0_21compare_scalar_kernelIhEEvRNS_18TensorIteratorBaseENS0_12_GLOBAL__N_16OpTypeET_EUlhE_EEvS5_RKS8_EUlibE0_EEviT1_.has_recursion, 0
	.set _ZN2at6native32elementwise_kernel_manual_unrollILi128ELi4EZNS0_15gpu_kernel_implIZNS0_21compare_scalar_kernelIhEEvRNS_18TensorIteratorBaseENS0_12_GLOBAL__N_16OpTypeET_EUlhE_EEvS5_RKS8_EUlibE0_EEviT1_.has_indirect_call, 0
	.section	.AMDGPU.csdata,"",@progbits
; Kernel info:
; codeLenInByte = 41156
; TotalNumSgprs: 84
; NumVgprs: 18
; ScratchSize: 0
; MemoryBound: 1
; FloatMode: 240
; IeeeMode: 1
; LDSByteSize: 0 bytes/workgroup (compile time only)
; SGPRBlocks: 10
; VGPRBlocks: 4
; NumSGPRsForWavesPerEU: 84
; NumVGPRsForWavesPerEU: 18
; Occupancy: 9
; WaveLimiterHint : 1
; COMPUTE_PGM_RSRC2:SCRATCH_EN: 0
; COMPUTE_PGM_RSRC2:USER_SGPR: 6
; COMPUTE_PGM_RSRC2:TRAP_HANDLER: 0
; COMPUTE_PGM_RSRC2:TGID_X_EN: 1
; COMPUTE_PGM_RSRC2:TGID_Y_EN: 0
; COMPUTE_PGM_RSRC2:TGID_Z_EN: 0
; COMPUTE_PGM_RSRC2:TIDIG_COMP_CNT: 0
	.section	.text._ZN2at6native29vectorized_elementwise_kernelILi16ENS0_12_GLOBAL__N_114CompareFunctorIhEESt5arrayIPcLm3EEEEviT0_T1_,"axG",@progbits,_ZN2at6native29vectorized_elementwise_kernelILi16ENS0_12_GLOBAL__N_114CompareFunctorIhEESt5arrayIPcLm3EEEEviT0_T1_,comdat
	.globl	_ZN2at6native29vectorized_elementwise_kernelILi16ENS0_12_GLOBAL__N_114CompareFunctorIhEESt5arrayIPcLm3EEEEviT0_T1_ ; -- Begin function _ZN2at6native29vectorized_elementwise_kernelILi16ENS0_12_GLOBAL__N_114CompareFunctorIhEESt5arrayIPcLm3EEEEviT0_T1_
	.p2align	8
	.type	_ZN2at6native29vectorized_elementwise_kernelILi16ENS0_12_GLOBAL__N_114CompareFunctorIhEESt5arrayIPcLm3EEEEviT0_T1_,@function
_ZN2at6native29vectorized_elementwise_kernelILi16ENS0_12_GLOBAL__N_114CompareFunctorIhEESt5arrayIPcLm3EEEEviT0_T1_: ; @_ZN2at6native29vectorized_elementwise_kernelILi16ENS0_12_GLOBAL__N_114CompareFunctorIhEESt5arrayIPcLm3EEEEviT0_T1_
; %bb.0:
	s_load_dwordx2 s[2:3], s[4:5], 0x0
	s_load_dwordx4 s[8:11], s[4:5], 0x8
	s_load_dwordx2 s[12:13], s[4:5], 0x18
	s_lshl_b32 s33, s6, 12
	s_mov_b64 s[0:1], -1
	s_waitcnt lgkmcnt(0)
	s_sub_i32 s2, s2, s33
	s_cmpk_gt_i32 s2, 0xfff
	s_cbranch_scc0 .LBB8_211
; %bb.1:
	s_ashr_i32 s48, s33, 31
	s_add_u32 s0, s10, s33
	s_addc_u32 s1, s11, s48
	v_lshlrev_b32_e32 v9, 4, v0
	s_add_u32 s4, s12, s33
	s_addc_u32 s5, s13, s48
	global_load_dwordx4 v[1:4], v9, s[0:1]
	global_load_dwordx4 v[5:8], v9, s[4:5]
	s_cmp_lt_i32 s3, 1
	s_mov_b64 s[4:5], 0
	s_cbranch_scc1 .LBB8_5
; %bb.2:
	s_cmp_gt_i32 s3, 1
	s_cbranch_scc0 .LBB8_6
; %bb.3:
	s_cmp_eq_u32 s3, 2
	s_cbranch_scc0 .LBB8_7
; %bb.4:
	s_waitcnt vmcnt(0)
	v_cmp_le_u16_sdwa s[0:1], v1, v5 src0_sel:BYTE_0 src1_sel:BYTE_0
	s_mov_b64 s[6:7], 0
	s_branch .LBB8_8
.LBB8_5:
                                        ; implicit-def: $sgpr0_sgpr1
	s_mov_b64 s[6:7], 0
	s_cbranch_execnz .LBB8_11
	s_branch .LBB8_12
.LBB8_6:
	s_mov_b64 s[6:7], 0
                                        ; implicit-def: $sgpr0_sgpr1
	s_cbranch_execnz .LBB8_9
	s_branch .LBB8_10
.LBB8_7:
	s_mov_b64 s[6:7], -1
                                        ; implicit-def: $sgpr0_sgpr1
.LBB8_8:
	s_branch .LBB8_10
.LBB8_9:
	s_waitcnt vmcnt(0)
	v_cmp_gt_u16_sdwa s[14:15], v1, v5 src0_sel:BYTE_0 src1_sel:BYTE_0
	s_andn2_b64 s[0:1], s[0:1], exec
	s_and_b64 s[14:15], s[14:15], exec
	s_or_b64 s[0:1], s[0:1], s[14:15]
.LBB8_10:
	s_branch .LBB8_12
.LBB8_11:
	s_cmp_lg_u32 s3, 0
	s_mov_b64 s[4:5], -1
	s_cselect_b64 s[6:7], -1, 0
.LBB8_12:
	s_andn2_b64 vcc, exec, s[6:7]
	s_cbranch_vccz .LBB8_19
; %bb.13:
	s_andn2_b64 vcc, exec, s[4:5]
	s_cbranch_vccnz .LBB8_15
.LBB8_14:
	s_waitcnt vmcnt(0)
	v_cmp_ge_u16_sdwa s[4:5], v1, v5 src0_sel:BYTE_0 src1_sel:BYTE_0
	s_andn2_b64 s[0:1], s[0:1], exec
	s_and_b64 s[4:5], s[4:5], exec
	s_or_b64 s[0:1], s[0:1], s[4:5]
.LBB8_15:
	s_waitcnt vmcnt(1)
	v_lshrrev_b32_e32 v10, 8, v4
	v_lshrrev_b32_e32 v12, 8, v3
	;; [unrolled: 1-line block ×4, first 2 shown]
	s_waitcnt vmcnt(0)
	v_lshrrev_b32_e32 v11, 8, v8
	v_lshrrev_b32_e32 v13, 8, v7
	;; [unrolled: 1-line block ×4, first 2 shown]
	s_cmp_lt_i32 s3, 1
	s_mov_b64 s[6:7], 0
	s_cbranch_scc1 .LBB8_20
; %bb.16:
	s_cmp_gt_i32 s3, 1
	s_cbranch_scc0 .LBB8_21
; %bb.17:
	s_cmp_eq_u32 s3, 2
	s_cbranch_scc0 .LBB8_251
; %bb.18:
	v_cmp_le_u16_sdwa s[4:5], v16, v17 src0_sel:BYTE_0 src1_sel:BYTE_0
	s_mov_b64 s[14:15], 0
	s_branch .LBB8_23
.LBB8_19:
	s_waitcnt vmcnt(0)
	v_cmp_lt_u16_sdwa s[6:7], v1, v5 src0_sel:BYTE_0 src1_sel:BYTE_0
	s_andn2_b64 s[0:1], s[0:1], exec
	s_and_b64 s[6:7], s[6:7], exec
	s_or_b64 s[0:1], s[0:1], s[6:7]
	s_cbranch_execz .LBB8_14
	s_branch .LBB8_15
.LBB8_20:
                                        ; implicit-def: $sgpr4_sgpr5
	s_mov_b64 s[14:15], 0
	s_cbranch_execnz .LBB8_24
	s_branch .LBB8_25
.LBB8_21:
	s_mov_b64 s[14:15], 0
                                        ; implicit-def: $sgpr4_sgpr5
	s_cbranch_execz .LBB8_23
; %bb.22:
	v_cmp_gt_u16_sdwa s[16:17], v16, v17 src0_sel:BYTE_0 src1_sel:BYTE_0
	s_andn2_b64 s[4:5], s[4:5], exec
	s_and_b64 s[16:17], s[16:17], exec
	s_or_b64 s[4:5], s[4:5], s[16:17]
.LBB8_23:
	s_branch .LBB8_25
.LBB8_24:
	s_cmp_lg_u32 s3, 0
	s_mov_b64 s[6:7], -1
	s_cselect_b64 s[14:15], -1, 0
.LBB8_25:
	s_andn2_b64 vcc, exec, s[14:15]
	s_cbranch_vccz .LBB8_31
; %bb.26:
	s_andn2_b64 vcc, exec, s[6:7]
	s_cbranch_vccz .LBB8_32
.LBB8_27:
	s_cmp_lt_i32 s3, 1
	s_mov_b64 s[14:15], 0
	s_cbranch_scc1 .LBB8_33
.LBB8_28:
	s_cmp_gt_i32 s3, 1
	s_cbranch_scc0 .LBB8_34
; %bb.29:
	s_cmp_eq_u32 s3, 2
	s_cbranch_scc0 .LBB8_252
; %bb.30:
	s_movk_i32 s6, 0xff
	v_and_b32_sdwa v16, v5, s6 dst_sel:DWORD dst_unused:UNUSED_PAD src0_sel:WORD_1 src1_sel:DWORD
	v_and_b32_sdwa v17, v1, s6 dst_sel:DWORD dst_unused:UNUSED_PAD src0_sel:WORD_1 src1_sel:DWORD
	v_cmp_le_u16_e64 s[6:7], v17, v16
	s_mov_b64 s[16:17], 0
	s_branch .LBB8_36
.LBB8_31:
	v_cmp_lt_u16_sdwa s[14:15], v16, v17 src0_sel:BYTE_0 src1_sel:BYTE_0
	s_andn2_b64 s[4:5], s[4:5], exec
	s_and_b64 s[14:15], s[14:15], exec
	s_or_b64 s[4:5], s[4:5], s[14:15]
	s_cbranch_execnz .LBB8_27
.LBB8_32:
	v_cmp_ge_u16_sdwa s[6:7], v16, v17 src0_sel:BYTE_0 src1_sel:BYTE_0
	s_andn2_b64 s[4:5], s[4:5], exec
	s_and_b64 s[6:7], s[6:7], exec
	s_or_b64 s[4:5], s[4:5], s[6:7]
	s_cmp_lt_i32 s3, 1
	s_mov_b64 s[14:15], 0
	s_cbranch_scc0 .LBB8_28
.LBB8_33:
                                        ; implicit-def: $sgpr6_sgpr7
	s_mov_b64 s[16:17], 0
	s_cbranch_execnz .LBB8_37
	s_branch .LBB8_38
.LBB8_34:
	s_mov_b64 s[16:17], 0
                                        ; implicit-def: $sgpr6_sgpr7
	s_cbranch_execz .LBB8_36
; %bb.35:
	s_movk_i32 s18, 0xff
	v_and_b32_sdwa v16, v5, s18 dst_sel:DWORD dst_unused:UNUSED_PAD src0_sel:WORD_1 src1_sel:DWORD
	v_and_b32_sdwa v17, v1, s18 dst_sel:DWORD dst_unused:UNUSED_PAD src0_sel:WORD_1 src1_sel:DWORD
	v_cmp_gt_u16_e32 vcc, v17, v16
	s_andn2_b64 s[6:7], s[6:7], exec
	s_and_b64 s[18:19], vcc, exec
	s_or_b64 s[6:7], s[6:7], s[18:19]
.LBB8_36:
	s_branch .LBB8_38
.LBB8_37:
	s_cmp_lg_u32 s3, 0
	s_mov_b64 s[14:15], -1
	s_cselect_b64 s[16:17], -1, 0
.LBB8_38:
	s_andn2_b64 vcc, exec, s[16:17]
	s_cbranch_vccz .LBB8_44
; %bb.39:
	s_andn2_b64 vcc, exec, s[14:15]
	s_cbranch_vccz .LBB8_45
.LBB8_40:
	s_cmp_lt_i32 s3, 1
	s_mov_b64 s[16:17], 0
	s_cbranch_scc1 .LBB8_46
.LBB8_41:
	s_cmp_gt_i32 s3, 1
	s_cbranch_scc0 .LBB8_47
; %bb.42:
	s_cmp_eq_u32 s3, 2
	s_cbranch_scc0 .LBB8_253
; %bb.43:
	v_cmp_le_u16_sdwa s[14:15], v1, v5 src0_sel:BYTE_3 src1_sel:BYTE_3
	s_mov_b64 s[18:19], 0
	s_branch .LBB8_49
.LBB8_44:
	s_movk_i32 s14, 0xff
	v_and_b32_sdwa v16, v5, s14 dst_sel:DWORD dst_unused:UNUSED_PAD src0_sel:WORD_1 src1_sel:DWORD
	v_and_b32_sdwa v17, v1, s14 dst_sel:DWORD dst_unused:UNUSED_PAD src0_sel:WORD_1 src1_sel:DWORD
	v_cmp_lt_u16_e32 vcc, v17, v16
	s_andn2_b64 s[6:7], s[6:7], exec
	s_and_b64 s[16:17], vcc, exec
	s_or_b64 s[6:7], s[6:7], s[16:17]
	s_cbranch_execnz .LBB8_40
.LBB8_45:
	s_movk_i32 s14, 0xff
	v_and_b32_sdwa v16, v5, s14 dst_sel:DWORD dst_unused:UNUSED_PAD src0_sel:WORD_1 src1_sel:DWORD
	v_and_b32_sdwa v17, v1, s14 dst_sel:DWORD dst_unused:UNUSED_PAD src0_sel:WORD_1 src1_sel:DWORD
	v_cmp_ge_u16_e32 vcc, v17, v16
	s_andn2_b64 s[6:7], s[6:7], exec
	s_and_b64 s[14:15], vcc, exec
	s_or_b64 s[6:7], s[6:7], s[14:15]
	s_cmp_lt_i32 s3, 1
	s_mov_b64 s[16:17], 0
	s_cbranch_scc0 .LBB8_41
.LBB8_46:
                                        ; implicit-def: $sgpr14_sgpr15
	s_mov_b64 s[18:19], 0
	s_cbranch_execnz .LBB8_50
	s_branch .LBB8_51
.LBB8_47:
	s_mov_b64 s[18:19], 0
                                        ; implicit-def: $sgpr14_sgpr15
	s_cbranch_execz .LBB8_49
; %bb.48:
	v_cmp_gt_u16_sdwa s[20:21], v1, v5 src0_sel:BYTE_3 src1_sel:BYTE_3
	s_andn2_b64 s[14:15], s[14:15], exec
	s_and_b64 s[20:21], s[20:21], exec
	s_or_b64 s[14:15], s[14:15], s[20:21]
.LBB8_49:
	s_branch .LBB8_51
.LBB8_50:
	s_cmp_lg_u32 s3, 0
	s_mov_b64 s[16:17], -1
	s_cselect_b64 s[18:19], -1, 0
.LBB8_51:
	s_andn2_b64 vcc, exec, s[18:19]
	s_cbranch_vccz .LBB8_57
; %bb.52:
	s_andn2_b64 vcc, exec, s[16:17]
	s_cbranch_vccz .LBB8_58
.LBB8_53:
	s_cmp_lt_i32 s3, 1
	s_mov_b64 s[18:19], 0
	s_cbranch_scc1 .LBB8_59
.LBB8_54:
	s_cmp_gt_i32 s3, 1
	s_cbranch_scc0 .LBB8_60
; %bb.55:
	s_cmp_eq_u32 s3, 2
	s_cbranch_scc0 .LBB8_254
; %bb.56:
	v_cmp_le_u16_sdwa s[16:17], v2, v6 src0_sel:BYTE_0 src1_sel:BYTE_0
	s_mov_b64 s[20:21], 0
	s_branch .LBB8_62
.LBB8_57:
	v_cmp_lt_u16_sdwa s[18:19], v1, v5 src0_sel:BYTE_3 src1_sel:BYTE_3
	s_andn2_b64 s[14:15], s[14:15], exec
	s_and_b64 s[18:19], s[18:19], exec
	s_or_b64 s[14:15], s[14:15], s[18:19]
	s_cbranch_execnz .LBB8_53
.LBB8_58:
	v_cmp_ge_u16_sdwa s[16:17], v1, v5 src0_sel:BYTE_3 src1_sel:BYTE_3
	s_andn2_b64 s[14:15], s[14:15], exec
	s_and_b64 s[16:17], s[16:17], exec
	s_or_b64 s[14:15], s[14:15], s[16:17]
	s_cmp_lt_i32 s3, 1
	s_mov_b64 s[18:19], 0
	s_cbranch_scc0 .LBB8_54
.LBB8_59:
                                        ; implicit-def: $sgpr16_sgpr17
	s_mov_b64 s[20:21], 0
	s_cbranch_execnz .LBB8_63
	s_branch .LBB8_64
.LBB8_60:
	s_mov_b64 s[20:21], 0
                                        ; implicit-def: $sgpr16_sgpr17
	s_cbranch_execz .LBB8_62
; %bb.61:
	v_cmp_gt_u16_sdwa s[22:23], v2, v6 src0_sel:BYTE_0 src1_sel:BYTE_0
	s_andn2_b64 s[16:17], s[16:17], exec
	s_and_b64 s[22:23], s[22:23], exec
	s_or_b64 s[16:17], s[16:17], s[22:23]
.LBB8_62:
	s_branch .LBB8_64
.LBB8_63:
	s_cmp_lg_u32 s3, 0
	s_mov_b64 s[18:19], -1
	s_cselect_b64 s[20:21], -1, 0
.LBB8_64:
	s_andn2_b64 vcc, exec, s[20:21]
	s_cbranch_vccz .LBB8_70
; %bb.65:
	s_andn2_b64 vcc, exec, s[18:19]
	s_cbranch_vccz .LBB8_71
.LBB8_66:
	s_cmp_lt_i32 s3, 1
	s_mov_b64 s[20:21], 0
	s_cbranch_scc1 .LBB8_72
.LBB8_67:
	s_cmp_gt_i32 s3, 1
	s_cbranch_scc0 .LBB8_73
; %bb.68:
	s_cmp_eq_u32 s3, 2
	s_cbranch_scc0 .LBB8_255
; %bb.69:
	v_cmp_le_u16_sdwa s[18:19], v14, v15 src0_sel:BYTE_0 src1_sel:BYTE_0
	s_mov_b64 s[22:23], 0
	s_branch .LBB8_75
.LBB8_70:
	v_cmp_lt_u16_sdwa s[20:21], v2, v6 src0_sel:BYTE_0 src1_sel:BYTE_0
	s_andn2_b64 s[16:17], s[16:17], exec
	s_and_b64 s[20:21], s[20:21], exec
	s_or_b64 s[16:17], s[16:17], s[20:21]
	s_cbranch_execnz .LBB8_66
.LBB8_71:
	v_cmp_ge_u16_sdwa s[18:19], v2, v6 src0_sel:BYTE_0 src1_sel:BYTE_0
	s_andn2_b64 s[16:17], s[16:17], exec
	s_and_b64 s[18:19], s[18:19], exec
	s_or_b64 s[16:17], s[16:17], s[18:19]
	s_cmp_lt_i32 s3, 1
	s_mov_b64 s[20:21], 0
	s_cbranch_scc0 .LBB8_67
.LBB8_72:
                                        ; implicit-def: $sgpr18_sgpr19
	s_mov_b64 s[22:23], 0
	s_cbranch_execnz .LBB8_76
	s_branch .LBB8_77
.LBB8_73:
	s_mov_b64 s[22:23], 0
                                        ; implicit-def: $sgpr18_sgpr19
	s_cbranch_execz .LBB8_75
; %bb.74:
	v_cmp_gt_u16_sdwa s[24:25], v14, v15 src0_sel:BYTE_0 src1_sel:BYTE_0
	s_andn2_b64 s[18:19], s[18:19], exec
	s_and_b64 s[24:25], s[24:25], exec
	s_or_b64 s[18:19], s[18:19], s[24:25]
.LBB8_75:
	s_branch .LBB8_77
.LBB8_76:
	s_cmp_lg_u32 s3, 0
	s_mov_b64 s[20:21], -1
	s_cselect_b64 s[22:23], -1, 0
.LBB8_77:
	s_andn2_b64 vcc, exec, s[22:23]
	s_cbranch_vccz .LBB8_83
; %bb.78:
	s_andn2_b64 vcc, exec, s[20:21]
	s_cbranch_vccz .LBB8_84
.LBB8_79:
	s_cmp_lt_i32 s3, 1
	s_mov_b64 s[22:23], 0
	s_cbranch_scc1 .LBB8_85
.LBB8_80:
	s_cmp_gt_i32 s3, 1
	s_cbranch_scc0 .LBB8_86
; %bb.81:
	s_cmp_eq_u32 s3, 2
	s_cbranch_scc0 .LBB8_256
; %bb.82:
	s_movk_i32 s20, 0xff
	v_and_b32_sdwa v1, v6, s20 dst_sel:DWORD dst_unused:UNUSED_PAD src0_sel:WORD_1 src1_sel:DWORD
	v_and_b32_sdwa v5, v2, s20 dst_sel:DWORD dst_unused:UNUSED_PAD src0_sel:WORD_1 src1_sel:DWORD
	v_cmp_le_u16_e64 s[20:21], v5, v1
	s_mov_b64 s[24:25], 0
	s_branch .LBB8_88
.LBB8_83:
	v_cmp_lt_u16_sdwa s[22:23], v14, v15 src0_sel:BYTE_0 src1_sel:BYTE_0
	s_andn2_b64 s[18:19], s[18:19], exec
	s_and_b64 s[22:23], s[22:23], exec
	s_or_b64 s[18:19], s[18:19], s[22:23]
	s_cbranch_execnz .LBB8_79
.LBB8_84:
	v_cmp_ge_u16_sdwa s[20:21], v14, v15 src0_sel:BYTE_0 src1_sel:BYTE_0
	s_andn2_b64 s[18:19], s[18:19], exec
	s_and_b64 s[20:21], s[20:21], exec
	s_or_b64 s[18:19], s[18:19], s[20:21]
	s_cmp_lt_i32 s3, 1
	s_mov_b64 s[22:23], 0
	s_cbranch_scc0 .LBB8_80
.LBB8_85:
                                        ; implicit-def: $sgpr20_sgpr21
	s_mov_b64 s[24:25], 0
	s_cbranch_execnz .LBB8_89
	s_branch .LBB8_90
.LBB8_86:
	s_mov_b64 s[24:25], 0
                                        ; implicit-def: $sgpr20_sgpr21
	s_cbranch_execz .LBB8_88
; %bb.87:
	s_movk_i32 s26, 0xff
	v_and_b32_sdwa v1, v6, s26 dst_sel:DWORD dst_unused:UNUSED_PAD src0_sel:WORD_1 src1_sel:DWORD
	v_and_b32_sdwa v5, v2, s26 dst_sel:DWORD dst_unused:UNUSED_PAD src0_sel:WORD_1 src1_sel:DWORD
	v_cmp_gt_u16_e32 vcc, v5, v1
	s_andn2_b64 s[20:21], s[20:21], exec
	s_and_b64 s[26:27], vcc, exec
	s_or_b64 s[20:21], s[20:21], s[26:27]
.LBB8_88:
	s_branch .LBB8_90
.LBB8_89:
	s_cmp_lg_u32 s3, 0
	s_mov_b64 s[22:23], -1
	s_cselect_b64 s[24:25], -1, 0
.LBB8_90:
	s_andn2_b64 vcc, exec, s[24:25]
	s_cbranch_vccz .LBB8_96
; %bb.91:
	s_andn2_b64 vcc, exec, s[22:23]
	s_cbranch_vccz .LBB8_97
.LBB8_92:
	s_cmp_lt_i32 s3, 1
	s_mov_b64 s[24:25], 0
	s_cbranch_scc1 .LBB8_98
.LBB8_93:
	s_cmp_gt_i32 s3, 1
	s_cbranch_scc0 .LBB8_99
; %bb.94:
	s_cmp_eq_u32 s3, 2
	s_cbranch_scc0 .LBB8_257
; %bb.95:
	v_cmp_le_u16_sdwa s[22:23], v2, v6 src0_sel:BYTE_3 src1_sel:BYTE_3
	s_mov_b64 s[26:27], 0
	s_branch .LBB8_101
.LBB8_96:
	s_movk_i32 s22, 0xff
	v_and_b32_sdwa v1, v6, s22 dst_sel:DWORD dst_unused:UNUSED_PAD src0_sel:WORD_1 src1_sel:DWORD
	v_and_b32_sdwa v5, v2, s22 dst_sel:DWORD dst_unused:UNUSED_PAD src0_sel:WORD_1 src1_sel:DWORD
	v_cmp_lt_u16_e32 vcc, v5, v1
	s_andn2_b64 s[20:21], s[20:21], exec
	s_and_b64 s[24:25], vcc, exec
	s_or_b64 s[20:21], s[20:21], s[24:25]
	s_cbranch_execnz .LBB8_92
.LBB8_97:
	s_movk_i32 s22, 0xff
	v_and_b32_sdwa v1, v6, s22 dst_sel:DWORD dst_unused:UNUSED_PAD src0_sel:WORD_1 src1_sel:DWORD
	v_and_b32_sdwa v5, v2, s22 dst_sel:DWORD dst_unused:UNUSED_PAD src0_sel:WORD_1 src1_sel:DWORD
	v_cmp_ge_u16_e32 vcc, v5, v1
	s_andn2_b64 s[20:21], s[20:21], exec
	s_and_b64 s[22:23], vcc, exec
	s_or_b64 s[20:21], s[20:21], s[22:23]
	s_cmp_lt_i32 s3, 1
	s_mov_b64 s[24:25], 0
	s_cbranch_scc0 .LBB8_93
.LBB8_98:
                                        ; implicit-def: $sgpr22_sgpr23
	s_mov_b64 s[26:27], 0
	s_cbranch_execnz .LBB8_102
	s_branch .LBB8_103
.LBB8_99:
	s_mov_b64 s[26:27], 0
                                        ; implicit-def: $sgpr22_sgpr23
	s_cbranch_execz .LBB8_101
; %bb.100:
	v_cmp_gt_u16_sdwa s[28:29], v2, v6 src0_sel:BYTE_3 src1_sel:BYTE_3
	s_andn2_b64 s[22:23], s[22:23], exec
	s_and_b64 s[28:29], s[28:29], exec
	s_or_b64 s[22:23], s[22:23], s[28:29]
.LBB8_101:
	s_branch .LBB8_103
.LBB8_102:
	s_cmp_lg_u32 s3, 0
	s_mov_b64 s[24:25], -1
	s_cselect_b64 s[26:27], -1, 0
.LBB8_103:
	s_andn2_b64 vcc, exec, s[26:27]
	s_cbranch_vccz .LBB8_109
; %bb.104:
	s_andn2_b64 vcc, exec, s[24:25]
	s_cbranch_vccz .LBB8_110
.LBB8_105:
	s_cmp_lt_i32 s3, 1
	s_mov_b64 s[26:27], 0
	s_cbranch_scc1 .LBB8_111
.LBB8_106:
	s_cmp_gt_i32 s3, 1
	s_cbranch_scc0 .LBB8_112
; %bb.107:
	s_cmp_eq_u32 s3, 2
	s_cbranch_scc0 .LBB8_258
; %bb.108:
	v_cmp_le_u16_sdwa s[24:25], v3, v7 src0_sel:BYTE_0 src1_sel:BYTE_0
	s_mov_b64 s[28:29], 0
	s_branch .LBB8_114
.LBB8_109:
	v_cmp_lt_u16_sdwa s[26:27], v2, v6 src0_sel:BYTE_3 src1_sel:BYTE_3
	s_andn2_b64 s[22:23], s[22:23], exec
	s_and_b64 s[26:27], s[26:27], exec
	s_or_b64 s[22:23], s[22:23], s[26:27]
	s_cbranch_execnz .LBB8_105
.LBB8_110:
	v_cmp_ge_u16_sdwa s[24:25], v2, v6 src0_sel:BYTE_3 src1_sel:BYTE_3
	s_andn2_b64 s[22:23], s[22:23], exec
	s_and_b64 s[24:25], s[24:25], exec
	s_or_b64 s[22:23], s[22:23], s[24:25]
	s_cmp_lt_i32 s3, 1
	s_mov_b64 s[26:27], 0
	s_cbranch_scc0 .LBB8_106
.LBB8_111:
                                        ; implicit-def: $sgpr24_sgpr25
	s_mov_b64 s[28:29], 0
	s_cbranch_execnz .LBB8_115
	s_branch .LBB8_116
.LBB8_112:
	s_mov_b64 s[28:29], 0
                                        ; implicit-def: $sgpr24_sgpr25
	s_cbranch_execz .LBB8_114
; %bb.113:
	v_cmp_gt_u16_sdwa s[30:31], v3, v7 src0_sel:BYTE_0 src1_sel:BYTE_0
	s_andn2_b64 s[24:25], s[24:25], exec
	s_and_b64 s[30:31], s[30:31], exec
	s_or_b64 s[24:25], s[24:25], s[30:31]
.LBB8_114:
	s_branch .LBB8_116
.LBB8_115:
	s_cmp_lg_u32 s3, 0
	s_mov_b64 s[26:27], -1
	s_cselect_b64 s[28:29], -1, 0
.LBB8_116:
	s_andn2_b64 vcc, exec, s[28:29]
	s_cbranch_vccz .LBB8_122
; %bb.117:
	s_andn2_b64 vcc, exec, s[26:27]
	s_cbranch_vccz .LBB8_123
.LBB8_118:
	s_cmp_lt_i32 s3, 1
	s_mov_b64 s[28:29], 0
	s_cbranch_scc1 .LBB8_124
.LBB8_119:
	s_cmp_gt_i32 s3, 1
	s_cbranch_scc0 .LBB8_125
; %bb.120:
	s_cmp_eq_u32 s3, 2
	s_cbranch_scc0 .LBB8_259
; %bb.121:
	v_cmp_le_u16_sdwa s[26:27], v12, v13 src0_sel:BYTE_0 src1_sel:BYTE_0
	s_mov_b64 s[30:31], 0
	s_branch .LBB8_127
.LBB8_122:
	v_cmp_lt_u16_sdwa s[28:29], v3, v7 src0_sel:BYTE_0 src1_sel:BYTE_0
	s_andn2_b64 s[24:25], s[24:25], exec
	s_and_b64 s[28:29], s[28:29], exec
	s_or_b64 s[24:25], s[24:25], s[28:29]
	s_cbranch_execnz .LBB8_118
.LBB8_123:
	v_cmp_ge_u16_sdwa s[26:27], v3, v7 src0_sel:BYTE_0 src1_sel:BYTE_0
	s_andn2_b64 s[24:25], s[24:25], exec
	s_and_b64 s[26:27], s[26:27], exec
	s_or_b64 s[24:25], s[24:25], s[26:27]
	s_cmp_lt_i32 s3, 1
	s_mov_b64 s[28:29], 0
	s_cbranch_scc0 .LBB8_119
.LBB8_124:
                                        ; implicit-def: $sgpr26_sgpr27
	s_mov_b64 s[30:31], 0
	s_cbranch_execnz .LBB8_128
	s_branch .LBB8_129
.LBB8_125:
	s_mov_b64 s[30:31], 0
                                        ; implicit-def: $sgpr26_sgpr27
	s_cbranch_execz .LBB8_127
; %bb.126:
	v_cmp_gt_u16_sdwa s[34:35], v12, v13 src0_sel:BYTE_0 src1_sel:BYTE_0
	s_andn2_b64 s[26:27], s[26:27], exec
	s_and_b64 s[34:35], s[34:35], exec
	s_or_b64 s[26:27], s[26:27], s[34:35]
.LBB8_127:
	s_branch .LBB8_129
.LBB8_128:
	s_cmp_lg_u32 s3, 0
	s_mov_b64 s[28:29], -1
	s_cselect_b64 s[30:31], -1, 0
.LBB8_129:
	s_andn2_b64 vcc, exec, s[30:31]
	s_cbranch_vccz .LBB8_135
; %bb.130:
	s_andn2_b64 vcc, exec, s[28:29]
	s_cbranch_vccz .LBB8_136
.LBB8_131:
	s_cmp_lt_i32 s3, 1
	s_mov_b64 s[30:31], 0
	s_cbranch_scc1 .LBB8_137
.LBB8_132:
	s_cmp_gt_i32 s3, 1
	s_cbranch_scc0 .LBB8_138
; %bb.133:
	s_cmp_eq_u32 s3, 2
	s_cbranch_scc0 .LBB8_260
; %bb.134:
	s_movk_i32 s28, 0xff
	v_and_b32_sdwa v1, v7, s28 dst_sel:DWORD dst_unused:UNUSED_PAD src0_sel:WORD_1 src1_sel:DWORD
	v_and_b32_sdwa v2, v3, s28 dst_sel:DWORD dst_unused:UNUSED_PAD src0_sel:WORD_1 src1_sel:DWORD
	v_cmp_le_u16_e64 s[28:29], v2, v1
	s_mov_b64 s[34:35], 0
	s_branch .LBB8_140
.LBB8_135:
	v_cmp_lt_u16_sdwa s[30:31], v12, v13 src0_sel:BYTE_0 src1_sel:BYTE_0
	s_andn2_b64 s[26:27], s[26:27], exec
	s_and_b64 s[30:31], s[30:31], exec
	s_or_b64 s[26:27], s[26:27], s[30:31]
	s_cbranch_execnz .LBB8_131
.LBB8_136:
	v_cmp_ge_u16_sdwa s[28:29], v12, v13 src0_sel:BYTE_0 src1_sel:BYTE_0
	s_andn2_b64 s[26:27], s[26:27], exec
	s_and_b64 s[28:29], s[28:29], exec
	s_or_b64 s[26:27], s[26:27], s[28:29]
	s_cmp_lt_i32 s3, 1
	s_mov_b64 s[30:31], 0
	s_cbranch_scc0 .LBB8_132
.LBB8_137:
                                        ; implicit-def: $sgpr28_sgpr29
	s_mov_b64 s[34:35], 0
	s_cbranch_execnz .LBB8_141
	s_branch .LBB8_142
.LBB8_138:
	s_mov_b64 s[34:35], 0
                                        ; implicit-def: $sgpr28_sgpr29
	s_cbranch_execz .LBB8_140
; %bb.139:
	s_movk_i32 s36, 0xff
	v_and_b32_sdwa v1, v7, s36 dst_sel:DWORD dst_unused:UNUSED_PAD src0_sel:WORD_1 src1_sel:DWORD
	v_and_b32_sdwa v2, v3, s36 dst_sel:DWORD dst_unused:UNUSED_PAD src0_sel:WORD_1 src1_sel:DWORD
	v_cmp_gt_u16_e32 vcc, v2, v1
	s_andn2_b64 s[28:29], s[28:29], exec
	s_and_b64 s[36:37], vcc, exec
	s_or_b64 s[28:29], s[28:29], s[36:37]
.LBB8_140:
	s_branch .LBB8_142
.LBB8_141:
	s_cmp_lg_u32 s3, 0
	s_mov_b64 s[30:31], -1
	s_cselect_b64 s[34:35], -1, 0
.LBB8_142:
	s_andn2_b64 vcc, exec, s[34:35]
	s_cbranch_vccz .LBB8_148
; %bb.143:
	s_andn2_b64 vcc, exec, s[30:31]
	s_cbranch_vccz .LBB8_149
.LBB8_144:
	s_cmp_lt_i32 s3, 1
	s_mov_b64 s[34:35], 0
	s_cbranch_scc1 .LBB8_150
.LBB8_145:
	s_cmp_gt_i32 s3, 1
	s_cbranch_scc0 .LBB8_151
; %bb.146:
	s_cmp_eq_u32 s3, 2
	s_cbranch_scc0 .LBB8_261
; %bb.147:
	v_cmp_le_u16_sdwa s[30:31], v3, v7 src0_sel:BYTE_3 src1_sel:BYTE_3
	s_mov_b64 s[36:37], 0
	s_branch .LBB8_153
.LBB8_148:
	s_movk_i32 s30, 0xff
	v_and_b32_sdwa v1, v7, s30 dst_sel:DWORD dst_unused:UNUSED_PAD src0_sel:WORD_1 src1_sel:DWORD
	v_and_b32_sdwa v2, v3, s30 dst_sel:DWORD dst_unused:UNUSED_PAD src0_sel:WORD_1 src1_sel:DWORD
	v_cmp_lt_u16_e32 vcc, v2, v1
	s_andn2_b64 s[28:29], s[28:29], exec
	s_and_b64 s[34:35], vcc, exec
	s_or_b64 s[28:29], s[28:29], s[34:35]
	s_cbranch_execnz .LBB8_144
.LBB8_149:
	s_movk_i32 s30, 0xff
	v_and_b32_sdwa v1, v7, s30 dst_sel:DWORD dst_unused:UNUSED_PAD src0_sel:WORD_1 src1_sel:DWORD
	v_and_b32_sdwa v2, v3, s30 dst_sel:DWORD dst_unused:UNUSED_PAD src0_sel:WORD_1 src1_sel:DWORD
	v_cmp_ge_u16_e32 vcc, v2, v1
	s_andn2_b64 s[28:29], s[28:29], exec
	s_and_b64 s[30:31], vcc, exec
	s_or_b64 s[28:29], s[28:29], s[30:31]
	s_cmp_lt_i32 s3, 1
	s_mov_b64 s[34:35], 0
	s_cbranch_scc0 .LBB8_145
.LBB8_150:
                                        ; implicit-def: $sgpr30_sgpr31
	s_mov_b64 s[36:37], 0
	s_cbranch_execnz .LBB8_154
	s_branch .LBB8_155
.LBB8_151:
	s_mov_b64 s[36:37], 0
                                        ; implicit-def: $sgpr30_sgpr31
	s_cbranch_execz .LBB8_153
; %bb.152:
	v_cmp_gt_u16_sdwa s[38:39], v3, v7 src0_sel:BYTE_3 src1_sel:BYTE_3
	s_andn2_b64 s[30:31], s[30:31], exec
	s_and_b64 s[38:39], s[38:39], exec
	s_or_b64 s[30:31], s[30:31], s[38:39]
.LBB8_153:
	s_branch .LBB8_155
.LBB8_154:
	s_cmp_lg_u32 s3, 0
	s_mov_b64 s[34:35], -1
	s_cselect_b64 s[36:37], -1, 0
.LBB8_155:
	s_andn2_b64 vcc, exec, s[36:37]
	s_cbranch_vccz .LBB8_161
; %bb.156:
	s_andn2_b64 vcc, exec, s[34:35]
	s_cbranch_vccz .LBB8_162
.LBB8_157:
	s_cmp_lt_i32 s3, 1
	s_mov_b64 s[36:37], 0
	s_cbranch_scc1 .LBB8_163
.LBB8_158:
	s_cmp_gt_i32 s3, 1
	s_cbranch_scc0 .LBB8_164
; %bb.159:
	s_cmp_eq_u32 s3, 2
	s_cbranch_scc0 .LBB8_262
; %bb.160:
	v_cmp_le_u16_sdwa s[34:35], v4, v8 src0_sel:BYTE_0 src1_sel:BYTE_0
	s_mov_b64 s[38:39], 0
	s_branch .LBB8_166
.LBB8_161:
	v_cmp_lt_u16_sdwa s[36:37], v3, v7 src0_sel:BYTE_3 src1_sel:BYTE_3
	s_andn2_b64 s[30:31], s[30:31], exec
	s_and_b64 s[36:37], s[36:37], exec
	s_or_b64 s[30:31], s[30:31], s[36:37]
	s_cbranch_execnz .LBB8_157
.LBB8_162:
	v_cmp_ge_u16_sdwa s[34:35], v3, v7 src0_sel:BYTE_3 src1_sel:BYTE_3
	s_andn2_b64 s[30:31], s[30:31], exec
	s_and_b64 s[34:35], s[34:35], exec
	s_or_b64 s[30:31], s[30:31], s[34:35]
	s_cmp_lt_i32 s3, 1
	s_mov_b64 s[36:37], 0
	s_cbranch_scc0 .LBB8_158
.LBB8_163:
                                        ; implicit-def: $sgpr34_sgpr35
	s_mov_b64 s[38:39], 0
	s_cbranch_execnz .LBB8_167
	s_branch .LBB8_168
.LBB8_164:
	s_mov_b64 s[38:39], 0
                                        ; implicit-def: $sgpr34_sgpr35
	s_cbranch_execz .LBB8_166
; %bb.165:
	v_cmp_gt_u16_sdwa s[40:41], v4, v8 src0_sel:BYTE_0 src1_sel:BYTE_0
	s_andn2_b64 s[34:35], s[34:35], exec
	s_and_b64 s[40:41], s[40:41], exec
	s_or_b64 s[34:35], s[34:35], s[40:41]
.LBB8_166:
	s_branch .LBB8_168
.LBB8_167:
	s_cmp_lg_u32 s3, 0
	s_mov_b64 s[36:37], -1
	s_cselect_b64 s[38:39], -1, 0
.LBB8_168:
	s_andn2_b64 vcc, exec, s[38:39]
	s_cbranch_vccz .LBB8_174
; %bb.169:
	s_andn2_b64 vcc, exec, s[36:37]
	s_cbranch_vccz .LBB8_175
.LBB8_170:
	s_cmp_lt_i32 s3, 1
	s_mov_b64 s[38:39], 0
	s_cbranch_scc1 .LBB8_176
.LBB8_171:
	s_cmp_gt_i32 s3, 1
	s_cbranch_scc0 .LBB8_177
; %bb.172:
	s_cmp_eq_u32 s3, 2
	s_cbranch_scc0 .LBB8_263
; %bb.173:
	v_cmp_le_u16_sdwa s[36:37], v10, v11 src0_sel:BYTE_0 src1_sel:BYTE_0
	s_mov_b64 s[40:41], 0
	s_branch .LBB8_179
.LBB8_174:
	v_cmp_lt_u16_sdwa s[38:39], v4, v8 src0_sel:BYTE_0 src1_sel:BYTE_0
	s_andn2_b64 s[34:35], s[34:35], exec
	s_and_b64 s[38:39], s[38:39], exec
	s_or_b64 s[34:35], s[34:35], s[38:39]
	s_cbranch_execnz .LBB8_170
.LBB8_175:
	v_cmp_ge_u16_sdwa s[36:37], v4, v8 src0_sel:BYTE_0 src1_sel:BYTE_0
	s_andn2_b64 s[34:35], s[34:35], exec
	s_and_b64 s[36:37], s[36:37], exec
	s_or_b64 s[34:35], s[34:35], s[36:37]
	s_cmp_lt_i32 s3, 1
	s_mov_b64 s[38:39], 0
	s_cbranch_scc0 .LBB8_171
.LBB8_176:
                                        ; implicit-def: $sgpr36_sgpr37
	s_mov_b64 s[40:41], 0
	s_cbranch_execnz .LBB8_180
	s_branch .LBB8_181
.LBB8_177:
	s_mov_b64 s[40:41], 0
                                        ; implicit-def: $sgpr36_sgpr37
	s_cbranch_execz .LBB8_179
; %bb.178:
	v_cmp_gt_u16_sdwa s[42:43], v10, v11 src0_sel:BYTE_0 src1_sel:BYTE_0
	s_andn2_b64 s[36:37], s[36:37], exec
	s_and_b64 s[42:43], s[42:43], exec
	s_or_b64 s[36:37], s[36:37], s[42:43]
.LBB8_179:
	s_branch .LBB8_181
.LBB8_180:
	s_cmp_lg_u32 s3, 0
	s_mov_b64 s[38:39], -1
	s_cselect_b64 s[40:41], -1, 0
.LBB8_181:
	s_andn2_b64 vcc, exec, s[40:41]
	s_cbranch_vccz .LBB8_187
; %bb.182:
	s_andn2_b64 vcc, exec, s[38:39]
	s_cbranch_vccz .LBB8_188
.LBB8_183:
	s_cmp_lt_i32 s3, 1
	s_mov_b64 s[40:41], 0
	s_cbranch_scc1 .LBB8_189
.LBB8_184:
	s_cmp_gt_i32 s3, 1
	s_cbranch_scc0 .LBB8_190
; %bb.185:
	s_cmp_eq_u32 s3, 2
	s_cbranch_scc0 .LBB8_264
; %bb.186:
	s_movk_i32 s38, 0xff
	v_and_b32_sdwa v1, v8, s38 dst_sel:DWORD dst_unused:UNUSED_PAD src0_sel:WORD_1 src1_sel:DWORD
	v_and_b32_sdwa v2, v4, s38 dst_sel:DWORD dst_unused:UNUSED_PAD src0_sel:WORD_1 src1_sel:DWORD
	v_cmp_le_u16_e64 s[38:39], v2, v1
	s_mov_b64 s[42:43], 0
	s_branch .LBB8_192
.LBB8_187:
	v_cmp_lt_u16_sdwa s[40:41], v10, v11 src0_sel:BYTE_0 src1_sel:BYTE_0
	s_andn2_b64 s[36:37], s[36:37], exec
	s_and_b64 s[40:41], s[40:41], exec
	s_or_b64 s[36:37], s[36:37], s[40:41]
	s_cbranch_execnz .LBB8_183
.LBB8_188:
	v_cmp_ge_u16_sdwa s[38:39], v10, v11 src0_sel:BYTE_0 src1_sel:BYTE_0
	s_andn2_b64 s[36:37], s[36:37], exec
	s_and_b64 s[38:39], s[38:39], exec
	s_or_b64 s[36:37], s[36:37], s[38:39]
	s_cmp_lt_i32 s3, 1
	s_mov_b64 s[40:41], 0
	s_cbranch_scc0 .LBB8_184
.LBB8_189:
                                        ; implicit-def: $sgpr38_sgpr39
	s_mov_b64 s[42:43], 0
	s_cbranch_execnz .LBB8_193
	s_branch .LBB8_194
.LBB8_190:
	s_mov_b64 s[42:43], 0
                                        ; implicit-def: $sgpr38_sgpr39
	s_cbranch_execz .LBB8_192
; %bb.191:
	s_movk_i32 s44, 0xff
	v_and_b32_sdwa v1, v8, s44 dst_sel:DWORD dst_unused:UNUSED_PAD src0_sel:WORD_1 src1_sel:DWORD
	v_and_b32_sdwa v2, v4, s44 dst_sel:DWORD dst_unused:UNUSED_PAD src0_sel:WORD_1 src1_sel:DWORD
	v_cmp_gt_u16_e32 vcc, v2, v1
	s_andn2_b64 s[38:39], s[38:39], exec
	s_and_b64 s[44:45], vcc, exec
	s_or_b64 s[38:39], s[38:39], s[44:45]
.LBB8_192:
	s_branch .LBB8_194
.LBB8_193:
	s_cmp_lg_u32 s3, 0
	s_mov_b64 s[40:41], -1
	s_cselect_b64 s[42:43], -1, 0
.LBB8_194:
	s_andn2_b64 vcc, exec, s[42:43]
	s_cbranch_vccz .LBB8_200
; %bb.195:
	s_andn2_b64 vcc, exec, s[40:41]
	s_cbranch_vccz .LBB8_201
.LBB8_196:
	s_cmp_lt_i32 s3, 1
	s_mov_b64 s[42:43], 0
	s_cbranch_scc1 .LBB8_202
.LBB8_197:
	s_cmp_gt_i32 s3, 1
	s_cbranch_scc0 .LBB8_203
; %bb.198:
	s_cmp_eq_u32 s3, 2
	s_cbranch_scc0 .LBB8_265
; %bb.199:
	v_cmp_le_u16_sdwa s[40:41], v4, v8 src0_sel:BYTE_3 src1_sel:BYTE_3
	s_mov_b64 s[44:45], 0
	s_branch .LBB8_205
.LBB8_200:
	s_movk_i32 s40, 0xff
	v_and_b32_sdwa v1, v8, s40 dst_sel:DWORD dst_unused:UNUSED_PAD src0_sel:WORD_1 src1_sel:DWORD
	v_and_b32_sdwa v2, v4, s40 dst_sel:DWORD dst_unused:UNUSED_PAD src0_sel:WORD_1 src1_sel:DWORD
	v_cmp_lt_u16_e32 vcc, v2, v1
	s_andn2_b64 s[38:39], s[38:39], exec
	s_and_b64 s[42:43], vcc, exec
	s_or_b64 s[38:39], s[38:39], s[42:43]
	s_cbranch_execnz .LBB8_196
.LBB8_201:
	s_movk_i32 s40, 0xff
	v_and_b32_sdwa v1, v8, s40 dst_sel:DWORD dst_unused:UNUSED_PAD src0_sel:WORD_1 src1_sel:DWORD
	v_and_b32_sdwa v2, v4, s40 dst_sel:DWORD dst_unused:UNUSED_PAD src0_sel:WORD_1 src1_sel:DWORD
	v_cmp_ge_u16_e32 vcc, v2, v1
	s_andn2_b64 s[38:39], s[38:39], exec
	s_and_b64 s[40:41], vcc, exec
	s_or_b64 s[38:39], s[38:39], s[40:41]
	s_cmp_lt_i32 s3, 1
	s_mov_b64 s[42:43], 0
	s_cbranch_scc0 .LBB8_197
.LBB8_202:
                                        ; implicit-def: $sgpr40_sgpr41
	s_mov_b64 s[44:45], 0
	s_cbranch_execnz .LBB8_206
	s_branch .LBB8_207
.LBB8_203:
	s_mov_b64 s[44:45], 0
                                        ; implicit-def: $sgpr40_sgpr41
	s_cbranch_execz .LBB8_205
; %bb.204:
	v_cmp_gt_u16_sdwa s[46:47], v4, v8 src0_sel:BYTE_3 src1_sel:BYTE_3
	s_andn2_b64 s[40:41], s[40:41], exec
	s_and_b64 s[46:47], s[46:47], exec
	s_or_b64 s[40:41], s[40:41], s[46:47]
.LBB8_205:
	s_branch .LBB8_207
.LBB8_206:
	s_cmp_lg_u32 s3, 0
	s_mov_b64 s[42:43], -1
	s_cselect_b64 s[44:45], -1, 0
.LBB8_207:
	s_andn2_b64 vcc, exec, s[44:45]
	s_cbranch_vccz .LBB8_249
; %bb.208:
	s_andn2_b64 vcc, exec, s[42:43]
	s_cbranch_vccnz .LBB8_210
.LBB8_209:
	v_cmp_ge_u16_sdwa s[42:43], v4, v8 src0_sel:BYTE_3 src1_sel:BYTE_3
	s_andn2_b64 s[40:41], s[40:41], exec
	s_and_b64 s[42:43], s[42:43], exec
	s_or_b64 s[40:41], s[40:41], s[42:43]
.LBB8_210:
	v_cndmask_b32_e64 v1, 0, 1, s[4:5]
	v_lshlrev_b16_e32 v1, 8, v1
	v_cndmask_b32_e64 v2, 0, 1, s[0:1]
	v_or_b32_e32 v1, v2, v1
	v_cndmask_b32_e64 v2, 0, 1, s[14:15]
	v_lshlrev_b16_e32 v2, 8, v2
	v_cndmask_b32_e64 v3, 0, 1, s[6:7]
	v_or_b32_sdwa v2, v3, v2 dst_sel:WORD_1 dst_unused:UNUSED_PAD src0_sel:DWORD src1_sel:DWORD
	v_or_b32_sdwa v1, v1, v2 dst_sel:DWORD dst_unused:UNUSED_PAD src0_sel:WORD_0 src1_sel:DWORD
	v_cndmask_b32_e64 v2, 0, 1, s[18:19]
	v_lshlrev_b16_e32 v2, 8, v2
	v_cndmask_b32_e64 v3, 0, 1, s[16:17]
	v_or_b32_e32 v2, v3, v2
	v_cndmask_b32_e64 v3, 0, 1, s[22:23]
	v_lshlrev_b16_e32 v3, 8, v3
	v_cndmask_b32_e64 v4, 0, 1, s[20:21]
	v_or_b32_sdwa v3, v4, v3 dst_sel:WORD_1 dst_unused:UNUSED_PAD src0_sel:DWORD src1_sel:DWORD
	v_or_b32_sdwa v2, v2, v3 dst_sel:DWORD dst_unused:UNUSED_PAD src0_sel:WORD_0 src1_sel:DWORD
	;; [unrolled: 9-line block ×3, first 2 shown]
	v_cndmask_b32_e64 v4, 0, 1, s[36:37]
	v_lshlrev_b16_e32 v4, 8, v4
	v_cndmask_b32_e64 v5, 0, 1, s[34:35]
	v_or_b32_e32 v4, v5, v4
	v_cndmask_b32_e64 v5, 0, 1, s[40:41]
	v_lshlrev_b16_e32 v5, 8, v5
	v_cndmask_b32_e64 v6, 0, 1, s[38:39]
	s_add_u32 s42, s8, s33
	v_or_b32_sdwa v5, v6, v5 dst_sel:WORD_1 dst_unused:UNUSED_PAD src0_sel:DWORD src1_sel:DWORD
	s_addc_u32 s43, s9, s48
	v_or_b32_sdwa v4, v4, v5 dst_sel:DWORD dst_unused:UNUSED_PAD src0_sel:WORD_0 src1_sel:DWORD
	global_store_dwordx4 v9, v[1:4], s[42:43]
	s_mov_b64 s[0:1], 0
.LBB8_211:
	s_and_b64 vcc, exec, s[0:1]
	s_cbranch_vccz .LBB8_519
; %bb.212:
	v_cmp_gt_i32_e64 s[0:1], s2, v0
	v_mov_b32_e32 v6, 0
	v_or_b32_e32 v5, s33, v0
	v_mov_b32_e32 v8, 0
	v_mov_b32_e32 v7, 0
	;; [unrolled: 1-line block ×32, first 2 shown]
	s_and_saveexec_b64 s[4:5], s[0:1]
	s_cbranch_execz .LBB8_244
; %bb.213:
	global_load_ubyte v37, v5, s[10:11]
	global_load_ubyte v38, v5, s[12:13]
	v_or_b32_e32 v1, 0x100, v0
	v_cmp_gt_u32_e32 vcc, s2, v1
	v_mov_b32_e32 v36, 0
	v_mov_b32_e32 v35, 0
	;; [unrolled: 1-line block ×30, first 2 shown]
	s_and_saveexec_b64 s[6:7], vcc
	s_cbranch_execz .LBB8_243
; %bb.214:
	v_add_u32_e32 v3, s33, v0
	global_load_ubyte v35, v3, s[10:11] offset:256
	global_load_ubyte v36, v3, s[12:13] offset:256
	v_or_b32_e32 v1, 0x200, v0
	v_mov_b32_e32 v33, 0
	v_cmp_gt_u32_e32 vcc, s2, v1
	v_mov_b32_e32 v34, 0
	v_mov_b32_e32 v31, 0
	;; [unrolled: 1-line block ×27, first 2 shown]
	s_and_saveexec_b64 s[14:15], vcc
	s_cbranch_execz .LBB8_242
; %bb.215:
	v_mov_b32_e32 v2, s11
	v_add_co_u32_e32 v1, vcc, s10, v3
	v_addc_co_u32_e32 v2, vcc, 0, v2, vcc
	v_mov_b32_e32 v4, s13
	v_add_co_u32_e32 v3, vcc, s12, v3
	v_addc_co_u32_e32 v4, vcc, 0, v4, vcc
	global_load_ubyte v34, v[1:2], off offset:512
	global_load_ubyte v33, v[3:4], off offset:512
	v_or_b32_e32 v7, 0x300, v0
	v_cmp_gt_u32_e32 vcc, s2, v7
	v_mov_b32_e32 v31, 0
	v_mov_b32_e32 v32, 0
	;; [unrolled: 1-line block ×26, first 2 shown]
	s_and_saveexec_b64 s[10:11], vcc
	s_cbranch_execz .LBB8_241
; %bb.216:
	global_load_ubyte v32, v[1:2], off offset:768
	global_load_ubyte v31, v[3:4], off offset:768
	v_or_b32_e32 v7, 0x400, v0
	v_cmp_gt_u32_e32 vcc, s2, v7
	v_mov_b32_e32 v29, 0
	v_mov_b32_e32 v30, 0
	;; [unrolled: 1-line block ×24, first 2 shown]
	s_and_saveexec_b64 s[12:13], vcc
	s_cbranch_execz .LBB8_240
; %bb.217:
	global_load_ubyte v30, v[1:2], off offset:1024
	global_load_ubyte v29, v[3:4], off offset:1024
	v_or_b32_e32 v7, 0x500, v0
	v_cmp_gt_u32_e32 vcc, s2, v7
	v_mov_b32_e32 v27, 0
	v_mov_b32_e32 v28, 0
	;; [unrolled: 1-line block ×22, first 2 shown]
	s_and_saveexec_b64 s[16:17], vcc
	s_cbranch_execz .LBB8_239
; %bb.218:
	global_load_ubyte v28, v[1:2], off offset:1280
	global_load_ubyte v27, v[3:4], off offset:1280
	v_or_b32_e32 v7, 0x600, v0
	v_cmp_gt_u32_e32 vcc, s2, v7
	v_mov_b32_e32 v25, 0
	v_mov_b32_e32 v26, 0
	;; [unrolled: 1-line block ×20, first 2 shown]
	s_and_saveexec_b64 s[18:19], vcc
	s_cbranch_execz .LBB8_238
; %bb.219:
	global_load_ubyte v26, v[1:2], off offset:1536
	global_load_ubyte v25, v[3:4], off offset:1536
	v_or_b32_e32 v7, 0x700, v0
	v_cmp_gt_u32_e32 vcc, s2, v7
	v_mov_b32_e32 v23, 0
	v_mov_b32_e32 v24, 0
	;; [unrolled: 1-line block ×18, first 2 shown]
	s_and_saveexec_b64 s[20:21], vcc
	s_cbranch_execz .LBB8_237
; %bb.220:
	global_load_ubyte v24, v[1:2], off offset:1792
	global_load_ubyte v23, v[3:4], off offset:1792
	v_or_b32_e32 v7, 0x800, v0
	v_cmp_gt_u32_e32 vcc, s2, v7
	v_mov_b32_e32 v21, 0
	v_mov_b32_e32 v22, 0
	;; [unrolled: 1-line block ×16, first 2 shown]
	s_and_saveexec_b64 s[22:23], vcc
	s_cbranch_execz .LBB8_236
; %bb.221:
	global_load_ubyte v22, v[1:2], off offset:2048
	global_load_ubyte v21, v[3:4], off offset:2048
	v_or_b32_e32 v7, 0x900, v0
	v_cmp_gt_u32_e32 vcc, s2, v7
	v_mov_b32_e32 v19, 0
	v_mov_b32_e32 v20, 0
	;; [unrolled: 1-line block ×14, first 2 shown]
	s_and_saveexec_b64 s[24:25], vcc
	s_cbranch_execz .LBB8_235
; %bb.222:
	global_load_ubyte v20, v[1:2], off offset:2304
	global_load_ubyte v19, v[3:4], off offset:2304
	v_or_b32_e32 v7, 0xa00, v0
	v_cmp_gt_u32_e32 vcc, s2, v7
	v_mov_b32_e32 v17, 0
	v_mov_b32_e32 v18, 0
	;; [unrolled: 1-line block ×12, first 2 shown]
	s_and_saveexec_b64 s[26:27], vcc
	s_cbranch_execz .LBB8_234
; %bb.223:
	global_load_ubyte v18, v[1:2], off offset:2560
	global_load_ubyte v17, v[3:4], off offset:2560
	v_or_b32_e32 v7, 0xb00, v0
	v_cmp_gt_u32_e32 vcc, s2, v7
	v_mov_b32_e32 v15, 0
	v_mov_b32_e32 v16, 0
	v_mov_b32_e32 v13, 0
	v_mov_b32_e32 v14, 0
	v_mov_b32_e32 v11, 0
	v_mov_b32_e32 v12, 0
	v_mov_b32_e32 v9, 0
	v_mov_b32_e32 v10, 0
	v_mov_b32_e32 v7, 0
	v_mov_b32_e32 v8, 0
	s_and_saveexec_b64 s[28:29], vcc
	s_cbranch_execz .LBB8_233
; %bb.224:
	global_load_ubyte v16, v[1:2], off offset:2816
	global_load_ubyte v15, v[3:4], off offset:2816
	v_or_b32_e32 v7, 0xc00, v0
	v_cmp_gt_u32_e32 vcc, s2, v7
	v_mov_b32_e32 v13, 0
	v_mov_b32_e32 v14, 0
	;; [unrolled: 1-line block ×8, first 2 shown]
	s_and_saveexec_b64 s[30:31], vcc
	s_cbranch_execz .LBB8_232
; %bb.225:
	global_load_ubyte v14, v[1:2], off offset:3072
	global_load_ubyte v13, v[3:4], off offset:3072
	v_or_b32_e32 v7, 0xd00, v0
	v_cmp_gt_u32_e32 vcc, s2, v7
	v_mov_b32_e32 v11, 0
	v_mov_b32_e32 v12, 0
	;; [unrolled: 1-line block ×6, first 2 shown]
	s_and_saveexec_b64 s[34:35], vcc
	s_cbranch_execz .LBB8_231
; %bb.226:
	global_load_ubyte v12, v[1:2], off offset:3328
	global_load_ubyte v11, v[3:4], off offset:3328
	v_or_b32_e32 v7, 0xe00, v0
	v_cmp_gt_u32_e32 vcc, s2, v7
	v_mov_b32_e32 v9, 0
	v_mov_b32_e32 v10, 0
	;; [unrolled: 1-line block ×4, first 2 shown]
	s_and_saveexec_b64 s[36:37], vcc
	s_cbranch_execz .LBB8_230
; %bb.227:
	global_load_ubyte v10, v[1:2], off offset:3584
	global_load_ubyte v9, v[3:4], off offset:3584
	v_or_b32_e32 v7, 0xf00, v0
	v_cmp_gt_u32_e32 vcc, s2, v7
	v_mov_b32_e32 v7, 0
	v_mov_b32_e32 v8, 0
	s_and_saveexec_b64 s[38:39], vcc
	s_cbranch_execz .LBB8_229
; %bb.228:
	global_load_ubyte v8, v[1:2], off offset:3840
	global_load_ubyte v7, v[3:4], off offset:3840
.LBB8_229:
	s_or_b64 exec, exec, s[38:39]
.LBB8_230:
	s_or_b64 exec, exec, s[36:37]
.LBB8_231:
	s_or_b64 exec, exec, s[34:35]
.LBB8_232:
	s_or_b64 exec, exec, s[30:31]
.LBB8_233:
	s_or_b64 exec, exec, s[28:29]
.LBB8_234:
	s_or_b64 exec, exec, s[26:27]
.LBB8_235:
	s_or_b64 exec, exec, s[24:25]
.LBB8_236:
	s_or_b64 exec, exec, s[22:23]
.LBB8_237:
	s_or_b64 exec, exec, s[20:21]
.LBB8_238:
	s_or_b64 exec, exec, s[18:19]
.LBB8_239:
	s_or_b64 exec, exec, s[16:17]
.LBB8_240:
	s_or_b64 exec, exec, s[12:13]
.LBB8_241:
	s_or_b64 exec, exec, s[10:11]
.LBB8_242:
	s_or_b64 exec, exec, s[14:15]
.LBB8_243:
	s_or_b64 exec, exec, s[6:7]
.LBB8_244:
	s_or_b64 exec, exec, s[4:5]
	v_mov_b32_e32 v3, v6
	v_mov_b32_e32 v2, v6
	;; [unrolled: 1-line block ×3, first 2 shown]
	s_and_saveexec_b64 s[4:5], s[0:1]
	s_cbranch_execz .LBB8_276
; %bb.245:
	s_cmp_lt_i32 s3, 1
	s_mov_b64 s[6:7], 0
	s_cbranch_scc1 .LBB8_250
; %bb.246:
	s_cmp_gt_i32 s3, 1
	s_cbranch_scc0 .LBB8_266
; %bb.247:
	s_cmp_eq_u32 s3, 2
	s_cbranch_scc0 .LBB8_267
; %bb.248:
	s_waitcnt vmcnt(0)
	v_cmp_le_u16_sdwa s[10:11], v37, v38 src0_sel:BYTE_0 src1_sel:BYTE_0
	s_mov_b64 s[12:13], 0
	s_branch .LBB8_268
.LBB8_249:
	v_cmp_lt_u16_sdwa s[44:45], v4, v8 src0_sel:BYTE_3 src1_sel:BYTE_3
	s_andn2_b64 s[40:41], s[40:41], exec
	s_and_b64 s[44:45], s[44:45], exec
	s_or_b64 s[40:41], s[40:41], s[44:45]
	s_cbranch_execz .LBB8_209
	s_branch .LBB8_210
.LBB8_250:
                                        ; implicit-def: $sgpr10_sgpr11
	s_mov_b64 s[12:13], 0
	s_cbranch_execnz .LBB8_271
	s_branch .LBB8_272
.LBB8_251:
	s_mov_b64 s[14:15], -1
                                        ; implicit-def: $sgpr4_sgpr5
	s_branch .LBB8_23
.LBB8_252:
	s_mov_b64 s[16:17], -1
                                        ; implicit-def: $sgpr6_sgpr7
	s_branch .LBB8_36
.LBB8_253:
	s_mov_b64 s[18:19], -1
                                        ; implicit-def: $sgpr14_sgpr15
	s_branch .LBB8_49
.LBB8_254:
	s_mov_b64 s[20:21], -1
                                        ; implicit-def: $sgpr16_sgpr17
	s_branch .LBB8_62
.LBB8_255:
	s_mov_b64 s[22:23], -1
                                        ; implicit-def: $sgpr18_sgpr19
	s_branch .LBB8_75
.LBB8_256:
	s_mov_b64 s[24:25], -1
                                        ; implicit-def: $sgpr20_sgpr21
	s_branch .LBB8_88
.LBB8_257:
	s_mov_b64 s[26:27], -1
                                        ; implicit-def: $sgpr22_sgpr23
	s_branch .LBB8_101
.LBB8_258:
	s_mov_b64 s[28:29], -1
                                        ; implicit-def: $sgpr24_sgpr25
	s_branch .LBB8_114
.LBB8_259:
	s_mov_b64 s[30:31], -1
                                        ; implicit-def: $sgpr26_sgpr27
	s_branch .LBB8_127
.LBB8_260:
	s_mov_b64 s[34:35], -1
                                        ; implicit-def: $sgpr28_sgpr29
	s_branch .LBB8_140
.LBB8_261:
	s_mov_b64 s[36:37], -1
                                        ; implicit-def: $sgpr30_sgpr31
	s_branch .LBB8_153
.LBB8_262:
	s_mov_b64 s[38:39], -1
                                        ; implicit-def: $sgpr34_sgpr35
	s_branch .LBB8_166
.LBB8_263:
	s_mov_b64 s[40:41], -1
                                        ; implicit-def: $sgpr36_sgpr37
	s_branch .LBB8_179
.LBB8_264:
	s_mov_b64 s[42:43], -1
                                        ; implicit-def: $sgpr38_sgpr39
	s_branch .LBB8_192
.LBB8_265:
	s_mov_b64 s[44:45], -1
                                        ; implicit-def: $sgpr40_sgpr41
	s_branch .LBB8_205
.LBB8_266:
	s_mov_b64 s[12:13], 0
                                        ; implicit-def: $sgpr10_sgpr11
	s_cbranch_execnz .LBB8_269
	s_branch .LBB8_270
.LBB8_267:
	s_mov_b64 s[12:13], -1
                                        ; implicit-def: $sgpr10_sgpr11
.LBB8_268:
	s_branch .LBB8_270
.LBB8_269:
	s_waitcnt vmcnt(0)
	v_cmp_gt_u16_sdwa s[14:15], v37, v38 src0_sel:BYTE_0 src1_sel:BYTE_0
	s_andn2_b64 s[10:11], s[10:11], exec
	s_and_b64 s[14:15], s[14:15], exec
	s_or_b64 s[10:11], s[10:11], s[14:15]
.LBB8_270:
	s_branch .LBB8_272
.LBB8_271:
	s_cmp_lg_u32 s3, 0
	s_mov_b64 s[6:7], -1
	s_cselect_b64 s[12:13], -1, 0
.LBB8_272:
	s_andn2_b64 vcc, exec, s[12:13]
	s_cbranch_vccz .LBB8_281
; %bb.273:
	s_andn2_b64 vcc, exec, s[6:7]
	s_cbranch_vccnz .LBB8_275
.LBB8_274:
	s_waitcnt vmcnt(0)
	v_cmp_ge_u16_sdwa s[6:7], v37, v38 src0_sel:BYTE_0 src1_sel:BYTE_0
	s_andn2_b64 s[10:11], s[10:11], exec
	s_and_b64 s[6:7], s[6:7], exec
	s_or_b64 s[10:11], s[10:11], s[6:7]
.LBB8_275:
	v_cndmask_b32_e64 v1, 0, 1, s[10:11]
	v_mov_b32_e32 v3, 0
	v_and_b32_e32 v6, 0xffff, v1
	v_mov_b32_e32 v2, v3
	v_mov_b32_e32 v1, v3
.LBB8_276:
	s_or_b64 exec, exec, s[4:5]
	v_or_b32_e32 v4, 0x100, v0
	v_cmp_gt_i32_e32 vcc, s2, v4
	s_and_saveexec_b64 s[4:5], vcc
	s_cbranch_execz .LBB8_291
; %bb.277:
	s_cmp_lt_i32 s3, 1
	s_mov_b64 s[6:7], 0
	s_cbranch_scc1 .LBB8_282
; %bb.278:
	s_cmp_gt_i32 s3, 1
	s_cbranch_scc0 .LBB8_283
; %bb.279:
	s_cmp_eq_u32 s3, 2
	s_cbranch_scc0 .LBB8_535
; %bb.280:
	s_waitcnt vmcnt(0)
	v_cmp_le_u16_sdwa s[10:11], v35, v36 src0_sel:BYTE_0 src1_sel:BYTE_0
	s_mov_b64 s[12:13], 0
	s_branch .LBB8_285
.LBB8_281:
	s_waitcnt vmcnt(0)
	v_cmp_lt_u16_sdwa s[12:13], v37, v38 src0_sel:BYTE_0 src1_sel:BYTE_0
	s_andn2_b64 s[10:11], s[10:11], exec
	s_and_b64 s[12:13], s[12:13], exec
	s_or_b64 s[10:11], s[10:11], s[12:13]
	s_cbranch_execz .LBB8_274
	s_branch .LBB8_275
.LBB8_282:
                                        ; implicit-def: $sgpr10_sgpr11
	s_mov_b64 s[12:13], 0
	s_cbranch_execnz .LBB8_286
	s_branch .LBB8_287
.LBB8_283:
	s_mov_b64 s[12:13], 0
                                        ; implicit-def: $sgpr10_sgpr11
	s_cbranch_execz .LBB8_285
; %bb.284:
	s_waitcnt vmcnt(0)
	v_cmp_gt_u16_sdwa s[14:15], v35, v36 src0_sel:BYTE_0 src1_sel:BYTE_0
	s_andn2_b64 s[10:11], s[10:11], exec
	s_and_b64 s[14:15], s[14:15], exec
	s_or_b64 s[10:11], s[10:11], s[14:15]
.LBB8_285:
	s_branch .LBB8_287
.LBB8_286:
	s_cmp_lg_u32 s3, 0
	s_mov_b64 s[6:7], -1
	s_cselect_b64 s[12:13], -1, 0
.LBB8_287:
	s_andn2_b64 vcc, exec, s[12:13]
	s_cbranch_vccz .LBB8_296
; %bb.288:
	s_andn2_b64 vcc, exec, s[6:7]
	s_cbranch_vccnz .LBB8_290
.LBB8_289:
	s_waitcnt vmcnt(0)
	v_cmp_ge_u16_sdwa s[6:7], v35, v36 src0_sel:BYTE_0 src1_sel:BYTE_0
	s_andn2_b64 s[10:11], s[10:11], exec
	s_and_b64 s[6:7], s[6:7], exec
	s_or_b64 s[10:11], s[10:11], s[6:7]
.LBB8_290:
	s_waitcnt vmcnt(1)
	v_cndmask_b32_e64 v35, 0, 1, s[10:11]
	v_lshlrev_b16_e32 v35, 8, v35
	v_or_b32_sdwa v35, v6, v35 dst_sel:DWORD dst_unused:UNUSED_PAD src0_sel:BYTE_0 src1_sel:DWORD
	v_and_b32_e32 v35, 0xffff, v35
	s_mov_b32 s6, 0xffff0000
	v_and_or_b32 v6, v6, s6, v35
.LBB8_291:
	s_or_b64 exec, exec, s[4:5]
	s_waitcnt vmcnt(1)
	v_or_b32_e32 v35, 0x200, v0
	v_cmp_gt_i32_e32 vcc, s2, v35
	s_and_saveexec_b64 s[4:5], vcc
	s_cbranch_execz .LBB8_306
; %bb.292:
	s_cmp_lt_i32 s3, 1
	s_mov_b64 s[6:7], 0
	s_cbranch_scc1 .LBB8_297
; %bb.293:
	s_cmp_gt_i32 s3, 1
	s_cbranch_scc0 .LBB8_298
; %bb.294:
	s_cmp_eq_u32 s3, 2
	s_cbranch_scc0 .LBB8_536
; %bb.295:
	s_waitcnt vmcnt(0)
	v_cmp_le_u16_sdwa s[10:11], v34, v33 src0_sel:BYTE_0 src1_sel:BYTE_0
	s_mov_b64 s[12:13], 0
	s_branch .LBB8_300
.LBB8_296:
	s_waitcnt vmcnt(0)
	v_cmp_lt_u16_sdwa s[12:13], v35, v36 src0_sel:BYTE_0 src1_sel:BYTE_0
	s_andn2_b64 s[10:11], s[10:11], exec
	s_and_b64 s[12:13], s[12:13], exec
	s_or_b64 s[10:11], s[10:11], s[12:13]
	s_cbranch_execz .LBB8_289
	s_branch .LBB8_290
.LBB8_297:
                                        ; implicit-def: $sgpr10_sgpr11
	s_mov_b64 s[12:13], 0
	s_cbranch_execnz .LBB8_301
	s_branch .LBB8_302
.LBB8_298:
	s_mov_b64 s[12:13], 0
                                        ; implicit-def: $sgpr10_sgpr11
	s_cbranch_execz .LBB8_300
; %bb.299:
	s_waitcnt vmcnt(0)
	v_cmp_gt_u16_sdwa s[14:15], v34, v33 src0_sel:BYTE_0 src1_sel:BYTE_0
	s_andn2_b64 s[10:11], s[10:11], exec
	s_and_b64 s[14:15], s[14:15], exec
	s_or_b64 s[10:11], s[10:11], s[14:15]
.LBB8_300:
	s_branch .LBB8_302
.LBB8_301:
	s_cmp_lg_u32 s3, 0
	s_mov_b64 s[6:7], -1
	s_cselect_b64 s[12:13], -1, 0
.LBB8_302:
	s_andn2_b64 vcc, exec, s[12:13]
	s_cbranch_vccz .LBB8_311
; %bb.303:
	s_andn2_b64 vcc, exec, s[6:7]
	s_cbranch_vccnz .LBB8_305
.LBB8_304:
	s_waitcnt vmcnt(0)
	v_cmp_ge_u16_sdwa s[6:7], v34, v33 src0_sel:BYTE_0 src1_sel:BYTE_0
	s_andn2_b64 s[10:11], s[10:11], exec
	s_and_b64 s[6:7], s[6:7], exec
	s_or_b64 s[10:11], s[10:11], s[6:7]
.LBB8_305:
	s_movk_i32 s6, 0xff00
	s_waitcnt vmcnt(0)
	v_and_b32_sdwa v33, v6, s6 dst_sel:DWORD dst_unused:UNUSED_PAD src0_sel:WORD_1 src1_sel:DWORD
	v_cndmask_b32_e64 v34, 0, 1, s[10:11]
	v_or_b32_sdwa v33, v34, v33 dst_sel:WORD_1 dst_unused:UNUSED_PAD src0_sel:DWORD src1_sel:DWORD
	s_mov_b32 s6, 0xffff
	v_and_or_b32 v6, v6, s6, v33
.LBB8_306:
	s_or_b64 exec, exec, s[4:5]
	s_waitcnt vmcnt(0)
	v_or_b32_e32 v33, 0x300, v0
	v_cmp_gt_i32_e32 vcc, s2, v33
	s_and_saveexec_b64 s[4:5], vcc
	s_cbranch_execz .LBB8_321
; %bb.307:
	s_cmp_lt_i32 s3, 1
	s_mov_b64 s[6:7], 0
	s_cbranch_scc1 .LBB8_312
; %bb.308:
	s_cmp_gt_i32 s3, 1
	s_cbranch_scc0 .LBB8_313
; %bb.309:
	s_cmp_eq_u32 s3, 2
	s_cbranch_scc0 .LBB8_537
; %bb.310:
	v_cmp_le_u16_sdwa s[10:11], v32, v31 src0_sel:BYTE_0 src1_sel:BYTE_0
	s_mov_b64 s[12:13], 0
	s_branch .LBB8_315
.LBB8_311:
	s_waitcnt vmcnt(0)
	v_cmp_lt_u16_sdwa s[12:13], v34, v33 src0_sel:BYTE_0 src1_sel:BYTE_0
	s_andn2_b64 s[10:11], s[10:11], exec
	s_and_b64 s[12:13], s[12:13], exec
	s_or_b64 s[10:11], s[10:11], s[12:13]
	s_cbranch_execz .LBB8_304
	s_branch .LBB8_305
.LBB8_312:
                                        ; implicit-def: $sgpr10_sgpr11
	s_mov_b64 s[12:13], 0
	s_cbranch_execnz .LBB8_316
	s_branch .LBB8_317
.LBB8_313:
	s_mov_b64 s[12:13], 0
                                        ; implicit-def: $sgpr10_sgpr11
	s_cbranch_execz .LBB8_315
; %bb.314:
	v_cmp_gt_u16_sdwa s[14:15], v32, v31 src0_sel:BYTE_0 src1_sel:BYTE_0
	s_andn2_b64 s[10:11], s[10:11], exec
	s_and_b64 s[14:15], s[14:15], exec
	s_or_b64 s[10:11], s[10:11], s[14:15]
.LBB8_315:
	s_branch .LBB8_317
.LBB8_316:
	s_cmp_lg_u32 s3, 0
	s_mov_b64 s[6:7], -1
	s_cselect_b64 s[12:13], -1, 0
.LBB8_317:
	s_andn2_b64 vcc, exec, s[12:13]
	s_cbranch_vccz .LBB8_326
; %bb.318:
	s_andn2_b64 vcc, exec, s[6:7]
	s_cbranch_vccnz .LBB8_320
.LBB8_319:
	v_cmp_ge_u16_sdwa s[6:7], v32, v31 src0_sel:BYTE_0 src1_sel:BYTE_0
	s_andn2_b64 s[10:11], s[10:11], exec
	s_and_b64 s[6:7], s[6:7], exec
	s_or_b64 s[10:11], s[10:11], s[6:7]
.LBB8_320:
	s_movk_i32 s6, 0xff
	v_cndmask_b32_e64 v32, 0, 1, s[10:11]
	v_and_b32_sdwa v31, v6, s6 dst_sel:DWORD dst_unused:UNUSED_PAD src0_sel:WORD_1 src1_sel:DWORD
	v_lshlrev_b16_e32 v32, 8, v32
	v_or_b32_sdwa v31, v31, v32 dst_sel:WORD_1 dst_unused:UNUSED_PAD src0_sel:DWORD src1_sel:DWORD
	s_mov_b32 s6, 0xffff
	v_and_or_b32 v6, v6, s6, v31
.LBB8_321:
	s_or_b64 exec, exec, s[4:5]
	v_or_b32_e32 v31, 0x400, v0
	v_cmp_gt_i32_e32 vcc, s2, v31
	s_and_saveexec_b64 s[4:5], vcc
	s_cbranch_execz .LBB8_336
; %bb.322:
	s_cmp_lt_i32 s3, 1
	s_mov_b64 s[6:7], 0
	s_cbranch_scc1 .LBB8_327
; %bb.323:
	s_cmp_gt_i32 s3, 1
	s_cbranch_scc0 .LBB8_328
; %bb.324:
	s_cmp_eq_u32 s3, 2
	s_cbranch_scc0 .LBB8_538
; %bb.325:
	v_cmp_le_u16_sdwa s[10:11], v30, v29 src0_sel:BYTE_0 src1_sel:BYTE_0
	s_mov_b64 s[12:13], 0
	s_branch .LBB8_330
.LBB8_326:
	v_cmp_lt_u16_sdwa s[12:13], v32, v31 src0_sel:BYTE_0 src1_sel:BYTE_0
	s_andn2_b64 s[10:11], s[10:11], exec
	s_and_b64 s[12:13], s[12:13], exec
	s_or_b64 s[10:11], s[10:11], s[12:13]
	s_cbranch_execz .LBB8_319
	s_branch .LBB8_320
.LBB8_327:
                                        ; implicit-def: $sgpr10_sgpr11
	s_mov_b64 s[12:13], 0
	s_cbranch_execnz .LBB8_331
	s_branch .LBB8_332
.LBB8_328:
	s_mov_b64 s[12:13], 0
                                        ; implicit-def: $sgpr10_sgpr11
	s_cbranch_execz .LBB8_330
; %bb.329:
	v_cmp_gt_u16_sdwa s[14:15], v30, v29 src0_sel:BYTE_0 src1_sel:BYTE_0
	s_andn2_b64 s[10:11], s[10:11], exec
	s_and_b64 s[14:15], s[14:15], exec
	s_or_b64 s[10:11], s[10:11], s[14:15]
.LBB8_330:
	s_branch .LBB8_332
.LBB8_331:
	s_cmp_lg_u32 s3, 0
	s_mov_b64 s[6:7], -1
	s_cselect_b64 s[12:13], -1, 0
.LBB8_332:
	s_andn2_b64 vcc, exec, s[12:13]
	s_cbranch_vccz .LBB8_341
; %bb.333:
	s_andn2_b64 vcc, exec, s[6:7]
	s_cbranch_vccnz .LBB8_335
.LBB8_334:
	v_cmp_ge_u16_sdwa s[6:7], v30, v29 src0_sel:BYTE_0 src1_sel:BYTE_0
	s_andn2_b64 s[10:11], s[10:11], exec
	s_and_b64 s[6:7], s[6:7], exec
	s_or_b64 s[10:11], s[10:11], s[6:7]
.LBB8_335:
	v_and_b32_e32 v29, 0xffffff00, v3
	v_cndmask_b32_e64 v30, 0, 1, s[10:11]
	v_or_b32_e32 v29, v30, v29
	v_and_b32_e32 v29, 0xffff, v29
	s_mov_b32 s6, 0xffff0000
	v_and_or_b32 v3, v3, s6, v29
.LBB8_336:
	s_or_b64 exec, exec, s[4:5]
	v_or_b32_e32 v29, 0x500, v0
	v_cmp_gt_i32_e32 vcc, s2, v29
	s_and_saveexec_b64 s[4:5], vcc
	s_cbranch_execz .LBB8_351
; %bb.337:
	s_cmp_lt_i32 s3, 1
	s_mov_b64 s[6:7], 0
	s_cbranch_scc1 .LBB8_342
; %bb.338:
	s_cmp_gt_i32 s3, 1
	s_cbranch_scc0 .LBB8_343
; %bb.339:
	s_cmp_eq_u32 s3, 2
	s_cbranch_scc0 .LBB8_539
; %bb.340:
	v_cmp_le_u16_sdwa s[10:11], v28, v27 src0_sel:BYTE_0 src1_sel:BYTE_0
	s_mov_b64 s[12:13], 0
	s_branch .LBB8_345
.LBB8_341:
	v_cmp_lt_u16_sdwa s[12:13], v30, v29 src0_sel:BYTE_0 src1_sel:BYTE_0
	s_andn2_b64 s[10:11], s[10:11], exec
	s_and_b64 s[12:13], s[12:13], exec
	s_or_b64 s[10:11], s[10:11], s[12:13]
	s_cbranch_execz .LBB8_334
	s_branch .LBB8_335
.LBB8_342:
                                        ; implicit-def: $sgpr10_sgpr11
	s_mov_b64 s[12:13], 0
	s_cbranch_execnz .LBB8_346
	s_branch .LBB8_347
.LBB8_343:
	s_mov_b64 s[12:13], 0
                                        ; implicit-def: $sgpr10_sgpr11
	s_cbranch_execz .LBB8_345
; %bb.344:
	v_cmp_gt_u16_sdwa s[14:15], v28, v27 src0_sel:BYTE_0 src1_sel:BYTE_0
	s_andn2_b64 s[10:11], s[10:11], exec
	s_and_b64 s[14:15], s[14:15], exec
	s_or_b64 s[10:11], s[10:11], s[14:15]
.LBB8_345:
	s_branch .LBB8_347
.LBB8_346:
	s_cmp_lg_u32 s3, 0
	s_mov_b64 s[6:7], -1
	s_cselect_b64 s[12:13], -1, 0
.LBB8_347:
	s_andn2_b64 vcc, exec, s[12:13]
	s_cbranch_vccz .LBB8_356
; %bb.348:
	s_andn2_b64 vcc, exec, s[6:7]
	s_cbranch_vccnz .LBB8_350
.LBB8_349:
	v_cmp_ge_u16_sdwa s[6:7], v28, v27 src0_sel:BYTE_0 src1_sel:BYTE_0
	s_andn2_b64 s[10:11], s[10:11], exec
	s_and_b64 s[6:7], s[6:7], exec
	s_or_b64 s[10:11], s[10:11], s[6:7]
.LBB8_350:
	v_cndmask_b32_e64 v27, 0, 1, s[10:11]
	v_lshlrev_b16_e32 v27, 8, v27
	v_or_b32_sdwa v27, v3, v27 dst_sel:DWORD dst_unused:UNUSED_PAD src0_sel:BYTE_0 src1_sel:DWORD
	v_and_b32_e32 v27, 0xffff, v27
	s_mov_b32 s6, 0xffff0000
	v_and_or_b32 v3, v3, s6, v27
.LBB8_351:
	s_or_b64 exec, exec, s[4:5]
	v_or_b32_e32 v27, 0x600, v0
	v_cmp_gt_i32_e32 vcc, s2, v27
	s_and_saveexec_b64 s[4:5], vcc
	s_cbranch_execz .LBB8_366
; %bb.352:
	s_cmp_lt_i32 s3, 1
	s_mov_b64 s[6:7], 0
	s_cbranch_scc1 .LBB8_357
; %bb.353:
	s_cmp_gt_i32 s3, 1
	s_cbranch_scc0 .LBB8_358
; %bb.354:
	s_cmp_eq_u32 s3, 2
	s_cbranch_scc0 .LBB8_540
; %bb.355:
	v_cmp_le_u16_sdwa s[10:11], v26, v25 src0_sel:BYTE_0 src1_sel:BYTE_0
	s_mov_b64 s[12:13], 0
	s_branch .LBB8_360
.LBB8_356:
	v_cmp_lt_u16_sdwa s[12:13], v28, v27 src0_sel:BYTE_0 src1_sel:BYTE_0
	s_andn2_b64 s[10:11], s[10:11], exec
	s_and_b64 s[12:13], s[12:13], exec
	s_or_b64 s[10:11], s[10:11], s[12:13]
	s_cbranch_execz .LBB8_349
	s_branch .LBB8_350
.LBB8_357:
                                        ; implicit-def: $sgpr10_sgpr11
	s_mov_b64 s[12:13], 0
	s_cbranch_execnz .LBB8_361
	s_branch .LBB8_362
.LBB8_358:
	s_mov_b64 s[12:13], 0
                                        ; implicit-def: $sgpr10_sgpr11
	s_cbranch_execz .LBB8_360
; %bb.359:
	v_cmp_gt_u16_sdwa s[14:15], v26, v25 src0_sel:BYTE_0 src1_sel:BYTE_0
	s_andn2_b64 s[10:11], s[10:11], exec
	s_and_b64 s[14:15], s[14:15], exec
	s_or_b64 s[10:11], s[10:11], s[14:15]
.LBB8_360:
	s_branch .LBB8_362
.LBB8_361:
	s_cmp_lg_u32 s3, 0
	s_mov_b64 s[6:7], -1
	s_cselect_b64 s[12:13], -1, 0
.LBB8_362:
	s_andn2_b64 vcc, exec, s[12:13]
	s_cbranch_vccz .LBB8_371
; %bb.363:
	s_andn2_b64 vcc, exec, s[6:7]
	s_cbranch_vccnz .LBB8_365
.LBB8_364:
	v_cmp_ge_u16_sdwa s[6:7], v26, v25 src0_sel:BYTE_0 src1_sel:BYTE_0
	s_andn2_b64 s[10:11], s[10:11], exec
	s_and_b64 s[6:7], s[6:7], exec
	s_or_b64 s[10:11], s[10:11], s[6:7]
.LBB8_365:
	s_movk_i32 s6, 0xff00
	v_and_b32_sdwa v25, v3, s6 dst_sel:DWORD dst_unused:UNUSED_PAD src0_sel:WORD_1 src1_sel:DWORD
	v_cndmask_b32_e64 v26, 0, 1, s[10:11]
	v_or_b32_sdwa v25, v26, v25 dst_sel:WORD_1 dst_unused:UNUSED_PAD src0_sel:DWORD src1_sel:DWORD
	s_mov_b32 s6, 0xffff
	v_and_or_b32 v3, v3, s6, v25
.LBB8_366:
	s_or_b64 exec, exec, s[4:5]
	v_or_b32_e32 v25, 0x700, v0
	v_cmp_gt_i32_e32 vcc, s2, v25
	s_and_saveexec_b64 s[4:5], vcc
	s_cbranch_execz .LBB8_381
; %bb.367:
	s_cmp_lt_i32 s3, 1
	s_mov_b64 s[6:7], 0
	s_cbranch_scc1 .LBB8_372
; %bb.368:
	s_cmp_gt_i32 s3, 1
	s_cbranch_scc0 .LBB8_373
; %bb.369:
	s_cmp_eq_u32 s3, 2
	s_cbranch_scc0 .LBB8_541
; %bb.370:
	v_cmp_le_u16_sdwa s[10:11], v24, v23 src0_sel:BYTE_0 src1_sel:BYTE_0
	s_mov_b64 s[12:13], 0
	s_branch .LBB8_375
.LBB8_371:
	v_cmp_lt_u16_sdwa s[12:13], v26, v25 src0_sel:BYTE_0 src1_sel:BYTE_0
	s_andn2_b64 s[10:11], s[10:11], exec
	s_and_b64 s[12:13], s[12:13], exec
	s_or_b64 s[10:11], s[10:11], s[12:13]
	s_cbranch_execz .LBB8_364
	s_branch .LBB8_365
.LBB8_372:
                                        ; implicit-def: $sgpr10_sgpr11
	s_mov_b64 s[12:13], 0
	s_cbranch_execnz .LBB8_376
	s_branch .LBB8_377
.LBB8_373:
	s_mov_b64 s[12:13], 0
                                        ; implicit-def: $sgpr10_sgpr11
	s_cbranch_execz .LBB8_375
; %bb.374:
	v_cmp_gt_u16_sdwa s[14:15], v24, v23 src0_sel:BYTE_0 src1_sel:BYTE_0
	s_andn2_b64 s[10:11], s[10:11], exec
	s_and_b64 s[14:15], s[14:15], exec
	s_or_b64 s[10:11], s[10:11], s[14:15]
.LBB8_375:
	s_branch .LBB8_377
.LBB8_376:
	s_cmp_lg_u32 s3, 0
	s_mov_b64 s[6:7], -1
	s_cselect_b64 s[12:13], -1, 0
.LBB8_377:
	s_andn2_b64 vcc, exec, s[12:13]
	s_cbranch_vccz .LBB8_386
; %bb.378:
	s_andn2_b64 vcc, exec, s[6:7]
	s_cbranch_vccnz .LBB8_380
.LBB8_379:
	v_cmp_ge_u16_sdwa s[6:7], v24, v23 src0_sel:BYTE_0 src1_sel:BYTE_0
	s_andn2_b64 s[10:11], s[10:11], exec
	s_and_b64 s[6:7], s[6:7], exec
	s_or_b64 s[10:11], s[10:11], s[6:7]
.LBB8_380:
	s_movk_i32 s6, 0xff
	v_cndmask_b32_e64 v24, 0, 1, s[10:11]
	v_and_b32_sdwa v23, v3, s6 dst_sel:DWORD dst_unused:UNUSED_PAD src0_sel:WORD_1 src1_sel:DWORD
	v_lshlrev_b16_e32 v24, 8, v24
	v_or_b32_sdwa v23, v23, v24 dst_sel:WORD_1 dst_unused:UNUSED_PAD src0_sel:DWORD src1_sel:DWORD
	s_mov_b32 s6, 0xffff
	v_and_or_b32 v3, v3, s6, v23
.LBB8_381:
	s_or_b64 exec, exec, s[4:5]
	v_or_b32_e32 v23, 0x800, v0
	v_cmp_gt_i32_e32 vcc, s2, v23
	s_and_saveexec_b64 s[4:5], vcc
	s_cbranch_execz .LBB8_396
; %bb.382:
	s_cmp_lt_i32 s3, 1
	s_mov_b64 s[6:7], 0
	s_cbranch_scc1 .LBB8_387
; %bb.383:
	s_cmp_gt_i32 s3, 1
	s_cbranch_scc0 .LBB8_388
; %bb.384:
	s_cmp_eq_u32 s3, 2
	s_cbranch_scc0 .LBB8_542
; %bb.385:
	v_cmp_le_u16_sdwa s[10:11], v22, v21 src0_sel:BYTE_0 src1_sel:BYTE_0
	s_mov_b64 s[12:13], 0
	s_branch .LBB8_390
.LBB8_386:
	v_cmp_lt_u16_sdwa s[12:13], v24, v23 src0_sel:BYTE_0 src1_sel:BYTE_0
	s_andn2_b64 s[10:11], s[10:11], exec
	s_and_b64 s[12:13], s[12:13], exec
	s_or_b64 s[10:11], s[10:11], s[12:13]
	s_cbranch_execz .LBB8_379
	s_branch .LBB8_380
.LBB8_387:
                                        ; implicit-def: $sgpr10_sgpr11
	s_mov_b64 s[12:13], 0
	s_cbranch_execnz .LBB8_391
	s_branch .LBB8_392
.LBB8_388:
	s_mov_b64 s[12:13], 0
                                        ; implicit-def: $sgpr10_sgpr11
	s_cbranch_execz .LBB8_390
; %bb.389:
	v_cmp_gt_u16_sdwa s[14:15], v22, v21 src0_sel:BYTE_0 src1_sel:BYTE_0
	s_andn2_b64 s[10:11], s[10:11], exec
	s_and_b64 s[14:15], s[14:15], exec
	s_or_b64 s[10:11], s[10:11], s[14:15]
.LBB8_390:
	s_branch .LBB8_392
.LBB8_391:
	s_cmp_lg_u32 s3, 0
	s_mov_b64 s[6:7], -1
	s_cselect_b64 s[12:13], -1, 0
.LBB8_392:
	s_andn2_b64 vcc, exec, s[12:13]
	s_cbranch_vccz .LBB8_401
; %bb.393:
	s_andn2_b64 vcc, exec, s[6:7]
	s_cbranch_vccnz .LBB8_395
.LBB8_394:
	v_cmp_ge_u16_sdwa s[6:7], v22, v21 src0_sel:BYTE_0 src1_sel:BYTE_0
	s_andn2_b64 s[10:11], s[10:11], exec
	s_and_b64 s[6:7], s[6:7], exec
	s_or_b64 s[10:11], s[10:11], s[6:7]
.LBB8_395:
	v_and_b32_e32 v21, 0xffffff00, v2
	v_cndmask_b32_e64 v22, 0, 1, s[10:11]
	v_or_b32_e32 v21, v22, v21
	v_and_b32_e32 v21, 0xffff, v21
	s_mov_b32 s6, 0xffff0000
	v_and_or_b32 v2, v2, s6, v21
.LBB8_396:
	s_or_b64 exec, exec, s[4:5]
	v_or_b32_e32 v21, 0x900, v0
	v_cmp_gt_i32_e32 vcc, s2, v21
	s_and_saveexec_b64 s[4:5], vcc
	s_cbranch_execz .LBB8_411
; %bb.397:
	s_cmp_lt_i32 s3, 1
	s_mov_b64 s[6:7], 0
	s_cbranch_scc1 .LBB8_402
; %bb.398:
	s_cmp_gt_i32 s3, 1
	s_cbranch_scc0 .LBB8_403
; %bb.399:
	s_cmp_eq_u32 s3, 2
	s_cbranch_scc0 .LBB8_543
; %bb.400:
	v_cmp_le_u16_sdwa s[10:11], v20, v19 src0_sel:BYTE_0 src1_sel:BYTE_0
	s_mov_b64 s[12:13], 0
	s_branch .LBB8_405
.LBB8_401:
	v_cmp_lt_u16_sdwa s[12:13], v22, v21 src0_sel:BYTE_0 src1_sel:BYTE_0
	s_andn2_b64 s[10:11], s[10:11], exec
	s_and_b64 s[12:13], s[12:13], exec
	s_or_b64 s[10:11], s[10:11], s[12:13]
	s_cbranch_execz .LBB8_394
	s_branch .LBB8_395
.LBB8_402:
                                        ; implicit-def: $sgpr10_sgpr11
	s_mov_b64 s[12:13], 0
	s_cbranch_execnz .LBB8_406
	s_branch .LBB8_407
.LBB8_403:
	s_mov_b64 s[12:13], 0
                                        ; implicit-def: $sgpr10_sgpr11
	s_cbranch_execz .LBB8_405
; %bb.404:
	v_cmp_gt_u16_sdwa s[14:15], v20, v19 src0_sel:BYTE_0 src1_sel:BYTE_0
	s_andn2_b64 s[10:11], s[10:11], exec
	s_and_b64 s[14:15], s[14:15], exec
	s_or_b64 s[10:11], s[10:11], s[14:15]
.LBB8_405:
	s_branch .LBB8_407
.LBB8_406:
	s_cmp_lg_u32 s3, 0
	s_mov_b64 s[6:7], -1
	s_cselect_b64 s[12:13], -1, 0
.LBB8_407:
	s_andn2_b64 vcc, exec, s[12:13]
	s_cbranch_vccz .LBB8_416
; %bb.408:
	s_andn2_b64 vcc, exec, s[6:7]
	s_cbranch_vccnz .LBB8_410
.LBB8_409:
	v_cmp_ge_u16_sdwa s[6:7], v20, v19 src0_sel:BYTE_0 src1_sel:BYTE_0
	s_andn2_b64 s[10:11], s[10:11], exec
	s_and_b64 s[6:7], s[6:7], exec
	s_or_b64 s[10:11], s[10:11], s[6:7]
.LBB8_410:
	v_cndmask_b32_e64 v19, 0, 1, s[10:11]
	v_lshlrev_b16_e32 v19, 8, v19
	v_or_b32_sdwa v19, v2, v19 dst_sel:DWORD dst_unused:UNUSED_PAD src0_sel:BYTE_0 src1_sel:DWORD
	v_and_b32_e32 v19, 0xffff, v19
	s_mov_b32 s6, 0xffff0000
	v_and_or_b32 v2, v2, s6, v19
.LBB8_411:
	s_or_b64 exec, exec, s[4:5]
	v_or_b32_e32 v19, 0xa00, v0
	v_cmp_gt_i32_e32 vcc, s2, v19
	s_and_saveexec_b64 s[4:5], vcc
	s_cbranch_execz .LBB8_426
; %bb.412:
	s_cmp_lt_i32 s3, 1
	s_mov_b64 s[6:7], 0
	s_cbranch_scc1 .LBB8_417
; %bb.413:
	s_cmp_gt_i32 s3, 1
	s_cbranch_scc0 .LBB8_418
; %bb.414:
	s_cmp_eq_u32 s3, 2
	s_cbranch_scc0 .LBB8_544
; %bb.415:
	v_cmp_le_u16_sdwa s[10:11], v18, v17 src0_sel:BYTE_0 src1_sel:BYTE_0
	s_mov_b64 s[12:13], 0
	s_branch .LBB8_420
.LBB8_416:
	v_cmp_lt_u16_sdwa s[12:13], v20, v19 src0_sel:BYTE_0 src1_sel:BYTE_0
	s_andn2_b64 s[10:11], s[10:11], exec
	s_and_b64 s[12:13], s[12:13], exec
	s_or_b64 s[10:11], s[10:11], s[12:13]
	s_cbranch_execz .LBB8_409
	s_branch .LBB8_410
.LBB8_417:
                                        ; implicit-def: $sgpr10_sgpr11
	s_mov_b64 s[12:13], 0
	s_cbranch_execnz .LBB8_421
	s_branch .LBB8_422
.LBB8_418:
	s_mov_b64 s[12:13], 0
                                        ; implicit-def: $sgpr10_sgpr11
	s_cbranch_execz .LBB8_420
; %bb.419:
	v_cmp_gt_u16_sdwa s[14:15], v18, v17 src0_sel:BYTE_0 src1_sel:BYTE_0
	s_andn2_b64 s[10:11], s[10:11], exec
	s_and_b64 s[14:15], s[14:15], exec
	s_or_b64 s[10:11], s[10:11], s[14:15]
.LBB8_420:
	s_branch .LBB8_422
.LBB8_421:
	s_cmp_lg_u32 s3, 0
	s_mov_b64 s[6:7], -1
	s_cselect_b64 s[12:13], -1, 0
.LBB8_422:
	s_andn2_b64 vcc, exec, s[12:13]
	s_cbranch_vccz .LBB8_431
; %bb.423:
	s_andn2_b64 vcc, exec, s[6:7]
	s_cbranch_vccnz .LBB8_425
.LBB8_424:
	v_cmp_ge_u16_sdwa s[6:7], v18, v17 src0_sel:BYTE_0 src1_sel:BYTE_0
	s_andn2_b64 s[10:11], s[10:11], exec
	s_and_b64 s[6:7], s[6:7], exec
	s_or_b64 s[10:11], s[10:11], s[6:7]
.LBB8_425:
	s_movk_i32 s6, 0xff00
	v_and_b32_sdwa v17, v2, s6 dst_sel:DWORD dst_unused:UNUSED_PAD src0_sel:WORD_1 src1_sel:DWORD
	v_cndmask_b32_e64 v18, 0, 1, s[10:11]
	v_or_b32_sdwa v17, v18, v17 dst_sel:WORD_1 dst_unused:UNUSED_PAD src0_sel:DWORD src1_sel:DWORD
	s_mov_b32 s6, 0xffff
	v_and_or_b32 v2, v2, s6, v17
.LBB8_426:
	s_or_b64 exec, exec, s[4:5]
	v_or_b32_e32 v17, 0xb00, v0
	v_cmp_gt_i32_e32 vcc, s2, v17
	s_and_saveexec_b64 s[4:5], vcc
	s_cbranch_execz .LBB8_441
; %bb.427:
	s_cmp_lt_i32 s3, 1
	s_mov_b64 s[6:7], 0
	s_cbranch_scc1 .LBB8_432
; %bb.428:
	s_cmp_gt_i32 s3, 1
	s_cbranch_scc0 .LBB8_433
; %bb.429:
	s_cmp_eq_u32 s3, 2
	s_cbranch_scc0 .LBB8_545
; %bb.430:
	v_cmp_le_u16_sdwa s[10:11], v16, v15 src0_sel:BYTE_0 src1_sel:BYTE_0
	s_mov_b64 s[12:13], 0
	s_branch .LBB8_435
.LBB8_431:
	v_cmp_lt_u16_sdwa s[12:13], v18, v17 src0_sel:BYTE_0 src1_sel:BYTE_0
	s_andn2_b64 s[10:11], s[10:11], exec
	s_and_b64 s[12:13], s[12:13], exec
	s_or_b64 s[10:11], s[10:11], s[12:13]
	s_cbranch_execz .LBB8_424
	s_branch .LBB8_425
.LBB8_432:
                                        ; implicit-def: $sgpr10_sgpr11
	s_mov_b64 s[12:13], 0
	s_cbranch_execnz .LBB8_436
	s_branch .LBB8_437
.LBB8_433:
	s_mov_b64 s[12:13], 0
                                        ; implicit-def: $sgpr10_sgpr11
	s_cbranch_execz .LBB8_435
; %bb.434:
	v_cmp_gt_u16_sdwa s[14:15], v16, v15 src0_sel:BYTE_0 src1_sel:BYTE_0
	s_andn2_b64 s[10:11], s[10:11], exec
	s_and_b64 s[14:15], s[14:15], exec
	s_or_b64 s[10:11], s[10:11], s[14:15]
.LBB8_435:
	s_branch .LBB8_437
.LBB8_436:
	s_cmp_lg_u32 s3, 0
	s_mov_b64 s[6:7], -1
	s_cselect_b64 s[12:13], -1, 0
.LBB8_437:
	s_andn2_b64 vcc, exec, s[12:13]
	s_cbranch_vccz .LBB8_446
; %bb.438:
	s_andn2_b64 vcc, exec, s[6:7]
	s_cbranch_vccnz .LBB8_440
.LBB8_439:
	v_cmp_ge_u16_sdwa s[6:7], v16, v15 src0_sel:BYTE_0 src1_sel:BYTE_0
	s_andn2_b64 s[10:11], s[10:11], exec
	s_and_b64 s[6:7], s[6:7], exec
	s_or_b64 s[10:11], s[10:11], s[6:7]
.LBB8_440:
	s_movk_i32 s6, 0xff
	v_cndmask_b32_e64 v16, 0, 1, s[10:11]
	v_and_b32_sdwa v15, v2, s6 dst_sel:DWORD dst_unused:UNUSED_PAD src0_sel:WORD_1 src1_sel:DWORD
	v_lshlrev_b16_e32 v16, 8, v16
	v_or_b32_sdwa v15, v15, v16 dst_sel:WORD_1 dst_unused:UNUSED_PAD src0_sel:DWORD src1_sel:DWORD
	s_mov_b32 s6, 0xffff
	v_and_or_b32 v2, v2, s6, v15
.LBB8_441:
	s_or_b64 exec, exec, s[4:5]
	v_or_b32_e32 v15, 0xc00, v0
	v_cmp_gt_i32_e32 vcc, s2, v15
	s_and_saveexec_b64 s[4:5], vcc
	s_cbranch_execz .LBB8_456
; %bb.442:
	s_cmp_lt_i32 s3, 1
	s_mov_b64 s[6:7], 0
	s_cbranch_scc1 .LBB8_447
; %bb.443:
	s_cmp_gt_i32 s3, 1
	s_cbranch_scc0 .LBB8_448
; %bb.444:
	s_cmp_eq_u32 s3, 2
	s_cbranch_scc0 .LBB8_546
; %bb.445:
	v_cmp_le_u16_sdwa s[10:11], v14, v13 src0_sel:BYTE_0 src1_sel:BYTE_0
	s_mov_b64 s[12:13], 0
	s_branch .LBB8_450
.LBB8_446:
	v_cmp_lt_u16_sdwa s[12:13], v16, v15 src0_sel:BYTE_0 src1_sel:BYTE_0
	s_andn2_b64 s[10:11], s[10:11], exec
	s_and_b64 s[12:13], s[12:13], exec
	s_or_b64 s[10:11], s[10:11], s[12:13]
	s_cbranch_execz .LBB8_439
	s_branch .LBB8_440
.LBB8_447:
                                        ; implicit-def: $sgpr10_sgpr11
	s_mov_b64 s[12:13], 0
	s_cbranch_execnz .LBB8_451
	s_branch .LBB8_452
.LBB8_448:
	s_mov_b64 s[12:13], 0
                                        ; implicit-def: $sgpr10_sgpr11
	s_cbranch_execz .LBB8_450
; %bb.449:
	v_cmp_gt_u16_sdwa s[14:15], v14, v13 src0_sel:BYTE_0 src1_sel:BYTE_0
	s_andn2_b64 s[10:11], s[10:11], exec
	s_and_b64 s[14:15], s[14:15], exec
	s_or_b64 s[10:11], s[10:11], s[14:15]
.LBB8_450:
	s_branch .LBB8_452
.LBB8_451:
	s_cmp_lg_u32 s3, 0
	s_mov_b64 s[6:7], -1
	s_cselect_b64 s[12:13], -1, 0
.LBB8_452:
	s_andn2_b64 vcc, exec, s[12:13]
	s_cbranch_vccz .LBB8_461
; %bb.453:
	s_andn2_b64 vcc, exec, s[6:7]
	s_cbranch_vccnz .LBB8_455
.LBB8_454:
	v_cmp_ge_u16_sdwa s[6:7], v14, v13 src0_sel:BYTE_0 src1_sel:BYTE_0
	s_andn2_b64 s[10:11], s[10:11], exec
	s_and_b64 s[6:7], s[6:7], exec
	s_or_b64 s[10:11], s[10:11], s[6:7]
.LBB8_455:
	v_and_b32_e32 v13, 0xffffff00, v1
	v_cndmask_b32_e64 v14, 0, 1, s[10:11]
	v_or_b32_e32 v13, v14, v13
	v_and_b32_e32 v13, 0xffff, v13
	s_mov_b32 s6, 0xffff0000
	v_and_or_b32 v1, v1, s6, v13
.LBB8_456:
	s_or_b64 exec, exec, s[4:5]
	v_or_b32_e32 v13, 0xd00, v0
	v_cmp_gt_i32_e32 vcc, s2, v13
	s_and_saveexec_b64 s[4:5], vcc
	s_cbranch_execz .LBB8_471
; %bb.457:
	s_cmp_lt_i32 s3, 1
	s_mov_b64 s[6:7], 0
	s_cbranch_scc1 .LBB8_462
; %bb.458:
	s_cmp_gt_i32 s3, 1
	s_cbranch_scc0 .LBB8_463
; %bb.459:
	s_cmp_eq_u32 s3, 2
	s_cbranch_scc0 .LBB8_547
; %bb.460:
	v_cmp_le_u16_sdwa s[10:11], v12, v11 src0_sel:BYTE_0 src1_sel:BYTE_0
	s_mov_b64 s[12:13], 0
	s_branch .LBB8_465
.LBB8_461:
	v_cmp_lt_u16_sdwa s[12:13], v14, v13 src0_sel:BYTE_0 src1_sel:BYTE_0
	s_andn2_b64 s[10:11], s[10:11], exec
	s_and_b64 s[12:13], s[12:13], exec
	s_or_b64 s[10:11], s[10:11], s[12:13]
	s_cbranch_execz .LBB8_454
	s_branch .LBB8_455
.LBB8_462:
                                        ; implicit-def: $sgpr10_sgpr11
	s_mov_b64 s[12:13], 0
	s_cbranch_execnz .LBB8_466
	s_branch .LBB8_467
.LBB8_463:
	s_mov_b64 s[12:13], 0
                                        ; implicit-def: $sgpr10_sgpr11
	s_cbranch_execz .LBB8_465
; %bb.464:
	v_cmp_gt_u16_sdwa s[14:15], v12, v11 src0_sel:BYTE_0 src1_sel:BYTE_0
	s_andn2_b64 s[10:11], s[10:11], exec
	s_and_b64 s[14:15], s[14:15], exec
	s_or_b64 s[10:11], s[10:11], s[14:15]
.LBB8_465:
	s_branch .LBB8_467
.LBB8_466:
	s_cmp_lg_u32 s3, 0
	s_mov_b64 s[6:7], -1
	s_cselect_b64 s[12:13], -1, 0
.LBB8_467:
	s_andn2_b64 vcc, exec, s[12:13]
	s_cbranch_vccz .LBB8_476
; %bb.468:
	s_andn2_b64 vcc, exec, s[6:7]
	s_cbranch_vccnz .LBB8_470
.LBB8_469:
	v_cmp_ge_u16_sdwa s[6:7], v12, v11 src0_sel:BYTE_0 src1_sel:BYTE_0
	s_andn2_b64 s[10:11], s[10:11], exec
	s_and_b64 s[6:7], s[6:7], exec
	s_or_b64 s[10:11], s[10:11], s[6:7]
.LBB8_470:
	v_cndmask_b32_e64 v11, 0, 1, s[10:11]
	v_lshlrev_b16_e32 v11, 8, v11
	v_or_b32_sdwa v11, v1, v11 dst_sel:DWORD dst_unused:UNUSED_PAD src0_sel:BYTE_0 src1_sel:DWORD
	v_and_b32_e32 v11, 0xffff, v11
	s_mov_b32 s6, 0xffff0000
	v_and_or_b32 v1, v1, s6, v11
.LBB8_471:
	s_or_b64 exec, exec, s[4:5]
	v_or_b32_e32 v11, 0xe00, v0
	v_cmp_gt_i32_e32 vcc, s2, v11
	s_and_saveexec_b64 s[4:5], vcc
	s_cbranch_execz .LBB8_486
; %bb.472:
	s_cmp_lt_i32 s3, 1
	s_mov_b64 s[6:7], 0
	s_cbranch_scc1 .LBB8_477
; %bb.473:
	s_cmp_gt_i32 s3, 1
	s_cbranch_scc0 .LBB8_478
; %bb.474:
	s_cmp_eq_u32 s3, 2
	s_cbranch_scc0 .LBB8_548
; %bb.475:
	v_cmp_le_u16_sdwa s[10:11], v10, v9 src0_sel:BYTE_0 src1_sel:BYTE_0
	s_mov_b64 s[12:13], 0
	s_branch .LBB8_480
.LBB8_476:
	v_cmp_lt_u16_sdwa s[12:13], v12, v11 src0_sel:BYTE_0 src1_sel:BYTE_0
	s_andn2_b64 s[10:11], s[10:11], exec
	s_and_b64 s[12:13], s[12:13], exec
	s_or_b64 s[10:11], s[10:11], s[12:13]
	s_cbranch_execz .LBB8_469
	s_branch .LBB8_470
.LBB8_477:
                                        ; implicit-def: $sgpr10_sgpr11
	s_mov_b64 s[12:13], 0
	s_cbranch_execnz .LBB8_481
	s_branch .LBB8_482
.LBB8_478:
	s_mov_b64 s[12:13], 0
                                        ; implicit-def: $sgpr10_sgpr11
	s_cbranch_execz .LBB8_480
; %bb.479:
	v_cmp_gt_u16_sdwa s[14:15], v10, v9 src0_sel:BYTE_0 src1_sel:BYTE_0
	s_andn2_b64 s[10:11], s[10:11], exec
	s_and_b64 s[14:15], s[14:15], exec
	s_or_b64 s[10:11], s[10:11], s[14:15]
.LBB8_480:
	s_branch .LBB8_482
.LBB8_481:
	s_cmp_lg_u32 s3, 0
	s_mov_b64 s[6:7], -1
	s_cselect_b64 s[12:13], -1, 0
.LBB8_482:
	s_andn2_b64 vcc, exec, s[12:13]
	s_cbranch_vccz .LBB8_491
; %bb.483:
	s_andn2_b64 vcc, exec, s[6:7]
	s_cbranch_vccnz .LBB8_485
.LBB8_484:
	v_cmp_ge_u16_sdwa s[6:7], v10, v9 src0_sel:BYTE_0 src1_sel:BYTE_0
	s_andn2_b64 s[10:11], s[10:11], exec
	s_and_b64 s[6:7], s[6:7], exec
	s_or_b64 s[10:11], s[10:11], s[6:7]
.LBB8_485:
	s_movk_i32 s6, 0xff00
	v_and_b32_sdwa v9, v1, s6 dst_sel:DWORD dst_unused:UNUSED_PAD src0_sel:WORD_1 src1_sel:DWORD
	v_cndmask_b32_e64 v10, 0, 1, s[10:11]
	v_or_b32_sdwa v9, v10, v9 dst_sel:WORD_1 dst_unused:UNUSED_PAD src0_sel:DWORD src1_sel:DWORD
	s_mov_b32 s6, 0xffff
	v_and_or_b32 v1, v1, s6, v9
.LBB8_486:
	s_or_b64 exec, exec, s[4:5]
	v_or_b32_e32 v9, 0xf00, v0
	v_cmp_gt_i32_e32 vcc, s2, v9
	s_and_saveexec_b64 s[4:5], vcc
	s_cbranch_execz .LBB8_501
; %bb.487:
	s_cmp_lt_i32 s3, 1
	s_mov_b64 s[6:7], 0
	s_cbranch_scc1 .LBB8_492
; %bb.488:
	s_cmp_gt_i32 s3, 1
	s_cbranch_scc0 .LBB8_493
; %bb.489:
	s_cmp_eq_u32 s3, 2
	s_cbranch_scc0 .LBB8_549
; %bb.490:
	v_cmp_le_u16_sdwa s[10:11], v8, v7 src0_sel:BYTE_0 src1_sel:BYTE_0
	s_mov_b64 s[12:13], 0
	s_branch .LBB8_495
.LBB8_491:
	v_cmp_lt_u16_sdwa s[12:13], v10, v9 src0_sel:BYTE_0 src1_sel:BYTE_0
	s_andn2_b64 s[10:11], s[10:11], exec
	s_and_b64 s[12:13], s[12:13], exec
	s_or_b64 s[10:11], s[10:11], s[12:13]
	s_cbranch_execz .LBB8_484
	s_branch .LBB8_485
.LBB8_492:
                                        ; implicit-def: $sgpr10_sgpr11
	s_mov_b64 s[12:13], 0
	s_cbranch_execnz .LBB8_496
	s_branch .LBB8_497
.LBB8_493:
	s_mov_b64 s[12:13], 0
                                        ; implicit-def: $sgpr10_sgpr11
	s_cbranch_execz .LBB8_495
; %bb.494:
	v_cmp_gt_u16_sdwa s[14:15], v8, v7 src0_sel:BYTE_0 src1_sel:BYTE_0
	s_andn2_b64 s[10:11], s[10:11], exec
	s_and_b64 s[14:15], s[14:15], exec
	s_or_b64 s[10:11], s[10:11], s[14:15]
.LBB8_495:
	s_branch .LBB8_497
.LBB8_496:
	s_cmp_lg_u32 s3, 0
	s_mov_b64 s[6:7], -1
	s_cselect_b64 s[12:13], -1, 0
.LBB8_497:
	s_andn2_b64 vcc, exec, s[12:13]
	s_cbranch_vccz .LBB8_534
; %bb.498:
	s_andn2_b64 vcc, exec, s[6:7]
	s_cbranch_vccnz .LBB8_500
.LBB8_499:
	v_cmp_ge_u16_sdwa s[6:7], v8, v7 src0_sel:BYTE_0 src1_sel:BYTE_0
	s_andn2_b64 s[10:11], s[10:11], exec
	s_and_b64 s[6:7], s[6:7], exec
	s_or_b64 s[10:11], s[10:11], s[6:7]
.LBB8_500:
	s_movk_i32 s3, 0xff
	v_cndmask_b32_e64 v8, 0, 1, s[10:11]
	v_and_b32_sdwa v7, v1, s3 dst_sel:DWORD dst_unused:UNUSED_PAD src0_sel:WORD_1 src1_sel:DWORD
	v_lshlrev_b16_e32 v8, 8, v8
	v_or_b32_sdwa v7, v7, v8 dst_sel:WORD_1 dst_unused:UNUSED_PAD src0_sel:DWORD src1_sel:DWORD
	s_mov_b32 s3, 0xffff
	v_and_or_b32 v1, v1, s3, v7
.LBB8_501:
	s_or_b64 exec, exec, s[4:5]
	s_and_saveexec_b64 s[4:5], s[0:1]
	s_xor_b64 s[0:1], exec, s[4:5]
	s_cbranch_execz .LBB8_503
; %bb.502:
	v_mov_b32_e32 v0, v4
	global_store_byte v5, v6, s[8:9]
.LBB8_503:
	s_or_b64 exec, exec, s[0:1]
	v_cmp_gt_i32_e32 vcc, s2, v0
	s_and_saveexec_b64 s[0:1], vcc
	s_cbranch_execnz .LBB8_520
; %bb.504:
	s_or_b64 exec, exec, s[0:1]
	v_cmp_gt_i32_e32 vcc, s2, v0
	s_and_saveexec_b64 s[0:1], vcc
	s_cbranch_execnz .LBB8_521
.LBB8_505:
	s_or_b64 exec, exec, s[0:1]
	v_cmp_gt_i32_e32 vcc, s2, v0
	s_and_saveexec_b64 s[0:1], vcc
	s_cbranch_execnz .LBB8_522
.LBB8_506:
	s_or_b64 exec, exec, s[0:1]
	v_cmp_gt_i32_e32 vcc, s2, v0
	s_and_saveexec_b64 s[0:1], vcc
	s_cbranch_execnz .LBB8_523
.LBB8_507:
	s_or_b64 exec, exec, s[0:1]
	v_cmp_gt_i32_e32 vcc, s2, v0
	s_and_saveexec_b64 s[0:1], vcc
	s_cbranch_execnz .LBB8_524
.LBB8_508:
	s_or_b64 exec, exec, s[0:1]
	v_cmp_gt_i32_e32 vcc, s2, v0
	s_and_saveexec_b64 s[0:1], vcc
	s_cbranch_execnz .LBB8_525
.LBB8_509:
	s_or_b64 exec, exec, s[0:1]
	v_cmp_gt_i32_e32 vcc, s2, v0
	s_and_saveexec_b64 s[0:1], vcc
	s_cbranch_execnz .LBB8_526
.LBB8_510:
	s_or_b64 exec, exec, s[0:1]
	v_cmp_gt_i32_e32 vcc, s2, v0
	s_and_saveexec_b64 s[0:1], vcc
	s_cbranch_execnz .LBB8_527
.LBB8_511:
	s_or_b64 exec, exec, s[0:1]
	v_cmp_gt_i32_e32 vcc, s2, v0
	s_and_saveexec_b64 s[0:1], vcc
	s_cbranch_execnz .LBB8_528
.LBB8_512:
	s_or_b64 exec, exec, s[0:1]
	v_cmp_gt_i32_e32 vcc, s2, v0
	s_and_saveexec_b64 s[0:1], vcc
	s_cbranch_execnz .LBB8_529
.LBB8_513:
	s_or_b64 exec, exec, s[0:1]
	v_cmp_gt_i32_e32 vcc, s2, v0
	s_and_saveexec_b64 s[0:1], vcc
	s_cbranch_execnz .LBB8_530
.LBB8_514:
	s_or_b64 exec, exec, s[0:1]
	v_cmp_gt_i32_e32 vcc, s2, v0
	s_and_saveexec_b64 s[0:1], vcc
	s_cbranch_execnz .LBB8_531
.LBB8_515:
	s_or_b64 exec, exec, s[0:1]
	v_cmp_gt_i32_e32 vcc, s2, v0
	s_and_saveexec_b64 s[0:1], vcc
	s_cbranch_execnz .LBB8_532
.LBB8_516:
	s_or_b64 exec, exec, s[0:1]
	v_cmp_gt_i32_e32 vcc, s2, v0
	s_and_saveexec_b64 s[0:1], vcc
	s_cbranch_execnz .LBB8_533
.LBB8_517:
	s_or_b64 exec, exec, s[0:1]
	v_cmp_gt_i32_e32 vcc, s2, v0
	s_and_saveexec_b64 s[0:1], vcc
	s_cbranch_execz .LBB8_519
.LBB8_518:
	v_lshrrev_b32_e32 v1, 24, v1
	v_add_u32_e32 v0, s33, v0
	global_store_byte v0, v1, s[8:9]
.LBB8_519:
	s_endpgm
.LBB8_520:
	v_lshrrev_b32_e32 v4, 8, v6
	v_add_u32_e32 v5, s33, v0
	v_add_u32_e32 v0, 0x100, v0
	global_store_byte v5, v4, s[8:9]
	s_or_b64 exec, exec, s[0:1]
	v_cmp_gt_i32_e32 vcc, s2, v0
	s_and_saveexec_b64 s[0:1], vcc
	s_cbranch_execz .LBB8_505
.LBB8_521:
	v_add_u32_e32 v4, s33, v0
	v_add_u32_e32 v0, 0x100, v0
	global_store_byte_d16_hi v4, v6, s[8:9]
	s_or_b64 exec, exec, s[0:1]
	v_cmp_gt_i32_e32 vcc, s2, v0
	s_and_saveexec_b64 s[0:1], vcc
	s_cbranch_execz .LBB8_506
.LBB8_522:
	v_lshrrev_b32_e32 v4, 24, v6
	v_add_u32_e32 v5, s33, v0
	v_add_u32_e32 v0, 0x100, v0
	global_store_byte v5, v4, s[8:9]
	s_or_b64 exec, exec, s[0:1]
	v_cmp_gt_i32_e32 vcc, s2, v0
	s_and_saveexec_b64 s[0:1], vcc
	s_cbranch_execz .LBB8_507
.LBB8_523:
	v_add_u32_e32 v4, s33, v0
	v_add_u32_e32 v0, 0x100, v0
	global_store_byte v4, v3, s[8:9]
	s_or_b64 exec, exec, s[0:1]
	v_cmp_gt_i32_e32 vcc, s2, v0
	s_and_saveexec_b64 s[0:1], vcc
	s_cbranch_execz .LBB8_508
.LBB8_524:
	v_lshrrev_b32_e32 v4, 8, v3
	v_add_u32_e32 v5, s33, v0
	v_add_u32_e32 v0, 0x100, v0
	global_store_byte v5, v4, s[8:9]
	s_or_b64 exec, exec, s[0:1]
	v_cmp_gt_i32_e32 vcc, s2, v0
	s_and_saveexec_b64 s[0:1], vcc
	s_cbranch_execz .LBB8_509
.LBB8_525:
	v_add_u32_e32 v4, s33, v0
	v_add_u32_e32 v0, 0x100, v0
	global_store_byte_d16_hi v4, v3, s[8:9]
	s_or_b64 exec, exec, s[0:1]
	v_cmp_gt_i32_e32 vcc, s2, v0
	s_and_saveexec_b64 s[0:1], vcc
	s_cbranch_execz .LBB8_510
.LBB8_526:
	v_lshrrev_b32_e32 v3, 24, v3
	v_add_u32_e32 v4, s33, v0
	v_add_u32_e32 v0, 0x100, v0
	global_store_byte v4, v3, s[8:9]
	s_or_b64 exec, exec, s[0:1]
	v_cmp_gt_i32_e32 vcc, s2, v0
	s_and_saveexec_b64 s[0:1], vcc
	s_cbranch_execz .LBB8_511
.LBB8_527:
	v_add_u32_e32 v3, s33, v0
	v_add_u32_e32 v0, 0x100, v0
	global_store_byte v3, v2, s[8:9]
	s_or_b64 exec, exec, s[0:1]
	v_cmp_gt_i32_e32 vcc, s2, v0
	s_and_saveexec_b64 s[0:1], vcc
	s_cbranch_execz .LBB8_512
.LBB8_528:
	v_lshrrev_b32_e32 v3, 8, v2
	v_add_u32_e32 v4, s33, v0
	v_add_u32_e32 v0, 0x100, v0
	global_store_byte v4, v3, s[8:9]
	s_or_b64 exec, exec, s[0:1]
	v_cmp_gt_i32_e32 vcc, s2, v0
	s_and_saveexec_b64 s[0:1], vcc
	s_cbranch_execz .LBB8_513
.LBB8_529:
	v_add_u32_e32 v3, s33, v0
	v_add_u32_e32 v0, 0x100, v0
	global_store_byte_d16_hi v3, v2, s[8:9]
	s_or_b64 exec, exec, s[0:1]
	v_cmp_gt_i32_e32 vcc, s2, v0
	s_and_saveexec_b64 s[0:1], vcc
	s_cbranch_execz .LBB8_514
.LBB8_530:
	v_lshrrev_b32_e32 v2, 24, v2
	v_add_u32_e32 v3, s33, v0
	v_add_u32_e32 v0, 0x100, v0
	global_store_byte v3, v2, s[8:9]
	s_or_b64 exec, exec, s[0:1]
	v_cmp_gt_i32_e32 vcc, s2, v0
	s_and_saveexec_b64 s[0:1], vcc
	s_cbranch_execz .LBB8_515
.LBB8_531:
	v_add_u32_e32 v2, s33, v0
	v_add_u32_e32 v0, 0x100, v0
	global_store_byte v2, v1, s[8:9]
	s_or_b64 exec, exec, s[0:1]
	v_cmp_gt_i32_e32 vcc, s2, v0
	s_and_saveexec_b64 s[0:1], vcc
	s_cbranch_execz .LBB8_516
.LBB8_532:
	v_lshrrev_b32_e32 v2, 8, v1
	v_add_u32_e32 v3, s33, v0
	v_add_u32_e32 v0, 0x100, v0
	global_store_byte v3, v2, s[8:9]
	s_or_b64 exec, exec, s[0:1]
	v_cmp_gt_i32_e32 vcc, s2, v0
	s_and_saveexec_b64 s[0:1], vcc
	s_cbranch_execz .LBB8_517
.LBB8_533:
	v_add_u32_e32 v2, s33, v0
	v_add_u32_e32 v0, 0x100, v0
	global_store_byte_d16_hi v2, v1, s[8:9]
	s_or_b64 exec, exec, s[0:1]
	v_cmp_gt_i32_e32 vcc, s2, v0
	s_and_saveexec_b64 s[0:1], vcc
	s_cbranch_execnz .LBB8_518
	s_branch .LBB8_519
.LBB8_534:
	v_cmp_lt_u16_sdwa s[12:13], v8, v7 src0_sel:BYTE_0 src1_sel:BYTE_0
	s_andn2_b64 s[10:11], s[10:11], exec
	s_and_b64 s[12:13], s[12:13], exec
	s_or_b64 s[10:11], s[10:11], s[12:13]
	s_cbranch_execz .LBB8_499
	s_branch .LBB8_500
.LBB8_535:
	s_mov_b64 s[12:13], -1
                                        ; implicit-def: $sgpr10_sgpr11
	s_branch .LBB8_285
.LBB8_536:
	s_mov_b64 s[12:13], -1
                                        ; implicit-def: $sgpr10_sgpr11
	s_branch .LBB8_300
.LBB8_537:
	s_mov_b64 s[12:13], -1
                                        ; implicit-def: $sgpr10_sgpr11
	s_branch .LBB8_315
.LBB8_538:
	s_mov_b64 s[12:13], -1
                                        ; implicit-def: $sgpr10_sgpr11
	s_branch .LBB8_330
.LBB8_539:
	s_mov_b64 s[12:13], -1
                                        ; implicit-def: $sgpr10_sgpr11
	s_branch .LBB8_345
.LBB8_540:
	s_mov_b64 s[12:13], -1
                                        ; implicit-def: $sgpr10_sgpr11
	s_branch .LBB8_360
.LBB8_541:
	s_mov_b64 s[12:13], -1
                                        ; implicit-def: $sgpr10_sgpr11
	s_branch .LBB8_375
.LBB8_542:
	s_mov_b64 s[12:13], -1
                                        ; implicit-def: $sgpr10_sgpr11
	s_branch .LBB8_390
.LBB8_543:
	s_mov_b64 s[12:13], -1
                                        ; implicit-def: $sgpr10_sgpr11
	s_branch .LBB8_405
.LBB8_544:
	s_mov_b64 s[12:13], -1
                                        ; implicit-def: $sgpr10_sgpr11
	s_branch .LBB8_420
.LBB8_545:
	s_mov_b64 s[12:13], -1
                                        ; implicit-def: $sgpr10_sgpr11
	s_branch .LBB8_435
.LBB8_546:
	s_mov_b64 s[12:13], -1
                                        ; implicit-def: $sgpr10_sgpr11
	s_branch .LBB8_450
.LBB8_547:
	s_mov_b64 s[12:13], -1
                                        ; implicit-def: $sgpr10_sgpr11
	s_branch .LBB8_465
.LBB8_548:
	s_mov_b64 s[12:13], -1
                                        ; implicit-def: $sgpr10_sgpr11
	s_branch .LBB8_480
.LBB8_549:
	s_mov_b64 s[12:13], -1
                                        ; implicit-def: $sgpr10_sgpr11
	s_branch .LBB8_495
	.section	.rodata,"a",@progbits
	.p2align	6, 0x0
	.amdhsa_kernel _ZN2at6native29vectorized_elementwise_kernelILi16ENS0_12_GLOBAL__N_114CompareFunctorIhEESt5arrayIPcLm3EEEEviT0_T1_
		.amdhsa_group_segment_fixed_size 0
		.amdhsa_private_segment_fixed_size 0
		.amdhsa_kernarg_size 32
		.amdhsa_user_sgpr_count 6
		.amdhsa_user_sgpr_private_segment_buffer 1
		.amdhsa_user_sgpr_dispatch_ptr 0
		.amdhsa_user_sgpr_queue_ptr 0
		.amdhsa_user_sgpr_kernarg_segment_ptr 1
		.amdhsa_user_sgpr_dispatch_id 0
		.amdhsa_user_sgpr_flat_scratch_init 0
		.amdhsa_user_sgpr_private_segment_size 0
		.amdhsa_uses_dynamic_stack 0
		.amdhsa_system_sgpr_private_segment_wavefront_offset 0
		.amdhsa_system_sgpr_workgroup_id_x 1
		.amdhsa_system_sgpr_workgroup_id_y 0
		.amdhsa_system_sgpr_workgroup_id_z 0
		.amdhsa_system_sgpr_workgroup_info 0
		.amdhsa_system_vgpr_workitem_id 0
		.amdhsa_next_free_vgpr 39
		.amdhsa_next_free_sgpr 49
		.amdhsa_reserve_vcc 1
		.amdhsa_reserve_flat_scratch 0
		.amdhsa_float_round_mode_32 0
		.amdhsa_float_round_mode_16_64 0
		.amdhsa_float_denorm_mode_32 3
		.amdhsa_float_denorm_mode_16_64 3
		.amdhsa_dx10_clamp 1
		.amdhsa_ieee_mode 1
		.amdhsa_fp16_overflow 0
		.amdhsa_exception_fp_ieee_invalid_op 0
		.amdhsa_exception_fp_denorm_src 0
		.amdhsa_exception_fp_ieee_div_zero 0
		.amdhsa_exception_fp_ieee_overflow 0
		.amdhsa_exception_fp_ieee_underflow 0
		.amdhsa_exception_fp_ieee_inexact 0
		.amdhsa_exception_int_div_zero 0
	.end_amdhsa_kernel
	.section	.text._ZN2at6native29vectorized_elementwise_kernelILi16ENS0_12_GLOBAL__N_114CompareFunctorIhEESt5arrayIPcLm3EEEEviT0_T1_,"axG",@progbits,_ZN2at6native29vectorized_elementwise_kernelILi16ENS0_12_GLOBAL__N_114CompareFunctorIhEESt5arrayIPcLm3EEEEviT0_T1_,comdat
.Lfunc_end8:
	.size	_ZN2at6native29vectorized_elementwise_kernelILi16ENS0_12_GLOBAL__N_114CompareFunctorIhEESt5arrayIPcLm3EEEEviT0_T1_, .Lfunc_end8-_ZN2at6native29vectorized_elementwise_kernelILi16ENS0_12_GLOBAL__N_114CompareFunctorIhEESt5arrayIPcLm3EEEEviT0_T1_
                                        ; -- End function
	.set _ZN2at6native29vectorized_elementwise_kernelILi16ENS0_12_GLOBAL__N_114CompareFunctorIhEESt5arrayIPcLm3EEEEviT0_T1_.num_vgpr, 39
	.set _ZN2at6native29vectorized_elementwise_kernelILi16ENS0_12_GLOBAL__N_114CompareFunctorIhEESt5arrayIPcLm3EEEEviT0_T1_.num_agpr, 0
	.set _ZN2at6native29vectorized_elementwise_kernelILi16ENS0_12_GLOBAL__N_114CompareFunctorIhEESt5arrayIPcLm3EEEEviT0_T1_.numbered_sgpr, 49
	.set _ZN2at6native29vectorized_elementwise_kernelILi16ENS0_12_GLOBAL__N_114CompareFunctorIhEESt5arrayIPcLm3EEEEviT0_T1_.num_named_barrier, 0
	.set _ZN2at6native29vectorized_elementwise_kernelILi16ENS0_12_GLOBAL__N_114CompareFunctorIhEESt5arrayIPcLm3EEEEviT0_T1_.private_seg_size, 0
	.set _ZN2at6native29vectorized_elementwise_kernelILi16ENS0_12_GLOBAL__N_114CompareFunctorIhEESt5arrayIPcLm3EEEEviT0_T1_.uses_vcc, 1
	.set _ZN2at6native29vectorized_elementwise_kernelILi16ENS0_12_GLOBAL__N_114CompareFunctorIhEESt5arrayIPcLm3EEEEviT0_T1_.uses_flat_scratch, 0
	.set _ZN2at6native29vectorized_elementwise_kernelILi16ENS0_12_GLOBAL__N_114CompareFunctorIhEESt5arrayIPcLm3EEEEviT0_T1_.has_dyn_sized_stack, 0
	.set _ZN2at6native29vectorized_elementwise_kernelILi16ENS0_12_GLOBAL__N_114CompareFunctorIhEESt5arrayIPcLm3EEEEviT0_T1_.has_recursion, 0
	.set _ZN2at6native29vectorized_elementwise_kernelILi16ENS0_12_GLOBAL__N_114CompareFunctorIhEESt5arrayIPcLm3EEEEviT0_T1_.has_indirect_call, 0
	.section	.AMDGPU.csdata,"",@progbits
; Kernel info:
; codeLenInByte = 10040
; TotalNumSgprs: 53
; NumVgprs: 39
; ScratchSize: 0
; MemoryBound: 1
; FloatMode: 240
; IeeeMode: 1
; LDSByteSize: 0 bytes/workgroup (compile time only)
; SGPRBlocks: 6
; VGPRBlocks: 9
; NumSGPRsForWavesPerEU: 53
; NumVGPRsForWavesPerEU: 39
; Occupancy: 6
; WaveLimiterHint : 0
; COMPUTE_PGM_RSRC2:SCRATCH_EN: 0
; COMPUTE_PGM_RSRC2:USER_SGPR: 6
; COMPUTE_PGM_RSRC2:TRAP_HANDLER: 0
; COMPUTE_PGM_RSRC2:TGID_X_EN: 1
; COMPUTE_PGM_RSRC2:TGID_Y_EN: 0
; COMPUTE_PGM_RSRC2:TGID_Z_EN: 0
; COMPUTE_PGM_RSRC2:TIDIG_COMP_CNT: 0
	.section	.text._ZN2at6native29vectorized_elementwise_kernelILi8ENS0_12_GLOBAL__N_114CompareFunctorIhEESt5arrayIPcLm3EEEEviT0_T1_,"axG",@progbits,_ZN2at6native29vectorized_elementwise_kernelILi8ENS0_12_GLOBAL__N_114CompareFunctorIhEESt5arrayIPcLm3EEEEviT0_T1_,comdat
	.globl	_ZN2at6native29vectorized_elementwise_kernelILi8ENS0_12_GLOBAL__N_114CompareFunctorIhEESt5arrayIPcLm3EEEEviT0_T1_ ; -- Begin function _ZN2at6native29vectorized_elementwise_kernelILi8ENS0_12_GLOBAL__N_114CompareFunctorIhEESt5arrayIPcLm3EEEEviT0_T1_
	.p2align	8
	.type	_ZN2at6native29vectorized_elementwise_kernelILi8ENS0_12_GLOBAL__N_114CompareFunctorIhEESt5arrayIPcLm3EEEEviT0_T1_,@function
_ZN2at6native29vectorized_elementwise_kernelILi8ENS0_12_GLOBAL__N_114CompareFunctorIhEESt5arrayIPcLm3EEEEviT0_T1_: ; @_ZN2at6native29vectorized_elementwise_kernelILi8ENS0_12_GLOBAL__N_114CompareFunctorIhEESt5arrayIPcLm3EEEEviT0_T1_
; %bb.0:
	s_load_dwordx2 s[2:3], s[4:5], 0x0
	s_load_dwordx4 s[8:11], s[4:5], 0x8
	s_load_dwordx2 s[12:13], s[4:5], 0x18
	s_lshl_b32 s33, s6, 12
	s_mov_b64 s[0:1], -1
	s_waitcnt lgkmcnt(0)
	s_sub_i32 s2, s2, s33
	s_cmpk_gt_i32 s2, 0xfff
	s_cbranch_scc0 .LBB9_211
; %bb.1:
	s_ashr_i32 s48, s33, 31
	s_add_u32 s0, s10, s33
	s_addc_u32 s1, s11, s48
	v_lshlrev_b32_e32 v9, 3, v0
	s_add_u32 s4, s12, s33
	s_addc_u32 s5, s13, s48
	global_load_dwordx2 v[5:6], v9, s[0:1]
	global_load_dwordx2 v[1:2], v9, s[0:1] offset:2048
	global_load_dwordx2 v[7:8], v9, s[4:5]
	global_load_dwordx2 v[3:4], v9, s[4:5] offset:2048
	s_cmp_lt_i32 s3, 1
	s_mov_b64 s[4:5], 0
	s_cbranch_scc1 .LBB9_5
; %bb.2:
	s_cmp_gt_i32 s3, 1
	s_cbranch_scc0 .LBB9_6
; %bb.3:
	s_cmp_eq_u32 s3, 2
	s_cbranch_scc0 .LBB9_7
; %bb.4:
	s_waitcnt vmcnt(1)
	v_cmp_le_u16_sdwa s[0:1], v5, v7 src0_sel:BYTE_0 src1_sel:BYTE_0
	s_mov_b64 s[6:7], 0
	s_branch .LBB9_8
.LBB9_5:
                                        ; implicit-def: $sgpr0_sgpr1
	s_mov_b64 s[6:7], 0
	s_cbranch_execnz .LBB9_11
	s_branch .LBB9_12
.LBB9_6:
	s_mov_b64 s[6:7], 0
                                        ; implicit-def: $sgpr0_sgpr1
	s_cbranch_execnz .LBB9_9
	s_branch .LBB9_10
.LBB9_7:
	s_mov_b64 s[6:7], -1
                                        ; implicit-def: $sgpr0_sgpr1
.LBB9_8:
	s_branch .LBB9_10
.LBB9_9:
	s_waitcnt vmcnt(1)
	v_cmp_gt_u16_sdwa s[14:15], v5, v7 src0_sel:BYTE_0 src1_sel:BYTE_0
	s_andn2_b64 s[0:1], s[0:1], exec
	s_and_b64 s[14:15], s[14:15], exec
	s_or_b64 s[0:1], s[0:1], s[14:15]
.LBB9_10:
	s_branch .LBB9_12
.LBB9_11:
	s_cmp_lg_u32 s3, 0
	s_mov_b64 s[4:5], -1
	s_cselect_b64 s[6:7], -1, 0
.LBB9_12:
	s_andn2_b64 vcc, exec, s[6:7]
	s_cbranch_vccz .LBB9_18
; %bb.13:
	s_andn2_b64 vcc, exec, s[4:5]
	s_cbranch_vccz .LBB9_19
.LBB9_14:
	s_cmp_lt_i32 s3, 1
	s_mov_b64 s[6:7], 0
	s_cbranch_scc1 .LBB9_20
.LBB9_15:
	s_cmp_gt_i32 s3, 1
	s_cbranch_scc0 .LBB9_21
; %bb.16:
	s_cmp_eq_u32 s3, 2
	s_cbranch_scc0 .LBB9_251
; %bb.17:
	s_waitcnt vmcnt(1)
	v_lshrrev_b32_e32 v9, 8, v7
	v_lshrrev_b32_e32 v10, 8, v5
	v_cmp_le_u16_sdwa s[4:5], v10, v9 src0_sel:BYTE_0 src1_sel:BYTE_0
	s_mov_b64 s[14:15], 0
	s_branch .LBB9_23
.LBB9_18:
	s_waitcnt vmcnt(1)
	v_cmp_lt_u16_sdwa s[6:7], v5, v7 src0_sel:BYTE_0 src1_sel:BYTE_0
	s_andn2_b64 s[0:1], s[0:1], exec
	s_and_b64 s[6:7], s[6:7], exec
	s_or_b64 s[0:1], s[0:1], s[6:7]
	s_cbranch_execnz .LBB9_14
.LBB9_19:
	s_waitcnt vmcnt(1)
	v_cmp_ge_u16_sdwa s[4:5], v5, v7 src0_sel:BYTE_0 src1_sel:BYTE_0
	s_andn2_b64 s[0:1], s[0:1], exec
	s_and_b64 s[4:5], s[4:5], exec
	s_or_b64 s[0:1], s[0:1], s[4:5]
	s_cmp_lt_i32 s3, 1
	s_mov_b64 s[6:7], 0
	s_cbranch_scc0 .LBB9_15
.LBB9_20:
                                        ; implicit-def: $sgpr4_sgpr5
	s_mov_b64 s[14:15], 0
	s_cbranch_execnz .LBB9_24
	s_branch .LBB9_25
.LBB9_21:
	s_mov_b64 s[14:15], 0
                                        ; implicit-def: $sgpr4_sgpr5
	s_cbranch_execz .LBB9_23
; %bb.22:
	s_waitcnt vmcnt(1)
	v_lshrrev_b32_e32 v9, 8, v7
	v_lshrrev_b32_e32 v10, 8, v5
	v_cmp_gt_u16_sdwa s[16:17], v10, v9 src0_sel:BYTE_0 src1_sel:BYTE_0
	s_andn2_b64 s[4:5], s[4:5], exec
	s_and_b64 s[16:17], s[16:17], exec
	s_or_b64 s[4:5], s[4:5], s[16:17]
.LBB9_23:
	s_branch .LBB9_25
.LBB9_24:
	s_cmp_lg_u32 s3, 0
	s_mov_b64 s[6:7], -1
	s_cselect_b64 s[14:15], -1, 0
.LBB9_25:
	s_andn2_b64 vcc, exec, s[14:15]
	s_waitcnt vmcnt(1)
	v_lshrrev_b32_e32 v9, 8, v7
	v_lshrrev_b32_e32 v10, 8, v5
	s_cbranch_vccz .LBB9_31
; %bb.26:
	s_andn2_b64 vcc, exec, s[6:7]
	s_cbranch_vccz .LBB9_32
.LBB9_27:
	s_cmp_lt_i32 s3, 1
	s_mov_b64 s[14:15], 0
	s_cbranch_scc1 .LBB9_33
.LBB9_28:
	s_cmp_gt_i32 s3, 1
	s_cbranch_scc0 .LBB9_34
; %bb.29:
	s_cmp_eq_u32 s3, 2
	s_cbranch_scc0 .LBB9_252
; %bb.30:
	s_movk_i32 s6, 0xff
	v_and_b32_sdwa v9, v7, s6 dst_sel:DWORD dst_unused:UNUSED_PAD src0_sel:WORD_1 src1_sel:DWORD
	v_and_b32_sdwa v10, v5, s6 dst_sel:DWORD dst_unused:UNUSED_PAD src0_sel:WORD_1 src1_sel:DWORD
	v_cmp_le_u16_e64 s[6:7], v10, v9
	s_mov_b64 s[16:17], 0
	s_branch .LBB9_36
.LBB9_31:
	v_cmp_lt_u16_sdwa s[14:15], v10, v9 src0_sel:BYTE_0 src1_sel:BYTE_0
	s_andn2_b64 s[4:5], s[4:5], exec
	s_and_b64 s[14:15], s[14:15], exec
	s_or_b64 s[4:5], s[4:5], s[14:15]
	s_cbranch_execnz .LBB9_27
.LBB9_32:
	v_cmp_ge_u16_sdwa s[6:7], v10, v9 src0_sel:BYTE_0 src1_sel:BYTE_0
	s_andn2_b64 s[4:5], s[4:5], exec
	s_and_b64 s[6:7], s[6:7], exec
	s_or_b64 s[4:5], s[4:5], s[6:7]
	s_cmp_lt_i32 s3, 1
	s_mov_b64 s[14:15], 0
	s_cbranch_scc0 .LBB9_28
.LBB9_33:
                                        ; implicit-def: $sgpr6_sgpr7
	s_mov_b64 s[16:17], 0
	s_cbranch_execnz .LBB9_37
	s_branch .LBB9_38
.LBB9_34:
	s_mov_b64 s[16:17], 0
                                        ; implicit-def: $sgpr6_sgpr7
	s_cbranch_execz .LBB9_36
; %bb.35:
	s_movk_i32 s18, 0xff
	v_and_b32_sdwa v9, v7, s18 dst_sel:DWORD dst_unused:UNUSED_PAD src0_sel:WORD_1 src1_sel:DWORD
	v_and_b32_sdwa v10, v5, s18 dst_sel:DWORD dst_unused:UNUSED_PAD src0_sel:WORD_1 src1_sel:DWORD
	v_cmp_gt_u16_e32 vcc, v10, v9
	s_andn2_b64 s[6:7], s[6:7], exec
	s_and_b64 s[18:19], vcc, exec
	s_or_b64 s[6:7], s[6:7], s[18:19]
.LBB9_36:
	s_branch .LBB9_38
.LBB9_37:
	s_cmp_lg_u32 s3, 0
	s_mov_b64 s[14:15], -1
	s_cselect_b64 s[16:17], -1, 0
.LBB9_38:
	s_andn2_b64 vcc, exec, s[16:17]
	s_cbranch_vccz .LBB9_44
; %bb.39:
	s_andn2_b64 vcc, exec, s[14:15]
	s_cbranch_vccz .LBB9_45
.LBB9_40:
	s_cmp_lt_i32 s3, 1
	s_mov_b64 s[16:17], 0
	s_cbranch_scc1 .LBB9_46
.LBB9_41:
	s_cmp_gt_i32 s3, 1
	s_cbranch_scc0 .LBB9_47
; %bb.42:
	s_cmp_eq_u32 s3, 2
	s_cbranch_scc0 .LBB9_253
; %bb.43:
	v_cmp_le_u32_sdwa s[14:15], v5, v7 src0_sel:BYTE_3 src1_sel:BYTE_3
	s_mov_b64 s[18:19], 0
	s_branch .LBB9_49
.LBB9_44:
	s_movk_i32 s14, 0xff
	v_and_b32_sdwa v9, v7, s14 dst_sel:DWORD dst_unused:UNUSED_PAD src0_sel:WORD_1 src1_sel:DWORD
	v_and_b32_sdwa v10, v5, s14 dst_sel:DWORD dst_unused:UNUSED_PAD src0_sel:WORD_1 src1_sel:DWORD
	v_cmp_lt_u16_e32 vcc, v10, v9
	s_andn2_b64 s[6:7], s[6:7], exec
	s_and_b64 s[16:17], vcc, exec
	s_or_b64 s[6:7], s[6:7], s[16:17]
	s_cbranch_execnz .LBB9_40
.LBB9_45:
	s_movk_i32 s14, 0xff
	v_and_b32_sdwa v9, v7, s14 dst_sel:DWORD dst_unused:UNUSED_PAD src0_sel:WORD_1 src1_sel:DWORD
	v_and_b32_sdwa v10, v5, s14 dst_sel:DWORD dst_unused:UNUSED_PAD src0_sel:WORD_1 src1_sel:DWORD
	v_cmp_ge_u16_e32 vcc, v10, v9
	s_andn2_b64 s[6:7], s[6:7], exec
	s_and_b64 s[14:15], vcc, exec
	s_or_b64 s[6:7], s[6:7], s[14:15]
	s_cmp_lt_i32 s3, 1
	s_mov_b64 s[16:17], 0
	s_cbranch_scc0 .LBB9_41
.LBB9_46:
                                        ; implicit-def: $sgpr14_sgpr15
	s_mov_b64 s[18:19], 0
	s_cbranch_execnz .LBB9_50
	s_branch .LBB9_51
.LBB9_47:
	s_mov_b64 s[18:19], 0
                                        ; implicit-def: $sgpr14_sgpr15
	s_cbranch_execz .LBB9_49
; %bb.48:
	v_cmp_gt_u32_sdwa s[20:21], v5, v7 src0_sel:BYTE_3 src1_sel:BYTE_3
	s_andn2_b64 s[14:15], s[14:15], exec
	s_and_b64 s[20:21], s[20:21], exec
	s_or_b64 s[14:15], s[14:15], s[20:21]
.LBB9_49:
	s_branch .LBB9_51
.LBB9_50:
	s_cmp_lg_u32 s3, 0
	s_mov_b64 s[16:17], -1
	s_cselect_b64 s[18:19], -1, 0
.LBB9_51:
	s_andn2_b64 vcc, exec, s[18:19]
	s_cbranch_vccz .LBB9_57
; %bb.52:
	s_andn2_b64 vcc, exec, s[16:17]
	s_cbranch_vccz .LBB9_58
.LBB9_53:
	s_cmp_lt_i32 s3, 1
	s_mov_b64 s[18:19], 0
	s_cbranch_scc1 .LBB9_59
.LBB9_54:
	s_cmp_gt_i32 s3, 1
	s_cbranch_scc0 .LBB9_60
; %bb.55:
	s_cmp_eq_u32 s3, 2
	s_cbranch_scc0 .LBB9_254
; %bb.56:
	v_cmp_le_u16_sdwa s[16:17], v6, v8 src0_sel:BYTE_0 src1_sel:BYTE_0
	s_mov_b64 s[20:21], 0
	s_branch .LBB9_62
.LBB9_57:
	v_cmp_lt_u32_sdwa s[18:19], v5, v7 src0_sel:BYTE_3 src1_sel:BYTE_3
	s_andn2_b64 s[14:15], s[14:15], exec
	s_and_b64 s[18:19], s[18:19], exec
	s_or_b64 s[14:15], s[14:15], s[18:19]
	s_cbranch_execnz .LBB9_53
.LBB9_58:
	v_cmp_ge_u32_sdwa s[16:17], v5, v7 src0_sel:BYTE_3 src1_sel:BYTE_3
	s_andn2_b64 s[14:15], s[14:15], exec
	s_and_b64 s[16:17], s[16:17], exec
	s_or_b64 s[14:15], s[14:15], s[16:17]
	s_cmp_lt_i32 s3, 1
	s_mov_b64 s[18:19], 0
	s_cbranch_scc0 .LBB9_54
.LBB9_59:
                                        ; implicit-def: $sgpr16_sgpr17
	s_mov_b64 s[20:21], 0
	s_cbranch_execnz .LBB9_63
	s_branch .LBB9_64
.LBB9_60:
	s_mov_b64 s[20:21], 0
                                        ; implicit-def: $sgpr16_sgpr17
	s_cbranch_execz .LBB9_62
; %bb.61:
	v_cmp_gt_u16_sdwa s[22:23], v6, v8 src0_sel:BYTE_0 src1_sel:BYTE_0
	s_andn2_b64 s[16:17], s[16:17], exec
	s_and_b64 s[22:23], s[22:23], exec
	s_or_b64 s[16:17], s[16:17], s[22:23]
.LBB9_62:
	s_branch .LBB9_64
.LBB9_63:
	s_cmp_lg_u32 s3, 0
	s_mov_b64 s[18:19], -1
	s_cselect_b64 s[20:21], -1, 0
.LBB9_64:
	s_andn2_b64 vcc, exec, s[20:21]
	s_cbranch_vccz .LBB9_70
; %bb.65:
	s_andn2_b64 vcc, exec, s[18:19]
	s_cbranch_vccz .LBB9_71
.LBB9_66:
	s_cmp_lt_i32 s3, 1
	s_mov_b64 s[20:21], 0
	s_cbranch_scc1 .LBB9_72
.LBB9_67:
	s_cmp_gt_i32 s3, 1
	s_cbranch_scc0 .LBB9_73
; %bb.68:
	s_cmp_eq_u32 s3, 2
	s_cbranch_scc0 .LBB9_255
; %bb.69:
	v_lshrrev_b32_e32 v5, 8, v8
	v_lshrrev_b32_e32 v7, 8, v6
	v_cmp_le_u16_sdwa s[18:19], v7, v5 src0_sel:BYTE_0 src1_sel:BYTE_0
	s_mov_b64 s[22:23], 0
	s_branch .LBB9_75
.LBB9_70:
	v_cmp_lt_u16_sdwa s[20:21], v6, v8 src0_sel:BYTE_0 src1_sel:BYTE_0
	s_andn2_b64 s[16:17], s[16:17], exec
	s_and_b64 s[20:21], s[20:21], exec
	s_or_b64 s[16:17], s[16:17], s[20:21]
	s_cbranch_execnz .LBB9_66
.LBB9_71:
	v_cmp_ge_u16_sdwa s[18:19], v6, v8 src0_sel:BYTE_0 src1_sel:BYTE_0
	s_andn2_b64 s[16:17], s[16:17], exec
	s_and_b64 s[18:19], s[18:19], exec
	s_or_b64 s[16:17], s[16:17], s[18:19]
	s_cmp_lt_i32 s3, 1
	s_mov_b64 s[20:21], 0
	s_cbranch_scc0 .LBB9_67
.LBB9_72:
                                        ; implicit-def: $sgpr18_sgpr19
	s_mov_b64 s[22:23], 0
	s_cbranch_execnz .LBB9_76
	s_branch .LBB9_77
.LBB9_73:
	s_mov_b64 s[22:23], 0
                                        ; implicit-def: $sgpr18_sgpr19
	s_cbranch_execz .LBB9_75
; %bb.74:
	v_lshrrev_b32_e32 v5, 8, v8
	v_lshrrev_b32_e32 v7, 8, v6
	v_cmp_gt_u16_sdwa s[24:25], v7, v5 src0_sel:BYTE_0 src1_sel:BYTE_0
	s_andn2_b64 s[18:19], s[18:19], exec
	s_and_b64 s[24:25], s[24:25], exec
	s_or_b64 s[18:19], s[18:19], s[24:25]
.LBB9_75:
	s_branch .LBB9_77
.LBB9_76:
	s_cmp_lg_u32 s3, 0
	s_mov_b64 s[20:21], -1
	s_cselect_b64 s[22:23], -1, 0
.LBB9_77:
	s_andn2_b64 vcc, exec, s[22:23]
	v_lshrrev_b32_e32 v5, 8, v8
	v_lshrrev_b32_e32 v7, 8, v6
	s_cbranch_vccz .LBB9_83
; %bb.78:
	s_andn2_b64 vcc, exec, s[20:21]
	s_cbranch_vccz .LBB9_84
.LBB9_79:
	s_cmp_lt_i32 s3, 1
	s_mov_b64 s[22:23], 0
	s_cbranch_scc1 .LBB9_85
.LBB9_80:
	s_cmp_gt_i32 s3, 1
	s_cbranch_scc0 .LBB9_86
; %bb.81:
	s_cmp_eq_u32 s3, 2
	s_cbranch_scc0 .LBB9_256
; %bb.82:
	s_movk_i32 s20, 0xff
	v_and_b32_sdwa v5, v8, s20 dst_sel:DWORD dst_unused:UNUSED_PAD src0_sel:WORD_1 src1_sel:DWORD
	v_and_b32_sdwa v7, v6, s20 dst_sel:DWORD dst_unused:UNUSED_PAD src0_sel:WORD_1 src1_sel:DWORD
	v_cmp_le_u16_e64 s[20:21], v7, v5
	s_mov_b64 s[24:25], 0
	s_branch .LBB9_88
.LBB9_83:
	v_cmp_lt_u16_sdwa s[22:23], v7, v5 src0_sel:BYTE_0 src1_sel:BYTE_0
	s_andn2_b64 s[18:19], s[18:19], exec
	s_and_b64 s[22:23], s[22:23], exec
	s_or_b64 s[18:19], s[18:19], s[22:23]
	s_cbranch_execnz .LBB9_79
.LBB9_84:
	v_cmp_ge_u16_sdwa s[20:21], v7, v5 src0_sel:BYTE_0 src1_sel:BYTE_0
	s_andn2_b64 s[18:19], s[18:19], exec
	s_and_b64 s[20:21], s[20:21], exec
	s_or_b64 s[18:19], s[18:19], s[20:21]
	s_cmp_lt_i32 s3, 1
	s_mov_b64 s[22:23], 0
	s_cbranch_scc0 .LBB9_80
.LBB9_85:
                                        ; implicit-def: $sgpr20_sgpr21
	s_mov_b64 s[24:25], 0
	s_cbranch_execnz .LBB9_89
	s_branch .LBB9_90
.LBB9_86:
	s_mov_b64 s[24:25], 0
                                        ; implicit-def: $sgpr20_sgpr21
	s_cbranch_execz .LBB9_88
; %bb.87:
	s_movk_i32 s26, 0xff
	v_and_b32_sdwa v5, v8, s26 dst_sel:DWORD dst_unused:UNUSED_PAD src0_sel:WORD_1 src1_sel:DWORD
	v_and_b32_sdwa v7, v6, s26 dst_sel:DWORD dst_unused:UNUSED_PAD src0_sel:WORD_1 src1_sel:DWORD
	v_cmp_gt_u16_e32 vcc, v7, v5
	s_andn2_b64 s[20:21], s[20:21], exec
	s_and_b64 s[26:27], vcc, exec
	s_or_b64 s[20:21], s[20:21], s[26:27]
.LBB9_88:
	s_branch .LBB9_90
.LBB9_89:
	s_cmp_lg_u32 s3, 0
	s_mov_b64 s[22:23], -1
	s_cselect_b64 s[24:25], -1, 0
.LBB9_90:
	s_andn2_b64 vcc, exec, s[24:25]
	s_cbranch_vccz .LBB9_96
; %bb.91:
	s_andn2_b64 vcc, exec, s[22:23]
	s_cbranch_vccz .LBB9_97
.LBB9_92:
	s_cmp_lt_i32 s3, 1
	s_mov_b64 s[24:25], 0
	s_cbranch_scc1 .LBB9_98
.LBB9_93:
	s_cmp_gt_i32 s3, 1
	s_cbranch_scc0 .LBB9_99
; %bb.94:
	s_cmp_eq_u32 s3, 2
	s_cbranch_scc0 .LBB9_257
; %bb.95:
	v_cmp_le_u32_sdwa s[22:23], v6, v8 src0_sel:BYTE_3 src1_sel:BYTE_3
	s_mov_b64 s[26:27], 0
	s_branch .LBB9_101
.LBB9_96:
	s_movk_i32 s22, 0xff
	v_and_b32_sdwa v5, v8, s22 dst_sel:DWORD dst_unused:UNUSED_PAD src0_sel:WORD_1 src1_sel:DWORD
	v_and_b32_sdwa v7, v6, s22 dst_sel:DWORD dst_unused:UNUSED_PAD src0_sel:WORD_1 src1_sel:DWORD
	v_cmp_lt_u16_e32 vcc, v7, v5
	s_andn2_b64 s[20:21], s[20:21], exec
	s_and_b64 s[24:25], vcc, exec
	s_or_b64 s[20:21], s[20:21], s[24:25]
	s_cbranch_execnz .LBB9_92
.LBB9_97:
	s_movk_i32 s22, 0xff
	v_and_b32_sdwa v5, v8, s22 dst_sel:DWORD dst_unused:UNUSED_PAD src0_sel:WORD_1 src1_sel:DWORD
	v_and_b32_sdwa v7, v6, s22 dst_sel:DWORD dst_unused:UNUSED_PAD src0_sel:WORD_1 src1_sel:DWORD
	v_cmp_ge_u16_e32 vcc, v7, v5
	s_andn2_b64 s[20:21], s[20:21], exec
	s_and_b64 s[22:23], vcc, exec
	s_or_b64 s[20:21], s[20:21], s[22:23]
	s_cmp_lt_i32 s3, 1
	s_mov_b64 s[24:25], 0
	s_cbranch_scc0 .LBB9_93
.LBB9_98:
                                        ; implicit-def: $sgpr22_sgpr23
	s_mov_b64 s[26:27], 0
	s_cbranch_execnz .LBB9_102
	s_branch .LBB9_103
.LBB9_99:
	s_mov_b64 s[26:27], 0
                                        ; implicit-def: $sgpr22_sgpr23
	s_cbranch_execz .LBB9_101
; %bb.100:
	v_cmp_gt_u32_sdwa s[28:29], v6, v8 src0_sel:BYTE_3 src1_sel:BYTE_3
	s_andn2_b64 s[22:23], s[22:23], exec
	s_and_b64 s[28:29], s[28:29], exec
	s_or_b64 s[22:23], s[22:23], s[28:29]
.LBB9_101:
	s_branch .LBB9_103
.LBB9_102:
	s_cmp_lg_u32 s3, 0
	s_mov_b64 s[24:25], -1
	s_cselect_b64 s[26:27], -1, 0
.LBB9_103:
	s_andn2_b64 vcc, exec, s[26:27]
	s_cbranch_vccz .LBB9_109
; %bb.104:
	s_andn2_b64 vcc, exec, s[24:25]
	s_cbranch_vccz .LBB9_110
.LBB9_105:
	s_cmp_lt_i32 s3, 1
	s_mov_b64 s[26:27], 0
	s_cbranch_scc1 .LBB9_111
.LBB9_106:
	s_cmp_gt_i32 s3, 1
	s_cbranch_scc0 .LBB9_112
; %bb.107:
	s_cmp_eq_u32 s3, 2
	s_cbranch_scc0 .LBB9_258
; %bb.108:
	s_waitcnt vmcnt(0)
	v_cmp_le_u16_sdwa s[24:25], v1, v3 src0_sel:BYTE_0 src1_sel:BYTE_0
	s_mov_b64 s[28:29], 0
	s_branch .LBB9_114
.LBB9_109:
	v_cmp_lt_u32_sdwa s[26:27], v6, v8 src0_sel:BYTE_3 src1_sel:BYTE_3
	s_andn2_b64 s[22:23], s[22:23], exec
	s_and_b64 s[26:27], s[26:27], exec
	s_or_b64 s[22:23], s[22:23], s[26:27]
	s_cbranch_execnz .LBB9_105
.LBB9_110:
	v_cmp_ge_u32_sdwa s[24:25], v6, v8 src0_sel:BYTE_3 src1_sel:BYTE_3
	s_andn2_b64 s[22:23], s[22:23], exec
	s_and_b64 s[24:25], s[24:25], exec
	s_or_b64 s[22:23], s[22:23], s[24:25]
	s_cmp_lt_i32 s3, 1
	s_mov_b64 s[26:27], 0
	s_cbranch_scc0 .LBB9_106
.LBB9_111:
                                        ; implicit-def: $sgpr24_sgpr25
	s_mov_b64 s[28:29], 0
	s_cbranch_execnz .LBB9_115
	s_branch .LBB9_116
.LBB9_112:
	s_mov_b64 s[28:29], 0
                                        ; implicit-def: $sgpr24_sgpr25
	s_cbranch_execz .LBB9_114
; %bb.113:
	s_waitcnt vmcnt(0)
	v_cmp_gt_u16_sdwa s[30:31], v1, v3 src0_sel:BYTE_0 src1_sel:BYTE_0
	s_andn2_b64 s[24:25], s[24:25], exec
	s_and_b64 s[30:31], s[30:31], exec
	s_or_b64 s[24:25], s[24:25], s[30:31]
.LBB9_114:
	s_branch .LBB9_116
.LBB9_115:
	s_cmp_lg_u32 s3, 0
	s_mov_b64 s[26:27], -1
	s_cselect_b64 s[28:29], -1, 0
.LBB9_116:
	s_andn2_b64 vcc, exec, s[28:29]
	s_cbranch_vccz .LBB9_122
; %bb.117:
	s_andn2_b64 vcc, exec, s[26:27]
	s_cbranch_vccz .LBB9_123
.LBB9_118:
	s_cmp_lt_i32 s3, 1
	s_mov_b64 s[28:29], 0
	s_cbranch_scc1 .LBB9_124
.LBB9_119:
	s_cmp_gt_i32 s3, 1
	s_cbranch_scc0 .LBB9_125
; %bb.120:
	s_cmp_eq_u32 s3, 2
	s_cbranch_scc0 .LBB9_259
; %bb.121:
	s_waitcnt vmcnt(0)
	v_lshrrev_b32_e32 v5, 8, v3
	v_lshrrev_b32_e32 v6, 8, v1
	v_cmp_le_u16_sdwa s[26:27], v6, v5 src0_sel:BYTE_0 src1_sel:BYTE_0
	s_mov_b64 s[30:31], 0
	s_branch .LBB9_127
.LBB9_122:
	s_waitcnt vmcnt(0)
	v_cmp_lt_u16_sdwa s[28:29], v1, v3 src0_sel:BYTE_0 src1_sel:BYTE_0
	s_andn2_b64 s[24:25], s[24:25], exec
	s_and_b64 s[28:29], s[28:29], exec
	s_or_b64 s[24:25], s[24:25], s[28:29]
	s_cbranch_execnz .LBB9_118
.LBB9_123:
	s_waitcnt vmcnt(0)
	v_cmp_ge_u16_sdwa s[26:27], v1, v3 src0_sel:BYTE_0 src1_sel:BYTE_0
	s_andn2_b64 s[24:25], s[24:25], exec
	s_and_b64 s[26:27], s[26:27], exec
	s_or_b64 s[24:25], s[24:25], s[26:27]
	s_cmp_lt_i32 s3, 1
	s_mov_b64 s[28:29], 0
	s_cbranch_scc0 .LBB9_119
.LBB9_124:
                                        ; implicit-def: $sgpr26_sgpr27
	s_mov_b64 s[30:31], 0
	s_cbranch_execnz .LBB9_128
	s_branch .LBB9_129
.LBB9_125:
	s_mov_b64 s[30:31], 0
                                        ; implicit-def: $sgpr26_sgpr27
	s_cbranch_execz .LBB9_127
; %bb.126:
	s_waitcnt vmcnt(0)
	v_lshrrev_b32_e32 v5, 8, v3
	v_lshrrev_b32_e32 v6, 8, v1
	v_cmp_gt_u16_sdwa s[34:35], v6, v5 src0_sel:BYTE_0 src1_sel:BYTE_0
	s_andn2_b64 s[26:27], s[26:27], exec
	s_and_b64 s[34:35], s[34:35], exec
	s_or_b64 s[26:27], s[26:27], s[34:35]
.LBB9_127:
	s_branch .LBB9_129
.LBB9_128:
	s_cmp_lg_u32 s3, 0
	s_mov_b64 s[28:29], -1
	s_cselect_b64 s[30:31], -1, 0
.LBB9_129:
	s_andn2_b64 vcc, exec, s[30:31]
	s_waitcnt vmcnt(0)
	v_lshrrev_b32_e32 v5, 8, v3
	v_lshrrev_b32_e32 v6, 8, v1
	s_cbranch_vccz .LBB9_135
; %bb.130:
	s_andn2_b64 vcc, exec, s[28:29]
	s_cbranch_vccz .LBB9_136
.LBB9_131:
	s_cmp_lt_i32 s3, 1
	s_mov_b64 s[30:31], 0
	s_cbranch_scc1 .LBB9_137
.LBB9_132:
	s_cmp_gt_i32 s3, 1
	s_cbranch_scc0 .LBB9_138
; %bb.133:
	s_cmp_eq_u32 s3, 2
	s_cbranch_scc0 .LBB9_260
; %bb.134:
	s_movk_i32 s28, 0xff
	v_and_b32_sdwa v5, v3, s28 dst_sel:DWORD dst_unused:UNUSED_PAD src0_sel:WORD_1 src1_sel:DWORD
	v_and_b32_sdwa v6, v1, s28 dst_sel:DWORD dst_unused:UNUSED_PAD src0_sel:WORD_1 src1_sel:DWORD
	v_cmp_le_u16_e64 s[28:29], v6, v5
	s_mov_b64 s[34:35], 0
	s_branch .LBB9_140
.LBB9_135:
	v_cmp_lt_u16_sdwa s[30:31], v6, v5 src0_sel:BYTE_0 src1_sel:BYTE_0
	s_andn2_b64 s[26:27], s[26:27], exec
	s_and_b64 s[30:31], s[30:31], exec
	s_or_b64 s[26:27], s[26:27], s[30:31]
	s_cbranch_execnz .LBB9_131
.LBB9_136:
	v_cmp_ge_u16_sdwa s[28:29], v6, v5 src0_sel:BYTE_0 src1_sel:BYTE_0
	s_andn2_b64 s[26:27], s[26:27], exec
	s_and_b64 s[28:29], s[28:29], exec
	s_or_b64 s[26:27], s[26:27], s[28:29]
	s_cmp_lt_i32 s3, 1
	s_mov_b64 s[30:31], 0
	s_cbranch_scc0 .LBB9_132
.LBB9_137:
                                        ; implicit-def: $sgpr28_sgpr29
	s_mov_b64 s[34:35], 0
	s_cbranch_execnz .LBB9_141
	s_branch .LBB9_142
.LBB9_138:
	s_mov_b64 s[34:35], 0
                                        ; implicit-def: $sgpr28_sgpr29
	s_cbranch_execz .LBB9_140
; %bb.139:
	s_movk_i32 s36, 0xff
	v_and_b32_sdwa v5, v3, s36 dst_sel:DWORD dst_unused:UNUSED_PAD src0_sel:WORD_1 src1_sel:DWORD
	v_and_b32_sdwa v6, v1, s36 dst_sel:DWORD dst_unused:UNUSED_PAD src0_sel:WORD_1 src1_sel:DWORD
	v_cmp_gt_u16_e32 vcc, v6, v5
	s_andn2_b64 s[28:29], s[28:29], exec
	s_and_b64 s[36:37], vcc, exec
	s_or_b64 s[28:29], s[28:29], s[36:37]
.LBB9_140:
	s_branch .LBB9_142
.LBB9_141:
	s_cmp_lg_u32 s3, 0
	s_mov_b64 s[30:31], -1
	s_cselect_b64 s[34:35], -1, 0
.LBB9_142:
	s_andn2_b64 vcc, exec, s[34:35]
	s_cbranch_vccz .LBB9_148
; %bb.143:
	s_andn2_b64 vcc, exec, s[30:31]
	s_cbranch_vccz .LBB9_149
.LBB9_144:
	s_cmp_lt_i32 s3, 1
	s_mov_b64 s[34:35], 0
	s_cbranch_scc1 .LBB9_150
.LBB9_145:
	s_cmp_gt_i32 s3, 1
	s_cbranch_scc0 .LBB9_151
; %bb.146:
	s_cmp_eq_u32 s3, 2
	s_cbranch_scc0 .LBB9_261
; %bb.147:
	v_cmp_le_u32_sdwa s[30:31], v1, v3 src0_sel:BYTE_3 src1_sel:BYTE_3
	s_mov_b64 s[36:37], 0
	s_branch .LBB9_153
.LBB9_148:
	s_movk_i32 s30, 0xff
	v_and_b32_sdwa v5, v3, s30 dst_sel:DWORD dst_unused:UNUSED_PAD src0_sel:WORD_1 src1_sel:DWORD
	v_and_b32_sdwa v6, v1, s30 dst_sel:DWORD dst_unused:UNUSED_PAD src0_sel:WORD_1 src1_sel:DWORD
	v_cmp_lt_u16_e32 vcc, v6, v5
	s_andn2_b64 s[28:29], s[28:29], exec
	s_and_b64 s[34:35], vcc, exec
	s_or_b64 s[28:29], s[28:29], s[34:35]
	s_cbranch_execnz .LBB9_144
.LBB9_149:
	s_movk_i32 s30, 0xff
	v_and_b32_sdwa v5, v3, s30 dst_sel:DWORD dst_unused:UNUSED_PAD src0_sel:WORD_1 src1_sel:DWORD
	v_and_b32_sdwa v6, v1, s30 dst_sel:DWORD dst_unused:UNUSED_PAD src0_sel:WORD_1 src1_sel:DWORD
	v_cmp_ge_u16_e32 vcc, v6, v5
	s_andn2_b64 s[28:29], s[28:29], exec
	s_and_b64 s[30:31], vcc, exec
	s_or_b64 s[28:29], s[28:29], s[30:31]
	s_cmp_lt_i32 s3, 1
	s_mov_b64 s[34:35], 0
	s_cbranch_scc0 .LBB9_145
.LBB9_150:
                                        ; implicit-def: $sgpr30_sgpr31
	s_mov_b64 s[36:37], 0
	s_cbranch_execnz .LBB9_154
	s_branch .LBB9_155
.LBB9_151:
	s_mov_b64 s[36:37], 0
                                        ; implicit-def: $sgpr30_sgpr31
	s_cbranch_execz .LBB9_153
; %bb.152:
	v_cmp_gt_u32_sdwa s[38:39], v1, v3 src0_sel:BYTE_3 src1_sel:BYTE_3
	s_andn2_b64 s[30:31], s[30:31], exec
	s_and_b64 s[38:39], s[38:39], exec
	s_or_b64 s[30:31], s[30:31], s[38:39]
.LBB9_153:
	s_branch .LBB9_155
.LBB9_154:
	s_cmp_lg_u32 s3, 0
	s_mov_b64 s[34:35], -1
	s_cselect_b64 s[36:37], -1, 0
.LBB9_155:
	s_andn2_b64 vcc, exec, s[36:37]
	s_cbranch_vccz .LBB9_161
; %bb.156:
	s_andn2_b64 vcc, exec, s[34:35]
	s_cbranch_vccz .LBB9_162
.LBB9_157:
	s_cmp_lt_i32 s3, 1
	s_mov_b64 s[36:37], 0
	s_cbranch_scc1 .LBB9_163
.LBB9_158:
	s_cmp_gt_i32 s3, 1
	s_cbranch_scc0 .LBB9_164
; %bb.159:
	s_cmp_eq_u32 s3, 2
	s_cbranch_scc0 .LBB9_262
; %bb.160:
	v_cmp_le_u16_sdwa s[34:35], v2, v4 src0_sel:BYTE_0 src1_sel:BYTE_0
	s_mov_b64 s[38:39], 0
	s_branch .LBB9_166
.LBB9_161:
	v_cmp_lt_u32_sdwa s[36:37], v1, v3 src0_sel:BYTE_3 src1_sel:BYTE_3
	s_andn2_b64 s[30:31], s[30:31], exec
	s_and_b64 s[36:37], s[36:37], exec
	s_or_b64 s[30:31], s[30:31], s[36:37]
	s_cbranch_execnz .LBB9_157
.LBB9_162:
	v_cmp_ge_u32_sdwa s[34:35], v1, v3 src0_sel:BYTE_3 src1_sel:BYTE_3
	s_andn2_b64 s[30:31], s[30:31], exec
	s_and_b64 s[34:35], s[34:35], exec
	s_or_b64 s[30:31], s[30:31], s[34:35]
	s_cmp_lt_i32 s3, 1
	s_mov_b64 s[36:37], 0
	s_cbranch_scc0 .LBB9_158
.LBB9_163:
                                        ; implicit-def: $sgpr34_sgpr35
	s_mov_b64 s[38:39], 0
	s_cbranch_execnz .LBB9_167
	s_branch .LBB9_168
.LBB9_164:
	s_mov_b64 s[38:39], 0
                                        ; implicit-def: $sgpr34_sgpr35
	s_cbranch_execz .LBB9_166
; %bb.165:
	v_cmp_gt_u16_sdwa s[40:41], v2, v4 src0_sel:BYTE_0 src1_sel:BYTE_0
	s_andn2_b64 s[34:35], s[34:35], exec
	s_and_b64 s[40:41], s[40:41], exec
	s_or_b64 s[34:35], s[34:35], s[40:41]
.LBB9_166:
	s_branch .LBB9_168
.LBB9_167:
	s_cmp_lg_u32 s3, 0
	s_mov_b64 s[36:37], -1
	s_cselect_b64 s[38:39], -1, 0
.LBB9_168:
	s_andn2_b64 vcc, exec, s[38:39]
	s_cbranch_vccz .LBB9_174
; %bb.169:
	s_andn2_b64 vcc, exec, s[36:37]
	s_cbranch_vccz .LBB9_175
.LBB9_170:
	s_cmp_lt_i32 s3, 1
	s_mov_b64 s[38:39], 0
	s_cbranch_scc1 .LBB9_176
.LBB9_171:
	s_cmp_gt_i32 s3, 1
	s_cbranch_scc0 .LBB9_177
; %bb.172:
	s_cmp_eq_u32 s3, 2
	s_cbranch_scc0 .LBB9_263
; %bb.173:
	v_lshrrev_b32_e32 v1, 8, v4
	v_lshrrev_b32_e32 v3, 8, v2
	v_cmp_le_u16_sdwa s[36:37], v3, v1 src0_sel:BYTE_0 src1_sel:BYTE_0
	s_mov_b64 s[40:41], 0
	s_branch .LBB9_179
.LBB9_174:
	v_cmp_lt_u16_sdwa s[38:39], v2, v4 src0_sel:BYTE_0 src1_sel:BYTE_0
	s_andn2_b64 s[34:35], s[34:35], exec
	s_and_b64 s[38:39], s[38:39], exec
	s_or_b64 s[34:35], s[34:35], s[38:39]
	s_cbranch_execnz .LBB9_170
.LBB9_175:
	v_cmp_ge_u16_sdwa s[36:37], v2, v4 src0_sel:BYTE_0 src1_sel:BYTE_0
	s_andn2_b64 s[34:35], s[34:35], exec
	s_and_b64 s[36:37], s[36:37], exec
	s_or_b64 s[34:35], s[34:35], s[36:37]
	s_cmp_lt_i32 s3, 1
	s_mov_b64 s[38:39], 0
	s_cbranch_scc0 .LBB9_171
.LBB9_176:
                                        ; implicit-def: $sgpr36_sgpr37
	s_mov_b64 s[40:41], 0
	s_cbranch_execnz .LBB9_180
	s_branch .LBB9_181
.LBB9_177:
	s_mov_b64 s[40:41], 0
                                        ; implicit-def: $sgpr36_sgpr37
	s_cbranch_execz .LBB9_179
; %bb.178:
	v_lshrrev_b32_e32 v1, 8, v4
	v_lshrrev_b32_e32 v3, 8, v2
	v_cmp_gt_u16_sdwa s[42:43], v3, v1 src0_sel:BYTE_0 src1_sel:BYTE_0
	s_andn2_b64 s[36:37], s[36:37], exec
	s_and_b64 s[42:43], s[42:43], exec
	s_or_b64 s[36:37], s[36:37], s[42:43]
.LBB9_179:
	s_branch .LBB9_181
.LBB9_180:
	s_cmp_lg_u32 s3, 0
	s_mov_b64 s[38:39], -1
	s_cselect_b64 s[40:41], -1, 0
.LBB9_181:
	s_andn2_b64 vcc, exec, s[40:41]
	v_lshrrev_b32_e32 v1, 8, v4
	v_lshrrev_b32_e32 v3, 8, v2
	s_cbranch_vccz .LBB9_187
; %bb.182:
	s_andn2_b64 vcc, exec, s[38:39]
	s_cbranch_vccz .LBB9_188
.LBB9_183:
	s_cmp_lt_i32 s3, 1
	s_mov_b64 s[40:41], 0
	s_cbranch_scc1 .LBB9_189
.LBB9_184:
	s_cmp_gt_i32 s3, 1
	s_cbranch_scc0 .LBB9_190
; %bb.185:
	s_cmp_eq_u32 s3, 2
	s_cbranch_scc0 .LBB9_264
; %bb.186:
	s_movk_i32 s38, 0xff
	v_and_b32_sdwa v1, v4, s38 dst_sel:DWORD dst_unused:UNUSED_PAD src0_sel:WORD_1 src1_sel:DWORD
	v_and_b32_sdwa v3, v2, s38 dst_sel:DWORD dst_unused:UNUSED_PAD src0_sel:WORD_1 src1_sel:DWORD
	v_cmp_le_u16_e64 s[38:39], v3, v1
	s_mov_b64 s[42:43], 0
	s_branch .LBB9_192
.LBB9_187:
	v_cmp_lt_u16_sdwa s[40:41], v3, v1 src0_sel:BYTE_0 src1_sel:BYTE_0
	s_andn2_b64 s[36:37], s[36:37], exec
	s_and_b64 s[40:41], s[40:41], exec
	s_or_b64 s[36:37], s[36:37], s[40:41]
	s_cbranch_execnz .LBB9_183
.LBB9_188:
	v_cmp_ge_u16_sdwa s[38:39], v3, v1 src0_sel:BYTE_0 src1_sel:BYTE_0
	s_andn2_b64 s[36:37], s[36:37], exec
	s_and_b64 s[38:39], s[38:39], exec
	s_or_b64 s[36:37], s[36:37], s[38:39]
	s_cmp_lt_i32 s3, 1
	s_mov_b64 s[40:41], 0
	s_cbranch_scc0 .LBB9_184
.LBB9_189:
                                        ; implicit-def: $sgpr38_sgpr39
	s_mov_b64 s[42:43], 0
	s_cbranch_execnz .LBB9_193
	s_branch .LBB9_194
.LBB9_190:
	s_mov_b64 s[42:43], 0
                                        ; implicit-def: $sgpr38_sgpr39
	s_cbranch_execz .LBB9_192
; %bb.191:
	s_movk_i32 s44, 0xff
	v_and_b32_sdwa v1, v4, s44 dst_sel:DWORD dst_unused:UNUSED_PAD src0_sel:WORD_1 src1_sel:DWORD
	v_and_b32_sdwa v3, v2, s44 dst_sel:DWORD dst_unused:UNUSED_PAD src0_sel:WORD_1 src1_sel:DWORD
	v_cmp_gt_u16_e32 vcc, v3, v1
	s_andn2_b64 s[38:39], s[38:39], exec
	s_and_b64 s[44:45], vcc, exec
	s_or_b64 s[38:39], s[38:39], s[44:45]
.LBB9_192:
	s_branch .LBB9_194
.LBB9_193:
	s_cmp_lg_u32 s3, 0
	s_mov_b64 s[40:41], -1
	s_cselect_b64 s[42:43], -1, 0
.LBB9_194:
	s_andn2_b64 vcc, exec, s[42:43]
	s_cbranch_vccz .LBB9_200
; %bb.195:
	s_andn2_b64 vcc, exec, s[40:41]
	s_cbranch_vccz .LBB9_201
.LBB9_196:
	s_cmp_lt_i32 s3, 1
	s_mov_b64 s[42:43], 0
	s_cbranch_scc1 .LBB9_202
.LBB9_197:
	s_cmp_gt_i32 s3, 1
	s_cbranch_scc0 .LBB9_203
; %bb.198:
	s_cmp_eq_u32 s3, 2
	s_cbranch_scc0 .LBB9_265
; %bb.199:
	v_cmp_le_u32_sdwa s[40:41], v2, v4 src0_sel:BYTE_3 src1_sel:BYTE_3
	s_mov_b64 s[44:45], 0
	s_branch .LBB9_205
.LBB9_200:
	s_movk_i32 s40, 0xff
	v_and_b32_sdwa v1, v4, s40 dst_sel:DWORD dst_unused:UNUSED_PAD src0_sel:WORD_1 src1_sel:DWORD
	v_and_b32_sdwa v3, v2, s40 dst_sel:DWORD dst_unused:UNUSED_PAD src0_sel:WORD_1 src1_sel:DWORD
	v_cmp_lt_u16_e32 vcc, v3, v1
	s_andn2_b64 s[38:39], s[38:39], exec
	s_and_b64 s[42:43], vcc, exec
	s_or_b64 s[38:39], s[38:39], s[42:43]
	s_cbranch_execnz .LBB9_196
.LBB9_201:
	s_movk_i32 s40, 0xff
	v_and_b32_sdwa v1, v4, s40 dst_sel:DWORD dst_unused:UNUSED_PAD src0_sel:WORD_1 src1_sel:DWORD
	v_and_b32_sdwa v3, v2, s40 dst_sel:DWORD dst_unused:UNUSED_PAD src0_sel:WORD_1 src1_sel:DWORD
	v_cmp_ge_u16_e32 vcc, v3, v1
	s_andn2_b64 s[38:39], s[38:39], exec
	s_and_b64 s[40:41], vcc, exec
	s_or_b64 s[38:39], s[38:39], s[40:41]
	s_cmp_lt_i32 s3, 1
	s_mov_b64 s[42:43], 0
	s_cbranch_scc0 .LBB9_197
.LBB9_202:
                                        ; implicit-def: $sgpr40_sgpr41
	s_mov_b64 s[44:45], 0
	s_cbranch_execnz .LBB9_206
	s_branch .LBB9_207
.LBB9_203:
	s_mov_b64 s[44:45], 0
                                        ; implicit-def: $sgpr40_sgpr41
	s_cbranch_execz .LBB9_205
; %bb.204:
	v_cmp_gt_u32_sdwa s[46:47], v2, v4 src0_sel:BYTE_3 src1_sel:BYTE_3
	s_andn2_b64 s[40:41], s[40:41], exec
	s_and_b64 s[46:47], s[46:47], exec
	s_or_b64 s[40:41], s[40:41], s[46:47]
.LBB9_205:
	s_branch .LBB9_207
.LBB9_206:
	s_cmp_lg_u32 s3, 0
	s_mov_b64 s[42:43], -1
	s_cselect_b64 s[44:45], -1, 0
.LBB9_207:
	s_andn2_b64 vcc, exec, s[44:45]
	s_cbranch_vccz .LBB9_249
; %bb.208:
	s_andn2_b64 vcc, exec, s[42:43]
	s_cbranch_vccnz .LBB9_210
.LBB9_209:
	v_cmp_ge_u32_sdwa s[42:43], v2, v4 src0_sel:BYTE_3 src1_sel:BYTE_3
	s_andn2_b64 s[40:41], s[40:41], exec
	s_and_b64 s[42:43], s[42:43], exec
	s_or_b64 s[40:41], s[40:41], s[42:43]
.LBB9_210:
	v_cndmask_b32_e64 v1, 0, 1, s[4:5]
	v_lshlrev_b16_e32 v1, 8, v1
	v_cndmask_b32_e64 v2, 0, 1, s[0:1]
	v_or_b32_e32 v1, v2, v1
	v_cndmask_b32_e64 v2, 0, 1, s[14:15]
	v_lshlrev_b16_e32 v2, 8, v2
	v_cndmask_b32_e64 v3, 0, 1, s[6:7]
	v_or_b32_sdwa v2, v3, v2 dst_sel:WORD_1 dst_unused:UNUSED_PAD src0_sel:DWORD src1_sel:DWORD
	v_or_b32_sdwa v1, v1, v2 dst_sel:DWORD dst_unused:UNUSED_PAD src0_sel:WORD_0 src1_sel:DWORD
	v_cndmask_b32_e64 v2, 0, 1, s[18:19]
	v_lshlrev_b16_e32 v2, 8, v2
	v_cndmask_b32_e64 v3, 0, 1, s[16:17]
	v_or_b32_e32 v2, v3, v2
	v_cndmask_b32_e64 v3, 0, 1, s[22:23]
	v_lshlrev_b16_e32 v3, 8, v3
	v_cndmask_b32_e64 v4, 0, 1, s[20:21]
	v_or_b32_sdwa v3, v4, v3 dst_sel:WORD_1 dst_unused:UNUSED_PAD src0_sel:DWORD src1_sel:DWORD
	v_or_b32_sdwa v2, v2, v3 dst_sel:DWORD dst_unused:UNUSED_PAD src0_sel:WORD_0 src1_sel:DWORD
	;; [unrolled: 9-line block ×3, first 2 shown]
	v_cndmask_b32_e64 v4, 0, 1, s[36:37]
	v_lshlrev_b16_e32 v4, 8, v4
	v_cndmask_b32_e64 v5, 0, 1, s[34:35]
	v_or_b32_e32 v4, v5, v4
	v_cndmask_b32_e64 v5, 0, 1, s[40:41]
	v_lshlrev_b16_e32 v5, 8, v5
	v_cndmask_b32_e64 v6, 0, 1, s[38:39]
	v_or_b32_sdwa v5, v6, v5 dst_sel:WORD_1 dst_unused:UNUSED_PAD src0_sel:DWORD src1_sel:DWORD
	s_add_u32 s0, s8, s33
	v_or_b32_sdwa v4, v4, v5 dst_sel:DWORD dst_unused:UNUSED_PAD src0_sel:WORD_0 src1_sel:DWORD
	s_addc_u32 s1, s9, s48
	v_lshlrev_b32_e32 v5, 3, v0
	global_store_dwordx2 v5, v[1:2], s[0:1]
	global_store_dwordx2 v5, v[3:4], s[0:1] offset:2048
	s_mov_b64 s[0:1], 0
.LBB9_211:
	s_and_b64 vcc, exec, s[0:1]
	s_cbranch_vccz .LBB9_533
; %bb.212:
	v_cmp_gt_i32_e64 s[0:1], s2, v0
	v_mov_b32_e32 v6, 0
	v_or_b32_e32 v5, s33, v0
	v_mov_b32_e32 v8, 0
	v_mov_b32_e32 v7, 0
	;; [unrolled: 1-line block ×32, first 2 shown]
	s_and_saveexec_b64 s[4:5], s[0:1]
	s_cbranch_execz .LBB9_244
; %bb.213:
	global_load_ubyte v37, v5, s[10:11]
	global_load_ubyte v38, v5, s[12:13]
	v_or_b32_e32 v1, 0x100, v0
	v_cmp_gt_u32_e32 vcc, s2, v1
	v_mov_b32_e32 v36, 0
	v_mov_b32_e32 v35, 0
	;; [unrolled: 1-line block ×30, first 2 shown]
	s_and_saveexec_b64 s[6:7], vcc
	s_cbranch_execz .LBB9_243
; %bb.214:
	v_add_u32_e32 v3, s33, v0
	global_load_ubyte v35, v3, s[10:11] offset:256
	global_load_ubyte v36, v3, s[12:13] offset:256
	v_or_b32_e32 v1, 0x200, v0
	v_mov_b32_e32 v33, 0
	v_cmp_gt_u32_e32 vcc, s2, v1
	v_mov_b32_e32 v34, 0
	v_mov_b32_e32 v31, 0
	;; [unrolled: 1-line block ×27, first 2 shown]
	s_and_saveexec_b64 s[14:15], vcc
	s_cbranch_execz .LBB9_242
; %bb.215:
	v_mov_b32_e32 v2, s11
	v_add_co_u32_e32 v1, vcc, s10, v3
	v_addc_co_u32_e32 v2, vcc, 0, v2, vcc
	v_mov_b32_e32 v4, s13
	v_add_co_u32_e32 v3, vcc, s12, v3
	v_addc_co_u32_e32 v4, vcc, 0, v4, vcc
	global_load_ubyte v34, v[1:2], off offset:512
	global_load_ubyte v33, v[3:4], off offset:512
	v_or_b32_e32 v7, 0x300, v0
	v_cmp_gt_u32_e32 vcc, s2, v7
	v_mov_b32_e32 v31, 0
	v_mov_b32_e32 v32, 0
	;; [unrolled: 1-line block ×26, first 2 shown]
	s_and_saveexec_b64 s[10:11], vcc
	s_cbranch_execz .LBB9_241
; %bb.216:
	global_load_ubyte v32, v[1:2], off offset:768
	global_load_ubyte v31, v[3:4], off offset:768
	v_or_b32_e32 v7, 0x400, v0
	v_cmp_gt_u32_e32 vcc, s2, v7
	v_mov_b32_e32 v29, 0
	v_mov_b32_e32 v30, 0
	;; [unrolled: 1-line block ×24, first 2 shown]
	s_and_saveexec_b64 s[12:13], vcc
	s_cbranch_execz .LBB9_240
; %bb.217:
	global_load_ubyte v30, v[1:2], off offset:1024
	global_load_ubyte v29, v[3:4], off offset:1024
	v_or_b32_e32 v7, 0x500, v0
	v_cmp_gt_u32_e32 vcc, s2, v7
	v_mov_b32_e32 v27, 0
	v_mov_b32_e32 v28, 0
	v_mov_b32_e32 v25, 0
	v_mov_b32_e32 v26, 0
	v_mov_b32_e32 v23, 0
	v_mov_b32_e32 v24, 0
	v_mov_b32_e32 v21, 0
	v_mov_b32_e32 v22, 0
	v_mov_b32_e32 v19, 0
	v_mov_b32_e32 v20, 0
	v_mov_b32_e32 v17, 0
	v_mov_b32_e32 v18, 0
	v_mov_b32_e32 v15, 0
	v_mov_b32_e32 v16, 0
	v_mov_b32_e32 v13, 0
	v_mov_b32_e32 v14, 0
	v_mov_b32_e32 v11, 0
	v_mov_b32_e32 v12, 0
	v_mov_b32_e32 v9, 0
	v_mov_b32_e32 v10, 0
	v_mov_b32_e32 v7, 0
	v_mov_b32_e32 v8, 0
	s_and_saveexec_b64 s[16:17], vcc
	s_cbranch_execz .LBB9_239
; %bb.218:
	global_load_ubyte v28, v[1:2], off offset:1280
	global_load_ubyte v27, v[3:4], off offset:1280
	v_or_b32_e32 v7, 0x600, v0
	v_cmp_gt_u32_e32 vcc, s2, v7
	v_mov_b32_e32 v25, 0
	v_mov_b32_e32 v26, 0
	;; [unrolled: 1-line block ×20, first 2 shown]
	s_and_saveexec_b64 s[18:19], vcc
	s_cbranch_execz .LBB9_238
; %bb.219:
	global_load_ubyte v26, v[1:2], off offset:1536
	global_load_ubyte v25, v[3:4], off offset:1536
	v_or_b32_e32 v7, 0x700, v0
	v_cmp_gt_u32_e32 vcc, s2, v7
	v_mov_b32_e32 v23, 0
	v_mov_b32_e32 v24, 0
	;; [unrolled: 1-line block ×18, first 2 shown]
	s_and_saveexec_b64 s[20:21], vcc
	s_cbranch_execz .LBB9_237
; %bb.220:
	global_load_ubyte v24, v[1:2], off offset:1792
	global_load_ubyte v23, v[3:4], off offset:1792
	v_or_b32_e32 v7, 0x800, v0
	v_cmp_gt_u32_e32 vcc, s2, v7
	v_mov_b32_e32 v21, 0
	v_mov_b32_e32 v22, 0
	;; [unrolled: 1-line block ×16, first 2 shown]
	s_and_saveexec_b64 s[22:23], vcc
	s_cbranch_execz .LBB9_236
; %bb.221:
	global_load_ubyte v22, v[1:2], off offset:2048
	global_load_ubyte v21, v[3:4], off offset:2048
	v_or_b32_e32 v7, 0x900, v0
	v_cmp_gt_u32_e32 vcc, s2, v7
	v_mov_b32_e32 v19, 0
	v_mov_b32_e32 v20, 0
	;; [unrolled: 1-line block ×14, first 2 shown]
	s_and_saveexec_b64 s[24:25], vcc
	s_cbranch_execz .LBB9_235
; %bb.222:
	global_load_ubyte v20, v[1:2], off offset:2304
	global_load_ubyte v19, v[3:4], off offset:2304
	v_or_b32_e32 v7, 0xa00, v0
	v_cmp_gt_u32_e32 vcc, s2, v7
	v_mov_b32_e32 v17, 0
	v_mov_b32_e32 v18, 0
	;; [unrolled: 1-line block ×12, first 2 shown]
	s_and_saveexec_b64 s[26:27], vcc
	s_cbranch_execz .LBB9_234
; %bb.223:
	global_load_ubyte v18, v[1:2], off offset:2560
	global_load_ubyte v17, v[3:4], off offset:2560
	v_or_b32_e32 v7, 0xb00, v0
	v_cmp_gt_u32_e32 vcc, s2, v7
	v_mov_b32_e32 v15, 0
	v_mov_b32_e32 v16, 0
	;; [unrolled: 1-line block ×10, first 2 shown]
	s_and_saveexec_b64 s[28:29], vcc
	s_cbranch_execz .LBB9_233
; %bb.224:
	global_load_ubyte v16, v[1:2], off offset:2816
	global_load_ubyte v15, v[3:4], off offset:2816
	v_or_b32_e32 v7, 0xc00, v0
	v_cmp_gt_u32_e32 vcc, s2, v7
	v_mov_b32_e32 v13, 0
	v_mov_b32_e32 v14, 0
	;; [unrolled: 1-line block ×8, first 2 shown]
	s_and_saveexec_b64 s[30:31], vcc
	s_cbranch_execz .LBB9_232
; %bb.225:
	global_load_ubyte v14, v[1:2], off offset:3072
	global_load_ubyte v13, v[3:4], off offset:3072
	v_or_b32_e32 v7, 0xd00, v0
	v_cmp_gt_u32_e32 vcc, s2, v7
	v_mov_b32_e32 v11, 0
	v_mov_b32_e32 v12, 0
	v_mov_b32_e32 v9, 0
	v_mov_b32_e32 v10, 0
	v_mov_b32_e32 v7, 0
	v_mov_b32_e32 v8, 0
	s_and_saveexec_b64 s[34:35], vcc
	s_cbranch_execz .LBB9_231
; %bb.226:
	global_load_ubyte v12, v[1:2], off offset:3328
	global_load_ubyte v11, v[3:4], off offset:3328
	v_or_b32_e32 v7, 0xe00, v0
	v_cmp_gt_u32_e32 vcc, s2, v7
	v_mov_b32_e32 v9, 0
	v_mov_b32_e32 v10, 0
	;; [unrolled: 1-line block ×4, first 2 shown]
	s_and_saveexec_b64 s[36:37], vcc
	s_cbranch_execz .LBB9_230
; %bb.227:
	global_load_ubyte v10, v[1:2], off offset:3584
	global_load_ubyte v9, v[3:4], off offset:3584
	v_or_b32_e32 v7, 0xf00, v0
	v_cmp_gt_u32_e32 vcc, s2, v7
	v_mov_b32_e32 v7, 0
	v_mov_b32_e32 v8, 0
	s_and_saveexec_b64 s[38:39], vcc
	s_cbranch_execz .LBB9_229
; %bb.228:
	global_load_ubyte v8, v[1:2], off offset:3840
	global_load_ubyte v7, v[3:4], off offset:3840
.LBB9_229:
	s_or_b64 exec, exec, s[38:39]
.LBB9_230:
	s_or_b64 exec, exec, s[36:37]
.LBB9_231:
	s_or_b64 exec, exec, s[34:35]
.LBB9_232:
	s_or_b64 exec, exec, s[30:31]
.LBB9_233:
	s_or_b64 exec, exec, s[28:29]
.LBB9_234:
	s_or_b64 exec, exec, s[26:27]
.LBB9_235:
	s_or_b64 exec, exec, s[24:25]
.LBB9_236:
	s_or_b64 exec, exec, s[22:23]
.LBB9_237:
	s_or_b64 exec, exec, s[20:21]
.LBB9_238:
	s_or_b64 exec, exec, s[18:19]
.LBB9_239:
	s_or_b64 exec, exec, s[16:17]
.LBB9_240:
	s_or_b64 exec, exec, s[12:13]
.LBB9_241:
	s_or_b64 exec, exec, s[10:11]
.LBB9_242:
	s_or_b64 exec, exec, s[14:15]
.LBB9_243:
	s_or_b64 exec, exec, s[6:7]
.LBB9_244:
	s_or_b64 exec, exec, s[4:5]
	v_mov_b32_e32 v3, v6
	v_mov_b32_e32 v2, v6
	;; [unrolled: 1-line block ×3, first 2 shown]
	s_and_saveexec_b64 s[4:5], s[0:1]
	s_cbranch_execz .LBB9_276
; %bb.245:
	s_cmp_lt_i32 s3, 1
	s_mov_b64 s[6:7], 0
	s_cbranch_scc1 .LBB9_250
; %bb.246:
	s_cmp_gt_i32 s3, 1
	s_cbranch_scc0 .LBB9_266
; %bb.247:
	s_cmp_eq_u32 s3, 2
	s_cbranch_scc0 .LBB9_267
; %bb.248:
	s_waitcnt vmcnt(0)
	v_cmp_le_u16_sdwa s[10:11], v37, v38 src0_sel:BYTE_0 src1_sel:BYTE_0
	s_mov_b64 s[12:13], 0
	s_branch .LBB9_268
.LBB9_249:
	v_cmp_lt_u32_sdwa s[44:45], v2, v4 src0_sel:BYTE_3 src1_sel:BYTE_3
	s_andn2_b64 s[40:41], s[40:41], exec
	s_and_b64 s[44:45], s[44:45], exec
	s_or_b64 s[40:41], s[40:41], s[44:45]
	s_cbranch_execz .LBB9_209
	s_branch .LBB9_210
.LBB9_250:
                                        ; implicit-def: $sgpr10_sgpr11
	s_mov_b64 s[12:13], 0
	s_cbranch_execnz .LBB9_271
	s_branch .LBB9_272
.LBB9_251:
	s_mov_b64 s[14:15], -1
                                        ; implicit-def: $sgpr4_sgpr5
	s_branch .LBB9_23
.LBB9_252:
	s_mov_b64 s[16:17], -1
                                        ; implicit-def: $sgpr6_sgpr7
	s_branch .LBB9_36
.LBB9_253:
	s_mov_b64 s[18:19], -1
                                        ; implicit-def: $sgpr14_sgpr15
	s_branch .LBB9_49
.LBB9_254:
	s_mov_b64 s[20:21], -1
                                        ; implicit-def: $sgpr16_sgpr17
	s_branch .LBB9_62
.LBB9_255:
	s_mov_b64 s[22:23], -1
                                        ; implicit-def: $sgpr18_sgpr19
	s_branch .LBB9_75
.LBB9_256:
	s_mov_b64 s[24:25], -1
                                        ; implicit-def: $sgpr20_sgpr21
	s_branch .LBB9_88
.LBB9_257:
	s_mov_b64 s[26:27], -1
                                        ; implicit-def: $sgpr22_sgpr23
	s_branch .LBB9_101
.LBB9_258:
	s_mov_b64 s[28:29], -1
                                        ; implicit-def: $sgpr24_sgpr25
	s_branch .LBB9_114
.LBB9_259:
	s_mov_b64 s[30:31], -1
                                        ; implicit-def: $sgpr26_sgpr27
	s_branch .LBB9_127
.LBB9_260:
	s_mov_b64 s[34:35], -1
                                        ; implicit-def: $sgpr28_sgpr29
	s_branch .LBB9_140
.LBB9_261:
	s_mov_b64 s[36:37], -1
                                        ; implicit-def: $sgpr30_sgpr31
	s_branch .LBB9_153
.LBB9_262:
	s_mov_b64 s[38:39], -1
                                        ; implicit-def: $sgpr34_sgpr35
	s_branch .LBB9_166
.LBB9_263:
	s_mov_b64 s[40:41], -1
                                        ; implicit-def: $sgpr36_sgpr37
	s_branch .LBB9_179
.LBB9_264:
	s_mov_b64 s[42:43], -1
                                        ; implicit-def: $sgpr38_sgpr39
	s_branch .LBB9_192
.LBB9_265:
	s_mov_b64 s[44:45], -1
                                        ; implicit-def: $sgpr40_sgpr41
	s_branch .LBB9_205
.LBB9_266:
	s_mov_b64 s[12:13], 0
                                        ; implicit-def: $sgpr10_sgpr11
	s_cbranch_execnz .LBB9_269
	s_branch .LBB9_270
.LBB9_267:
	s_mov_b64 s[12:13], -1
                                        ; implicit-def: $sgpr10_sgpr11
.LBB9_268:
	s_branch .LBB9_270
.LBB9_269:
	s_waitcnt vmcnt(0)
	v_cmp_gt_u16_sdwa s[14:15], v37, v38 src0_sel:BYTE_0 src1_sel:BYTE_0
	s_andn2_b64 s[10:11], s[10:11], exec
	s_and_b64 s[14:15], s[14:15], exec
	s_or_b64 s[10:11], s[10:11], s[14:15]
.LBB9_270:
	s_branch .LBB9_272
.LBB9_271:
	s_cmp_lg_u32 s3, 0
	s_mov_b64 s[6:7], -1
	s_cselect_b64 s[12:13], -1, 0
.LBB9_272:
	s_andn2_b64 vcc, exec, s[12:13]
	s_cbranch_vccz .LBB9_281
; %bb.273:
	s_andn2_b64 vcc, exec, s[6:7]
	s_cbranch_vccnz .LBB9_275
.LBB9_274:
	s_waitcnt vmcnt(0)
	v_cmp_ge_u16_sdwa s[6:7], v37, v38 src0_sel:BYTE_0 src1_sel:BYTE_0
	s_andn2_b64 s[10:11], s[10:11], exec
	s_and_b64 s[6:7], s[6:7], exec
	s_or_b64 s[10:11], s[10:11], s[6:7]
.LBB9_275:
	v_cndmask_b32_e64 v1, 0, 1, s[10:11]
	v_mov_b32_e32 v3, 0
	v_and_b32_e32 v6, 0xffff, v1
	v_mov_b32_e32 v2, v3
	v_mov_b32_e32 v1, v3
.LBB9_276:
	s_or_b64 exec, exec, s[4:5]
	v_or_b32_e32 v4, 0x100, v0
	v_cmp_gt_i32_e32 vcc, s2, v4
	s_and_saveexec_b64 s[4:5], vcc
	s_cbranch_execz .LBB9_291
; %bb.277:
	s_cmp_lt_i32 s3, 1
	s_mov_b64 s[6:7], 0
	s_cbranch_scc1 .LBB9_282
; %bb.278:
	s_cmp_gt_i32 s3, 1
	s_cbranch_scc0 .LBB9_283
; %bb.279:
	s_cmp_eq_u32 s3, 2
	s_cbranch_scc0 .LBB9_535
; %bb.280:
	s_waitcnt vmcnt(0)
	v_cmp_le_u16_sdwa s[10:11], v35, v36 src0_sel:BYTE_0 src1_sel:BYTE_0
	s_mov_b64 s[12:13], 0
	s_branch .LBB9_285
.LBB9_281:
	s_waitcnt vmcnt(0)
	v_cmp_lt_u16_sdwa s[12:13], v37, v38 src0_sel:BYTE_0 src1_sel:BYTE_0
	s_andn2_b64 s[10:11], s[10:11], exec
	s_and_b64 s[12:13], s[12:13], exec
	s_or_b64 s[10:11], s[10:11], s[12:13]
	s_cbranch_execz .LBB9_274
	s_branch .LBB9_275
.LBB9_282:
                                        ; implicit-def: $sgpr10_sgpr11
	s_mov_b64 s[12:13], 0
	s_cbranch_execnz .LBB9_286
	s_branch .LBB9_287
.LBB9_283:
	s_mov_b64 s[12:13], 0
                                        ; implicit-def: $sgpr10_sgpr11
	s_cbranch_execz .LBB9_285
; %bb.284:
	s_waitcnt vmcnt(0)
	v_cmp_gt_u16_sdwa s[14:15], v35, v36 src0_sel:BYTE_0 src1_sel:BYTE_0
	s_andn2_b64 s[10:11], s[10:11], exec
	s_and_b64 s[14:15], s[14:15], exec
	s_or_b64 s[10:11], s[10:11], s[14:15]
.LBB9_285:
	s_branch .LBB9_287
.LBB9_286:
	s_cmp_lg_u32 s3, 0
	s_mov_b64 s[6:7], -1
	s_cselect_b64 s[12:13], -1, 0
.LBB9_287:
	s_andn2_b64 vcc, exec, s[12:13]
	s_cbranch_vccz .LBB9_296
; %bb.288:
	s_andn2_b64 vcc, exec, s[6:7]
	s_cbranch_vccnz .LBB9_290
.LBB9_289:
	s_waitcnt vmcnt(0)
	v_cmp_ge_u16_sdwa s[6:7], v35, v36 src0_sel:BYTE_0 src1_sel:BYTE_0
	s_andn2_b64 s[10:11], s[10:11], exec
	s_and_b64 s[6:7], s[6:7], exec
	s_or_b64 s[10:11], s[10:11], s[6:7]
.LBB9_290:
	s_waitcnt vmcnt(1)
	v_cndmask_b32_e64 v35, 0, 1, s[10:11]
	v_lshlrev_b16_e32 v35, 8, v35
	v_or_b32_sdwa v35, v6, v35 dst_sel:DWORD dst_unused:UNUSED_PAD src0_sel:BYTE_0 src1_sel:DWORD
	v_and_b32_e32 v35, 0xffff, v35
	s_mov_b32 s6, 0xffff0000
	v_and_or_b32 v6, v6, s6, v35
.LBB9_291:
	s_or_b64 exec, exec, s[4:5]
	s_waitcnt vmcnt(1)
	v_or_b32_e32 v35, 0x200, v0
	v_cmp_gt_i32_e32 vcc, s2, v35
	s_and_saveexec_b64 s[4:5], vcc
	s_cbranch_execz .LBB9_306
; %bb.292:
	s_cmp_lt_i32 s3, 1
	s_mov_b64 s[6:7], 0
	s_cbranch_scc1 .LBB9_297
; %bb.293:
	s_cmp_gt_i32 s3, 1
	s_cbranch_scc0 .LBB9_298
; %bb.294:
	s_cmp_eq_u32 s3, 2
	s_cbranch_scc0 .LBB9_536
; %bb.295:
	s_waitcnt vmcnt(0)
	v_cmp_le_u16_sdwa s[10:11], v34, v33 src0_sel:BYTE_0 src1_sel:BYTE_0
	s_mov_b64 s[12:13], 0
	s_branch .LBB9_300
.LBB9_296:
	s_waitcnt vmcnt(0)
	v_cmp_lt_u16_sdwa s[12:13], v35, v36 src0_sel:BYTE_0 src1_sel:BYTE_0
	s_andn2_b64 s[10:11], s[10:11], exec
	s_and_b64 s[12:13], s[12:13], exec
	s_or_b64 s[10:11], s[10:11], s[12:13]
	s_cbranch_execz .LBB9_289
	s_branch .LBB9_290
.LBB9_297:
                                        ; implicit-def: $sgpr10_sgpr11
	s_mov_b64 s[12:13], 0
	s_cbranch_execnz .LBB9_301
	s_branch .LBB9_302
.LBB9_298:
	s_mov_b64 s[12:13], 0
                                        ; implicit-def: $sgpr10_sgpr11
	s_cbranch_execz .LBB9_300
; %bb.299:
	s_waitcnt vmcnt(0)
	v_cmp_gt_u16_sdwa s[14:15], v34, v33 src0_sel:BYTE_0 src1_sel:BYTE_0
	s_andn2_b64 s[10:11], s[10:11], exec
	s_and_b64 s[14:15], s[14:15], exec
	s_or_b64 s[10:11], s[10:11], s[14:15]
.LBB9_300:
	s_branch .LBB9_302
.LBB9_301:
	s_cmp_lg_u32 s3, 0
	s_mov_b64 s[6:7], -1
	s_cselect_b64 s[12:13], -1, 0
.LBB9_302:
	s_andn2_b64 vcc, exec, s[12:13]
	s_cbranch_vccz .LBB9_311
; %bb.303:
	s_andn2_b64 vcc, exec, s[6:7]
	s_cbranch_vccnz .LBB9_305
.LBB9_304:
	s_waitcnt vmcnt(0)
	v_cmp_ge_u16_sdwa s[6:7], v34, v33 src0_sel:BYTE_0 src1_sel:BYTE_0
	s_andn2_b64 s[10:11], s[10:11], exec
	s_and_b64 s[6:7], s[6:7], exec
	s_or_b64 s[10:11], s[10:11], s[6:7]
.LBB9_305:
	s_movk_i32 s6, 0xff00
	s_waitcnt vmcnt(0)
	v_and_b32_sdwa v33, v6, s6 dst_sel:DWORD dst_unused:UNUSED_PAD src0_sel:WORD_1 src1_sel:DWORD
	v_cndmask_b32_e64 v34, 0, 1, s[10:11]
	v_or_b32_sdwa v33, v34, v33 dst_sel:WORD_1 dst_unused:UNUSED_PAD src0_sel:DWORD src1_sel:DWORD
	s_mov_b32 s6, 0xffff
	v_and_or_b32 v6, v6, s6, v33
.LBB9_306:
	s_or_b64 exec, exec, s[4:5]
	s_waitcnt vmcnt(0)
	v_or_b32_e32 v33, 0x300, v0
	v_cmp_gt_i32_e32 vcc, s2, v33
	s_and_saveexec_b64 s[4:5], vcc
	s_cbranch_execz .LBB9_321
; %bb.307:
	s_cmp_lt_i32 s3, 1
	s_mov_b64 s[6:7], 0
	s_cbranch_scc1 .LBB9_312
; %bb.308:
	s_cmp_gt_i32 s3, 1
	s_cbranch_scc0 .LBB9_313
; %bb.309:
	s_cmp_eq_u32 s3, 2
	s_cbranch_scc0 .LBB9_537
; %bb.310:
	v_cmp_le_u16_sdwa s[10:11], v32, v31 src0_sel:BYTE_0 src1_sel:BYTE_0
	s_mov_b64 s[12:13], 0
	s_branch .LBB9_315
.LBB9_311:
	s_waitcnt vmcnt(0)
	v_cmp_lt_u16_sdwa s[12:13], v34, v33 src0_sel:BYTE_0 src1_sel:BYTE_0
	s_andn2_b64 s[10:11], s[10:11], exec
	s_and_b64 s[12:13], s[12:13], exec
	s_or_b64 s[10:11], s[10:11], s[12:13]
	s_cbranch_execz .LBB9_304
	s_branch .LBB9_305
.LBB9_312:
                                        ; implicit-def: $sgpr10_sgpr11
	s_mov_b64 s[12:13], 0
	s_cbranch_execnz .LBB9_316
	s_branch .LBB9_317
.LBB9_313:
	s_mov_b64 s[12:13], 0
                                        ; implicit-def: $sgpr10_sgpr11
	s_cbranch_execz .LBB9_315
; %bb.314:
	v_cmp_gt_u16_sdwa s[14:15], v32, v31 src0_sel:BYTE_0 src1_sel:BYTE_0
	s_andn2_b64 s[10:11], s[10:11], exec
	s_and_b64 s[14:15], s[14:15], exec
	s_or_b64 s[10:11], s[10:11], s[14:15]
.LBB9_315:
	s_branch .LBB9_317
.LBB9_316:
	s_cmp_lg_u32 s3, 0
	s_mov_b64 s[6:7], -1
	s_cselect_b64 s[12:13], -1, 0
.LBB9_317:
	s_andn2_b64 vcc, exec, s[12:13]
	s_cbranch_vccz .LBB9_326
; %bb.318:
	s_andn2_b64 vcc, exec, s[6:7]
	s_cbranch_vccnz .LBB9_320
.LBB9_319:
	v_cmp_ge_u16_sdwa s[6:7], v32, v31 src0_sel:BYTE_0 src1_sel:BYTE_0
	s_andn2_b64 s[10:11], s[10:11], exec
	s_and_b64 s[6:7], s[6:7], exec
	s_or_b64 s[10:11], s[10:11], s[6:7]
.LBB9_320:
	s_movk_i32 s6, 0xff
	v_cndmask_b32_e64 v32, 0, 1, s[10:11]
	v_and_b32_sdwa v31, v6, s6 dst_sel:DWORD dst_unused:UNUSED_PAD src0_sel:WORD_1 src1_sel:DWORD
	v_lshlrev_b16_e32 v32, 8, v32
	v_or_b32_sdwa v31, v31, v32 dst_sel:WORD_1 dst_unused:UNUSED_PAD src0_sel:DWORD src1_sel:DWORD
	s_mov_b32 s6, 0xffff
	v_and_or_b32 v6, v6, s6, v31
.LBB9_321:
	s_or_b64 exec, exec, s[4:5]
	v_or_b32_e32 v31, 0x400, v0
	v_cmp_gt_i32_e32 vcc, s2, v31
	s_and_saveexec_b64 s[4:5], vcc
	s_cbranch_execz .LBB9_336
; %bb.322:
	s_cmp_lt_i32 s3, 1
	s_mov_b64 s[6:7], 0
	s_cbranch_scc1 .LBB9_327
; %bb.323:
	s_cmp_gt_i32 s3, 1
	s_cbranch_scc0 .LBB9_328
; %bb.324:
	s_cmp_eq_u32 s3, 2
	s_cbranch_scc0 .LBB9_538
; %bb.325:
	v_cmp_le_u16_sdwa s[10:11], v30, v29 src0_sel:BYTE_0 src1_sel:BYTE_0
	s_mov_b64 s[12:13], 0
	s_branch .LBB9_330
.LBB9_326:
	v_cmp_lt_u16_sdwa s[12:13], v32, v31 src0_sel:BYTE_0 src1_sel:BYTE_0
	s_andn2_b64 s[10:11], s[10:11], exec
	s_and_b64 s[12:13], s[12:13], exec
	s_or_b64 s[10:11], s[10:11], s[12:13]
	s_cbranch_execz .LBB9_319
	s_branch .LBB9_320
.LBB9_327:
                                        ; implicit-def: $sgpr10_sgpr11
	s_mov_b64 s[12:13], 0
	s_cbranch_execnz .LBB9_331
	s_branch .LBB9_332
.LBB9_328:
	s_mov_b64 s[12:13], 0
                                        ; implicit-def: $sgpr10_sgpr11
	s_cbranch_execz .LBB9_330
; %bb.329:
	v_cmp_gt_u16_sdwa s[14:15], v30, v29 src0_sel:BYTE_0 src1_sel:BYTE_0
	s_andn2_b64 s[10:11], s[10:11], exec
	s_and_b64 s[14:15], s[14:15], exec
	s_or_b64 s[10:11], s[10:11], s[14:15]
.LBB9_330:
	s_branch .LBB9_332
.LBB9_331:
	s_cmp_lg_u32 s3, 0
	s_mov_b64 s[6:7], -1
	s_cselect_b64 s[12:13], -1, 0
.LBB9_332:
	s_andn2_b64 vcc, exec, s[12:13]
	s_cbranch_vccz .LBB9_341
; %bb.333:
	s_andn2_b64 vcc, exec, s[6:7]
	s_cbranch_vccnz .LBB9_335
.LBB9_334:
	v_cmp_ge_u16_sdwa s[6:7], v30, v29 src0_sel:BYTE_0 src1_sel:BYTE_0
	s_andn2_b64 s[10:11], s[10:11], exec
	s_and_b64 s[6:7], s[6:7], exec
	s_or_b64 s[10:11], s[10:11], s[6:7]
.LBB9_335:
	v_and_b32_e32 v29, 0xffffff00, v3
	v_cndmask_b32_e64 v30, 0, 1, s[10:11]
	v_or_b32_e32 v29, v30, v29
	v_and_b32_e32 v29, 0xffff, v29
	s_mov_b32 s6, 0xffff0000
	v_and_or_b32 v3, v3, s6, v29
.LBB9_336:
	s_or_b64 exec, exec, s[4:5]
	v_or_b32_e32 v29, 0x500, v0
	v_cmp_gt_i32_e32 vcc, s2, v29
	s_and_saveexec_b64 s[4:5], vcc
	s_cbranch_execz .LBB9_351
; %bb.337:
	s_cmp_lt_i32 s3, 1
	s_mov_b64 s[6:7], 0
	s_cbranch_scc1 .LBB9_342
; %bb.338:
	s_cmp_gt_i32 s3, 1
	s_cbranch_scc0 .LBB9_343
; %bb.339:
	s_cmp_eq_u32 s3, 2
	s_cbranch_scc0 .LBB9_539
; %bb.340:
	v_cmp_le_u16_sdwa s[10:11], v28, v27 src0_sel:BYTE_0 src1_sel:BYTE_0
	s_mov_b64 s[12:13], 0
	s_branch .LBB9_345
.LBB9_341:
	v_cmp_lt_u16_sdwa s[12:13], v30, v29 src0_sel:BYTE_0 src1_sel:BYTE_0
	s_andn2_b64 s[10:11], s[10:11], exec
	s_and_b64 s[12:13], s[12:13], exec
	s_or_b64 s[10:11], s[10:11], s[12:13]
	s_cbranch_execz .LBB9_334
	s_branch .LBB9_335
.LBB9_342:
                                        ; implicit-def: $sgpr10_sgpr11
	s_mov_b64 s[12:13], 0
	s_cbranch_execnz .LBB9_346
	s_branch .LBB9_347
.LBB9_343:
	s_mov_b64 s[12:13], 0
                                        ; implicit-def: $sgpr10_sgpr11
	s_cbranch_execz .LBB9_345
; %bb.344:
	v_cmp_gt_u16_sdwa s[14:15], v28, v27 src0_sel:BYTE_0 src1_sel:BYTE_0
	s_andn2_b64 s[10:11], s[10:11], exec
	s_and_b64 s[14:15], s[14:15], exec
	s_or_b64 s[10:11], s[10:11], s[14:15]
.LBB9_345:
	s_branch .LBB9_347
.LBB9_346:
	s_cmp_lg_u32 s3, 0
	s_mov_b64 s[6:7], -1
	s_cselect_b64 s[12:13], -1, 0
.LBB9_347:
	s_andn2_b64 vcc, exec, s[12:13]
	s_cbranch_vccz .LBB9_356
; %bb.348:
	s_andn2_b64 vcc, exec, s[6:7]
	s_cbranch_vccnz .LBB9_350
.LBB9_349:
	v_cmp_ge_u16_sdwa s[6:7], v28, v27 src0_sel:BYTE_0 src1_sel:BYTE_0
	s_andn2_b64 s[10:11], s[10:11], exec
	s_and_b64 s[6:7], s[6:7], exec
	s_or_b64 s[10:11], s[10:11], s[6:7]
.LBB9_350:
	v_cndmask_b32_e64 v27, 0, 1, s[10:11]
	v_lshlrev_b16_e32 v27, 8, v27
	v_or_b32_sdwa v27, v3, v27 dst_sel:DWORD dst_unused:UNUSED_PAD src0_sel:BYTE_0 src1_sel:DWORD
	v_and_b32_e32 v27, 0xffff, v27
	s_mov_b32 s6, 0xffff0000
	v_and_or_b32 v3, v3, s6, v27
.LBB9_351:
	s_or_b64 exec, exec, s[4:5]
	v_or_b32_e32 v27, 0x600, v0
	v_cmp_gt_i32_e32 vcc, s2, v27
	s_and_saveexec_b64 s[4:5], vcc
	s_cbranch_execz .LBB9_366
; %bb.352:
	s_cmp_lt_i32 s3, 1
	s_mov_b64 s[6:7], 0
	s_cbranch_scc1 .LBB9_357
; %bb.353:
	s_cmp_gt_i32 s3, 1
	s_cbranch_scc0 .LBB9_358
; %bb.354:
	s_cmp_eq_u32 s3, 2
	s_cbranch_scc0 .LBB9_540
; %bb.355:
	v_cmp_le_u16_sdwa s[10:11], v26, v25 src0_sel:BYTE_0 src1_sel:BYTE_0
	s_mov_b64 s[12:13], 0
	s_branch .LBB9_360
.LBB9_356:
	v_cmp_lt_u16_sdwa s[12:13], v28, v27 src0_sel:BYTE_0 src1_sel:BYTE_0
	s_andn2_b64 s[10:11], s[10:11], exec
	s_and_b64 s[12:13], s[12:13], exec
	s_or_b64 s[10:11], s[10:11], s[12:13]
	s_cbranch_execz .LBB9_349
	s_branch .LBB9_350
.LBB9_357:
                                        ; implicit-def: $sgpr10_sgpr11
	s_mov_b64 s[12:13], 0
	s_cbranch_execnz .LBB9_361
	s_branch .LBB9_362
.LBB9_358:
	s_mov_b64 s[12:13], 0
                                        ; implicit-def: $sgpr10_sgpr11
	s_cbranch_execz .LBB9_360
; %bb.359:
	v_cmp_gt_u16_sdwa s[14:15], v26, v25 src0_sel:BYTE_0 src1_sel:BYTE_0
	s_andn2_b64 s[10:11], s[10:11], exec
	s_and_b64 s[14:15], s[14:15], exec
	s_or_b64 s[10:11], s[10:11], s[14:15]
.LBB9_360:
	s_branch .LBB9_362
.LBB9_361:
	s_cmp_lg_u32 s3, 0
	s_mov_b64 s[6:7], -1
	s_cselect_b64 s[12:13], -1, 0
.LBB9_362:
	s_andn2_b64 vcc, exec, s[12:13]
	s_cbranch_vccz .LBB9_371
; %bb.363:
	s_andn2_b64 vcc, exec, s[6:7]
	s_cbranch_vccnz .LBB9_365
.LBB9_364:
	v_cmp_ge_u16_sdwa s[6:7], v26, v25 src0_sel:BYTE_0 src1_sel:BYTE_0
	s_andn2_b64 s[10:11], s[10:11], exec
	s_and_b64 s[6:7], s[6:7], exec
	s_or_b64 s[10:11], s[10:11], s[6:7]
.LBB9_365:
	s_movk_i32 s6, 0xff00
	v_and_b32_sdwa v25, v3, s6 dst_sel:DWORD dst_unused:UNUSED_PAD src0_sel:WORD_1 src1_sel:DWORD
	v_cndmask_b32_e64 v26, 0, 1, s[10:11]
	v_or_b32_sdwa v25, v26, v25 dst_sel:WORD_1 dst_unused:UNUSED_PAD src0_sel:DWORD src1_sel:DWORD
	s_mov_b32 s6, 0xffff
	v_and_or_b32 v3, v3, s6, v25
.LBB9_366:
	s_or_b64 exec, exec, s[4:5]
	v_or_b32_e32 v25, 0x700, v0
	v_cmp_gt_i32_e32 vcc, s2, v25
	s_and_saveexec_b64 s[4:5], vcc
	s_cbranch_execz .LBB9_381
; %bb.367:
	s_cmp_lt_i32 s3, 1
	s_mov_b64 s[6:7], 0
	s_cbranch_scc1 .LBB9_372
; %bb.368:
	s_cmp_gt_i32 s3, 1
	s_cbranch_scc0 .LBB9_373
; %bb.369:
	s_cmp_eq_u32 s3, 2
	s_cbranch_scc0 .LBB9_541
; %bb.370:
	v_cmp_le_u16_sdwa s[10:11], v24, v23 src0_sel:BYTE_0 src1_sel:BYTE_0
	s_mov_b64 s[12:13], 0
	s_branch .LBB9_375
.LBB9_371:
	v_cmp_lt_u16_sdwa s[12:13], v26, v25 src0_sel:BYTE_0 src1_sel:BYTE_0
	s_andn2_b64 s[10:11], s[10:11], exec
	s_and_b64 s[12:13], s[12:13], exec
	s_or_b64 s[10:11], s[10:11], s[12:13]
	s_cbranch_execz .LBB9_364
	s_branch .LBB9_365
.LBB9_372:
                                        ; implicit-def: $sgpr10_sgpr11
	s_mov_b64 s[12:13], 0
	s_cbranch_execnz .LBB9_376
	s_branch .LBB9_377
.LBB9_373:
	s_mov_b64 s[12:13], 0
                                        ; implicit-def: $sgpr10_sgpr11
	s_cbranch_execz .LBB9_375
; %bb.374:
	v_cmp_gt_u16_sdwa s[14:15], v24, v23 src0_sel:BYTE_0 src1_sel:BYTE_0
	s_andn2_b64 s[10:11], s[10:11], exec
	s_and_b64 s[14:15], s[14:15], exec
	s_or_b64 s[10:11], s[10:11], s[14:15]
.LBB9_375:
	s_branch .LBB9_377
.LBB9_376:
	s_cmp_lg_u32 s3, 0
	s_mov_b64 s[6:7], -1
	s_cselect_b64 s[12:13], -1, 0
.LBB9_377:
	s_andn2_b64 vcc, exec, s[12:13]
	s_cbranch_vccz .LBB9_386
; %bb.378:
	s_andn2_b64 vcc, exec, s[6:7]
	s_cbranch_vccnz .LBB9_380
.LBB9_379:
	v_cmp_ge_u16_sdwa s[6:7], v24, v23 src0_sel:BYTE_0 src1_sel:BYTE_0
	s_andn2_b64 s[10:11], s[10:11], exec
	s_and_b64 s[6:7], s[6:7], exec
	s_or_b64 s[10:11], s[10:11], s[6:7]
.LBB9_380:
	s_movk_i32 s6, 0xff
	v_cndmask_b32_e64 v24, 0, 1, s[10:11]
	v_and_b32_sdwa v23, v3, s6 dst_sel:DWORD dst_unused:UNUSED_PAD src0_sel:WORD_1 src1_sel:DWORD
	v_lshlrev_b16_e32 v24, 8, v24
	v_or_b32_sdwa v23, v23, v24 dst_sel:WORD_1 dst_unused:UNUSED_PAD src0_sel:DWORD src1_sel:DWORD
	s_mov_b32 s6, 0xffff
	v_and_or_b32 v3, v3, s6, v23
.LBB9_381:
	s_or_b64 exec, exec, s[4:5]
	v_or_b32_e32 v23, 0x800, v0
	v_cmp_gt_i32_e32 vcc, s2, v23
	s_and_saveexec_b64 s[4:5], vcc
	s_cbranch_execz .LBB9_396
; %bb.382:
	s_cmp_lt_i32 s3, 1
	s_mov_b64 s[6:7], 0
	s_cbranch_scc1 .LBB9_387
; %bb.383:
	s_cmp_gt_i32 s3, 1
	s_cbranch_scc0 .LBB9_388
; %bb.384:
	s_cmp_eq_u32 s3, 2
	s_cbranch_scc0 .LBB9_542
; %bb.385:
	v_cmp_le_u16_sdwa s[10:11], v22, v21 src0_sel:BYTE_0 src1_sel:BYTE_0
	s_mov_b64 s[12:13], 0
	s_branch .LBB9_390
.LBB9_386:
	v_cmp_lt_u16_sdwa s[12:13], v24, v23 src0_sel:BYTE_0 src1_sel:BYTE_0
	s_andn2_b64 s[10:11], s[10:11], exec
	s_and_b64 s[12:13], s[12:13], exec
	s_or_b64 s[10:11], s[10:11], s[12:13]
	s_cbranch_execz .LBB9_379
	s_branch .LBB9_380
.LBB9_387:
                                        ; implicit-def: $sgpr10_sgpr11
	s_mov_b64 s[12:13], 0
	s_cbranch_execnz .LBB9_391
	s_branch .LBB9_392
.LBB9_388:
	s_mov_b64 s[12:13], 0
                                        ; implicit-def: $sgpr10_sgpr11
	s_cbranch_execz .LBB9_390
; %bb.389:
	v_cmp_gt_u16_sdwa s[14:15], v22, v21 src0_sel:BYTE_0 src1_sel:BYTE_0
	s_andn2_b64 s[10:11], s[10:11], exec
	s_and_b64 s[14:15], s[14:15], exec
	s_or_b64 s[10:11], s[10:11], s[14:15]
.LBB9_390:
	s_branch .LBB9_392
.LBB9_391:
	s_cmp_lg_u32 s3, 0
	s_mov_b64 s[6:7], -1
	s_cselect_b64 s[12:13], -1, 0
.LBB9_392:
	s_andn2_b64 vcc, exec, s[12:13]
	s_cbranch_vccz .LBB9_401
; %bb.393:
	s_andn2_b64 vcc, exec, s[6:7]
	s_cbranch_vccnz .LBB9_395
.LBB9_394:
	v_cmp_ge_u16_sdwa s[6:7], v22, v21 src0_sel:BYTE_0 src1_sel:BYTE_0
	s_andn2_b64 s[10:11], s[10:11], exec
	s_and_b64 s[6:7], s[6:7], exec
	s_or_b64 s[10:11], s[10:11], s[6:7]
.LBB9_395:
	v_and_b32_e32 v21, 0xffffff00, v2
	v_cndmask_b32_e64 v22, 0, 1, s[10:11]
	v_or_b32_e32 v21, v22, v21
	v_and_b32_e32 v21, 0xffff, v21
	s_mov_b32 s6, 0xffff0000
	v_and_or_b32 v2, v2, s6, v21
.LBB9_396:
	s_or_b64 exec, exec, s[4:5]
	v_or_b32_e32 v21, 0x900, v0
	v_cmp_gt_i32_e32 vcc, s2, v21
	s_and_saveexec_b64 s[4:5], vcc
	s_cbranch_execz .LBB9_411
; %bb.397:
	s_cmp_lt_i32 s3, 1
	s_mov_b64 s[6:7], 0
	s_cbranch_scc1 .LBB9_402
; %bb.398:
	s_cmp_gt_i32 s3, 1
	s_cbranch_scc0 .LBB9_403
; %bb.399:
	s_cmp_eq_u32 s3, 2
	s_cbranch_scc0 .LBB9_543
; %bb.400:
	v_cmp_le_u16_sdwa s[10:11], v20, v19 src0_sel:BYTE_0 src1_sel:BYTE_0
	s_mov_b64 s[12:13], 0
	s_branch .LBB9_405
.LBB9_401:
	v_cmp_lt_u16_sdwa s[12:13], v22, v21 src0_sel:BYTE_0 src1_sel:BYTE_0
	s_andn2_b64 s[10:11], s[10:11], exec
	s_and_b64 s[12:13], s[12:13], exec
	s_or_b64 s[10:11], s[10:11], s[12:13]
	s_cbranch_execz .LBB9_394
	s_branch .LBB9_395
.LBB9_402:
                                        ; implicit-def: $sgpr10_sgpr11
	s_mov_b64 s[12:13], 0
	s_cbranch_execnz .LBB9_406
	s_branch .LBB9_407
.LBB9_403:
	s_mov_b64 s[12:13], 0
                                        ; implicit-def: $sgpr10_sgpr11
	s_cbranch_execz .LBB9_405
; %bb.404:
	v_cmp_gt_u16_sdwa s[14:15], v20, v19 src0_sel:BYTE_0 src1_sel:BYTE_0
	s_andn2_b64 s[10:11], s[10:11], exec
	s_and_b64 s[14:15], s[14:15], exec
	s_or_b64 s[10:11], s[10:11], s[14:15]
.LBB9_405:
	s_branch .LBB9_407
.LBB9_406:
	s_cmp_lg_u32 s3, 0
	s_mov_b64 s[6:7], -1
	s_cselect_b64 s[12:13], -1, 0
.LBB9_407:
	s_andn2_b64 vcc, exec, s[12:13]
	s_cbranch_vccz .LBB9_416
; %bb.408:
	s_andn2_b64 vcc, exec, s[6:7]
	s_cbranch_vccnz .LBB9_410
.LBB9_409:
	v_cmp_ge_u16_sdwa s[6:7], v20, v19 src0_sel:BYTE_0 src1_sel:BYTE_0
	s_andn2_b64 s[10:11], s[10:11], exec
	s_and_b64 s[6:7], s[6:7], exec
	s_or_b64 s[10:11], s[10:11], s[6:7]
.LBB9_410:
	v_cndmask_b32_e64 v19, 0, 1, s[10:11]
	v_lshlrev_b16_e32 v19, 8, v19
	v_or_b32_sdwa v19, v2, v19 dst_sel:DWORD dst_unused:UNUSED_PAD src0_sel:BYTE_0 src1_sel:DWORD
	v_and_b32_e32 v19, 0xffff, v19
	s_mov_b32 s6, 0xffff0000
	v_and_or_b32 v2, v2, s6, v19
.LBB9_411:
	s_or_b64 exec, exec, s[4:5]
	v_or_b32_e32 v19, 0xa00, v0
	v_cmp_gt_i32_e32 vcc, s2, v19
	s_and_saveexec_b64 s[4:5], vcc
	s_cbranch_execz .LBB9_426
; %bb.412:
	s_cmp_lt_i32 s3, 1
	s_mov_b64 s[6:7], 0
	s_cbranch_scc1 .LBB9_417
; %bb.413:
	s_cmp_gt_i32 s3, 1
	s_cbranch_scc0 .LBB9_418
; %bb.414:
	s_cmp_eq_u32 s3, 2
	s_cbranch_scc0 .LBB9_544
; %bb.415:
	v_cmp_le_u16_sdwa s[10:11], v18, v17 src0_sel:BYTE_0 src1_sel:BYTE_0
	s_mov_b64 s[12:13], 0
	s_branch .LBB9_420
.LBB9_416:
	v_cmp_lt_u16_sdwa s[12:13], v20, v19 src0_sel:BYTE_0 src1_sel:BYTE_0
	s_andn2_b64 s[10:11], s[10:11], exec
	s_and_b64 s[12:13], s[12:13], exec
	s_or_b64 s[10:11], s[10:11], s[12:13]
	s_cbranch_execz .LBB9_409
	s_branch .LBB9_410
.LBB9_417:
                                        ; implicit-def: $sgpr10_sgpr11
	s_mov_b64 s[12:13], 0
	s_cbranch_execnz .LBB9_421
	s_branch .LBB9_422
.LBB9_418:
	s_mov_b64 s[12:13], 0
                                        ; implicit-def: $sgpr10_sgpr11
	s_cbranch_execz .LBB9_420
; %bb.419:
	v_cmp_gt_u16_sdwa s[14:15], v18, v17 src0_sel:BYTE_0 src1_sel:BYTE_0
	s_andn2_b64 s[10:11], s[10:11], exec
	s_and_b64 s[14:15], s[14:15], exec
	s_or_b64 s[10:11], s[10:11], s[14:15]
.LBB9_420:
	s_branch .LBB9_422
.LBB9_421:
	s_cmp_lg_u32 s3, 0
	s_mov_b64 s[6:7], -1
	s_cselect_b64 s[12:13], -1, 0
.LBB9_422:
	s_andn2_b64 vcc, exec, s[12:13]
	s_cbranch_vccz .LBB9_431
; %bb.423:
	s_andn2_b64 vcc, exec, s[6:7]
	s_cbranch_vccnz .LBB9_425
.LBB9_424:
	v_cmp_ge_u16_sdwa s[6:7], v18, v17 src0_sel:BYTE_0 src1_sel:BYTE_0
	s_andn2_b64 s[10:11], s[10:11], exec
	s_and_b64 s[6:7], s[6:7], exec
	s_or_b64 s[10:11], s[10:11], s[6:7]
.LBB9_425:
	s_movk_i32 s6, 0xff00
	v_and_b32_sdwa v17, v2, s6 dst_sel:DWORD dst_unused:UNUSED_PAD src0_sel:WORD_1 src1_sel:DWORD
	v_cndmask_b32_e64 v18, 0, 1, s[10:11]
	v_or_b32_sdwa v17, v18, v17 dst_sel:WORD_1 dst_unused:UNUSED_PAD src0_sel:DWORD src1_sel:DWORD
	s_mov_b32 s6, 0xffff
	v_and_or_b32 v2, v2, s6, v17
.LBB9_426:
	s_or_b64 exec, exec, s[4:5]
	v_or_b32_e32 v17, 0xb00, v0
	v_cmp_gt_i32_e32 vcc, s2, v17
	s_and_saveexec_b64 s[4:5], vcc
	s_cbranch_execz .LBB9_441
; %bb.427:
	s_cmp_lt_i32 s3, 1
	s_mov_b64 s[6:7], 0
	s_cbranch_scc1 .LBB9_432
; %bb.428:
	s_cmp_gt_i32 s3, 1
	s_cbranch_scc0 .LBB9_433
; %bb.429:
	s_cmp_eq_u32 s3, 2
	s_cbranch_scc0 .LBB9_545
; %bb.430:
	v_cmp_le_u16_sdwa s[10:11], v16, v15 src0_sel:BYTE_0 src1_sel:BYTE_0
	s_mov_b64 s[12:13], 0
	s_branch .LBB9_435
.LBB9_431:
	v_cmp_lt_u16_sdwa s[12:13], v18, v17 src0_sel:BYTE_0 src1_sel:BYTE_0
	s_andn2_b64 s[10:11], s[10:11], exec
	s_and_b64 s[12:13], s[12:13], exec
	s_or_b64 s[10:11], s[10:11], s[12:13]
	s_cbranch_execz .LBB9_424
	s_branch .LBB9_425
.LBB9_432:
                                        ; implicit-def: $sgpr10_sgpr11
	s_mov_b64 s[12:13], 0
	s_cbranch_execnz .LBB9_436
	s_branch .LBB9_437
.LBB9_433:
	s_mov_b64 s[12:13], 0
                                        ; implicit-def: $sgpr10_sgpr11
	s_cbranch_execz .LBB9_435
; %bb.434:
	v_cmp_gt_u16_sdwa s[14:15], v16, v15 src0_sel:BYTE_0 src1_sel:BYTE_0
	s_andn2_b64 s[10:11], s[10:11], exec
	s_and_b64 s[14:15], s[14:15], exec
	s_or_b64 s[10:11], s[10:11], s[14:15]
.LBB9_435:
	s_branch .LBB9_437
.LBB9_436:
	s_cmp_lg_u32 s3, 0
	s_mov_b64 s[6:7], -1
	s_cselect_b64 s[12:13], -1, 0
.LBB9_437:
	s_andn2_b64 vcc, exec, s[12:13]
	s_cbranch_vccz .LBB9_446
; %bb.438:
	s_andn2_b64 vcc, exec, s[6:7]
	s_cbranch_vccnz .LBB9_440
.LBB9_439:
	v_cmp_ge_u16_sdwa s[6:7], v16, v15 src0_sel:BYTE_0 src1_sel:BYTE_0
	s_andn2_b64 s[10:11], s[10:11], exec
	s_and_b64 s[6:7], s[6:7], exec
	s_or_b64 s[10:11], s[10:11], s[6:7]
.LBB9_440:
	s_movk_i32 s6, 0xff
	v_cndmask_b32_e64 v16, 0, 1, s[10:11]
	v_and_b32_sdwa v15, v2, s6 dst_sel:DWORD dst_unused:UNUSED_PAD src0_sel:WORD_1 src1_sel:DWORD
	v_lshlrev_b16_e32 v16, 8, v16
	v_or_b32_sdwa v15, v15, v16 dst_sel:WORD_1 dst_unused:UNUSED_PAD src0_sel:DWORD src1_sel:DWORD
	s_mov_b32 s6, 0xffff
	v_and_or_b32 v2, v2, s6, v15
.LBB9_441:
	s_or_b64 exec, exec, s[4:5]
	v_or_b32_e32 v15, 0xc00, v0
	v_cmp_gt_i32_e32 vcc, s2, v15
	s_and_saveexec_b64 s[4:5], vcc
	s_cbranch_execz .LBB9_456
; %bb.442:
	s_cmp_lt_i32 s3, 1
	s_mov_b64 s[6:7], 0
	s_cbranch_scc1 .LBB9_447
; %bb.443:
	s_cmp_gt_i32 s3, 1
	s_cbranch_scc0 .LBB9_448
; %bb.444:
	s_cmp_eq_u32 s3, 2
	s_cbranch_scc0 .LBB9_546
; %bb.445:
	v_cmp_le_u16_sdwa s[10:11], v14, v13 src0_sel:BYTE_0 src1_sel:BYTE_0
	s_mov_b64 s[12:13], 0
	s_branch .LBB9_450
.LBB9_446:
	v_cmp_lt_u16_sdwa s[12:13], v16, v15 src0_sel:BYTE_0 src1_sel:BYTE_0
	s_andn2_b64 s[10:11], s[10:11], exec
	s_and_b64 s[12:13], s[12:13], exec
	s_or_b64 s[10:11], s[10:11], s[12:13]
	s_cbranch_execz .LBB9_439
	s_branch .LBB9_440
.LBB9_447:
                                        ; implicit-def: $sgpr10_sgpr11
	s_mov_b64 s[12:13], 0
	s_cbranch_execnz .LBB9_451
	s_branch .LBB9_452
.LBB9_448:
	s_mov_b64 s[12:13], 0
                                        ; implicit-def: $sgpr10_sgpr11
	s_cbranch_execz .LBB9_450
; %bb.449:
	v_cmp_gt_u16_sdwa s[14:15], v14, v13 src0_sel:BYTE_0 src1_sel:BYTE_0
	s_andn2_b64 s[10:11], s[10:11], exec
	s_and_b64 s[14:15], s[14:15], exec
	s_or_b64 s[10:11], s[10:11], s[14:15]
.LBB9_450:
	s_branch .LBB9_452
.LBB9_451:
	s_cmp_lg_u32 s3, 0
	s_mov_b64 s[6:7], -1
	s_cselect_b64 s[12:13], -1, 0
.LBB9_452:
	s_andn2_b64 vcc, exec, s[12:13]
	s_cbranch_vccz .LBB9_461
; %bb.453:
	s_andn2_b64 vcc, exec, s[6:7]
	s_cbranch_vccnz .LBB9_455
.LBB9_454:
	v_cmp_ge_u16_sdwa s[6:7], v14, v13 src0_sel:BYTE_0 src1_sel:BYTE_0
	s_andn2_b64 s[10:11], s[10:11], exec
	s_and_b64 s[6:7], s[6:7], exec
	s_or_b64 s[10:11], s[10:11], s[6:7]
.LBB9_455:
	v_and_b32_e32 v13, 0xffffff00, v1
	v_cndmask_b32_e64 v14, 0, 1, s[10:11]
	v_or_b32_e32 v13, v14, v13
	v_and_b32_e32 v13, 0xffff, v13
	s_mov_b32 s6, 0xffff0000
	v_and_or_b32 v1, v1, s6, v13
.LBB9_456:
	s_or_b64 exec, exec, s[4:5]
	v_or_b32_e32 v13, 0xd00, v0
	v_cmp_gt_i32_e32 vcc, s2, v13
	s_and_saveexec_b64 s[4:5], vcc
	s_cbranch_execz .LBB9_471
; %bb.457:
	s_cmp_lt_i32 s3, 1
	s_mov_b64 s[6:7], 0
	s_cbranch_scc1 .LBB9_462
; %bb.458:
	s_cmp_gt_i32 s3, 1
	s_cbranch_scc0 .LBB9_463
; %bb.459:
	s_cmp_eq_u32 s3, 2
	s_cbranch_scc0 .LBB9_547
; %bb.460:
	v_cmp_le_u16_sdwa s[10:11], v12, v11 src0_sel:BYTE_0 src1_sel:BYTE_0
	s_mov_b64 s[12:13], 0
	s_branch .LBB9_465
.LBB9_461:
	v_cmp_lt_u16_sdwa s[12:13], v14, v13 src0_sel:BYTE_0 src1_sel:BYTE_0
	s_andn2_b64 s[10:11], s[10:11], exec
	s_and_b64 s[12:13], s[12:13], exec
	s_or_b64 s[10:11], s[10:11], s[12:13]
	s_cbranch_execz .LBB9_454
	s_branch .LBB9_455
.LBB9_462:
                                        ; implicit-def: $sgpr10_sgpr11
	s_mov_b64 s[12:13], 0
	s_cbranch_execnz .LBB9_466
	s_branch .LBB9_467
.LBB9_463:
	s_mov_b64 s[12:13], 0
                                        ; implicit-def: $sgpr10_sgpr11
	s_cbranch_execz .LBB9_465
; %bb.464:
	v_cmp_gt_u16_sdwa s[14:15], v12, v11 src0_sel:BYTE_0 src1_sel:BYTE_0
	s_andn2_b64 s[10:11], s[10:11], exec
	s_and_b64 s[14:15], s[14:15], exec
	s_or_b64 s[10:11], s[10:11], s[14:15]
.LBB9_465:
	s_branch .LBB9_467
.LBB9_466:
	s_cmp_lg_u32 s3, 0
	s_mov_b64 s[6:7], -1
	s_cselect_b64 s[12:13], -1, 0
.LBB9_467:
	s_andn2_b64 vcc, exec, s[12:13]
	s_cbranch_vccz .LBB9_476
; %bb.468:
	s_andn2_b64 vcc, exec, s[6:7]
	s_cbranch_vccnz .LBB9_470
.LBB9_469:
	v_cmp_ge_u16_sdwa s[6:7], v12, v11 src0_sel:BYTE_0 src1_sel:BYTE_0
	s_andn2_b64 s[10:11], s[10:11], exec
	s_and_b64 s[6:7], s[6:7], exec
	s_or_b64 s[10:11], s[10:11], s[6:7]
.LBB9_470:
	v_cndmask_b32_e64 v11, 0, 1, s[10:11]
	v_lshlrev_b16_e32 v11, 8, v11
	v_or_b32_sdwa v11, v1, v11 dst_sel:DWORD dst_unused:UNUSED_PAD src0_sel:BYTE_0 src1_sel:DWORD
	v_and_b32_e32 v11, 0xffff, v11
	s_mov_b32 s6, 0xffff0000
	v_and_or_b32 v1, v1, s6, v11
.LBB9_471:
	s_or_b64 exec, exec, s[4:5]
	v_or_b32_e32 v11, 0xe00, v0
	v_cmp_gt_i32_e32 vcc, s2, v11
	s_and_saveexec_b64 s[4:5], vcc
	s_cbranch_execz .LBB9_486
; %bb.472:
	s_cmp_lt_i32 s3, 1
	s_mov_b64 s[6:7], 0
	s_cbranch_scc1 .LBB9_477
; %bb.473:
	s_cmp_gt_i32 s3, 1
	s_cbranch_scc0 .LBB9_478
; %bb.474:
	s_cmp_eq_u32 s3, 2
	s_cbranch_scc0 .LBB9_548
; %bb.475:
	v_cmp_le_u16_sdwa s[10:11], v10, v9 src0_sel:BYTE_0 src1_sel:BYTE_0
	s_mov_b64 s[12:13], 0
	s_branch .LBB9_480
.LBB9_476:
	v_cmp_lt_u16_sdwa s[12:13], v12, v11 src0_sel:BYTE_0 src1_sel:BYTE_0
	s_andn2_b64 s[10:11], s[10:11], exec
	s_and_b64 s[12:13], s[12:13], exec
	s_or_b64 s[10:11], s[10:11], s[12:13]
	s_cbranch_execz .LBB9_469
	s_branch .LBB9_470
.LBB9_477:
                                        ; implicit-def: $sgpr10_sgpr11
	s_mov_b64 s[12:13], 0
	s_cbranch_execnz .LBB9_481
	s_branch .LBB9_482
.LBB9_478:
	s_mov_b64 s[12:13], 0
                                        ; implicit-def: $sgpr10_sgpr11
	s_cbranch_execz .LBB9_480
; %bb.479:
	v_cmp_gt_u16_sdwa s[14:15], v10, v9 src0_sel:BYTE_0 src1_sel:BYTE_0
	s_andn2_b64 s[10:11], s[10:11], exec
	s_and_b64 s[14:15], s[14:15], exec
	s_or_b64 s[10:11], s[10:11], s[14:15]
.LBB9_480:
	s_branch .LBB9_482
.LBB9_481:
	s_cmp_lg_u32 s3, 0
	s_mov_b64 s[6:7], -1
	s_cselect_b64 s[12:13], -1, 0
.LBB9_482:
	s_andn2_b64 vcc, exec, s[12:13]
	s_cbranch_vccz .LBB9_491
; %bb.483:
	s_andn2_b64 vcc, exec, s[6:7]
	s_cbranch_vccnz .LBB9_485
.LBB9_484:
	v_cmp_ge_u16_sdwa s[6:7], v10, v9 src0_sel:BYTE_0 src1_sel:BYTE_0
	s_andn2_b64 s[10:11], s[10:11], exec
	s_and_b64 s[6:7], s[6:7], exec
	s_or_b64 s[10:11], s[10:11], s[6:7]
.LBB9_485:
	s_movk_i32 s6, 0xff00
	v_and_b32_sdwa v9, v1, s6 dst_sel:DWORD dst_unused:UNUSED_PAD src0_sel:WORD_1 src1_sel:DWORD
	v_cndmask_b32_e64 v10, 0, 1, s[10:11]
	v_or_b32_sdwa v9, v10, v9 dst_sel:WORD_1 dst_unused:UNUSED_PAD src0_sel:DWORD src1_sel:DWORD
	s_mov_b32 s6, 0xffff
	v_and_or_b32 v1, v1, s6, v9
.LBB9_486:
	s_or_b64 exec, exec, s[4:5]
	v_or_b32_e32 v9, 0xf00, v0
	v_cmp_gt_i32_e32 vcc, s2, v9
	s_and_saveexec_b64 s[4:5], vcc
	s_cbranch_execz .LBB9_501
; %bb.487:
	s_cmp_lt_i32 s3, 1
	s_mov_b64 s[6:7], 0
	s_cbranch_scc1 .LBB9_492
; %bb.488:
	s_cmp_gt_i32 s3, 1
	s_cbranch_scc0 .LBB9_493
; %bb.489:
	s_cmp_eq_u32 s3, 2
	s_cbranch_scc0 .LBB9_549
; %bb.490:
	v_cmp_le_u16_sdwa s[10:11], v8, v7 src0_sel:BYTE_0 src1_sel:BYTE_0
	s_mov_b64 s[12:13], 0
	s_branch .LBB9_495
.LBB9_491:
	v_cmp_lt_u16_sdwa s[12:13], v10, v9 src0_sel:BYTE_0 src1_sel:BYTE_0
	s_andn2_b64 s[10:11], s[10:11], exec
	s_and_b64 s[12:13], s[12:13], exec
	s_or_b64 s[10:11], s[10:11], s[12:13]
	s_cbranch_execz .LBB9_484
	s_branch .LBB9_485
.LBB9_492:
                                        ; implicit-def: $sgpr10_sgpr11
	s_mov_b64 s[12:13], 0
	s_cbranch_execnz .LBB9_496
	s_branch .LBB9_497
.LBB9_493:
	s_mov_b64 s[12:13], 0
                                        ; implicit-def: $sgpr10_sgpr11
	s_cbranch_execz .LBB9_495
; %bb.494:
	v_cmp_gt_u16_sdwa s[14:15], v8, v7 src0_sel:BYTE_0 src1_sel:BYTE_0
	s_andn2_b64 s[10:11], s[10:11], exec
	s_and_b64 s[14:15], s[14:15], exec
	s_or_b64 s[10:11], s[10:11], s[14:15]
.LBB9_495:
	s_branch .LBB9_497
.LBB9_496:
	s_cmp_lg_u32 s3, 0
	s_mov_b64 s[6:7], -1
	s_cselect_b64 s[12:13], -1, 0
.LBB9_497:
	s_andn2_b64 vcc, exec, s[12:13]
	s_cbranch_vccz .LBB9_534
; %bb.498:
	s_andn2_b64 vcc, exec, s[6:7]
	s_cbranch_vccnz .LBB9_500
.LBB9_499:
	v_cmp_ge_u16_sdwa s[6:7], v8, v7 src0_sel:BYTE_0 src1_sel:BYTE_0
	s_andn2_b64 s[10:11], s[10:11], exec
	s_and_b64 s[6:7], s[6:7], exec
	s_or_b64 s[10:11], s[10:11], s[6:7]
.LBB9_500:
	s_movk_i32 s3, 0xff
	v_cndmask_b32_e64 v8, 0, 1, s[10:11]
	v_and_b32_sdwa v7, v1, s3 dst_sel:DWORD dst_unused:UNUSED_PAD src0_sel:WORD_1 src1_sel:DWORD
	v_lshlrev_b16_e32 v8, 8, v8
	v_or_b32_sdwa v7, v7, v8 dst_sel:WORD_1 dst_unused:UNUSED_PAD src0_sel:DWORD src1_sel:DWORD
	s_mov_b32 s3, 0xffff
	v_and_or_b32 v1, v1, s3, v7
.LBB9_501:
	s_or_b64 exec, exec, s[4:5]
	s_and_saveexec_b64 s[4:5], s[0:1]
	s_xor_b64 s[0:1], exec, s[4:5]
	s_cbranch_execz .LBB9_503
; %bb.502:
	v_mov_b32_e32 v0, v4
	global_store_byte v5, v6, s[8:9]
.LBB9_503:
	s_or_b64 exec, exec, s[0:1]
	v_cmp_gt_i32_e32 vcc, s2, v0
	s_and_saveexec_b64 s[0:1], vcc
	s_cbranch_execnz .LBB9_519
; %bb.504:
	s_or_b64 exec, exec, s[0:1]
	v_cmp_gt_i32_e32 vcc, s2, v0
	s_and_saveexec_b64 s[0:1], vcc
	s_cbranch_execnz .LBB9_520
.LBB9_505:
	s_or_b64 exec, exec, s[0:1]
	v_cmp_gt_i32_e32 vcc, s2, v0
	s_and_saveexec_b64 s[0:1], vcc
	s_cbranch_execnz .LBB9_521
.LBB9_506:
	s_or_b64 exec, exec, s[0:1]
	v_cmp_gt_i32_e32 vcc, s2, v0
	s_and_saveexec_b64 s[0:1], vcc
	s_cbranch_execnz .LBB9_522
.LBB9_507:
	s_or_b64 exec, exec, s[0:1]
	v_cmp_gt_i32_e32 vcc, s2, v0
	s_and_saveexec_b64 s[0:1], vcc
	s_cbranch_execnz .LBB9_523
.LBB9_508:
	s_or_b64 exec, exec, s[0:1]
	v_cmp_gt_i32_e32 vcc, s2, v0
	s_and_saveexec_b64 s[0:1], vcc
	s_cbranch_execnz .LBB9_524
.LBB9_509:
	s_or_b64 exec, exec, s[0:1]
	v_cmp_gt_i32_e32 vcc, s2, v0
	s_and_saveexec_b64 s[0:1], vcc
	s_cbranch_execnz .LBB9_525
.LBB9_510:
	s_or_b64 exec, exec, s[0:1]
	v_cmp_gt_i32_e32 vcc, s2, v0
	s_and_saveexec_b64 s[0:1], vcc
	s_cbranch_execnz .LBB9_526
.LBB9_511:
	s_or_b64 exec, exec, s[0:1]
	v_cmp_gt_i32_e32 vcc, s2, v0
	s_and_saveexec_b64 s[0:1], vcc
	s_cbranch_execnz .LBB9_527
.LBB9_512:
	s_or_b64 exec, exec, s[0:1]
	v_cmp_gt_i32_e32 vcc, s2, v0
	s_and_saveexec_b64 s[0:1], vcc
	s_cbranch_execnz .LBB9_528
.LBB9_513:
	s_or_b64 exec, exec, s[0:1]
	v_cmp_gt_i32_e32 vcc, s2, v0
	s_and_saveexec_b64 s[0:1], vcc
	s_cbranch_execnz .LBB9_529
.LBB9_514:
	s_or_b64 exec, exec, s[0:1]
	v_cmp_gt_i32_e32 vcc, s2, v0
	s_and_saveexec_b64 s[0:1], vcc
	s_cbranch_execnz .LBB9_530
.LBB9_515:
	s_or_b64 exec, exec, s[0:1]
	v_cmp_gt_i32_e32 vcc, s2, v0
	s_and_saveexec_b64 s[0:1], vcc
	s_cbranch_execnz .LBB9_531
.LBB9_516:
	s_or_b64 exec, exec, s[0:1]
	v_cmp_gt_i32_e32 vcc, s2, v0
	s_and_saveexec_b64 s[0:1], vcc
	s_cbranch_execnz .LBB9_532
.LBB9_517:
	s_or_b64 exec, exec, s[0:1]
	v_cmp_gt_i32_e32 vcc, s2, v0
	s_and_saveexec_b64 s[0:1], vcc
	s_cbranch_execz .LBB9_533
.LBB9_518:
	v_lshrrev_b32_e32 v1, 24, v1
	v_add_u32_e32 v0, s33, v0
	global_store_byte v0, v1, s[8:9]
	s_endpgm
.LBB9_519:
	v_lshrrev_b32_e32 v4, 8, v6
	v_add_u32_e32 v5, s33, v0
	v_add_u32_e32 v0, 0x100, v0
	global_store_byte v5, v4, s[8:9]
	s_or_b64 exec, exec, s[0:1]
	v_cmp_gt_i32_e32 vcc, s2, v0
	s_and_saveexec_b64 s[0:1], vcc
	s_cbranch_execz .LBB9_505
.LBB9_520:
	v_add_u32_e32 v4, s33, v0
	v_add_u32_e32 v0, 0x100, v0
	global_store_byte_d16_hi v4, v6, s[8:9]
	s_or_b64 exec, exec, s[0:1]
	v_cmp_gt_i32_e32 vcc, s2, v0
	s_and_saveexec_b64 s[0:1], vcc
	s_cbranch_execz .LBB9_506
.LBB9_521:
	v_lshrrev_b32_e32 v4, 24, v6
	v_add_u32_e32 v5, s33, v0
	v_add_u32_e32 v0, 0x100, v0
	global_store_byte v5, v4, s[8:9]
	s_or_b64 exec, exec, s[0:1]
	v_cmp_gt_i32_e32 vcc, s2, v0
	s_and_saveexec_b64 s[0:1], vcc
	s_cbranch_execz .LBB9_507
.LBB9_522:
	v_add_u32_e32 v4, s33, v0
	v_add_u32_e32 v0, 0x100, v0
	global_store_byte v4, v3, s[8:9]
	s_or_b64 exec, exec, s[0:1]
	v_cmp_gt_i32_e32 vcc, s2, v0
	s_and_saveexec_b64 s[0:1], vcc
	s_cbranch_execz .LBB9_508
.LBB9_523:
	v_lshrrev_b32_e32 v4, 8, v3
	v_add_u32_e32 v5, s33, v0
	v_add_u32_e32 v0, 0x100, v0
	global_store_byte v5, v4, s[8:9]
	s_or_b64 exec, exec, s[0:1]
	v_cmp_gt_i32_e32 vcc, s2, v0
	s_and_saveexec_b64 s[0:1], vcc
	s_cbranch_execz .LBB9_509
.LBB9_524:
	v_add_u32_e32 v4, s33, v0
	v_add_u32_e32 v0, 0x100, v0
	global_store_byte_d16_hi v4, v3, s[8:9]
	s_or_b64 exec, exec, s[0:1]
	v_cmp_gt_i32_e32 vcc, s2, v0
	s_and_saveexec_b64 s[0:1], vcc
	s_cbranch_execz .LBB9_510
.LBB9_525:
	v_lshrrev_b32_e32 v3, 24, v3
	v_add_u32_e32 v4, s33, v0
	v_add_u32_e32 v0, 0x100, v0
	global_store_byte v4, v3, s[8:9]
	s_or_b64 exec, exec, s[0:1]
	v_cmp_gt_i32_e32 vcc, s2, v0
	s_and_saveexec_b64 s[0:1], vcc
	s_cbranch_execz .LBB9_511
.LBB9_526:
	v_add_u32_e32 v3, s33, v0
	v_add_u32_e32 v0, 0x100, v0
	global_store_byte v3, v2, s[8:9]
	s_or_b64 exec, exec, s[0:1]
	v_cmp_gt_i32_e32 vcc, s2, v0
	s_and_saveexec_b64 s[0:1], vcc
	s_cbranch_execz .LBB9_512
.LBB9_527:
	v_lshrrev_b32_e32 v3, 8, v2
	v_add_u32_e32 v4, s33, v0
	v_add_u32_e32 v0, 0x100, v0
	global_store_byte v4, v3, s[8:9]
	s_or_b64 exec, exec, s[0:1]
	v_cmp_gt_i32_e32 vcc, s2, v0
	s_and_saveexec_b64 s[0:1], vcc
	s_cbranch_execz .LBB9_513
.LBB9_528:
	v_add_u32_e32 v3, s33, v0
	v_add_u32_e32 v0, 0x100, v0
	global_store_byte_d16_hi v3, v2, s[8:9]
	s_or_b64 exec, exec, s[0:1]
	v_cmp_gt_i32_e32 vcc, s2, v0
	s_and_saveexec_b64 s[0:1], vcc
	s_cbranch_execz .LBB9_514
.LBB9_529:
	v_lshrrev_b32_e32 v2, 24, v2
	v_add_u32_e32 v3, s33, v0
	v_add_u32_e32 v0, 0x100, v0
	global_store_byte v3, v2, s[8:9]
	s_or_b64 exec, exec, s[0:1]
	v_cmp_gt_i32_e32 vcc, s2, v0
	s_and_saveexec_b64 s[0:1], vcc
	s_cbranch_execz .LBB9_515
.LBB9_530:
	v_add_u32_e32 v2, s33, v0
	v_add_u32_e32 v0, 0x100, v0
	global_store_byte v2, v1, s[8:9]
	s_or_b64 exec, exec, s[0:1]
	v_cmp_gt_i32_e32 vcc, s2, v0
	s_and_saveexec_b64 s[0:1], vcc
	s_cbranch_execz .LBB9_516
.LBB9_531:
	v_lshrrev_b32_e32 v2, 8, v1
	v_add_u32_e32 v3, s33, v0
	v_add_u32_e32 v0, 0x100, v0
	global_store_byte v3, v2, s[8:9]
	s_or_b64 exec, exec, s[0:1]
	v_cmp_gt_i32_e32 vcc, s2, v0
	s_and_saveexec_b64 s[0:1], vcc
	s_cbranch_execz .LBB9_517
.LBB9_532:
	v_add_u32_e32 v2, s33, v0
	v_add_u32_e32 v0, 0x100, v0
	global_store_byte_d16_hi v2, v1, s[8:9]
	s_or_b64 exec, exec, s[0:1]
	v_cmp_gt_i32_e32 vcc, s2, v0
	s_and_saveexec_b64 s[0:1], vcc
	s_cbranch_execnz .LBB9_518
.LBB9_533:
	s_endpgm
.LBB9_534:
	v_cmp_lt_u16_sdwa s[12:13], v8, v7 src0_sel:BYTE_0 src1_sel:BYTE_0
	s_andn2_b64 s[10:11], s[10:11], exec
	s_and_b64 s[12:13], s[12:13], exec
	s_or_b64 s[10:11], s[10:11], s[12:13]
	s_cbranch_execz .LBB9_499
	s_branch .LBB9_500
.LBB9_535:
	s_mov_b64 s[12:13], -1
                                        ; implicit-def: $sgpr10_sgpr11
	s_branch .LBB9_285
.LBB9_536:
	s_mov_b64 s[12:13], -1
                                        ; implicit-def: $sgpr10_sgpr11
	s_branch .LBB9_300
.LBB9_537:
	s_mov_b64 s[12:13], -1
                                        ; implicit-def: $sgpr10_sgpr11
	s_branch .LBB9_315
.LBB9_538:
	s_mov_b64 s[12:13], -1
                                        ; implicit-def: $sgpr10_sgpr11
	s_branch .LBB9_330
.LBB9_539:
	s_mov_b64 s[12:13], -1
                                        ; implicit-def: $sgpr10_sgpr11
	s_branch .LBB9_345
.LBB9_540:
	s_mov_b64 s[12:13], -1
                                        ; implicit-def: $sgpr10_sgpr11
	s_branch .LBB9_360
.LBB9_541:
	s_mov_b64 s[12:13], -1
                                        ; implicit-def: $sgpr10_sgpr11
	s_branch .LBB9_375
.LBB9_542:
	s_mov_b64 s[12:13], -1
                                        ; implicit-def: $sgpr10_sgpr11
	s_branch .LBB9_390
.LBB9_543:
	s_mov_b64 s[12:13], -1
                                        ; implicit-def: $sgpr10_sgpr11
	s_branch .LBB9_405
.LBB9_544:
	s_mov_b64 s[12:13], -1
                                        ; implicit-def: $sgpr10_sgpr11
	s_branch .LBB9_420
.LBB9_545:
	s_mov_b64 s[12:13], -1
                                        ; implicit-def: $sgpr10_sgpr11
	s_branch .LBB9_435
.LBB9_546:
	s_mov_b64 s[12:13], -1
                                        ; implicit-def: $sgpr10_sgpr11
	s_branch .LBB9_450
.LBB9_547:
	s_mov_b64 s[12:13], -1
                                        ; implicit-def: $sgpr10_sgpr11
	s_branch .LBB9_465
.LBB9_548:
	s_mov_b64 s[12:13], -1
                                        ; implicit-def: $sgpr10_sgpr11
	s_branch .LBB9_480
.LBB9_549:
	s_mov_b64 s[12:13], -1
                                        ; implicit-def: $sgpr10_sgpr11
	s_branch .LBB9_495
	.section	.rodata,"a",@progbits
	.p2align	6, 0x0
	.amdhsa_kernel _ZN2at6native29vectorized_elementwise_kernelILi8ENS0_12_GLOBAL__N_114CompareFunctorIhEESt5arrayIPcLm3EEEEviT0_T1_
		.amdhsa_group_segment_fixed_size 0
		.amdhsa_private_segment_fixed_size 0
		.amdhsa_kernarg_size 32
		.amdhsa_user_sgpr_count 6
		.amdhsa_user_sgpr_private_segment_buffer 1
		.amdhsa_user_sgpr_dispatch_ptr 0
		.amdhsa_user_sgpr_queue_ptr 0
		.amdhsa_user_sgpr_kernarg_segment_ptr 1
		.amdhsa_user_sgpr_dispatch_id 0
		.amdhsa_user_sgpr_flat_scratch_init 0
		.amdhsa_user_sgpr_private_segment_size 0
		.amdhsa_uses_dynamic_stack 0
		.amdhsa_system_sgpr_private_segment_wavefront_offset 0
		.amdhsa_system_sgpr_workgroup_id_x 1
		.amdhsa_system_sgpr_workgroup_id_y 0
		.amdhsa_system_sgpr_workgroup_id_z 0
		.amdhsa_system_sgpr_workgroup_info 0
		.amdhsa_system_vgpr_workitem_id 0
		.amdhsa_next_free_vgpr 39
		.amdhsa_next_free_sgpr 49
		.amdhsa_reserve_vcc 1
		.amdhsa_reserve_flat_scratch 0
		.amdhsa_float_round_mode_32 0
		.amdhsa_float_round_mode_16_64 0
		.amdhsa_float_denorm_mode_32 3
		.amdhsa_float_denorm_mode_16_64 3
		.amdhsa_dx10_clamp 1
		.amdhsa_ieee_mode 1
		.amdhsa_fp16_overflow 0
		.amdhsa_exception_fp_ieee_invalid_op 0
		.amdhsa_exception_fp_denorm_src 0
		.amdhsa_exception_fp_ieee_div_zero 0
		.amdhsa_exception_fp_ieee_overflow 0
		.amdhsa_exception_fp_ieee_underflow 0
		.amdhsa_exception_fp_ieee_inexact 0
		.amdhsa_exception_int_div_zero 0
	.end_amdhsa_kernel
	.section	.text._ZN2at6native29vectorized_elementwise_kernelILi8ENS0_12_GLOBAL__N_114CompareFunctorIhEESt5arrayIPcLm3EEEEviT0_T1_,"axG",@progbits,_ZN2at6native29vectorized_elementwise_kernelILi8ENS0_12_GLOBAL__N_114CompareFunctorIhEESt5arrayIPcLm3EEEEviT0_T1_,comdat
.Lfunc_end9:
	.size	_ZN2at6native29vectorized_elementwise_kernelILi8ENS0_12_GLOBAL__N_114CompareFunctorIhEESt5arrayIPcLm3EEEEviT0_T1_, .Lfunc_end9-_ZN2at6native29vectorized_elementwise_kernelILi8ENS0_12_GLOBAL__N_114CompareFunctorIhEESt5arrayIPcLm3EEEEviT0_T1_
                                        ; -- End function
	.set _ZN2at6native29vectorized_elementwise_kernelILi8ENS0_12_GLOBAL__N_114CompareFunctorIhEESt5arrayIPcLm3EEEEviT0_T1_.num_vgpr, 39
	.set _ZN2at6native29vectorized_elementwise_kernelILi8ENS0_12_GLOBAL__N_114CompareFunctorIhEESt5arrayIPcLm3EEEEviT0_T1_.num_agpr, 0
	.set _ZN2at6native29vectorized_elementwise_kernelILi8ENS0_12_GLOBAL__N_114CompareFunctorIhEESt5arrayIPcLm3EEEEviT0_T1_.numbered_sgpr, 49
	.set _ZN2at6native29vectorized_elementwise_kernelILi8ENS0_12_GLOBAL__N_114CompareFunctorIhEESt5arrayIPcLm3EEEEviT0_T1_.num_named_barrier, 0
	.set _ZN2at6native29vectorized_elementwise_kernelILi8ENS0_12_GLOBAL__N_114CompareFunctorIhEESt5arrayIPcLm3EEEEviT0_T1_.private_seg_size, 0
	.set _ZN2at6native29vectorized_elementwise_kernelILi8ENS0_12_GLOBAL__N_114CompareFunctorIhEESt5arrayIPcLm3EEEEviT0_T1_.uses_vcc, 1
	.set _ZN2at6native29vectorized_elementwise_kernelILi8ENS0_12_GLOBAL__N_114CompareFunctorIhEESt5arrayIPcLm3EEEEviT0_T1_.uses_flat_scratch, 0
	.set _ZN2at6native29vectorized_elementwise_kernelILi8ENS0_12_GLOBAL__N_114CompareFunctorIhEESt5arrayIPcLm3EEEEviT0_T1_.has_dyn_sized_stack, 0
	.set _ZN2at6native29vectorized_elementwise_kernelILi8ENS0_12_GLOBAL__N_114CompareFunctorIhEESt5arrayIPcLm3EEEEviT0_T1_.has_recursion, 0
	.set _ZN2at6native29vectorized_elementwise_kernelILi8ENS0_12_GLOBAL__N_114CompareFunctorIhEESt5arrayIPcLm3EEEEviT0_T1_.has_indirect_call, 0
	.section	.AMDGPU.csdata,"",@progbits
; Kernel info:
; codeLenInByte = 10172
; TotalNumSgprs: 53
; NumVgprs: 39
; ScratchSize: 0
; MemoryBound: 0
; FloatMode: 240
; IeeeMode: 1
; LDSByteSize: 0 bytes/workgroup (compile time only)
; SGPRBlocks: 6
; VGPRBlocks: 9
; NumSGPRsForWavesPerEU: 53
; NumVGPRsForWavesPerEU: 39
; Occupancy: 6
; WaveLimiterHint : 1
; COMPUTE_PGM_RSRC2:SCRATCH_EN: 0
; COMPUTE_PGM_RSRC2:USER_SGPR: 6
; COMPUTE_PGM_RSRC2:TRAP_HANDLER: 0
; COMPUTE_PGM_RSRC2:TGID_X_EN: 1
; COMPUTE_PGM_RSRC2:TGID_Y_EN: 0
; COMPUTE_PGM_RSRC2:TGID_Z_EN: 0
; COMPUTE_PGM_RSRC2:TIDIG_COMP_CNT: 0
	.section	.text._ZN2at6native29vectorized_elementwise_kernelILi4ENS0_12_GLOBAL__N_114CompareFunctorIhEESt5arrayIPcLm3EEEEviT0_T1_,"axG",@progbits,_ZN2at6native29vectorized_elementwise_kernelILi4ENS0_12_GLOBAL__N_114CompareFunctorIhEESt5arrayIPcLm3EEEEviT0_T1_,comdat
	.globl	_ZN2at6native29vectorized_elementwise_kernelILi4ENS0_12_GLOBAL__N_114CompareFunctorIhEESt5arrayIPcLm3EEEEviT0_T1_ ; -- Begin function _ZN2at6native29vectorized_elementwise_kernelILi4ENS0_12_GLOBAL__N_114CompareFunctorIhEESt5arrayIPcLm3EEEEviT0_T1_
	.p2align	8
	.type	_ZN2at6native29vectorized_elementwise_kernelILi4ENS0_12_GLOBAL__N_114CompareFunctorIhEESt5arrayIPcLm3EEEEviT0_T1_,@function
_ZN2at6native29vectorized_elementwise_kernelILi4ENS0_12_GLOBAL__N_114CompareFunctorIhEESt5arrayIPcLm3EEEEviT0_T1_: ; @_ZN2at6native29vectorized_elementwise_kernelILi4ENS0_12_GLOBAL__N_114CompareFunctorIhEESt5arrayIPcLm3EEEEviT0_T1_
; %bb.0:
	s_load_dwordx2 s[2:3], s[4:5], 0x0
	s_load_dwordx4 s[8:11], s[4:5], 0x8
	s_load_dwordx2 s[12:13], s[4:5], 0x18
	s_lshl_b32 s33, s6, 12
	s_mov_b64 s[0:1], -1
	s_waitcnt lgkmcnt(0)
	s_sub_i32 s2, s2, s33
	s_cmpk_gt_i32 s2, 0xfff
	s_cbranch_scc0 .LBB10_211
; %bb.1:
	s_ashr_i32 s48, s33, 31
	s_add_u32 s0, s10, s33
	s_addc_u32 s1, s11, s48
	v_lshlrev_b32_e32 v9, 2, v0
	s_add_u32 s4, s12, s33
	s_addc_u32 s5, s13, s48
	global_load_dword v7, v9, s[0:1]
	global_load_dword v5, v9, s[0:1] offset:1024
	global_load_dword v3, v9, s[0:1] offset:2048
	;; [unrolled: 1-line block ×3, first 2 shown]
	global_load_dword v8, v9, s[4:5]
	global_load_dword v6, v9, s[4:5] offset:1024
	global_load_dword v4, v9, s[4:5] offset:2048
	;; [unrolled: 1-line block ×3, first 2 shown]
	s_cmp_lt_i32 s3, 1
	s_mov_b64 s[4:5], 0
	s_cbranch_scc1 .LBB10_5
; %bb.2:
	s_cmp_gt_i32 s3, 1
	s_cbranch_scc0 .LBB10_6
; %bb.3:
	s_cmp_eq_u32 s3, 2
	s_cbranch_scc0 .LBB10_7
; %bb.4:
	s_waitcnt vmcnt(3)
	v_cmp_le_u16_sdwa s[0:1], v7, v8 src0_sel:BYTE_0 src1_sel:BYTE_0
	s_mov_b64 s[6:7], 0
	s_branch .LBB10_8
.LBB10_5:
                                        ; implicit-def: $sgpr0_sgpr1
	s_mov_b64 s[6:7], 0
	s_cbranch_execnz .LBB10_11
	s_branch .LBB10_12
.LBB10_6:
	s_mov_b64 s[6:7], 0
                                        ; implicit-def: $sgpr0_sgpr1
	s_cbranch_execnz .LBB10_9
	s_branch .LBB10_10
.LBB10_7:
	s_mov_b64 s[6:7], -1
                                        ; implicit-def: $sgpr0_sgpr1
.LBB10_8:
	s_branch .LBB10_10
.LBB10_9:
	s_waitcnt vmcnt(3)
	v_cmp_gt_u16_sdwa s[14:15], v7, v8 src0_sel:BYTE_0 src1_sel:BYTE_0
	s_andn2_b64 s[0:1], s[0:1], exec
	s_and_b64 s[14:15], s[14:15], exec
	s_or_b64 s[0:1], s[0:1], s[14:15]
.LBB10_10:
	s_branch .LBB10_12
.LBB10_11:
	s_cmp_lg_u32 s3, 0
	s_mov_b64 s[4:5], -1
	s_cselect_b64 s[6:7], -1, 0
.LBB10_12:
	s_andn2_b64 vcc, exec, s[6:7]
	s_cbranch_vccz .LBB10_18
; %bb.13:
	s_andn2_b64 vcc, exec, s[4:5]
	s_cbranch_vccz .LBB10_19
.LBB10_14:
	s_cmp_lt_i32 s3, 1
	s_mov_b64 s[6:7], 0
	s_cbranch_scc1 .LBB10_20
.LBB10_15:
	s_cmp_gt_i32 s3, 1
	s_cbranch_scc0 .LBB10_21
; %bb.16:
	s_cmp_eq_u32 s3, 2
	s_cbranch_scc0 .LBB10_251
; %bb.17:
	s_waitcnt vmcnt(3)
	v_lshrrev_b32_e32 v9, 8, v8
	v_lshrrev_b32_e32 v10, 8, v7
	v_cmp_le_u16_sdwa s[4:5], v10, v9 src0_sel:BYTE_0 src1_sel:BYTE_0
	s_mov_b64 s[14:15], 0
	s_branch .LBB10_23
.LBB10_18:
	s_waitcnt vmcnt(3)
	v_cmp_lt_u16_sdwa s[6:7], v7, v8 src0_sel:BYTE_0 src1_sel:BYTE_0
	s_andn2_b64 s[0:1], s[0:1], exec
	s_and_b64 s[6:7], s[6:7], exec
	s_or_b64 s[0:1], s[0:1], s[6:7]
	s_cbranch_execnz .LBB10_14
.LBB10_19:
	s_waitcnt vmcnt(3)
	v_cmp_ge_u16_sdwa s[4:5], v7, v8 src0_sel:BYTE_0 src1_sel:BYTE_0
	s_andn2_b64 s[0:1], s[0:1], exec
	s_and_b64 s[4:5], s[4:5], exec
	s_or_b64 s[0:1], s[0:1], s[4:5]
	s_cmp_lt_i32 s3, 1
	s_mov_b64 s[6:7], 0
	s_cbranch_scc0 .LBB10_15
.LBB10_20:
                                        ; implicit-def: $sgpr4_sgpr5
	s_mov_b64 s[14:15], 0
	s_cbranch_execnz .LBB10_24
	s_branch .LBB10_25
.LBB10_21:
	s_mov_b64 s[14:15], 0
                                        ; implicit-def: $sgpr4_sgpr5
	s_cbranch_execz .LBB10_23
; %bb.22:
	s_waitcnt vmcnt(3)
	v_lshrrev_b32_e32 v9, 8, v8
	v_lshrrev_b32_e32 v10, 8, v7
	v_cmp_gt_u16_sdwa s[16:17], v10, v9 src0_sel:BYTE_0 src1_sel:BYTE_0
	s_andn2_b64 s[4:5], s[4:5], exec
	s_and_b64 s[16:17], s[16:17], exec
	s_or_b64 s[4:5], s[4:5], s[16:17]
.LBB10_23:
	s_branch .LBB10_25
.LBB10_24:
	s_cmp_lg_u32 s3, 0
	s_mov_b64 s[6:7], -1
	s_cselect_b64 s[14:15], -1, 0
.LBB10_25:
	s_andn2_b64 vcc, exec, s[14:15]
	s_waitcnt vmcnt(3)
	v_lshrrev_b32_e32 v9, 8, v8
	v_lshrrev_b32_e32 v10, 8, v7
	s_cbranch_vccz .LBB10_31
; %bb.26:
	s_andn2_b64 vcc, exec, s[6:7]
	s_cbranch_vccz .LBB10_32
.LBB10_27:
	s_cmp_lt_i32 s3, 1
	s_mov_b64 s[14:15], 0
	s_cbranch_scc1 .LBB10_33
.LBB10_28:
	s_cmp_gt_i32 s3, 1
	s_cbranch_scc0 .LBB10_34
; %bb.29:
	s_cmp_eq_u32 s3, 2
	s_cbranch_scc0 .LBB10_252
; %bb.30:
	s_movk_i32 s6, 0xff
	v_and_b32_sdwa v9, v8, s6 dst_sel:DWORD dst_unused:UNUSED_PAD src0_sel:WORD_1 src1_sel:DWORD
	v_and_b32_sdwa v10, v7, s6 dst_sel:DWORD dst_unused:UNUSED_PAD src0_sel:WORD_1 src1_sel:DWORD
	v_cmp_le_u16_e64 s[6:7], v10, v9
	s_mov_b64 s[16:17], 0
	s_branch .LBB10_36
.LBB10_31:
	v_cmp_lt_u16_sdwa s[14:15], v10, v9 src0_sel:BYTE_0 src1_sel:BYTE_0
	s_andn2_b64 s[4:5], s[4:5], exec
	s_and_b64 s[14:15], s[14:15], exec
	s_or_b64 s[4:5], s[4:5], s[14:15]
	s_cbranch_execnz .LBB10_27
.LBB10_32:
	v_cmp_ge_u16_sdwa s[6:7], v10, v9 src0_sel:BYTE_0 src1_sel:BYTE_0
	s_andn2_b64 s[4:5], s[4:5], exec
	s_and_b64 s[6:7], s[6:7], exec
	s_or_b64 s[4:5], s[4:5], s[6:7]
	s_cmp_lt_i32 s3, 1
	s_mov_b64 s[14:15], 0
	s_cbranch_scc0 .LBB10_28
.LBB10_33:
                                        ; implicit-def: $sgpr6_sgpr7
	s_mov_b64 s[16:17], 0
	s_cbranch_execnz .LBB10_37
	s_branch .LBB10_38
.LBB10_34:
	s_mov_b64 s[16:17], 0
                                        ; implicit-def: $sgpr6_sgpr7
	s_cbranch_execz .LBB10_36
; %bb.35:
	s_movk_i32 s18, 0xff
	v_and_b32_sdwa v9, v8, s18 dst_sel:DWORD dst_unused:UNUSED_PAD src0_sel:WORD_1 src1_sel:DWORD
	v_and_b32_sdwa v10, v7, s18 dst_sel:DWORD dst_unused:UNUSED_PAD src0_sel:WORD_1 src1_sel:DWORD
	v_cmp_gt_u16_e32 vcc, v10, v9
	s_andn2_b64 s[6:7], s[6:7], exec
	s_and_b64 s[18:19], vcc, exec
	s_or_b64 s[6:7], s[6:7], s[18:19]
.LBB10_36:
	s_branch .LBB10_38
.LBB10_37:
	s_cmp_lg_u32 s3, 0
	s_mov_b64 s[14:15], -1
	s_cselect_b64 s[16:17], -1, 0
.LBB10_38:
	s_andn2_b64 vcc, exec, s[16:17]
	s_cbranch_vccz .LBB10_44
; %bb.39:
	s_andn2_b64 vcc, exec, s[14:15]
	s_cbranch_vccz .LBB10_45
.LBB10_40:
	s_cmp_lt_i32 s3, 1
	s_mov_b64 s[16:17], 0
	s_cbranch_scc1 .LBB10_46
.LBB10_41:
	s_cmp_gt_i32 s3, 1
	s_cbranch_scc0 .LBB10_47
; %bb.42:
	s_cmp_eq_u32 s3, 2
	s_cbranch_scc0 .LBB10_253
; %bb.43:
	v_cmp_le_u32_sdwa s[14:15], v7, v8 src0_sel:BYTE_3 src1_sel:BYTE_3
	s_mov_b64 s[18:19], 0
	s_branch .LBB10_49
.LBB10_44:
	s_movk_i32 s14, 0xff
	v_and_b32_sdwa v9, v8, s14 dst_sel:DWORD dst_unused:UNUSED_PAD src0_sel:WORD_1 src1_sel:DWORD
	v_and_b32_sdwa v10, v7, s14 dst_sel:DWORD dst_unused:UNUSED_PAD src0_sel:WORD_1 src1_sel:DWORD
	v_cmp_lt_u16_e32 vcc, v10, v9
	s_andn2_b64 s[6:7], s[6:7], exec
	s_and_b64 s[16:17], vcc, exec
	s_or_b64 s[6:7], s[6:7], s[16:17]
	s_cbranch_execnz .LBB10_40
.LBB10_45:
	s_movk_i32 s14, 0xff
	v_and_b32_sdwa v9, v8, s14 dst_sel:DWORD dst_unused:UNUSED_PAD src0_sel:WORD_1 src1_sel:DWORD
	v_and_b32_sdwa v10, v7, s14 dst_sel:DWORD dst_unused:UNUSED_PAD src0_sel:WORD_1 src1_sel:DWORD
	v_cmp_ge_u16_e32 vcc, v10, v9
	s_andn2_b64 s[6:7], s[6:7], exec
	s_and_b64 s[14:15], vcc, exec
	s_or_b64 s[6:7], s[6:7], s[14:15]
	s_cmp_lt_i32 s3, 1
	s_mov_b64 s[16:17], 0
	s_cbranch_scc0 .LBB10_41
.LBB10_46:
                                        ; implicit-def: $sgpr14_sgpr15
	s_mov_b64 s[18:19], 0
	s_cbranch_execnz .LBB10_50
	s_branch .LBB10_51
.LBB10_47:
	s_mov_b64 s[18:19], 0
                                        ; implicit-def: $sgpr14_sgpr15
	s_cbranch_execz .LBB10_49
; %bb.48:
	v_cmp_gt_u32_sdwa s[20:21], v7, v8 src0_sel:BYTE_3 src1_sel:BYTE_3
	s_andn2_b64 s[14:15], s[14:15], exec
	s_and_b64 s[20:21], s[20:21], exec
	s_or_b64 s[14:15], s[14:15], s[20:21]
.LBB10_49:
	s_branch .LBB10_51
.LBB10_50:
	s_cmp_lg_u32 s3, 0
	s_mov_b64 s[16:17], -1
	s_cselect_b64 s[18:19], -1, 0
.LBB10_51:
	s_andn2_b64 vcc, exec, s[18:19]
	s_cbranch_vccz .LBB10_57
; %bb.52:
	s_andn2_b64 vcc, exec, s[16:17]
	s_cbranch_vccz .LBB10_58
.LBB10_53:
	s_cmp_lt_i32 s3, 1
	s_mov_b64 s[18:19], 0
	s_cbranch_scc1 .LBB10_59
.LBB10_54:
	s_cmp_gt_i32 s3, 1
	s_cbranch_scc0 .LBB10_60
; %bb.55:
	s_cmp_eq_u32 s3, 2
	s_cbranch_scc0 .LBB10_254
; %bb.56:
	s_waitcnt vmcnt(2)
	v_cmp_le_u16_sdwa s[16:17], v5, v6 src0_sel:BYTE_0 src1_sel:BYTE_0
	s_mov_b64 s[20:21], 0
	s_branch .LBB10_62
.LBB10_57:
	v_cmp_lt_u32_sdwa s[18:19], v7, v8 src0_sel:BYTE_3 src1_sel:BYTE_3
	s_andn2_b64 s[14:15], s[14:15], exec
	s_and_b64 s[18:19], s[18:19], exec
	s_or_b64 s[14:15], s[14:15], s[18:19]
	s_cbranch_execnz .LBB10_53
.LBB10_58:
	v_cmp_ge_u32_sdwa s[16:17], v7, v8 src0_sel:BYTE_3 src1_sel:BYTE_3
	s_andn2_b64 s[14:15], s[14:15], exec
	s_and_b64 s[16:17], s[16:17], exec
	s_or_b64 s[14:15], s[14:15], s[16:17]
	s_cmp_lt_i32 s3, 1
	s_mov_b64 s[18:19], 0
	s_cbranch_scc0 .LBB10_54
.LBB10_59:
                                        ; implicit-def: $sgpr16_sgpr17
	s_mov_b64 s[20:21], 0
	s_cbranch_execnz .LBB10_63
	s_branch .LBB10_64
.LBB10_60:
	s_mov_b64 s[20:21], 0
                                        ; implicit-def: $sgpr16_sgpr17
	s_cbranch_execz .LBB10_62
; %bb.61:
	s_waitcnt vmcnt(2)
	v_cmp_gt_u16_sdwa s[22:23], v5, v6 src0_sel:BYTE_0 src1_sel:BYTE_0
	s_andn2_b64 s[16:17], s[16:17], exec
	s_and_b64 s[22:23], s[22:23], exec
	s_or_b64 s[16:17], s[16:17], s[22:23]
.LBB10_62:
	s_branch .LBB10_64
.LBB10_63:
	s_cmp_lg_u32 s3, 0
	s_mov_b64 s[18:19], -1
	s_cselect_b64 s[20:21], -1, 0
.LBB10_64:
	s_andn2_b64 vcc, exec, s[20:21]
	s_cbranch_vccz .LBB10_70
; %bb.65:
	s_andn2_b64 vcc, exec, s[18:19]
	s_cbranch_vccz .LBB10_71
.LBB10_66:
	s_cmp_lt_i32 s3, 1
	s_mov_b64 s[20:21], 0
	s_cbranch_scc1 .LBB10_72
.LBB10_67:
	s_cmp_gt_i32 s3, 1
	s_cbranch_scc0 .LBB10_73
; %bb.68:
	s_cmp_eq_u32 s3, 2
	s_cbranch_scc0 .LBB10_255
; %bb.69:
	s_waitcnt vmcnt(2)
	v_lshrrev_b32_e32 v7, 8, v6
	v_lshrrev_b32_e32 v8, 8, v5
	v_cmp_le_u16_sdwa s[18:19], v8, v7 src0_sel:BYTE_0 src1_sel:BYTE_0
	s_mov_b64 s[22:23], 0
	s_branch .LBB10_75
.LBB10_70:
	s_waitcnt vmcnt(2)
	v_cmp_lt_u16_sdwa s[20:21], v5, v6 src0_sel:BYTE_0 src1_sel:BYTE_0
	s_andn2_b64 s[16:17], s[16:17], exec
	s_and_b64 s[20:21], s[20:21], exec
	s_or_b64 s[16:17], s[16:17], s[20:21]
	s_cbranch_execnz .LBB10_66
.LBB10_71:
	s_waitcnt vmcnt(2)
	v_cmp_ge_u16_sdwa s[18:19], v5, v6 src0_sel:BYTE_0 src1_sel:BYTE_0
	s_andn2_b64 s[16:17], s[16:17], exec
	s_and_b64 s[18:19], s[18:19], exec
	s_or_b64 s[16:17], s[16:17], s[18:19]
	s_cmp_lt_i32 s3, 1
	s_mov_b64 s[20:21], 0
	s_cbranch_scc0 .LBB10_67
.LBB10_72:
                                        ; implicit-def: $sgpr18_sgpr19
	s_mov_b64 s[22:23], 0
	s_cbranch_execnz .LBB10_76
	s_branch .LBB10_77
.LBB10_73:
	s_mov_b64 s[22:23], 0
                                        ; implicit-def: $sgpr18_sgpr19
	s_cbranch_execz .LBB10_75
; %bb.74:
	s_waitcnt vmcnt(2)
	v_lshrrev_b32_e32 v7, 8, v6
	v_lshrrev_b32_e32 v8, 8, v5
	v_cmp_gt_u16_sdwa s[24:25], v8, v7 src0_sel:BYTE_0 src1_sel:BYTE_0
	s_andn2_b64 s[18:19], s[18:19], exec
	s_and_b64 s[24:25], s[24:25], exec
	s_or_b64 s[18:19], s[18:19], s[24:25]
.LBB10_75:
	s_branch .LBB10_77
.LBB10_76:
	s_cmp_lg_u32 s3, 0
	s_mov_b64 s[20:21], -1
	s_cselect_b64 s[22:23], -1, 0
.LBB10_77:
	s_andn2_b64 vcc, exec, s[22:23]
	s_waitcnt vmcnt(2)
	v_lshrrev_b32_e32 v7, 8, v6
	v_lshrrev_b32_e32 v8, 8, v5
	s_cbranch_vccz .LBB10_83
; %bb.78:
	s_andn2_b64 vcc, exec, s[20:21]
	s_cbranch_vccz .LBB10_84
.LBB10_79:
	s_cmp_lt_i32 s3, 1
	s_mov_b64 s[22:23], 0
	s_cbranch_scc1 .LBB10_85
.LBB10_80:
	s_cmp_gt_i32 s3, 1
	s_cbranch_scc0 .LBB10_86
; %bb.81:
	s_cmp_eq_u32 s3, 2
	s_cbranch_scc0 .LBB10_256
; %bb.82:
	s_movk_i32 s20, 0xff
	v_and_b32_sdwa v7, v6, s20 dst_sel:DWORD dst_unused:UNUSED_PAD src0_sel:WORD_1 src1_sel:DWORD
	v_and_b32_sdwa v8, v5, s20 dst_sel:DWORD dst_unused:UNUSED_PAD src0_sel:WORD_1 src1_sel:DWORD
	v_cmp_le_u16_e64 s[20:21], v8, v7
	s_mov_b64 s[24:25], 0
	s_branch .LBB10_88
.LBB10_83:
	v_cmp_lt_u16_sdwa s[22:23], v8, v7 src0_sel:BYTE_0 src1_sel:BYTE_0
	s_andn2_b64 s[18:19], s[18:19], exec
	s_and_b64 s[22:23], s[22:23], exec
	s_or_b64 s[18:19], s[18:19], s[22:23]
	s_cbranch_execnz .LBB10_79
.LBB10_84:
	v_cmp_ge_u16_sdwa s[20:21], v8, v7 src0_sel:BYTE_0 src1_sel:BYTE_0
	s_andn2_b64 s[18:19], s[18:19], exec
	s_and_b64 s[20:21], s[20:21], exec
	s_or_b64 s[18:19], s[18:19], s[20:21]
	s_cmp_lt_i32 s3, 1
	s_mov_b64 s[22:23], 0
	s_cbranch_scc0 .LBB10_80
.LBB10_85:
                                        ; implicit-def: $sgpr20_sgpr21
	s_mov_b64 s[24:25], 0
	s_cbranch_execnz .LBB10_89
	s_branch .LBB10_90
.LBB10_86:
	s_mov_b64 s[24:25], 0
                                        ; implicit-def: $sgpr20_sgpr21
	s_cbranch_execz .LBB10_88
; %bb.87:
	s_movk_i32 s26, 0xff
	v_and_b32_sdwa v7, v6, s26 dst_sel:DWORD dst_unused:UNUSED_PAD src0_sel:WORD_1 src1_sel:DWORD
	v_and_b32_sdwa v8, v5, s26 dst_sel:DWORD dst_unused:UNUSED_PAD src0_sel:WORD_1 src1_sel:DWORD
	v_cmp_gt_u16_e32 vcc, v8, v7
	s_andn2_b64 s[20:21], s[20:21], exec
	s_and_b64 s[26:27], vcc, exec
	s_or_b64 s[20:21], s[20:21], s[26:27]
.LBB10_88:
	s_branch .LBB10_90
.LBB10_89:
	s_cmp_lg_u32 s3, 0
	s_mov_b64 s[22:23], -1
	s_cselect_b64 s[24:25], -1, 0
.LBB10_90:
	s_andn2_b64 vcc, exec, s[24:25]
	s_cbranch_vccz .LBB10_96
; %bb.91:
	s_andn2_b64 vcc, exec, s[22:23]
	s_cbranch_vccz .LBB10_97
.LBB10_92:
	s_cmp_lt_i32 s3, 1
	s_mov_b64 s[24:25], 0
	s_cbranch_scc1 .LBB10_98
.LBB10_93:
	s_cmp_gt_i32 s3, 1
	s_cbranch_scc0 .LBB10_99
; %bb.94:
	s_cmp_eq_u32 s3, 2
	s_cbranch_scc0 .LBB10_257
; %bb.95:
	v_cmp_le_u32_sdwa s[22:23], v5, v6 src0_sel:BYTE_3 src1_sel:BYTE_3
	s_mov_b64 s[26:27], 0
	s_branch .LBB10_101
.LBB10_96:
	s_movk_i32 s22, 0xff
	v_and_b32_sdwa v7, v6, s22 dst_sel:DWORD dst_unused:UNUSED_PAD src0_sel:WORD_1 src1_sel:DWORD
	v_and_b32_sdwa v8, v5, s22 dst_sel:DWORD dst_unused:UNUSED_PAD src0_sel:WORD_1 src1_sel:DWORD
	v_cmp_lt_u16_e32 vcc, v8, v7
	s_andn2_b64 s[20:21], s[20:21], exec
	s_and_b64 s[24:25], vcc, exec
	s_or_b64 s[20:21], s[20:21], s[24:25]
	s_cbranch_execnz .LBB10_92
.LBB10_97:
	s_movk_i32 s22, 0xff
	v_and_b32_sdwa v7, v6, s22 dst_sel:DWORD dst_unused:UNUSED_PAD src0_sel:WORD_1 src1_sel:DWORD
	v_and_b32_sdwa v8, v5, s22 dst_sel:DWORD dst_unused:UNUSED_PAD src0_sel:WORD_1 src1_sel:DWORD
	v_cmp_ge_u16_e32 vcc, v8, v7
	s_andn2_b64 s[20:21], s[20:21], exec
	s_and_b64 s[22:23], vcc, exec
	s_or_b64 s[20:21], s[20:21], s[22:23]
	s_cmp_lt_i32 s3, 1
	s_mov_b64 s[24:25], 0
	s_cbranch_scc0 .LBB10_93
.LBB10_98:
                                        ; implicit-def: $sgpr22_sgpr23
	s_mov_b64 s[26:27], 0
	s_cbranch_execnz .LBB10_102
	s_branch .LBB10_103
.LBB10_99:
	s_mov_b64 s[26:27], 0
                                        ; implicit-def: $sgpr22_sgpr23
	s_cbranch_execz .LBB10_101
; %bb.100:
	v_cmp_gt_u32_sdwa s[28:29], v5, v6 src0_sel:BYTE_3 src1_sel:BYTE_3
	s_andn2_b64 s[22:23], s[22:23], exec
	s_and_b64 s[28:29], s[28:29], exec
	s_or_b64 s[22:23], s[22:23], s[28:29]
.LBB10_101:
	s_branch .LBB10_103
.LBB10_102:
	s_cmp_lg_u32 s3, 0
	s_mov_b64 s[24:25], -1
	s_cselect_b64 s[26:27], -1, 0
.LBB10_103:
	s_andn2_b64 vcc, exec, s[26:27]
	s_cbranch_vccz .LBB10_109
; %bb.104:
	s_andn2_b64 vcc, exec, s[24:25]
	s_cbranch_vccz .LBB10_110
.LBB10_105:
	s_cmp_lt_i32 s3, 1
	s_mov_b64 s[26:27], 0
	s_cbranch_scc1 .LBB10_111
.LBB10_106:
	s_cmp_gt_i32 s3, 1
	s_cbranch_scc0 .LBB10_112
; %bb.107:
	s_cmp_eq_u32 s3, 2
	s_cbranch_scc0 .LBB10_258
; %bb.108:
	s_waitcnt vmcnt(1)
	v_cmp_le_u16_sdwa s[24:25], v3, v4 src0_sel:BYTE_0 src1_sel:BYTE_0
	s_mov_b64 s[28:29], 0
	s_branch .LBB10_114
.LBB10_109:
	v_cmp_lt_u32_sdwa s[26:27], v5, v6 src0_sel:BYTE_3 src1_sel:BYTE_3
	s_andn2_b64 s[22:23], s[22:23], exec
	s_and_b64 s[26:27], s[26:27], exec
	s_or_b64 s[22:23], s[22:23], s[26:27]
	s_cbranch_execnz .LBB10_105
.LBB10_110:
	v_cmp_ge_u32_sdwa s[24:25], v5, v6 src0_sel:BYTE_3 src1_sel:BYTE_3
	s_andn2_b64 s[22:23], s[22:23], exec
	s_and_b64 s[24:25], s[24:25], exec
	s_or_b64 s[22:23], s[22:23], s[24:25]
	s_cmp_lt_i32 s3, 1
	s_mov_b64 s[26:27], 0
	s_cbranch_scc0 .LBB10_106
.LBB10_111:
                                        ; implicit-def: $sgpr24_sgpr25
	s_mov_b64 s[28:29], 0
	s_cbranch_execnz .LBB10_115
	s_branch .LBB10_116
.LBB10_112:
	s_mov_b64 s[28:29], 0
                                        ; implicit-def: $sgpr24_sgpr25
	s_cbranch_execz .LBB10_114
; %bb.113:
	s_waitcnt vmcnt(1)
	v_cmp_gt_u16_sdwa s[30:31], v3, v4 src0_sel:BYTE_0 src1_sel:BYTE_0
	s_andn2_b64 s[24:25], s[24:25], exec
	s_and_b64 s[30:31], s[30:31], exec
	s_or_b64 s[24:25], s[24:25], s[30:31]
.LBB10_114:
	s_branch .LBB10_116
.LBB10_115:
	s_cmp_lg_u32 s3, 0
	s_mov_b64 s[26:27], -1
	s_cselect_b64 s[28:29], -1, 0
.LBB10_116:
	s_andn2_b64 vcc, exec, s[28:29]
	s_cbranch_vccz .LBB10_122
; %bb.117:
	s_andn2_b64 vcc, exec, s[26:27]
	s_cbranch_vccz .LBB10_123
.LBB10_118:
	s_cmp_lt_i32 s3, 1
	s_mov_b64 s[28:29], 0
	s_cbranch_scc1 .LBB10_124
.LBB10_119:
	s_cmp_gt_i32 s3, 1
	s_cbranch_scc0 .LBB10_125
; %bb.120:
	s_cmp_eq_u32 s3, 2
	s_cbranch_scc0 .LBB10_259
; %bb.121:
	s_waitcnt vmcnt(1)
	v_lshrrev_b32_e32 v5, 8, v4
	v_lshrrev_b32_e32 v6, 8, v3
	v_cmp_le_u16_sdwa s[26:27], v6, v5 src0_sel:BYTE_0 src1_sel:BYTE_0
	s_mov_b64 s[30:31], 0
	s_branch .LBB10_127
.LBB10_122:
	s_waitcnt vmcnt(1)
	v_cmp_lt_u16_sdwa s[28:29], v3, v4 src0_sel:BYTE_0 src1_sel:BYTE_0
	s_andn2_b64 s[24:25], s[24:25], exec
	s_and_b64 s[28:29], s[28:29], exec
	s_or_b64 s[24:25], s[24:25], s[28:29]
	s_cbranch_execnz .LBB10_118
.LBB10_123:
	s_waitcnt vmcnt(1)
	v_cmp_ge_u16_sdwa s[26:27], v3, v4 src0_sel:BYTE_0 src1_sel:BYTE_0
	s_andn2_b64 s[24:25], s[24:25], exec
	s_and_b64 s[26:27], s[26:27], exec
	s_or_b64 s[24:25], s[24:25], s[26:27]
	s_cmp_lt_i32 s3, 1
	s_mov_b64 s[28:29], 0
	s_cbranch_scc0 .LBB10_119
.LBB10_124:
                                        ; implicit-def: $sgpr26_sgpr27
	s_mov_b64 s[30:31], 0
	s_cbranch_execnz .LBB10_128
	s_branch .LBB10_129
.LBB10_125:
	s_mov_b64 s[30:31], 0
                                        ; implicit-def: $sgpr26_sgpr27
	s_cbranch_execz .LBB10_127
; %bb.126:
	s_waitcnt vmcnt(1)
	v_lshrrev_b32_e32 v5, 8, v4
	v_lshrrev_b32_e32 v6, 8, v3
	v_cmp_gt_u16_sdwa s[34:35], v6, v5 src0_sel:BYTE_0 src1_sel:BYTE_0
	s_andn2_b64 s[26:27], s[26:27], exec
	s_and_b64 s[34:35], s[34:35], exec
	s_or_b64 s[26:27], s[26:27], s[34:35]
.LBB10_127:
	s_branch .LBB10_129
.LBB10_128:
	s_cmp_lg_u32 s3, 0
	s_mov_b64 s[28:29], -1
	s_cselect_b64 s[30:31], -1, 0
.LBB10_129:
	s_andn2_b64 vcc, exec, s[30:31]
	s_waitcnt vmcnt(1)
	v_lshrrev_b32_e32 v5, 8, v4
	v_lshrrev_b32_e32 v6, 8, v3
	s_cbranch_vccz .LBB10_135
; %bb.130:
	s_andn2_b64 vcc, exec, s[28:29]
	s_cbranch_vccz .LBB10_136
.LBB10_131:
	s_cmp_lt_i32 s3, 1
	s_mov_b64 s[30:31], 0
	s_cbranch_scc1 .LBB10_137
.LBB10_132:
	s_cmp_gt_i32 s3, 1
	s_cbranch_scc0 .LBB10_138
; %bb.133:
	s_cmp_eq_u32 s3, 2
	s_cbranch_scc0 .LBB10_260
; %bb.134:
	s_movk_i32 s28, 0xff
	v_and_b32_sdwa v5, v4, s28 dst_sel:DWORD dst_unused:UNUSED_PAD src0_sel:WORD_1 src1_sel:DWORD
	v_and_b32_sdwa v6, v3, s28 dst_sel:DWORD dst_unused:UNUSED_PAD src0_sel:WORD_1 src1_sel:DWORD
	v_cmp_le_u16_e64 s[28:29], v6, v5
	s_mov_b64 s[34:35], 0
	s_branch .LBB10_140
.LBB10_135:
	v_cmp_lt_u16_sdwa s[30:31], v6, v5 src0_sel:BYTE_0 src1_sel:BYTE_0
	s_andn2_b64 s[26:27], s[26:27], exec
	s_and_b64 s[30:31], s[30:31], exec
	s_or_b64 s[26:27], s[26:27], s[30:31]
	s_cbranch_execnz .LBB10_131
.LBB10_136:
	v_cmp_ge_u16_sdwa s[28:29], v6, v5 src0_sel:BYTE_0 src1_sel:BYTE_0
	s_andn2_b64 s[26:27], s[26:27], exec
	s_and_b64 s[28:29], s[28:29], exec
	s_or_b64 s[26:27], s[26:27], s[28:29]
	s_cmp_lt_i32 s3, 1
	s_mov_b64 s[30:31], 0
	s_cbranch_scc0 .LBB10_132
.LBB10_137:
                                        ; implicit-def: $sgpr28_sgpr29
	s_mov_b64 s[34:35], 0
	s_cbranch_execnz .LBB10_141
	s_branch .LBB10_142
.LBB10_138:
	s_mov_b64 s[34:35], 0
                                        ; implicit-def: $sgpr28_sgpr29
	s_cbranch_execz .LBB10_140
; %bb.139:
	s_movk_i32 s36, 0xff
	v_and_b32_sdwa v5, v4, s36 dst_sel:DWORD dst_unused:UNUSED_PAD src0_sel:WORD_1 src1_sel:DWORD
	v_and_b32_sdwa v6, v3, s36 dst_sel:DWORD dst_unused:UNUSED_PAD src0_sel:WORD_1 src1_sel:DWORD
	v_cmp_gt_u16_e32 vcc, v6, v5
	s_andn2_b64 s[28:29], s[28:29], exec
	s_and_b64 s[36:37], vcc, exec
	s_or_b64 s[28:29], s[28:29], s[36:37]
.LBB10_140:
	s_branch .LBB10_142
.LBB10_141:
	s_cmp_lg_u32 s3, 0
	s_mov_b64 s[30:31], -1
	s_cselect_b64 s[34:35], -1, 0
.LBB10_142:
	s_andn2_b64 vcc, exec, s[34:35]
	s_cbranch_vccz .LBB10_148
; %bb.143:
	s_andn2_b64 vcc, exec, s[30:31]
	s_cbranch_vccz .LBB10_149
.LBB10_144:
	s_cmp_lt_i32 s3, 1
	s_mov_b64 s[34:35], 0
	s_cbranch_scc1 .LBB10_150
.LBB10_145:
	s_cmp_gt_i32 s3, 1
	s_cbranch_scc0 .LBB10_151
; %bb.146:
	s_cmp_eq_u32 s3, 2
	s_cbranch_scc0 .LBB10_261
; %bb.147:
	v_cmp_le_u32_sdwa s[30:31], v3, v4 src0_sel:BYTE_3 src1_sel:BYTE_3
	s_mov_b64 s[36:37], 0
	s_branch .LBB10_153
.LBB10_148:
	s_movk_i32 s30, 0xff
	v_and_b32_sdwa v5, v4, s30 dst_sel:DWORD dst_unused:UNUSED_PAD src0_sel:WORD_1 src1_sel:DWORD
	v_and_b32_sdwa v6, v3, s30 dst_sel:DWORD dst_unused:UNUSED_PAD src0_sel:WORD_1 src1_sel:DWORD
	v_cmp_lt_u16_e32 vcc, v6, v5
	s_andn2_b64 s[28:29], s[28:29], exec
	s_and_b64 s[34:35], vcc, exec
	s_or_b64 s[28:29], s[28:29], s[34:35]
	s_cbranch_execnz .LBB10_144
.LBB10_149:
	s_movk_i32 s30, 0xff
	v_and_b32_sdwa v5, v4, s30 dst_sel:DWORD dst_unused:UNUSED_PAD src0_sel:WORD_1 src1_sel:DWORD
	v_and_b32_sdwa v6, v3, s30 dst_sel:DWORD dst_unused:UNUSED_PAD src0_sel:WORD_1 src1_sel:DWORD
	v_cmp_ge_u16_e32 vcc, v6, v5
	s_andn2_b64 s[28:29], s[28:29], exec
	s_and_b64 s[30:31], vcc, exec
	s_or_b64 s[28:29], s[28:29], s[30:31]
	s_cmp_lt_i32 s3, 1
	s_mov_b64 s[34:35], 0
	s_cbranch_scc0 .LBB10_145
.LBB10_150:
                                        ; implicit-def: $sgpr30_sgpr31
	s_mov_b64 s[36:37], 0
	s_cbranch_execnz .LBB10_154
	s_branch .LBB10_155
.LBB10_151:
	s_mov_b64 s[36:37], 0
                                        ; implicit-def: $sgpr30_sgpr31
	s_cbranch_execz .LBB10_153
; %bb.152:
	v_cmp_gt_u32_sdwa s[38:39], v3, v4 src0_sel:BYTE_3 src1_sel:BYTE_3
	s_andn2_b64 s[30:31], s[30:31], exec
	s_and_b64 s[38:39], s[38:39], exec
	s_or_b64 s[30:31], s[30:31], s[38:39]
.LBB10_153:
	s_branch .LBB10_155
.LBB10_154:
	s_cmp_lg_u32 s3, 0
	s_mov_b64 s[34:35], -1
	s_cselect_b64 s[36:37], -1, 0
.LBB10_155:
	s_andn2_b64 vcc, exec, s[36:37]
	s_cbranch_vccz .LBB10_161
; %bb.156:
	s_andn2_b64 vcc, exec, s[34:35]
	s_cbranch_vccz .LBB10_162
.LBB10_157:
	s_cmp_lt_i32 s3, 1
	s_mov_b64 s[36:37], 0
	s_cbranch_scc1 .LBB10_163
.LBB10_158:
	s_cmp_gt_i32 s3, 1
	s_cbranch_scc0 .LBB10_164
; %bb.159:
	s_cmp_eq_u32 s3, 2
	s_cbranch_scc0 .LBB10_262
; %bb.160:
	s_waitcnt vmcnt(0)
	v_cmp_le_u16_sdwa s[34:35], v1, v2 src0_sel:BYTE_0 src1_sel:BYTE_0
	s_mov_b64 s[38:39], 0
	s_branch .LBB10_166
.LBB10_161:
	v_cmp_lt_u32_sdwa s[36:37], v3, v4 src0_sel:BYTE_3 src1_sel:BYTE_3
	s_andn2_b64 s[30:31], s[30:31], exec
	s_and_b64 s[36:37], s[36:37], exec
	s_or_b64 s[30:31], s[30:31], s[36:37]
	s_cbranch_execnz .LBB10_157
.LBB10_162:
	v_cmp_ge_u32_sdwa s[34:35], v3, v4 src0_sel:BYTE_3 src1_sel:BYTE_3
	s_andn2_b64 s[30:31], s[30:31], exec
	s_and_b64 s[34:35], s[34:35], exec
	s_or_b64 s[30:31], s[30:31], s[34:35]
	s_cmp_lt_i32 s3, 1
	s_mov_b64 s[36:37], 0
	s_cbranch_scc0 .LBB10_158
.LBB10_163:
                                        ; implicit-def: $sgpr34_sgpr35
	s_mov_b64 s[38:39], 0
	s_cbranch_execnz .LBB10_167
	s_branch .LBB10_168
.LBB10_164:
	s_mov_b64 s[38:39], 0
                                        ; implicit-def: $sgpr34_sgpr35
	s_cbranch_execz .LBB10_166
; %bb.165:
	s_waitcnt vmcnt(0)
	v_cmp_gt_u16_sdwa s[40:41], v1, v2 src0_sel:BYTE_0 src1_sel:BYTE_0
	s_andn2_b64 s[34:35], s[34:35], exec
	s_and_b64 s[40:41], s[40:41], exec
	s_or_b64 s[34:35], s[34:35], s[40:41]
.LBB10_166:
	s_branch .LBB10_168
.LBB10_167:
	s_cmp_lg_u32 s3, 0
	s_mov_b64 s[36:37], -1
	s_cselect_b64 s[38:39], -1, 0
.LBB10_168:
	s_andn2_b64 vcc, exec, s[38:39]
	s_cbranch_vccz .LBB10_174
; %bb.169:
	s_andn2_b64 vcc, exec, s[36:37]
	s_cbranch_vccz .LBB10_175
.LBB10_170:
	s_cmp_lt_i32 s3, 1
	s_mov_b64 s[38:39], 0
	s_cbranch_scc1 .LBB10_176
.LBB10_171:
	s_cmp_gt_i32 s3, 1
	s_cbranch_scc0 .LBB10_177
; %bb.172:
	s_cmp_eq_u32 s3, 2
	s_cbranch_scc0 .LBB10_263
; %bb.173:
	s_waitcnt vmcnt(0)
	v_lshrrev_b32_e32 v3, 8, v2
	v_lshrrev_b32_e32 v4, 8, v1
	v_cmp_le_u16_sdwa s[36:37], v4, v3 src0_sel:BYTE_0 src1_sel:BYTE_0
	s_mov_b64 s[40:41], 0
	s_branch .LBB10_179
.LBB10_174:
	s_waitcnt vmcnt(0)
	v_cmp_lt_u16_sdwa s[38:39], v1, v2 src0_sel:BYTE_0 src1_sel:BYTE_0
	s_andn2_b64 s[34:35], s[34:35], exec
	s_and_b64 s[38:39], s[38:39], exec
	s_or_b64 s[34:35], s[34:35], s[38:39]
	s_cbranch_execnz .LBB10_170
.LBB10_175:
	s_waitcnt vmcnt(0)
	v_cmp_ge_u16_sdwa s[36:37], v1, v2 src0_sel:BYTE_0 src1_sel:BYTE_0
	s_andn2_b64 s[34:35], s[34:35], exec
	s_and_b64 s[36:37], s[36:37], exec
	s_or_b64 s[34:35], s[34:35], s[36:37]
	s_cmp_lt_i32 s3, 1
	s_mov_b64 s[38:39], 0
	s_cbranch_scc0 .LBB10_171
.LBB10_176:
                                        ; implicit-def: $sgpr36_sgpr37
	s_mov_b64 s[40:41], 0
	s_cbranch_execnz .LBB10_180
	s_branch .LBB10_181
.LBB10_177:
	s_mov_b64 s[40:41], 0
                                        ; implicit-def: $sgpr36_sgpr37
	s_cbranch_execz .LBB10_179
; %bb.178:
	s_waitcnt vmcnt(0)
	v_lshrrev_b32_e32 v3, 8, v2
	v_lshrrev_b32_e32 v4, 8, v1
	v_cmp_gt_u16_sdwa s[42:43], v4, v3 src0_sel:BYTE_0 src1_sel:BYTE_0
	s_andn2_b64 s[36:37], s[36:37], exec
	s_and_b64 s[42:43], s[42:43], exec
	s_or_b64 s[36:37], s[36:37], s[42:43]
.LBB10_179:
	s_branch .LBB10_181
.LBB10_180:
	s_cmp_lg_u32 s3, 0
	s_mov_b64 s[38:39], -1
	s_cselect_b64 s[40:41], -1, 0
.LBB10_181:
	s_andn2_b64 vcc, exec, s[40:41]
	s_waitcnt vmcnt(0)
	v_lshrrev_b32_e32 v3, 8, v2
	v_lshrrev_b32_e32 v4, 8, v1
	s_cbranch_vccz .LBB10_187
; %bb.182:
	s_andn2_b64 vcc, exec, s[38:39]
	s_cbranch_vccz .LBB10_188
.LBB10_183:
	s_cmp_lt_i32 s3, 1
	s_mov_b64 s[40:41], 0
	s_cbranch_scc1 .LBB10_189
.LBB10_184:
	s_cmp_gt_i32 s3, 1
	s_cbranch_scc0 .LBB10_190
; %bb.185:
	s_cmp_eq_u32 s3, 2
	s_cbranch_scc0 .LBB10_264
; %bb.186:
	s_movk_i32 s38, 0xff
	v_and_b32_sdwa v3, v2, s38 dst_sel:DWORD dst_unused:UNUSED_PAD src0_sel:WORD_1 src1_sel:DWORD
	v_and_b32_sdwa v4, v1, s38 dst_sel:DWORD dst_unused:UNUSED_PAD src0_sel:WORD_1 src1_sel:DWORD
	v_cmp_le_u16_e64 s[38:39], v4, v3
	s_mov_b64 s[42:43], 0
	s_branch .LBB10_192
.LBB10_187:
	v_cmp_lt_u16_sdwa s[40:41], v4, v3 src0_sel:BYTE_0 src1_sel:BYTE_0
	s_andn2_b64 s[36:37], s[36:37], exec
	s_and_b64 s[40:41], s[40:41], exec
	s_or_b64 s[36:37], s[36:37], s[40:41]
	s_cbranch_execnz .LBB10_183
.LBB10_188:
	v_cmp_ge_u16_sdwa s[38:39], v4, v3 src0_sel:BYTE_0 src1_sel:BYTE_0
	s_andn2_b64 s[36:37], s[36:37], exec
	s_and_b64 s[38:39], s[38:39], exec
	s_or_b64 s[36:37], s[36:37], s[38:39]
	s_cmp_lt_i32 s3, 1
	s_mov_b64 s[40:41], 0
	s_cbranch_scc0 .LBB10_184
.LBB10_189:
                                        ; implicit-def: $sgpr38_sgpr39
	s_mov_b64 s[42:43], 0
	s_cbranch_execnz .LBB10_193
	s_branch .LBB10_194
.LBB10_190:
	s_mov_b64 s[42:43], 0
                                        ; implicit-def: $sgpr38_sgpr39
	s_cbranch_execz .LBB10_192
; %bb.191:
	s_movk_i32 s44, 0xff
	v_and_b32_sdwa v3, v2, s44 dst_sel:DWORD dst_unused:UNUSED_PAD src0_sel:WORD_1 src1_sel:DWORD
	v_and_b32_sdwa v4, v1, s44 dst_sel:DWORD dst_unused:UNUSED_PAD src0_sel:WORD_1 src1_sel:DWORD
	v_cmp_gt_u16_e32 vcc, v4, v3
	s_andn2_b64 s[38:39], s[38:39], exec
	s_and_b64 s[44:45], vcc, exec
	s_or_b64 s[38:39], s[38:39], s[44:45]
.LBB10_192:
	s_branch .LBB10_194
.LBB10_193:
	s_cmp_lg_u32 s3, 0
	s_mov_b64 s[40:41], -1
	s_cselect_b64 s[42:43], -1, 0
.LBB10_194:
	s_andn2_b64 vcc, exec, s[42:43]
	s_cbranch_vccz .LBB10_200
; %bb.195:
	s_andn2_b64 vcc, exec, s[40:41]
	s_cbranch_vccz .LBB10_201
.LBB10_196:
	s_cmp_lt_i32 s3, 1
	s_mov_b64 s[42:43], 0
	s_cbranch_scc1 .LBB10_202
.LBB10_197:
	s_cmp_gt_i32 s3, 1
	s_cbranch_scc0 .LBB10_203
; %bb.198:
	s_cmp_eq_u32 s3, 2
	s_cbranch_scc0 .LBB10_265
; %bb.199:
	v_cmp_le_u32_sdwa s[40:41], v1, v2 src0_sel:BYTE_3 src1_sel:BYTE_3
	s_mov_b64 s[44:45], 0
	s_branch .LBB10_205
.LBB10_200:
	s_movk_i32 s40, 0xff
	v_and_b32_sdwa v3, v2, s40 dst_sel:DWORD dst_unused:UNUSED_PAD src0_sel:WORD_1 src1_sel:DWORD
	v_and_b32_sdwa v4, v1, s40 dst_sel:DWORD dst_unused:UNUSED_PAD src0_sel:WORD_1 src1_sel:DWORD
	v_cmp_lt_u16_e32 vcc, v4, v3
	s_andn2_b64 s[38:39], s[38:39], exec
	s_and_b64 s[42:43], vcc, exec
	s_or_b64 s[38:39], s[38:39], s[42:43]
	s_cbranch_execnz .LBB10_196
.LBB10_201:
	s_movk_i32 s40, 0xff
	v_and_b32_sdwa v3, v2, s40 dst_sel:DWORD dst_unused:UNUSED_PAD src0_sel:WORD_1 src1_sel:DWORD
	v_and_b32_sdwa v4, v1, s40 dst_sel:DWORD dst_unused:UNUSED_PAD src0_sel:WORD_1 src1_sel:DWORD
	v_cmp_ge_u16_e32 vcc, v4, v3
	s_andn2_b64 s[38:39], s[38:39], exec
	s_and_b64 s[40:41], vcc, exec
	s_or_b64 s[38:39], s[38:39], s[40:41]
	s_cmp_lt_i32 s3, 1
	s_mov_b64 s[42:43], 0
	s_cbranch_scc0 .LBB10_197
.LBB10_202:
                                        ; implicit-def: $sgpr40_sgpr41
	s_mov_b64 s[44:45], 0
	s_cbranch_execnz .LBB10_206
	s_branch .LBB10_207
.LBB10_203:
	s_mov_b64 s[44:45], 0
                                        ; implicit-def: $sgpr40_sgpr41
	s_cbranch_execz .LBB10_205
; %bb.204:
	v_cmp_gt_u32_sdwa s[46:47], v1, v2 src0_sel:BYTE_3 src1_sel:BYTE_3
	s_andn2_b64 s[40:41], s[40:41], exec
	s_and_b64 s[46:47], s[46:47], exec
	s_or_b64 s[40:41], s[40:41], s[46:47]
.LBB10_205:
	s_branch .LBB10_207
.LBB10_206:
	s_cmp_lg_u32 s3, 0
	s_mov_b64 s[42:43], -1
	s_cselect_b64 s[44:45], -1, 0
.LBB10_207:
	s_andn2_b64 vcc, exec, s[44:45]
	s_cbranch_vccz .LBB10_249
; %bb.208:
	s_andn2_b64 vcc, exec, s[42:43]
	s_cbranch_vccnz .LBB10_210
.LBB10_209:
	v_cmp_ge_u32_sdwa s[42:43], v1, v2 src0_sel:BYTE_3 src1_sel:BYTE_3
	s_andn2_b64 s[40:41], s[40:41], exec
	s_and_b64 s[42:43], s[42:43], exec
	s_or_b64 s[40:41], s[40:41], s[42:43]
.LBB10_210:
	v_cndmask_b32_e64 v1, 0, 1, s[4:5]
	v_lshlrev_b16_e32 v1, 8, v1
	v_cndmask_b32_e64 v2, 0, 1, s[0:1]
	v_or_b32_e32 v1, v2, v1
	v_cndmask_b32_e64 v2, 0, 1, s[14:15]
	v_lshlrev_b16_e32 v2, 8, v2
	v_cndmask_b32_e64 v3, 0, 1, s[6:7]
	v_or_b32_sdwa v2, v3, v2 dst_sel:WORD_1 dst_unused:UNUSED_PAD src0_sel:DWORD src1_sel:DWORD
	v_or_b32_sdwa v1, v1, v2 dst_sel:DWORD dst_unused:UNUSED_PAD src0_sel:WORD_0 src1_sel:DWORD
	v_cndmask_b32_e64 v2, 0, 1, s[18:19]
	v_lshlrev_b16_e32 v2, 8, v2
	v_cndmask_b32_e64 v3, 0, 1, s[16:17]
	v_or_b32_e32 v2, v3, v2
	v_cndmask_b32_e64 v3, 0, 1, s[22:23]
	v_lshlrev_b16_e32 v3, 8, v3
	v_cndmask_b32_e64 v4, 0, 1, s[20:21]
	v_or_b32_sdwa v3, v4, v3 dst_sel:WORD_1 dst_unused:UNUSED_PAD src0_sel:DWORD src1_sel:DWORD
	v_or_b32_sdwa v2, v2, v3 dst_sel:DWORD dst_unused:UNUSED_PAD src0_sel:WORD_0 src1_sel:DWORD
	;; [unrolled: 9-line block ×3, first 2 shown]
	v_cndmask_b32_e64 v4, 0, 1, s[36:37]
	v_lshlrev_b16_e32 v4, 8, v4
	v_cndmask_b32_e64 v5, 0, 1, s[34:35]
	v_or_b32_e32 v4, v5, v4
	v_cndmask_b32_e64 v5, 0, 1, s[40:41]
	v_lshlrev_b16_e32 v5, 8, v5
	v_cndmask_b32_e64 v6, 0, 1, s[38:39]
	v_or_b32_sdwa v5, v6, v5 dst_sel:WORD_1 dst_unused:UNUSED_PAD src0_sel:DWORD src1_sel:DWORD
	s_add_u32 s0, s8, s33
	v_or_b32_sdwa v4, v4, v5 dst_sel:DWORD dst_unused:UNUSED_PAD src0_sel:WORD_0 src1_sel:DWORD
	s_addc_u32 s1, s9, s48
	v_lshlrev_b32_e32 v5, 2, v0
	global_store_dword v5, v1, s[0:1]
	global_store_dword v5, v2, s[0:1] offset:1024
	global_store_dword v5, v3, s[0:1] offset:2048
	;; [unrolled: 1-line block ×3, first 2 shown]
	s_mov_b64 s[0:1], 0
.LBB10_211:
	s_and_b64 vcc, exec, s[0:1]
	s_cbranch_vccz .LBB10_533
; %bb.212:
	v_cmp_gt_i32_e64 s[0:1], s2, v0
	v_mov_b32_e32 v6, 0
	v_or_b32_e32 v5, s33, v0
	v_mov_b32_e32 v8, 0
	v_mov_b32_e32 v7, 0
	;; [unrolled: 1-line block ×32, first 2 shown]
	s_and_saveexec_b64 s[4:5], s[0:1]
	s_cbranch_execz .LBB10_244
; %bb.213:
	global_load_ubyte v37, v5, s[10:11]
	global_load_ubyte v38, v5, s[12:13]
	v_or_b32_e32 v1, 0x100, v0
	v_cmp_gt_u32_e32 vcc, s2, v1
	v_mov_b32_e32 v36, 0
	v_mov_b32_e32 v35, 0
	;; [unrolled: 1-line block ×30, first 2 shown]
	s_and_saveexec_b64 s[6:7], vcc
	s_cbranch_execz .LBB10_243
; %bb.214:
	v_add_u32_e32 v3, s33, v0
	global_load_ubyte v35, v3, s[10:11] offset:256
	global_load_ubyte v36, v3, s[12:13] offset:256
	v_or_b32_e32 v1, 0x200, v0
	v_mov_b32_e32 v33, 0
	v_cmp_gt_u32_e32 vcc, s2, v1
	v_mov_b32_e32 v34, 0
	v_mov_b32_e32 v31, 0
	;; [unrolled: 1-line block ×27, first 2 shown]
	s_and_saveexec_b64 s[14:15], vcc
	s_cbranch_execz .LBB10_242
; %bb.215:
	v_mov_b32_e32 v2, s11
	v_add_co_u32_e32 v1, vcc, s10, v3
	v_addc_co_u32_e32 v2, vcc, 0, v2, vcc
	v_mov_b32_e32 v4, s13
	v_add_co_u32_e32 v3, vcc, s12, v3
	v_addc_co_u32_e32 v4, vcc, 0, v4, vcc
	global_load_ubyte v34, v[1:2], off offset:512
	global_load_ubyte v33, v[3:4], off offset:512
	v_or_b32_e32 v7, 0x300, v0
	v_cmp_gt_u32_e32 vcc, s2, v7
	v_mov_b32_e32 v31, 0
	v_mov_b32_e32 v32, 0
	;; [unrolled: 1-line block ×26, first 2 shown]
	s_and_saveexec_b64 s[10:11], vcc
	s_cbranch_execz .LBB10_241
; %bb.216:
	global_load_ubyte v32, v[1:2], off offset:768
	global_load_ubyte v31, v[3:4], off offset:768
	v_or_b32_e32 v7, 0x400, v0
	v_cmp_gt_u32_e32 vcc, s2, v7
	v_mov_b32_e32 v29, 0
	v_mov_b32_e32 v30, 0
	;; [unrolled: 1-line block ×24, first 2 shown]
	s_and_saveexec_b64 s[12:13], vcc
	s_cbranch_execz .LBB10_240
; %bb.217:
	global_load_ubyte v30, v[1:2], off offset:1024
	global_load_ubyte v29, v[3:4], off offset:1024
	v_or_b32_e32 v7, 0x500, v0
	v_cmp_gt_u32_e32 vcc, s2, v7
	v_mov_b32_e32 v27, 0
	v_mov_b32_e32 v28, 0
	;; [unrolled: 1-line block ×22, first 2 shown]
	s_and_saveexec_b64 s[16:17], vcc
	s_cbranch_execz .LBB10_239
; %bb.218:
	global_load_ubyte v28, v[1:2], off offset:1280
	global_load_ubyte v27, v[3:4], off offset:1280
	v_or_b32_e32 v7, 0x600, v0
	v_cmp_gt_u32_e32 vcc, s2, v7
	v_mov_b32_e32 v25, 0
	v_mov_b32_e32 v26, 0
	;; [unrolled: 1-line block ×20, first 2 shown]
	s_and_saveexec_b64 s[18:19], vcc
	s_cbranch_execz .LBB10_238
; %bb.219:
	global_load_ubyte v26, v[1:2], off offset:1536
	global_load_ubyte v25, v[3:4], off offset:1536
	v_or_b32_e32 v7, 0x700, v0
	v_cmp_gt_u32_e32 vcc, s2, v7
	v_mov_b32_e32 v23, 0
	v_mov_b32_e32 v24, 0
	;; [unrolled: 1-line block ×18, first 2 shown]
	s_and_saveexec_b64 s[20:21], vcc
	s_cbranch_execz .LBB10_237
; %bb.220:
	global_load_ubyte v24, v[1:2], off offset:1792
	global_load_ubyte v23, v[3:4], off offset:1792
	v_or_b32_e32 v7, 0x800, v0
	v_cmp_gt_u32_e32 vcc, s2, v7
	v_mov_b32_e32 v21, 0
	v_mov_b32_e32 v22, 0
	;; [unrolled: 1-line block ×16, first 2 shown]
	s_and_saveexec_b64 s[22:23], vcc
	s_cbranch_execz .LBB10_236
; %bb.221:
	global_load_ubyte v22, v[1:2], off offset:2048
	global_load_ubyte v21, v[3:4], off offset:2048
	v_or_b32_e32 v7, 0x900, v0
	v_cmp_gt_u32_e32 vcc, s2, v7
	v_mov_b32_e32 v19, 0
	v_mov_b32_e32 v20, 0
	;; [unrolled: 1-line block ×14, first 2 shown]
	s_and_saveexec_b64 s[24:25], vcc
	s_cbranch_execz .LBB10_235
; %bb.222:
	global_load_ubyte v20, v[1:2], off offset:2304
	global_load_ubyte v19, v[3:4], off offset:2304
	v_or_b32_e32 v7, 0xa00, v0
	v_cmp_gt_u32_e32 vcc, s2, v7
	v_mov_b32_e32 v17, 0
	v_mov_b32_e32 v18, 0
	;; [unrolled: 1-line block ×12, first 2 shown]
	s_and_saveexec_b64 s[26:27], vcc
	s_cbranch_execz .LBB10_234
; %bb.223:
	global_load_ubyte v18, v[1:2], off offset:2560
	global_load_ubyte v17, v[3:4], off offset:2560
	v_or_b32_e32 v7, 0xb00, v0
	v_cmp_gt_u32_e32 vcc, s2, v7
	v_mov_b32_e32 v15, 0
	v_mov_b32_e32 v16, 0
	;; [unrolled: 1-line block ×10, first 2 shown]
	s_and_saveexec_b64 s[28:29], vcc
	s_cbranch_execz .LBB10_233
; %bb.224:
	global_load_ubyte v16, v[1:2], off offset:2816
	global_load_ubyte v15, v[3:4], off offset:2816
	v_or_b32_e32 v7, 0xc00, v0
	v_cmp_gt_u32_e32 vcc, s2, v7
	v_mov_b32_e32 v13, 0
	v_mov_b32_e32 v14, 0
	;; [unrolled: 1-line block ×8, first 2 shown]
	s_and_saveexec_b64 s[30:31], vcc
	s_cbranch_execz .LBB10_232
; %bb.225:
	global_load_ubyte v14, v[1:2], off offset:3072
	global_load_ubyte v13, v[3:4], off offset:3072
	v_or_b32_e32 v7, 0xd00, v0
	v_cmp_gt_u32_e32 vcc, s2, v7
	v_mov_b32_e32 v11, 0
	v_mov_b32_e32 v12, 0
	;; [unrolled: 1-line block ×6, first 2 shown]
	s_and_saveexec_b64 s[34:35], vcc
	s_cbranch_execz .LBB10_231
; %bb.226:
	global_load_ubyte v12, v[1:2], off offset:3328
	global_load_ubyte v11, v[3:4], off offset:3328
	v_or_b32_e32 v7, 0xe00, v0
	v_cmp_gt_u32_e32 vcc, s2, v7
	v_mov_b32_e32 v9, 0
	v_mov_b32_e32 v10, 0
	;; [unrolled: 1-line block ×4, first 2 shown]
	s_and_saveexec_b64 s[36:37], vcc
	s_cbranch_execz .LBB10_230
; %bb.227:
	global_load_ubyte v10, v[1:2], off offset:3584
	global_load_ubyte v9, v[3:4], off offset:3584
	v_or_b32_e32 v7, 0xf00, v0
	v_cmp_gt_u32_e32 vcc, s2, v7
	v_mov_b32_e32 v7, 0
	v_mov_b32_e32 v8, 0
	s_and_saveexec_b64 s[38:39], vcc
	s_cbranch_execz .LBB10_229
; %bb.228:
	global_load_ubyte v8, v[1:2], off offset:3840
	global_load_ubyte v7, v[3:4], off offset:3840
.LBB10_229:
	s_or_b64 exec, exec, s[38:39]
.LBB10_230:
	s_or_b64 exec, exec, s[36:37]
.LBB10_231:
	s_or_b64 exec, exec, s[34:35]
.LBB10_232:
	s_or_b64 exec, exec, s[30:31]
.LBB10_233:
	s_or_b64 exec, exec, s[28:29]
.LBB10_234:
	s_or_b64 exec, exec, s[26:27]
.LBB10_235:
	s_or_b64 exec, exec, s[24:25]
.LBB10_236:
	s_or_b64 exec, exec, s[22:23]
.LBB10_237:
	s_or_b64 exec, exec, s[20:21]
.LBB10_238:
	s_or_b64 exec, exec, s[18:19]
.LBB10_239:
	s_or_b64 exec, exec, s[16:17]
.LBB10_240:
	s_or_b64 exec, exec, s[12:13]
.LBB10_241:
	s_or_b64 exec, exec, s[10:11]
.LBB10_242:
	s_or_b64 exec, exec, s[14:15]
.LBB10_243:
	s_or_b64 exec, exec, s[6:7]
.LBB10_244:
	s_or_b64 exec, exec, s[4:5]
	v_mov_b32_e32 v3, v6
	v_mov_b32_e32 v2, v6
	v_mov_b32_e32 v1, v6
	s_and_saveexec_b64 s[4:5], s[0:1]
	s_cbranch_execz .LBB10_276
; %bb.245:
	s_cmp_lt_i32 s3, 1
	s_mov_b64 s[6:7], 0
	s_cbranch_scc1 .LBB10_250
; %bb.246:
	s_cmp_gt_i32 s3, 1
	s_cbranch_scc0 .LBB10_266
; %bb.247:
	s_cmp_eq_u32 s3, 2
	s_cbranch_scc0 .LBB10_267
; %bb.248:
	s_waitcnt vmcnt(0)
	v_cmp_le_u16_sdwa s[10:11], v37, v38 src0_sel:BYTE_0 src1_sel:BYTE_0
	s_mov_b64 s[12:13], 0
	s_branch .LBB10_268
.LBB10_249:
	v_cmp_lt_u32_sdwa s[44:45], v1, v2 src0_sel:BYTE_3 src1_sel:BYTE_3
	s_andn2_b64 s[40:41], s[40:41], exec
	s_and_b64 s[44:45], s[44:45], exec
	s_or_b64 s[40:41], s[40:41], s[44:45]
	s_cbranch_execz .LBB10_209
	s_branch .LBB10_210
.LBB10_250:
                                        ; implicit-def: $sgpr10_sgpr11
	s_mov_b64 s[12:13], 0
	s_cbranch_execnz .LBB10_271
	s_branch .LBB10_272
.LBB10_251:
	s_mov_b64 s[14:15], -1
                                        ; implicit-def: $sgpr4_sgpr5
	s_branch .LBB10_23
.LBB10_252:
	s_mov_b64 s[16:17], -1
                                        ; implicit-def: $sgpr6_sgpr7
	s_branch .LBB10_36
.LBB10_253:
	s_mov_b64 s[18:19], -1
                                        ; implicit-def: $sgpr14_sgpr15
	s_branch .LBB10_49
.LBB10_254:
	s_mov_b64 s[20:21], -1
                                        ; implicit-def: $sgpr16_sgpr17
	s_branch .LBB10_62
.LBB10_255:
	s_mov_b64 s[22:23], -1
                                        ; implicit-def: $sgpr18_sgpr19
	s_branch .LBB10_75
.LBB10_256:
	s_mov_b64 s[24:25], -1
                                        ; implicit-def: $sgpr20_sgpr21
	s_branch .LBB10_88
.LBB10_257:
	s_mov_b64 s[26:27], -1
                                        ; implicit-def: $sgpr22_sgpr23
	s_branch .LBB10_101
.LBB10_258:
	s_mov_b64 s[28:29], -1
                                        ; implicit-def: $sgpr24_sgpr25
	s_branch .LBB10_114
.LBB10_259:
	s_mov_b64 s[30:31], -1
                                        ; implicit-def: $sgpr26_sgpr27
	s_branch .LBB10_127
.LBB10_260:
	s_mov_b64 s[34:35], -1
                                        ; implicit-def: $sgpr28_sgpr29
	s_branch .LBB10_140
.LBB10_261:
	s_mov_b64 s[36:37], -1
                                        ; implicit-def: $sgpr30_sgpr31
	s_branch .LBB10_153
.LBB10_262:
	s_mov_b64 s[38:39], -1
                                        ; implicit-def: $sgpr34_sgpr35
	s_branch .LBB10_166
.LBB10_263:
	s_mov_b64 s[40:41], -1
                                        ; implicit-def: $sgpr36_sgpr37
	s_branch .LBB10_179
.LBB10_264:
	s_mov_b64 s[42:43], -1
                                        ; implicit-def: $sgpr38_sgpr39
	s_branch .LBB10_192
.LBB10_265:
	s_mov_b64 s[44:45], -1
                                        ; implicit-def: $sgpr40_sgpr41
	s_branch .LBB10_205
.LBB10_266:
	s_mov_b64 s[12:13], 0
                                        ; implicit-def: $sgpr10_sgpr11
	s_cbranch_execnz .LBB10_269
	s_branch .LBB10_270
.LBB10_267:
	s_mov_b64 s[12:13], -1
                                        ; implicit-def: $sgpr10_sgpr11
.LBB10_268:
	s_branch .LBB10_270
.LBB10_269:
	s_waitcnt vmcnt(0)
	v_cmp_gt_u16_sdwa s[14:15], v37, v38 src0_sel:BYTE_0 src1_sel:BYTE_0
	s_andn2_b64 s[10:11], s[10:11], exec
	s_and_b64 s[14:15], s[14:15], exec
	s_or_b64 s[10:11], s[10:11], s[14:15]
.LBB10_270:
	s_branch .LBB10_272
.LBB10_271:
	s_cmp_lg_u32 s3, 0
	s_mov_b64 s[6:7], -1
	s_cselect_b64 s[12:13], -1, 0
.LBB10_272:
	s_andn2_b64 vcc, exec, s[12:13]
	s_cbranch_vccz .LBB10_281
; %bb.273:
	s_andn2_b64 vcc, exec, s[6:7]
	s_cbranch_vccnz .LBB10_275
.LBB10_274:
	s_waitcnt vmcnt(0)
	v_cmp_ge_u16_sdwa s[6:7], v37, v38 src0_sel:BYTE_0 src1_sel:BYTE_0
	s_andn2_b64 s[10:11], s[10:11], exec
	s_and_b64 s[6:7], s[6:7], exec
	s_or_b64 s[10:11], s[10:11], s[6:7]
.LBB10_275:
	v_cndmask_b32_e64 v1, 0, 1, s[10:11]
	v_mov_b32_e32 v3, 0
	v_and_b32_e32 v6, 0xffff, v1
	v_mov_b32_e32 v2, v3
	v_mov_b32_e32 v1, v3
.LBB10_276:
	s_or_b64 exec, exec, s[4:5]
	v_or_b32_e32 v4, 0x100, v0
	v_cmp_gt_i32_e32 vcc, s2, v4
	s_and_saveexec_b64 s[4:5], vcc
	s_cbranch_execz .LBB10_291
; %bb.277:
	s_cmp_lt_i32 s3, 1
	s_mov_b64 s[6:7], 0
	s_cbranch_scc1 .LBB10_282
; %bb.278:
	s_cmp_gt_i32 s3, 1
	s_cbranch_scc0 .LBB10_283
; %bb.279:
	s_cmp_eq_u32 s3, 2
	s_cbranch_scc0 .LBB10_535
; %bb.280:
	s_waitcnt vmcnt(0)
	v_cmp_le_u16_sdwa s[10:11], v35, v36 src0_sel:BYTE_0 src1_sel:BYTE_0
	s_mov_b64 s[12:13], 0
	s_branch .LBB10_285
.LBB10_281:
	s_waitcnt vmcnt(0)
	v_cmp_lt_u16_sdwa s[12:13], v37, v38 src0_sel:BYTE_0 src1_sel:BYTE_0
	s_andn2_b64 s[10:11], s[10:11], exec
	s_and_b64 s[12:13], s[12:13], exec
	s_or_b64 s[10:11], s[10:11], s[12:13]
	s_cbranch_execz .LBB10_274
	s_branch .LBB10_275
.LBB10_282:
                                        ; implicit-def: $sgpr10_sgpr11
	s_mov_b64 s[12:13], 0
	s_cbranch_execnz .LBB10_286
	s_branch .LBB10_287
.LBB10_283:
	s_mov_b64 s[12:13], 0
                                        ; implicit-def: $sgpr10_sgpr11
	s_cbranch_execz .LBB10_285
; %bb.284:
	s_waitcnt vmcnt(0)
	v_cmp_gt_u16_sdwa s[14:15], v35, v36 src0_sel:BYTE_0 src1_sel:BYTE_0
	s_andn2_b64 s[10:11], s[10:11], exec
	s_and_b64 s[14:15], s[14:15], exec
	s_or_b64 s[10:11], s[10:11], s[14:15]
.LBB10_285:
	s_branch .LBB10_287
.LBB10_286:
	s_cmp_lg_u32 s3, 0
	s_mov_b64 s[6:7], -1
	s_cselect_b64 s[12:13], -1, 0
.LBB10_287:
	s_andn2_b64 vcc, exec, s[12:13]
	s_cbranch_vccz .LBB10_296
; %bb.288:
	s_andn2_b64 vcc, exec, s[6:7]
	s_cbranch_vccnz .LBB10_290
.LBB10_289:
	s_waitcnt vmcnt(0)
	v_cmp_ge_u16_sdwa s[6:7], v35, v36 src0_sel:BYTE_0 src1_sel:BYTE_0
	s_andn2_b64 s[10:11], s[10:11], exec
	s_and_b64 s[6:7], s[6:7], exec
	s_or_b64 s[10:11], s[10:11], s[6:7]
.LBB10_290:
	s_waitcnt vmcnt(1)
	v_cndmask_b32_e64 v35, 0, 1, s[10:11]
	v_lshlrev_b16_e32 v35, 8, v35
	v_or_b32_sdwa v35, v6, v35 dst_sel:DWORD dst_unused:UNUSED_PAD src0_sel:BYTE_0 src1_sel:DWORD
	v_and_b32_e32 v35, 0xffff, v35
	s_mov_b32 s6, 0xffff0000
	v_and_or_b32 v6, v6, s6, v35
.LBB10_291:
	s_or_b64 exec, exec, s[4:5]
	s_waitcnt vmcnt(1)
	v_or_b32_e32 v35, 0x200, v0
	v_cmp_gt_i32_e32 vcc, s2, v35
	s_and_saveexec_b64 s[4:5], vcc
	s_cbranch_execz .LBB10_306
; %bb.292:
	s_cmp_lt_i32 s3, 1
	s_mov_b64 s[6:7], 0
	s_cbranch_scc1 .LBB10_297
; %bb.293:
	s_cmp_gt_i32 s3, 1
	s_cbranch_scc0 .LBB10_298
; %bb.294:
	s_cmp_eq_u32 s3, 2
	s_cbranch_scc0 .LBB10_536
; %bb.295:
	s_waitcnt vmcnt(0)
	v_cmp_le_u16_sdwa s[10:11], v34, v33 src0_sel:BYTE_0 src1_sel:BYTE_0
	s_mov_b64 s[12:13], 0
	s_branch .LBB10_300
.LBB10_296:
	s_waitcnt vmcnt(0)
	v_cmp_lt_u16_sdwa s[12:13], v35, v36 src0_sel:BYTE_0 src1_sel:BYTE_0
	s_andn2_b64 s[10:11], s[10:11], exec
	s_and_b64 s[12:13], s[12:13], exec
	s_or_b64 s[10:11], s[10:11], s[12:13]
	s_cbranch_execz .LBB10_289
	s_branch .LBB10_290
.LBB10_297:
                                        ; implicit-def: $sgpr10_sgpr11
	s_mov_b64 s[12:13], 0
	s_cbranch_execnz .LBB10_301
	s_branch .LBB10_302
.LBB10_298:
	s_mov_b64 s[12:13], 0
                                        ; implicit-def: $sgpr10_sgpr11
	s_cbranch_execz .LBB10_300
; %bb.299:
	s_waitcnt vmcnt(0)
	v_cmp_gt_u16_sdwa s[14:15], v34, v33 src0_sel:BYTE_0 src1_sel:BYTE_0
	s_andn2_b64 s[10:11], s[10:11], exec
	s_and_b64 s[14:15], s[14:15], exec
	s_or_b64 s[10:11], s[10:11], s[14:15]
.LBB10_300:
	s_branch .LBB10_302
.LBB10_301:
	s_cmp_lg_u32 s3, 0
	s_mov_b64 s[6:7], -1
	s_cselect_b64 s[12:13], -1, 0
.LBB10_302:
	s_andn2_b64 vcc, exec, s[12:13]
	s_cbranch_vccz .LBB10_311
; %bb.303:
	s_andn2_b64 vcc, exec, s[6:7]
	s_cbranch_vccnz .LBB10_305
.LBB10_304:
	s_waitcnt vmcnt(0)
	v_cmp_ge_u16_sdwa s[6:7], v34, v33 src0_sel:BYTE_0 src1_sel:BYTE_0
	s_andn2_b64 s[10:11], s[10:11], exec
	s_and_b64 s[6:7], s[6:7], exec
	s_or_b64 s[10:11], s[10:11], s[6:7]
.LBB10_305:
	s_movk_i32 s6, 0xff00
	s_waitcnt vmcnt(0)
	v_and_b32_sdwa v33, v6, s6 dst_sel:DWORD dst_unused:UNUSED_PAD src0_sel:WORD_1 src1_sel:DWORD
	v_cndmask_b32_e64 v34, 0, 1, s[10:11]
	v_or_b32_sdwa v33, v34, v33 dst_sel:WORD_1 dst_unused:UNUSED_PAD src0_sel:DWORD src1_sel:DWORD
	s_mov_b32 s6, 0xffff
	v_and_or_b32 v6, v6, s6, v33
.LBB10_306:
	s_or_b64 exec, exec, s[4:5]
	s_waitcnt vmcnt(0)
	v_or_b32_e32 v33, 0x300, v0
	v_cmp_gt_i32_e32 vcc, s2, v33
	s_and_saveexec_b64 s[4:5], vcc
	s_cbranch_execz .LBB10_321
; %bb.307:
	s_cmp_lt_i32 s3, 1
	s_mov_b64 s[6:7], 0
	s_cbranch_scc1 .LBB10_312
; %bb.308:
	s_cmp_gt_i32 s3, 1
	s_cbranch_scc0 .LBB10_313
; %bb.309:
	s_cmp_eq_u32 s3, 2
	s_cbranch_scc0 .LBB10_537
; %bb.310:
	v_cmp_le_u16_sdwa s[10:11], v32, v31 src0_sel:BYTE_0 src1_sel:BYTE_0
	s_mov_b64 s[12:13], 0
	s_branch .LBB10_315
.LBB10_311:
	s_waitcnt vmcnt(0)
	v_cmp_lt_u16_sdwa s[12:13], v34, v33 src0_sel:BYTE_0 src1_sel:BYTE_0
	s_andn2_b64 s[10:11], s[10:11], exec
	s_and_b64 s[12:13], s[12:13], exec
	s_or_b64 s[10:11], s[10:11], s[12:13]
	s_cbranch_execz .LBB10_304
	s_branch .LBB10_305
.LBB10_312:
                                        ; implicit-def: $sgpr10_sgpr11
	s_mov_b64 s[12:13], 0
	s_cbranch_execnz .LBB10_316
	s_branch .LBB10_317
.LBB10_313:
	s_mov_b64 s[12:13], 0
                                        ; implicit-def: $sgpr10_sgpr11
	s_cbranch_execz .LBB10_315
; %bb.314:
	v_cmp_gt_u16_sdwa s[14:15], v32, v31 src0_sel:BYTE_0 src1_sel:BYTE_0
	s_andn2_b64 s[10:11], s[10:11], exec
	s_and_b64 s[14:15], s[14:15], exec
	s_or_b64 s[10:11], s[10:11], s[14:15]
.LBB10_315:
	s_branch .LBB10_317
.LBB10_316:
	s_cmp_lg_u32 s3, 0
	s_mov_b64 s[6:7], -1
	s_cselect_b64 s[12:13], -1, 0
.LBB10_317:
	s_andn2_b64 vcc, exec, s[12:13]
	s_cbranch_vccz .LBB10_326
; %bb.318:
	s_andn2_b64 vcc, exec, s[6:7]
	s_cbranch_vccnz .LBB10_320
.LBB10_319:
	v_cmp_ge_u16_sdwa s[6:7], v32, v31 src0_sel:BYTE_0 src1_sel:BYTE_0
	s_andn2_b64 s[10:11], s[10:11], exec
	s_and_b64 s[6:7], s[6:7], exec
	s_or_b64 s[10:11], s[10:11], s[6:7]
.LBB10_320:
	s_movk_i32 s6, 0xff
	v_cndmask_b32_e64 v32, 0, 1, s[10:11]
	v_and_b32_sdwa v31, v6, s6 dst_sel:DWORD dst_unused:UNUSED_PAD src0_sel:WORD_1 src1_sel:DWORD
	v_lshlrev_b16_e32 v32, 8, v32
	v_or_b32_sdwa v31, v31, v32 dst_sel:WORD_1 dst_unused:UNUSED_PAD src0_sel:DWORD src1_sel:DWORD
	s_mov_b32 s6, 0xffff
	v_and_or_b32 v6, v6, s6, v31
.LBB10_321:
	s_or_b64 exec, exec, s[4:5]
	v_or_b32_e32 v31, 0x400, v0
	v_cmp_gt_i32_e32 vcc, s2, v31
	s_and_saveexec_b64 s[4:5], vcc
	s_cbranch_execz .LBB10_336
; %bb.322:
	s_cmp_lt_i32 s3, 1
	s_mov_b64 s[6:7], 0
	s_cbranch_scc1 .LBB10_327
; %bb.323:
	s_cmp_gt_i32 s3, 1
	s_cbranch_scc0 .LBB10_328
; %bb.324:
	s_cmp_eq_u32 s3, 2
	s_cbranch_scc0 .LBB10_538
; %bb.325:
	v_cmp_le_u16_sdwa s[10:11], v30, v29 src0_sel:BYTE_0 src1_sel:BYTE_0
	s_mov_b64 s[12:13], 0
	s_branch .LBB10_330
.LBB10_326:
	v_cmp_lt_u16_sdwa s[12:13], v32, v31 src0_sel:BYTE_0 src1_sel:BYTE_0
	s_andn2_b64 s[10:11], s[10:11], exec
	s_and_b64 s[12:13], s[12:13], exec
	s_or_b64 s[10:11], s[10:11], s[12:13]
	s_cbranch_execz .LBB10_319
	s_branch .LBB10_320
.LBB10_327:
                                        ; implicit-def: $sgpr10_sgpr11
	s_mov_b64 s[12:13], 0
	s_cbranch_execnz .LBB10_331
	s_branch .LBB10_332
.LBB10_328:
	s_mov_b64 s[12:13], 0
                                        ; implicit-def: $sgpr10_sgpr11
	s_cbranch_execz .LBB10_330
; %bb.329:
	v_cmp_gt_u16_sdwa s[14:15], v30, v29 src0_sel:BYTE_0 src1_sel:BYTE_0
	s_andn2_b64 s[10:11], s[10:11], exec
	s_and_b64 s[14:15], s[14:15], exec
	s_or_b64 s[10:11], s[10:11], s[14:15]
.LBB10_330:
	s_branch .LBB10_332
.LBB10_331:
	s_cmp_lg_u32 s3, 0
	s_mov_b64 s[6:7], -1
	s_cselect_b64 s[12:13], -1, 0
.LBB10_332:
	s_andn2_b64 vcc, exec, s[12:13]
	s_cbranch_vccz .LBB10_341
; %bb.333:
	s_andn2_b64 vcc, exec, s[6:7]
	s_cbranch_vccnz .LBB10_335
.LBB10_334:
	v_cmp_ge_u16_sdwa s[6:7], v30, v29 src0_sel:BYTE_0 src1_sel:BYTE_0
	s_andn2_b64 s[10:11], s[10:11], exec
	s_and_b64 s[6:7], s[6:7], exec
	s_or_b64 s[10:11], s[10:11], s[6:7]
.LBB10_335:
	v_and_b32_e32 v29, 0xffffff00, v3
	v_cndmask_b32_e64 v30, 0, 1, s[10:11]
	v_or_b32_e32 v29, v30, v29
	v_and_b32_e32 v29, 0xffff, v29
	s_mov_b32 s6, 0xffff0000
	v_and_or_b32 v3, v3, s6, v29
.LBB10_336:
	s_or_b64 exec, exec, s[4:5]
	v_or_b32_e32 v29, 0x500, v0
	v_cmp_gt_i32_e32 vcc, s2, v29
	s_and_saveexec_b64 s[4:5], vcc
	s_cbranch_execz .LBB10_351
; %bb.337:
	s_cmp_lt_i32 s3, 1
	s_mov_b64 s[6:7], 0
	s_cbranch_scc1 .LBB10_342
; %bb.338:
	s_cmp_gt_i32 s3, 1
	s_cbranch_scc0 .LBB10_343
; %bb.339:
	s_cmp_eq_u32 s3, 2
	s_cbranch_scc0 .LBB10_539
; %bb.340:
	v_cmp_le_u16_sdwa s[10:11], v28, v27 src0_sel:BYTE_0 src1_sel:BYTE_0
	s_mov_b64 s[12:13], 0
	s_branch .LBB10_345
.LBB10_341:
	v_cmp_lt_u16_sdwa s[12:13], v30, v29 src0_sel:BYTE_0 src1_sel:BYTE_0
	s_andn2_b64 s[10:11], s[10:11], exec
	s_and_b64 s[12:13], s[12:13], exec
	s_or_b64 s[10:11], s[10:11], s[12:13]
	s_cbranch_execz .LBB10_334
	s_branch .LBB10_335
.LBB10_342:
                                        ; implicit-def: $sgpr10_sgpr11
	s_mov_b64 s[12:13], 0
	s_cbranch_execnz .LBB10_346
	s_branch .LBB10_347
.LBB10_343:
	s_mov_b64 s[12:13], 0
                                        ; implicit-def: $sgpr10_sgpr11
	s_cbranch_execz .LBB10_345
; %bb.344:
	v_cmp_gt_u16_sdwa s[14:15], v28, v27 src0_sel:BYTE_0 src1_sel:BYTE_0
	s_andn2_b64 s[10:11], s[10:11], exec
	s_and_b64 s[14:15], s[14:15], exec
	s_or_b64 s[10:11], s[10:11], s[14:15]
.LBB10_345:
	s_branch .LBB10_347
.LBB10_346:
	s_cmp_lg_u32 s3, 0
	s_mov_b64 s[6:7], -1
	s_cselect_b64 s[12:13], -1, 0
.LBB10_347:
	s_andn2_b64 vcc, exec, s[12:13]
	s_cbranch_vccz .LBB10_356
; %bb.348:
	s_andn2_b64 vcc, exec, s[6:7]
	s_cbranch_vccnz .LBB10_350
.LBB10_349:
	v_cmp_ge_u16_sdwa s[6:7], v28, v27 src0_sel:BYTE_0 src1_sel:BYTE_0
	s_andn2_b64 s[10:11], s[10:11], exec
	s_and_b64 s[6:7], s[6:7], exec
	s_or_b64 s[10:11], s[10:11], s[6:7]
.LBB10_350:
	v_cndmask_b32_e64 v27, 0, 1, s[10:11]
	v_lshlrev_b16_e32 v27, 8, v27
	v_or_b32_sdwa v27, v3, v27 dst_sel:DWORD dst_unused:UNUSED_PAD src0_sel:BYTE_0 src1_sel:DWORD
	v_and_b32_e32 v27, 0xffff, v27
	s_mov_b32 s6, 0xffff0000
	v_and_or_b32 v3, v3, s6, v27
.LBB10_351:
	s_or_b64 exec, exec, s[4:5]
	v_or_b32_e32 v27, 0x600, v0
	v_cmp_gt_i32_e32 vcc, s2, v27
	s_and_saveexec_b64 s[4:5], vcc
	s_cbranch_execz .LBB10_366
; %bb.352:
	s_cmp_lt_i32 s3, 1
	s_mov_b64 s[6:7], 0
	s_cbranch_scc1 .LBB10_357
; %bb.353:
	s_cmp_gt_i32 s3, 1
	s_cbranch_scc0 .LBB10_358
; %bb.354:
	s_cmp_eq_u32 s3, 2
	s_cbranch_scc0 .LBB10_540
; %bb.355:
	v_cmp_le_u16_sdwa s[10:11], v26, v25 src0_sel:BYTE_0 src1_sel:BYTE_0
	s_mov_b64 s[12:13], 0
	s_branch .LBB10_360
.LBB10_356:
	v_cmp_lt_u16_sdwa s[12:13], v28, v27 src0_sel:BYTE_0 src1_sel:BYTE_0
	s_andn2_b64 s[10:11], s[10:11], exec
	s_and_b64 s[12:13], s[12:13], exec
	s_or_b64 s[10:11], s[10:11], s[12:13]
	s_cbranch_execz .LBB10_349
	s_branch .LBB10_350
.LBB10_357:
                                        ; implicit-def: $sgpr10_sgpr11
	s_mov_b64 s[12:13], 0
	s_cbranch_execnz .LBB10_361
	s_branch .LBB10_362
.LBB10_358:
	s_mov_b64 s[12:13], 0
                                        ; implicit-def: $sgpr10_sgpr11
	s_cbranch_execz .LBB10_360
; %bb.359:
	v_cmp_gt_u16_sdwa s[14:15], v26, v25 src0_sel:BYTE_0 src1_sel:BYTE_0
	s_andn2_b64 s[10:11], s[10:11], exec
	s_and_b64 s[14:15], s[14:15], exec
	s_or_b64 s[10:11], s[10:11], s[14:15]
.LBB10_360:
	s_branch .LBB10_362
.LBB10_361:
	s_cmp_lg_u32 s3, 0
	s_mov_b64 s[6:7], -1
	s_cselect_b64 s[12:13], -1, 0
.LBB10_362:
	s_andn2_b64 vcc, exec, s[12:13]
	s_cbranch_vccz .LBB10_371
; %bb.363:
	s_andn2_b64 vcc, exec, s[6:7]
	s_cbranch_vccnz .LBB10_365
.LBB10_364:
	v_cmp_ge_u16_sdwa s[6:7], v26, v25 src0_sel:BYTE_0 src1_sel:BYTE_0
	s_andn2_b64 s[10:11], s[10:11], exec
	s_and_b64 s[6:7], s[6:7], exec
	s_or_b64 s[10:11], s[10:11], s[6:7]
.LBB10_365:
	s_movk_i32 s6, 0xff00
	v_and_b32_sdwa v25, v3, s6 dst_sel:DWORD dst_unused:UNUSED_PAD src0_sel:WORD_1 src1_sel:DWORD
	v_cndmask_b32_e64 v26, 0, 1, s[10:11]
	v_or_b32_sdwa v25, v26, v25 dst_sel:WORD_1 dst_unused:UNUSED_PAD src0_sel:DWORD src1_sel:DWORD
	s_mov_b32 s6, 0xffff
	v_and_or_b32 v3, v3, s6, v25
.LBB10_366:
	s_or_b64 exec, exec, s[4:5]
	v_or_b32_e32 v25, 0x700, v0
	v_cmp_gt_i32_e32 vcc, s2, v25
	s_and_saveexec_b64 s[4:5], vcc
	s_cbranch_execz .LBB10_381
; %bb.367:
	s_cmp_lt_i32 s3, 1
	s_mov_b64 s[6:7], 0
	s_cbranch_scc1 .LBB10_372
; %bb.368:
	s_cmp_gt_i32 s3, 1
	s_cbranch_scc0 .LBB10_373
; %bb.369:
	s_cmp_eq_u32 s3, 2
	s_cbranch_scc0 .LBB10_541
; %bb.370:
	v_cmp_le_u16_sdwa s[10:11], v24, v23 src0_sel:BYTE_0 src1_sel:BYTE_0
	s_mov_b64 s[12:13], 0
	s_branch .LBB10_375
.LBB10_371:
	v_cmp_lt_u16_sdwa s[12:13], v26, v25 src0_sel:BYTE_0 src1_sel:BYTE_0
	s_andn2_b64 s[10:11], s[10:11], exec
	s_and_b64 s[12:13], s[12:13], exec
	s_or_b64 s[10:11], s[10:11], s[12:13]
	s_cbranch_execz .LBB10_364
	s_branch .LBB10_365
.LBB10_372:
                                        ; implicit-def: $sgpr10_sgpr11
	s_mov_b64 s[12:13], 0
	s_cbranch_execnz .LBB10_376
	s_branch .LBB10_377
.LBB10_373:
	s_mov_b64 s[12:13], 0
                                        ; implicit-def: $sgpr10_sgpr11
	s_cbranch_execz .LBB10_375
; %bb.374:
	v_cmp_gt_u16_sdwa s[14:15], v24, v23 src0_sel:BYTE_0 src1_sel:BYTE_0
	s_andn2_b64 s[10:11], s[10:11], exec
	s_and_b64 s[14:15], s[14:15], exec
	s_or_b64 s[10:11], s[10:11], s[14:15]
.LBB10_375:
	s_branch .LBB10_377
.LBB10_376:
	s_cmp_lg_u32 s3, 0
	s_mov_b64 s[6:7], -1
	s_cselect_b64 s[12:13], -1, 0
.LBB10_377:
	s_andn2_b64 vcc, exec, s[12:13]
	s_cbranch_vccz .LBB10_386
; %bb.378:
	s_andn2_b64 vcc, exec, s[6:7]
	s_cbranch_vccnz .LBB10_380
.LBB10_379:
	v_cmp_ge_u16_sdwa s[6:7], v24, v23 src0_sel:BYTE_0 src1_sel:BYTE_0
	s_andn2_b64 s[10:11], s[10:11], exec
	s_and_b64 s[6:7], s[6:7], exec
	s_or_b64 s[10:11], s[10:11], s[6:7]
.LBB10_380:
	s_movk_i32 s6, 0xff
	v_cndmask_b32_e64 v24, 0, 1, s[10:11]
	v_and_b32_sdwa v23, v3, s6 dst_sel:DWORD dst_unused:UNUSED_PAD src0_sel:WORD_1 src1_sel:DWORD
	v_lshlrev_b16_e32 v24, 8, v24
	v_or_b32_sdwa v23, v23, v24 dst_sel:WORD_1 dst_unused:UNUSED_PAD src0_sel:DWORD src1_sel:DWORD
	s_mov_b32 s6, 0xffff
	v_and_or_b32 v3, v3, s6, v23
.LBB10_381:
	s_or_b64 exec, exec, s[4:5]
	v_or_b32_e32 v23, 0x800, v0
	v_cmp_gt_i32_e32 vcc, s2, v23
	s_and_saveexec_b64 s[4:5], vcc
	s_cbranch_execz .LBB10_396
; %bb.382:
	s_cmp_lt_i32 s3, 1
	s_mov_b64 s[6:7], 0
	s_cbranch_scc1 .LBB10_387
; %bb.383:
	s_cmp_gt_i32 s3, 1
	s_cbranch_scc0 .LBB10_388
; %bb.384:
	s_cmp_eq_u32 s3, 2
	s_cbranch_scc0 .LBB10_542
; %bb.385:
	v_cmp_le_u16_sdwa s[10:11], v22, v21 src0_sel:BYTE_0 src1_sel:BYTE_0
	s_mov_b64 s[12:13], 0
	s_branch .LBB10_390
.LBB10_386:
	v_cmp_lt_u16_sdwa s[12:13], v24, v23 src0_sel:BYTE_0 src1_sel:BYTE_0
	s_andn2_b64 s[10:11], s[10:11], exec
	s_and_b64 s[12:13], s[12:13], exec
	s_or_b64 s[10:11], s[10:11], s[12:13]
	s_cbranch_execz .LBB10_379
	s_branch .LBB10_380
.LBB10_387:
                                        ; implicit-def: $sgpr10_sgpr11
	s_mov_b64 s[12:13], 0
	s_cbranch_execnz .LBB10_391
	s_branch .LBB10_392
.LBB10_388:
	s_mov_b64 s[12:13], 0
                                        ; implicit-def: $sgpr10_sgpr11
	s_cbranch_execz .LBB10_390
; %bb.389:
	v_cmp_gt_u16_sdwa s[14:15], v22, v21 src0_sel:BYTE_0 src1_sel:BYTE_0
	s_andn2_b64 s[10:11], s[10:11], exec
	s_and_b64 s[14:15], s[14:15], exec
	s_or_b64 s[10:11], s[10:11], s[14:15]
.LBB10_390:
	s_branch .LBB10_392
.LBB10_391:
	s_cmp_lg_u32 s3, 0
	s_mov_b64 s[6:7], -1
	s_cselect_b64 s[12:13], -1, 0
.LBB10_392:
	s_andn2_b64 vcc, exec, s[12:13]
	s_cbranch_vccz .LBB10_401
; %bb.393:
	s_andn2_b64 vcc, exec, s[6:7]
	s_cbranch_vccnz .LBB10_395
.LBB10_394:
	v_cmp_ge_u16_sdwa s[6:7], v22, v21 src0_sel:BYTE_0 src1_sel:BYTE_0
	s_andn2_b64 s[10:11], s[10:11], exec
	s_and_b64 s[6:7], s[6:7], exec
	s_or_b64 s[10:11], s[10:11], s[6:7]
.LBB10_395:
	v_and_b32_e32 v21, 0xffffff00, v2
	v_cndmask_b32_e64 v22, 0, 1, s[10:11]
	v_or_b32_e32 v21, v22, v21
	v_and_b32_e32 v21, 0xffff, v21
	s_mov_b32 s6, 0xffff0000
	v_and_or_b32 v2, v2, s6, v21
.LBB10_396:
	s_or_b64 exec, exec, s[4:5]
	v_or_b32_e32 v21, 0x900, v0
	v_cmp_gt_i32_e32 vcc, s2, v21
	s_and_saveexec_b64 s[4:5], vcc
	s_cbranch_execz .LBB10_411
; %bb.397:
	s_cmp_lt_i32 s3, 1
	s_mov_b64 s[6:7], 0
	s_cbranch_scc1 .LBB10_402
; %bb.398:
	s_cmp_gt_i32 s3, 1
	s_cbranch_scc0 .LBB10_403
; %bb.399:
	s_cmp_eq_u32 s3, 2
	s_cbranch_scc0 .LBB10_543
; %bb.400:
	v_cmp_le_u16_sdwa s[10:11], v20, v19 src0_sel:BYTE_0 src1_sel:BYTE_0
	s_mov_b64 s[12:13], 0
	s_branch .LBB10_405
.LBB10_401:
	v_cmp_lt_u16_sdwa s[12:13], v22, v21 src0_sel:BYTE_0 src1_sel:BYTE_0
	s_andn2_b64 s[10:11], s[10:11], exec
	s_and_b64 s[12:13], s[12:13], exec
	s_or_b64 s[10:11], s[10:11], s[12:13]
	s_cbranch_execz .LBB10_394
	s_branch .LBB10_395
.LBB10_402:
                                        ; implicit-def: $sgpr10_sgpr11
	s_mov_b64 s[12:13], 0
	s_cbranch_execnz .LBB10_406
	s_branch .LBB10_407
.LBB10_403:
	s_mov_b64 s[12:13], 0
                                        ; implicit-def: $sgpr10_sgpr11
	s_cbranch_execz .LBB10_405
; %bb.404:
	v_cmp_gt_u16_sdwa s[14:15], v20, v19 src0_sel:BYTE_0 src1_sel:BYTE_0
	s_andn2_b64 s[10:11], s[10:11], exec
	s_and_b64 s[14:15], s[14:15], exec
	s_or_b64 s[10:11], s[10:11], s[14:15]
.LBB10_405:
	s_branch .LBB10_407
.LBB10_406:
	s_cmp_lg_u32 s3, 0
	s_mov_b64 s[6:7], -1
	s_cselect_b64 s[12:13], -1, 0
.LBB10_407:
	s_andn2_b64 vcc, exec, s[12:13]
	s_cbranch_vccz .LBB10_416
; %bb.408:
	s_andn2_b64 vcc, exec, s[6:7]
	s_cbranch_vccnz .LBB10_410
.LBB10_409:
	v_cmp_ge_u16_sdwa s[6:7], v20, v19 src0_sel:BYTE_0 src1_sel:BYTE_0
	s_andn2_b64 s[10:11], s[10:11], exec
	s_and_b64 s[6:7], s[6:7], exec
	s_or_b64 s[10:11], s[10:11], s[6:7]
.LBB10_410:
	v_cndmask_b32_e64 v19, 0, 1, s[10:11]
	v_lshlrev_b16_e32 v19, 8, v19
	v_or_b32_sdwa v19, v2, v19 dst_sel:DWORD dst_unused:UNUSED_PAD src0_sel:BYTE_0 src1_sel:DWORD
	v_and_b32_e32 v19, 0xffff, v19
	s_mov_b32 s6, 0xffff0000
	v_and_or_b32 v2, v2, s6, v19
.LBB10_411:
	s_or_b64 exec, exec, s[4:5]
	v_or_b32_e32 v19, 0xa00, v0
	v_cmp_gt_i32_e32 vcc, s2, v19
	s_and_saveexec_b64 s[4:5], vcc
	s_cbranch_execz .LBB10_426
; %bb.412:
	s_cmp_lt_i32 s3, 1
	s_mov_b64 s[6:7], 0
	s_cbranch_scc1 .LBB10_417
; %bb.413:
	s_cmp_gt_i32 s3, 1
	s_cbranch_scc0 .LBB10_418
; %bb.414:
	s_cmp_eq_u32 s3, 2
	s_cbranch_scc0 .LBB10_544
; %bb.415:
	v_cmp_le_u16_sdwa s[10:11], v18, v17 src0_sel:BYTE_0 src1_sel:BYTE_0
	s_mov_b64 s[12:13], 0
	s_branch .LBB10_420
.LBB10_416:
	v_cmp_lt_u16_sdwa s[12:13], v20, v19 src0_sel:BYTE_0 src1_sel:BYTE_0
	s_andn2_b64 s[10:11], s[10:11], exec
	s_and_b64 s[12:13], s[12:13], exec
	s_or_b64 s[10:11], s[10:11], s[12:13]
	s_cbranch_execz .LBB10_409
	s_branch .LBB10_410
.LBB10_417:
                                        ; implicit-def: $sgpr10_sgpr11
	s_mov_b64 s[12:13], 0
	s_cbranch_execnz .LBB10_421
	s_branch .LBB10_422
.LBB10_418:
	s_mov_b64 s[12:13], 0
                                        ; implicit-def: $sgpr10_sgpr11
	s_cbranch_execz .LBB10_420
; %bb.419:
	v_cmp_gt_u16_sdwa s[14:15], v18, v17 src0_sel:BYTE_0 src1_sel:BYTE_0
	s_andn2_b64 s[10:11], s[10:11], exec
	s_and_b64 s[14:15], s[14:15], exec
	s_or_b64 s[10:11], s[10:11], s[14:15]
.LBB10_420:
	s_branch .LBB10_422
.LBB10_421:
	s_cmp_lg_u32 s3, 0
	s_mov_b64 s[6:7], -1
	s_cselect_b64 s[12:13], -1, 0
.LBB10_422:
	s_andn2_b64 vcc, exec, s[12:13]
	s_cbranch_vccz .LBB10_431
; %bb.423:
	s_andn2_b64 vcc, exec, s[6:7]
	s_cbranch_vccnz .LBB10_425
.LBB10_424:
	v_cmp_ge_u16_sdwa s[6:7], v18, v17 src0_sel:BYTE_0 src1_sel:BYTE_0
	s_andn2_b64 s[10:11], s[10:11], exec
	s_and_b64 s[6:7], s[6:7], exec
	s_or_b64 s[10:11], s[10:11], s[6:7]
.LBB10_425:
	s_movk_i32 s6, 0xff00
	v_and_b32_sdwa v17, v2, s6 dst_sel:DWORD dst_unused:UNUSED_PAD src0_sel:WORD_1 src1_sel:DWORD
	v_cndmask_b32_e64 v18, 0, 1, s[10:11]
	v_or_b32_sdwa v17, v18, v17 dst_sel:WORD_1 dst_unused:UNUSED_PAD src0_sel:DWORD src1_sel:DWORD
	s_mov_b32 s6, 0xffff
	v_and_or_b32 v2, v2, s6, v17
.LBB10_426:
	s_or_b64 exec, exec, s[4:5]
	v_or_b32_e32 v17, 0xb00, v0
	v_cmp_gt_i32_e32 vcc, s2, v17
	s_and_saveexec_b64 s[4:5], vcc
	s_cbranch_execz .LBB10_441
; %bb.427:
	s_cmp_lt_i32 s3, 1
	s_mov_b64 s[6:7], 0
	s_cbranch_scc1 .LBB10_432
; %bb.428:
	s_cmp_gt_i32 s3, 1
	s_cbranch_scc0 .LBB10_433
; %bb.429:
	s_cmp_eq_u32 s3, 2
	s_cbranch_scc0 .LBB10_545
; %bb.430:
	v_cmp_le_u16_sdwa s[10:11], v16, v15 src0_sel:BYTE_0 src1_sel:BYTE_0
	s_mov_b64 s[12:13], 0
	s_branch .LBB10_435
.LBB10_431:
	v_cmp_lt_u16_sdwa s[12:13], v18, v17 src0_sel:BYTE_0 src1_sel:BYTE_0
	s_andn2_b64 s[10:11], s[10:11], exec
	s_and_b64 s[12:13], s[12:13], exec
	s_or_b64 s[10:11], s[10:11], s[12:13]
	s_cbranch_execz .LBB10_424
	s_branch .LBB10_425
.LBB10_432:
                                        ; implicit-def: $sgpr10_sgpr11
	s_mov_b64 s[12:13], 0
	s_cbranch_execnz .LBB10_436
	s_branch .LBB10_437
.LBB10_433:
	s_mov_b64 s[12:13], 0
                                        ; implicit-def: $sgpr10_sgpr11
	s_cbranch_execz .LBB10_435
; %bb.434:
	v_cmp_gt_u16_sdwa s[14:15], v16, v15 src0_sel:BYTE_0 src1_sel:BYTE_0
	s_andn2_b64 s[10:11], s[10:11], exec
	s_and_b64 s[14:15], s[14:15], exec
	s_or_b64 s[10:11], s[10:11], s[14:15]
.LBB10_435:
	s_branch .LBB10_437
.LBB10_436:
	s_cmp_lg_u32 s3, 0
	s_mov_b64 s[6:7], -1
	s_cselect_b64 s[12:13], -1, 0
.LBB10_437:
	s_andn2_b64 vcc, exec, s[12:13]
	s_cbranch_vccz .LBB10_446
; %bb.438:
	s_andn2_b64 vcc, exec, s[6:7]
	s_cbranch_vccnz .LBB10_440
.LBB10_439:
	v_cmp_ge_u16_sdwa s[6:7], v16, v15 src0_sel:BYTE_0 src1_sel:BYTE_0
	s_andn2_b64 s[10:11], s[10:11], exec
	s_and_b64 s[6:7], s[6:7], exec
	s_or_b64 s[10:11], s[10:11], s[6:7]
.LBB10_440:
	s_movk_i32 s6, 0xff
	v_cndmask_b32_e64 v16, 0, 1, s[10:11]
	v_and_b32_sdwa v15, v2, s6 dst_sel:DWORD dst_unused:UNUSED_PAD src0_sel:WORD_1 src1_sel:DWORD
	v_lshlrev_b16_e32 v16, 8, v16
	v_or_b32_sdwa v15, v15, v16 dst_sel:WORD_1 dst_unused:UNUSED_PAD src0_sel:DWORD src1_sel:DWORD
	s_mov_b32 s6, 0xffff
	v_and_or_b32 v2, v2, s6, v15
.LBB10_441:
	s_or_b64 exec, exec, s[4:5]
	v_or_b32_e32 v15, 0xc00, v0
	v_cmp_gt_i32_e32 vcc, s2, v15
	s_and_saveexec_b64 s[4:5], vcc
	s_cbranch_execz .LBB10_456
; %bb.442:
	s_cmp_lt_i32 s3, 1
	s_mov_b64 s[6:7], 0
	s_cbranch_scc1 .LBB10_447
; %bb.443:
	s_cmp_gt_i32 s3, 1
	s_cbranch_scc0 .LBB10_448
; %bb.444:
	s_cmp_eq_u32 s3, 2
	s_cbranch_scc0 .LBB10_546
; %bb.445:
	v_cmp_le_u16_sdwa s[10:11], v14, v13 src0_sel:BYTE_0 src1_sel:BYTE_0
	s_mov_b64 s[12:13], 0
	s_branch .LBB10_450
.LBB10_446:
	v_cmp_lt_u16_sdwa s[12:13], v16, v15 src0_sel:BYTE_0 src1_sel:BYTE_0
	s_andn2_b64 s[10:11], s[10:11], exec
	s_and_b64 s[12:13], s[12:13], exec
	s_or_b64 s[10:11], s[10:11], s[12:13]
	s_cbranch_execz .LBB10_439
	s_branch .LBB10_440
.LBB10_447:
                                        ; implicit-def: $sgpr10_sgpr11
	s_mov_b64 s[12:13], 0
	s_cbranch_execnz .LBB10_451
	s_branch .LBB10_452
.LBB10_448:
	s_mov_b64 s[12:13], 0
                                        ; implicit-def: $sgpr10_sgpr11
	s_cbranch_execz .LBB10_450
; %bb.449:
	v_cmp_gt_u16_sdwa s[14:15], v14, v13 src0_sel:BYTE_0 src1_sel:BYTE_0
	s_andn2_b64 s[10:11], s[10:11], exec
	s_and_b64 s[14:15], s[14:15], exec
	s_or_b64 s[10:11], s[10:11], s[14:15]
.LBB10_450:
	s_branch .LBB10_452
.LBB10_451:
	s_cmp_lg_u32 s3, 0
	s_mov_b64 s[6:7], -1
	s_cselect_b64 s[12:13], -1, 0
.LBB10_452:
	s_andn2_b64 vcc, exec, s[12:13]
	s_cbranch_vccz .LBB10_461
; %bb.453:
	s_andn2_b64 vcc, exec, s[6:7]
	s_cbranch_vccnz .LBB10_455
.LBB10_454:
	v_cmp_ge_u16_sdwa s[6:7], v14, v13 src0_sel:BYTE_0 src1_sel:BYTE_0
	s_andn2_b64 s[10:11], s[10:11], exec
	s_and_b64 s[6:7], s[6:7], exec
	s_or_b64 s[10:11], s[10:11], s[6:7]
.LBB10_455:
	v_and_b32_e32 v13, 0xffffff00, v1
	v_cndmask_b32_e64 v14, 0, 1, s[10:11]
	v_or_b32_e32 v13, v14, v13
	v_and_b32_e32 v13, 0xffff, v13
	s_mov_b32 s6, 0xffff0000
	v_and_or_b32 v1, v1, s6, v13
.LBB10_456:
	s_or_b64 exec, exec, s[4:5]
	v_or_b32_e32 v13, 0xd00, v0
	v_cmp_gt_i32_e32 vcc, s2, v13
	s_and_saveexec_b64 s[4:5], vcc
	s_cbranch_execz .LBB10_471
; %bb.457:
	s_cmp_lt_i32 s3, 1
	s_mov_b64 s[6:7], 0
	s_cbranch_scc1 .LBB10_462
; %bb.458:
	s_cmp_gt_i32 s3, 1
	s_cbranch_scc0 .LBB10_463
; %bb.459:
	s_cmp_eq_u32 s3, 2
	s_cbranch_scc0 .LBB10_547
; %bb.460:
	v_cmp_le_u16_sdwa s[10:11], v12, v11 src0_sel:BYTE_0 src1_sel:BYTE_0
	s_mov_b64 s[12:13], 0
	s_branch .LBB10_465
.LBB10_461:
	v_cmp_lt_u16_sdwa s[12:13], v14, v13 src0_sel:BYTE_0 src1_sel:BYTE_0
	s_andn2_b64 s[10:11], s[10:11], exec
	s_and_b64 s[12:13], s[12:13], exec
	s_or_b64 s[10:11], s[10:11], s[12:13]
	s_cbranch_execz .LBB10_454
	s_branch .LBB10_455
.LBB10_462:
                                        ; implicit-def: $sgpr10_sgpr11
	s_mov_b64 s[12:13], 0
	s_cbranch_execnz .LBB10_466
	s_branch .LBB10_467
.LBB10_463:
	s_mov_b64 s[12:13], 0
                                        ; implicit-def: $sgpr10_sgpr11
	s_cbranch_execz .LBB10_465
; %bb.464:
	v_cmp_gt_u16_sdwa s[14:15], v12, v11 src0_sel:BYTE_0 src1_sel:BYTE_0
	s_andn2_b64 s[10:11], s[10:11], exec
	s_and_b64 s[14:15], s[14:15], exec
	s_or_b64 s[10:11], s[10:11], s[14:15]
.LBB10_465:
	s_branch .LBB10_467
.LBB10_466:
	s_cmp_lg_u32 s3, 0
	s_mov_b64 s[6:7], -1
	s_cselect_b64 s[12:13], -1, 0
.LBB10_467:
	s_andn2_b64 vcc, exec, s[12:13]
	s_cbranch_vccz .LBB10_476
; %bb.468:
	s_andn2_b64 vcc, exec, s[6:7]
	s_cbranch_vccnz .LBB10_470
.LBB10_469:
	v_cmp_ge_u16_sdwa s[6:7], v12, v11 src0_sel:BYTE_0 src1_sel:BYTE_0
	s_andn2_b64 s[10:11], s[10:11], exec
	s_and_b64 s[6:7], s[6:7], exec
	s_or_b64 s[10:11], s[10:11], s[6:7]
.LBB10_470:
	v_cndmask_b32_e64 v11, 0, 1, s[10:11]
	v_lshlrev_b16_e32 v11, 8, v11
	v_or_b32_sdwa v11, v1, v11 dst_sel:DWORD dst_unused:UNUSED_PAD src0_sel:BYTE_0 src1_sel:DWORD
	v_and_b32_e32 v11, 0xffff, v11
	s_mov_b32 s6, 0xffff0000
	v_and_or_b32 v1, v1, s6, v11
.LBB10_471:
	s_or_b64 exec, exec, s[4:5]
	v_or_b32_e32 v11, 0xe00, v0
	v_cmp_gt_i32_e32 vcc, s2, v11
	s_and_saveexec_b64 s[4:5], vcc
	s_cbranch_execz .LBB10_486
; %bb.472:
	s_cmp_lt_i32 s3, 1
	s_mov_b64 s[6:7], 0
	s_cbranch_scc1 .LBB10_477
; %bb.473:
	s_cmp_gt_i32 s3, 1
	s_cbranch_scc0 .LBB10_478
; %bb.474:
	s_cmp_eq_u32 s3, 2
	s_cbranch_scc0 .LBB10_548
; %bb.475:
	v_cmp_le_u16_sdwa s[10:11], v10, v9 src0_sel:BYTE_0 src1_sel:BYTE_0
	s_mov_b64 s[12:13], 0
	s_branch .LBB10_480
.LBB10_476:
	v_cmp_lt_u16_sdwa s[12:13], v12, v11 src0_sel:BYTE_0 src1_sel:BYTE_0
	s_andn2_b64 s[10:11], s[10:11], exec
	s_and_b64 s[12:13], s[12:13], exec
	s_or_b64 s[10:11], s[10:11], s[12:13]
	s_cbranch_execz .LBB10_469
	s_branch .LBB10_470
.LBB10_477:
                                        ; implicit-def: $sgpr10_sgpr11
	s_mov_b64 s[12:13], 0
	s_cbranch_execnz .LBB10_481
	s_branch .LBB10_482
.LBB10_478:
	s_mov_b64 s[12:13], 0
                                        ; implicit-def: $sgpr10_sgpr11
	s_cbranch_execz .LBB10_480
; %bb.479:
	v_cmp_gt_u16_sdwa s[14:15], v10, v9 src0_sel:BYTE_0 src1_sel:BYTE_0
	s_andn2_b64 s[10:11], s[10:11], exec
	s_and_b64 s[14:15], s[14:15], exec
	s_or_b64 s[10:11], s[10:11], s[14:15]
.LBB10_480:
	s_branch .LBB10_482
.LBB10_481:
	s_cmp_lg_u32 s3, 0
	s_mov_b64 s[6:7], -1
	s_cselect_b64 s[12:13], -1, 0
.LBB10_482:
	s_andn2_b64 vcc, exec, s[12:13]
	s_cbranch_vccz .LBB10_491
; %bb.483:
	s_andn2_b64 vcc, exec, s[6:7]
	s_cbranch_vccnz .LBB10_485
.LBB10_484:
	v_cmp_ge_u16_sdwa s[6:7], v10, v9 src0_sel:BYTE_0 src1_sel:BYTE_0
	s_andn2_b64 s[10:11], s[10:11], exec
	s_and_b64 s[6:7], s[6:7], exec
	s_or_b64 s[10:11], s[10:11], s[6:7]
.LBB10_485:
	s_movk_i32 s6, 0xff00
	v_and_b32_sdwa v9, v1, s6 dst_sel:DWORD dst_unused:UNUSED_PAD src0_sel:WORD_1 src1_sel:DWORD
	v_cndmask_b32_e64 v10, 0, 1, s[10:11]
	v_or_b32_sdwa v9, v10, v9 dst_sel:WORD_1 dst_unused:UNUSED_PAD src0_sel:DWORD src1_sel:DWORD
	s_mov_b32 s6, 0xffff
	v_and_or_b32 v1, v1, s6, v9
.LBB10_486:
	s_or_b64 exec, exec, s[4:5]
	v_or_b32_e32 v9, 0xf00, v0
	v_cmp_gt_i32_e32 vcc, s2, v9
	s_and_saveexec_b64 s[4:5], vcc
	s_cbranch_execz .LBB10_501
; %bb.487:
	s_cmp_lt_i32 s3, 1
	s_mov_b64 s[6:7], 0
	s_cbranch_scc1 .LBB10_492
; %bb.488:
	s_cmp_gt_i32 s3, 1
	s_cbranch_scc0 .LBB10_493
; %bb.489:
	s_cmp_eq_u32 s3, 2
	s_cbranch_scc0 .LBB10_549
; %bb.490:
	v_cmp_le_u16_sdwa s[10:11], v8, v7 src0_sel:BYTE_0 src1_sel:BYTE_0
	s_mov_b64 s[12:13], 0
	s_branch .LBB10_495
.LBB10_491:
	v_cmp_lt_u16_sdwa s[12:13], v10, v9 src0_sel:BYTE_0 src1_sel:BYTE_0
	s_andn2_b64 s[10:11], s[10:11], exec
	s_and_b64 s[12:13], s[12:13], exec
	s_or_b64 s[10:11], s[10:11], s[12:13]
	s_cbranch_execz .LBB10_484
	s_branch .LBB10_485
.LBB10_492:
                                        ; implicit-def: $sgpr10_sgpr11
	s_mov_b64 s[12:13], 0
	s_cbranch_execnz .LBB10_496
	s_branch .LBB10_497
.LBB10_493:
	s_mov_b64 s[12:13], 0
                                        ; implicit-def: $sgpr10_sgpr11
	s_cbranch_execz .LBB10_495
; %bb.494:
	v_cmp_gt_u16_sdwa s[14:15], v8, v7 src0_sel:BYTE_0 src1_sel:BYTE_0
	s_andn2_b64 s[10:11], s[10:11], exec
	s_and_b64 s[14:15], s[14:15], exec
	s_or_b64 s[10:11], s[10:11], s[14:15]
.LBB10_495:
	s_branch .LBB10_497
.LBB10_496:
	s_cmp_lg_u32 s3, 0
	s_mov_b64 s[6:7], -1
	s_cselect_b64 s[12:13], -1, 0
.LBB10_497:
	s_andn2_b64 vcc, exec, s[12:13]
	s_cbranch_vccz .LBB10_534
; %bb.498:
	s_andn2_b64 vcc, exec, s[6:7]
	s_cbranch_vccnz .LBB10_500
.LBB10_499:
	v_cmp_ge_u16_sdwa s[6:7], v8, v7 src0_sel:BYTE_0 src1_sel:BYTE_0
	s_andn2_b64 s[10:11], s[10:11], exec
	s_and_b64 s[6:7], s[6:7], exec
	s_or_b64 s[10:11], s[10:11], s[6:7]
.LBB10_500:
	s_movk_i32 s3, 0xff
	v_cndmask_b32_e64 v8, 0, 1, s[10:11]
	v_and_b32_sdwa v7, v1, s3 dst_sel:DWORD dst_unused:UNUSED_PAD src0_sel:WORD_1 src1_sel:DWORD
	v_lshlrev_b16_e32 v8, 8, v8
	v_or_b32_sdwa v7, v7, v8 dst_sel:WORD_1 dst_unused:UNUSED_PAD src0_sel:DWORD src1_sel:DWORD
	s_mov_b32 s3, 0xffff
	v_and_or_b32 v1, v1, s3, v7
.LBB10_501:
	s_or_b64 exec, exec, s[4:5]
	s_and_saveexec_b64 s[4:5], s[0:1]
	s_xor_b64 s[0:1], exec, s[4:5]
	s_cbranch_execz .LBB10_503
; %bb.502:
	v_mov_b32_e32 v0, v4
	global_store_byte v5, v6, s[8:9]
.LBB10_503:
	s_or_b64 exec, exec, s[0:1]
	v_cmp_gt_i32_e32 vcc, s2, v0
	s_and_saveexec_b64 s[0:1], vcc
	s_cbranch_execnz .LBB10_519
; %bb.504:
	s_or_b64 exec, exec, s[0:1]
	v_cmp_gt_i32_e32 vcc, s2, v0
	s_and_saveexec_b64 s[0:1], vcc
	s_cbranch_execnz .LBB10_520
.LBB10_505:
	s_or_b64 exec, exec, s[0:1]
	v_cmp_gt_i32_e32 vcc, s2, v0
	s_and_saveexec_b64 s[0:1], vcc
	s_cbranch_execnz .LBB10_521
.LBB10_506:
	s_or_b64 exec, exec, s[0:1]
	v_cmp_gt_i32_e32 vcc, s2, v0
	s_and_saveexec_b64 s[0:1], vcc
	s_cbranch_execnz .LBB10_522
.LBB10_507:
	s_or_b64 exec, exec, s[0:1]
	v_cmp_gt_i32_e32 vcc, s2, v0
	s_and_saveexec_b64 s[0:1], vcc
	s_cbranch_execnz .LBB10_523
.LBB10_508:
	s_or_b64 exec, exec, s[0:1]
	v_cmp_gt_i32_e32 vcc, s2, v0
	s_and_saveexec_b64 s[0:1], vcc
	s_cbranch_execnz .LBB10_524
.LBB10_509:
	s_or_b64 exec, exec, s[0:1]
	v_cmp_gt_i32_e32 vcc, s2, v0
	s_and_saveexec_b64 s[0:1], vcc
	s_cbranch_execnz .LBB10_525
.LBB10_510:
	s_or_b64 exec, exec, s[0:1]
	v_cmp_gt_i32_e32 vcc, s2, v0
	s_and_saveexec_b64 s[0:1], vcc
	s_cbranch_execnz .LBB10_526
.LBB10_511:
	s_or_b64 exec, exec, s[0:1]
	v_cmp_gt_i32_e32 vcc, s2, v0
	s_and_saveexec_b64 s[0:1], vcc
	s_cbranch_execnz .LBB10_527
.LBB10_512:
	s_or_b64 exec, exec, s[0:1]
	v_cmp_gt_i32_e32 vcc, s2, v0
	s_and_saveexec_b64 s[0:1], vcc
	s_cbranch_execnz .LBB10_528
.LBB10_513:
	s_or_b64 exec, exec, s[0:1]
	v_cmp_gt_i32_e32 vcc, s2, v0
	s_and_saveexec_b64 s[0:1], vcc
	s_cbranch_execnz .LBB10_529
.LBB10_514:
	s_or_b64 exec, exec, s[0:1]
	v_cmp_gt_i32_e32 vcc, s2, v0
	s_and_saveexec_b64 s[0:1], vcc
	s_cbranch_execnz .LBB10_530
.LBB10_515:
	s_or_b64 exec, exec, s[0:1]
	v_cmp_gt_i32_e32 vcc, s2, v0
	s_and_saveexec_b64 s[0:1], vcc
	s_cbranch_execnz .LBB10_531
.LBB10_516:
	s_or_b64 exec, exec, s[0:1]
	v_cmp_gt_i32_e32 vcc, s2, v0
	s_and_saveexec_b64 s[0:1], vcc
	s_cbranch_execnz .LBB10_532
.LBB10_517:
	s_or_b64 exec, exec, s[0:1]
	v_cmp_gt_i32_e32 vcc, s2, v0
	s_and_saveexec_b64 s[0:1], vcc
	s_cbranch_execz .LBB10_533
.LBB10_518:
	v_lshrrev_b32_e32 v1, 24, v1
	v_add_u32_e32 v0, s33, v0
	global_store_byte v0, v1, s[8:9]
	s_endpgm
.LBB10_519:
	v_lshrrev_b32_e32 v4, 8, v6
	v_add_u32_e32 v5, s33, v0
	v_add_u32_e32 v0, 0x100, v0
	global_store_byte v5, v4, s[8:9]
	s_or_b64 exec, exec, s[0:1]
	v_cmp_gt_i32_e32 vcc, s2, v0
	s_and_saveexec_b64 s[0:1], vcc
	s_cbranch_execz .LBB10_505
.LBB10_520:
	v_add_u32_e32 v4, s33, v0
	v_add_u32_e32 v0, 0x100, v0
	global_store_byte_d16_hi v4, v6, s[8:9]
	s_or_b64 exec, exec, s[0:1]
	v_cmp_gt_i32_e32 vcc, s2, v0
	s_and_saveexec_b64 s[0:1], vcc
	s_cbranch_execz .LBB10_506
.LBB10_521:
	v_lshrrev_b32_e32 v4, 24, v6
	v_add_u32_e32 v5, s33, v0
	v_add_u32_e32 v0, 0x100, v0
	global_store_byte v5, v4, s[8:9]
	s_or_b64 exec, exec, s[0:1]
	v_cmp_gt_i32_e32 vcc, s2, v0
	s_and_saveexec_b64 s[0:1], vcc
	s_cbranch_execz .LBB10_507
.LBB10_522:
	v_add_u32_e32 v4, s33, v0
	v_add_u32_e32 v0, 0x100, v0
	global_store_byte v4, v3, s[8:9]
	s_or_b64 exec, exec, s[0:1]
	v_cmp_gt_i32_e32 vcc, s2, v0
	s_and_saveexec_b64 s[0:1], vcc
	s_cbranch_execz .LBB10_508
.LBB10_523:
	v_lshrrev_b32_e32 v4, 8, v3
	v_add_u32_e32 v5, s33, v0
	v_add_u32_e32 v0, 0x100, v0
	global_store_byte v5, v4, s[8:9]
	s_or_b64 exec, exec, s[0:1]
	v_cmp_gt_i32_e32 vcc, s2, v0
	s_and_saveexec_b64 s[0:1], vcc
	s_cbranch_execz .LBB10_509
.LBB10_524:
	v_add_u32_e32 v4, s33, v0
	v_add_u32_e32 v0, 0x100, v0
	global_store_byte_d16_hi v4, v3, s[8:9]
	s_or_b64 exec, exec, s[0:1]
	v_cmp_gt_i32_e32 vcc, s2, v0
	s_and_saveexec_b64 s[0:1], vcc
	s_cbranch_execz .LBB10_510
.LBB10_525:
	v_lshrrev_b32_e32 v3, 24, v3
	v_add_u32_e32 v4, s33, v0
	v_add_u32_e32 v0, 0x100, v0
	global_store_byte v4, v3, s[8:9]
	s_or_b64 exec, exec, s[0:1]
	v_cmp_gt_i32_e32 vcc, s2, v0
	s_and_saveexec_b64 s[0:1], vcc
	s_cbranch_execz .LBB10_511
.LBB10_526:
	v_add_u32_e32 v3, s33, v0
	v_add_u32_e32 v0, 0x100, v0
	global_store_byte v3, v2, s[8:9]
	s_or_b64 exec, exec, s[0:1]
	v_cmp_gt_i32_e32 vcc, s2, v0
	s_and_saveexec_b64 s[0:1], vcc
	s_cbranch_execz .LBB10_512
.LBB10_527:
	v_lshrrev_b32_e32 v3, 8, v2
	v_add_u32_e32 v4, s33, v0
	v_add_u32_e32 v0, 0x100, v0
	global_store_byte v4, v3, s[8:9]
	s_or_b64 exec, exec, s[0:1]
	v_cmp_gt_i32_e32 vcc, s2, v0
	s_and_saveexec_b64 s[0:1], vcc
	s_cbranch_execz .LBB10_513
.LBB10_528:
	v_add_u32_e32 v3, s33, v0
	v_add_u32_e32 v0, 0x100, v0
	global_store_byte_d16_hi v3, v2, s[8:9]
	s_or_b64 exec, exec, s[0:1]
	v_cmp_gt_i32_e32 vcc, s2, v0
	s_and_saveexec_b64 s[0:1], vcc
	s_cbranch_execz .LBB10_514
.LBB10_529:
	v_lshrrev_b32_e32 v2, 24, v2
	v_add_u32_e32 v3, s33, v0
	v_add_u32_e32 v0, 0x100, v0
	global_store_byte v3, v2, s[8:9]
	s_or_b64 exec, exec, s[0:1]
	v_cmp_gt_i32_e32 vcc, s2, v0
	s_and_saveexec_b64 s[0:1], vcc
	s_cbranch_execz .LBB10_515
.LBB10_530:
	v_add_u32_e32 v2, s33, v0
	v_add_u32_e32 v0, 0x100, v0
	global_store_byte v2, v1, s[8:9]
	s_or_b64 exec, exec, s[0:1]
	v_cmp_gt_i32_e32 vcc, s2, v0
	s_and_saveexec_b64 s[0:1], vcc
	s_cbranch_execz .LBB10_516
.LBB10_531:
	v_lshrrev_b32_e32 v2, 8, v1
	v_add_u32_e32 v3, s33, v0
	v_add_u32_e32 v0, 0x100, v0
	global_store_byte v3, v2, s[8:9]
	s_or_b64 exec, exec, s[0:1]
	v_cmp_gt_i32_e32 vcc, s2, v0
	s_and_saveexec_b64 s[0:1], vcc
	s_cbranch_execz .LBB10_517
.LBB10_532:
	v_add_u32_e32 v2, s33, v0
	v_add_u32_e32 v0, 0x100, v0
	global_store_byte_d16_hi v2, v1, s[8:9]
	s_or_b64 exec, exec, s[0:1]
	v_cmp_gt_i32_e32 vcc, s2, v0
	s_and_saveexec_b64 s[0:1], vcc
	s_cbranch_execnz .LBB10_518
.LBB10_533:
	s_endpgm
.LBB10_534:
	v_cmp_lt_u16_sdwa s[12:13], v8, v7 src0_sel:BYTE_0 src1_sel:BYTE_0
	s_andn2_b64 s[10:11], s[10:11], exec
	s_and_b64 s[12:13], s[12:13], exec
	s_or_b64 s[10:11], s[10:11], s[12:13]
	s_cbranch_execz .LBB10_499
	s_branch .LBB10_500
.LBB10_535:
	s_mov_b64 s[12:13], -1
                                        ; implicit-def: $sgpr10_sgpr11
	s_branch .LBB10_285
.LBB10_536:
	s_mov_b64 s[12:13], -1
                                        ; implicit-def: $sgpr10_sgpr11
	s_branch .LBB10_300
.LBB10_537:
	s_mov_b64 s[12:13], -1
                                        ; implicit-def: $sgpr10_sgpr11
	s_branch .LBB10_315
.LBB10_538:
	s_mov_b64 s[12:13], -1
                                        ; implicit-def: $sgpr10_sgpr11
	s_branch .LBB10_330
.LBB10_539:
	s_mov_b64 s[12:13], -1
                                        ; implicit-def: $sgpr10_sgpr11
	s_branch .LBB10_345
.LBB10_540:
	s_mov_b64 s[12:13], -1
                                        ; implicit-def: $sgpr10_sgpr11
	s_branch .LBB10_360
.LBB10_541:
	s_mov_b64 s[12:13], -1
                                        ; implicit-def: $sgpr10_sgpr11
	s_branch .LBB10_375
.LBB10_542:
	s_mov_b64 s[12:13], -1
                                        ; implicit-def: $sgpr10_sgpr11
	s_branch .LBB10_390
.LBB10_543:
	s_mov_b64 s[12:13], -1
                                        ; implicit-def: $sgpr10_sgpr11
	s_branch .LBB10_405
.LBB10_544:
	s_mov_b64 s[12:13], -1
                                        ; implicit-def: $sgpr10_sgpr11
	s_branch .LBB10_420
.LBB10_545:
	s_mov_b64 s[12:13], -1
                                        ; implicit-def: $sgpr10_sgpr11
	s_branch .LBB10_435
.LBB10_546:
	s_mov_b64 s[12:13], -1
                                        ; implicit-def: $sgpr10_sgpr11
	s_branch .LBB10_450
.LBB10_547:
	s_mov_b64 s[12:13], -1
                                        ; implicit-def: $sgpr10_sgpr11
	s_branch .LBB10_465
.LBB10_548:
	s_mov_b64 s[12:13], -1
                                        ; implicit-def: $sgpr10_sgpr11
	s_branch .LBB10_480
.LBB10_549:
	s_mov_b64 s[12:13], -1
                                        ; implicit-def: $sgpr10_sgpr11
	s_branch .LBB10_495
	.section	.rodata,"a",@progbits
	.p2align	6, 0x0
	.amdhsa_kernel _ZN2at6native29vectorized_elementwise_kernelILi4ENS0_12_GLOBAL__N_114CompareFunctorIhEESt5arrayIPcLm3EEEEviT0_T1_
		.amdhsa_group_segment_fixed_size 0
		.amdhsa_private_segment_fixed_size 0
		.amdhsa_kernarg_size 32
		.amdhsa_user_sgpr_count 6
		.amdhsa_user_sgpr_private_segment_buffer 1
		.amdhsa_user_sgpr_dispatch_ptr 0
		.amdhsa_user_sgpr_queue_ptr 0
		.amdhsa_user_sgpr_kernarg_segment_ptr 1
		.amdhsa_user_sgpr_dispatch_id 0
		.amdhsa_user_sgpr_flat_scratch_init 0
		.amdhsa_user_sgpr_private_segment_size 0
		.amdhsa_uses_dynamic_stack 0
		.amdhsa_system_sgpr_private_segment_wavefront_offset 0
		.amdhsa_system_sgpr_workgroup_id_x 1
		.amdhsa_system_sgpr_workgroup_id_y 0
		.amdhsa_system_sgpr_workgroup_id_z 0
		.amdhsa_system_sgpr_workgroup_info 0
		.amdhsa_system_vgpr_workitem_id 0
		.amdhsa_next_free_vgpr 39
		.amdhsa_next_free_sgpr 49
		.amdhsa_reserve_vcc 1
		.amdhsa_reserve_flat_scratch 0
		.amdhsa_float_round_mode_32 0
		.amdhsa_float_round_mode_16_64 0
		.amdhsa_float_denorm_mode_32 3
		.amdhsa_float_denorm_mode_16_64 3
		.amdhsa_dx10_clamp 1
		.amdhsa_ieee_mode 1
		.amdhsa_fp16_overflow 0
		.amdhsa_exception_fp_ieee_invalid_op 0
		.amdhsa_exception_fp_denorm_src 0
		.amdhsa_exception_fp_ieee_div_zero 0
		.amdhsa_exception_fp_ieee_overflow 0
		.amdhsa_exception_fp_ieee_underflow 0
		.amdhsa_exception_fp_ieee_inexact 0
		.amdhsa_exception_int_div_zero 0
	.end_amdhsa_kernel
	.section	.text._ZN2at6native29vectorized_elementwise_kernelILi4ENS0_12_GLOBAL__N_114CompareFunctorIhEESt5arrayIPcLm3EEEEviT0_T1_,"axG",@progbits,_ZN2at6native29vectorized_elementwise_kernelILi4ENS0_12_GLOBAL__N_114CompareFunctorIhEESt5arrayIPcLm3EEEEviT0_T1_,comdat
.Lfunc_end10:
	.size	_ZN2at6native29vectorized_elementwise_kernelILi4ENS0_12_GLOBAL__N_114CompareFunctorIhEESt5arrayIPcLm3EEEEviT0_T1_, .Lfunc_end10-_ZN2at6native29vectorized_elementwise_kernelILi4ENS0_12_GLOBAL__N_114CompareFunctorIhEESt5arrayIPcLm3EEEEviT0_T1_
                                        ; -- End function
	.set _ZN2at6native29vectorized_elementwise_kernelILi4ENS0_12_GLOBAL__N_114CompareFunctorIhEESt5arrayIPcLm3EEEEviT0_T1_.num_vgpr, 39
	.set _ZN2at6native29vectorized_elementwise_kernelILi4ENS0_12_GLOBAL__N_114CompareFunctorIhEESt5arrayIPcLm3EEEEviT0_T1_.num_agpr, 0
	.set _ZN2at6native29vectorized_elementwise_kernelILi4ENS0_12_GLOBAL__N_114CompareFunctorIhEESt5arrayIPcLm3EEEEviT0_T1_.numbered_sgpr, 49
	.set _ZN2at6native29vectorized_elementwise_kernelILi4ENS0_12_GLOBAL__N_114CompareFunctorIhEESt5arrayIPcLm3EEEEviT0_T1_.num_named_barrier, 0
	.set _ZN2at6native29vectorized_elementwise_kernelILi4ENS0_12_GLOBAL__N_114CompareFunctorIhEESt5arrayIPcLm3EEEEviT0_T1_.private_seg_size, 0
	.set _ZN2at6native29vectorized_elementwise_kernelILi4ENS0_12_GLOBAL__N_114CompareFunctorIhEESt5arrayIPcLm3EEEEviT0_T1_.uses_vcc, 1
	.set _ZN2at6native29vectorized_elementwise_kernelILi4ENS0_12_GLOBAL__N_114CompareFunctorIhEESt5arrayIPcLm3EEEEviT0_T1_.uses_flat_scratch, 0
	.set _ZN2at6native29vectorized_elementwise_kernelILi4ENS0_12_GLOBAL__N_114CompareFunctorIhEESt5arrayIPcLm3EEEEviT0_T1_.has_dyn_sized_stack, 0
	.set _ZN2at6native29vectorized_elementwise_kernelILi4ENS0_12_GLOBAL__N_114CompareFunctorIhEESt5arrayIPcLm3EEEEviT0_T1_.has_recursion, 0
	.set _ZN2at6native29vectorized_elementwise_kernelILi4ENS0_12_GLOBAL__N_114CompareFunctorIhEESt5arrayIPcLm3EEEEviT0_T1_.has_indirect_call, 0
	.section	.AMDGPU.csdata,"",@progbits
; Kernel info:
; codeLenInByte = 10276
; TotalNumSgprs: 53
; NumVgprs: 39
; ScratchSize: 0
; MemoryBound: 0
; FloatMode: 240
; IeeeMode: 1
; LDSByteSize: 0 bytes/workgroup (compile time only)
; SGPRBlocks: 6
; VGPRBlocks: 9
; NumSGPRsForWavesPerEU: 53
; NumVGPRsForWavesPerEU: 39
; Occupancy: 6
; WaveLimiterHint : 1
; COMPUTE_PGM_RSRC2:SCRATCH_EN: 0
; COMPUTE_PGM_RSRC2:USER_SGPR: 6
; COMPUTE_PGM_RSRC2:TRAP_HANDLER: 0
; COMPUTE_PGM_RSRC2:TGID_X_EN: 1
; COMPUTE_PGM_RSRC2:TGID_Y_EN: 0
; COMPUTE_PGM_RSRC2:TGID_Z_EN: 0
; COMPUTE_PGM_RSRC2:TIDIG_COMP_CNT: 0
	.section	.text._ZN2at6native29vectorized_elementwise_kernelILi2ENS0_12_GLOBAL__N_114CompareFunctorIhEESt5arrayIPcLm3EEEEviT0_T1_,"axG",@progbits,_ZN2at6native29vectorized_elementwise_kernelILi2ENS0_12_GLOBAL__N_114CompareFunctorIhEESt5arrayIPcLm3EEEEviT0_T1_,comdat
	.globl	_ZN2at6native29vectorized_elementwise_kernelILi2ENS0_12_GLOBAL__N_114CompareFunctorIhEESt5arrayIPcLm3EEEEviT0_T1_ ; -- Begin function _ZN2at6native29vectorized_elementwise_kernelILi2ENS0_12_GLOBAL__N_114CompareFunctorIhEESt5arrayIPcLm3EEEEviT0_T1_
	.p2align	8
	.type	_ZN2at6native29vectorized_elementwise_kernelILi2ENS0_12_GLOBAL__N_114CompareFunctorIhEESt5arrayIPcLm3EEEEviT0_T1_,@function
_ZN2at6native29vectorized_elementwise_kernelILi2ENS0_12_GLOBAL__N_114CompareFunctorIhEESt5arrayIPcLm3EEEEviT0_T1_: ; @_ZN2at6native29vectorized_elementwise_kernelILi2ENS0_12_GLOBAL__N_114CompareFunctorIhEESt5arrayIPcLm3EEEEviT0_T1_
; %bb.0:
	s_load_dwordx2 s[2:3], s[4:5], 0x0
	s_load_dwordx4 s[8:11], s[4:5], 0x8
	s_load_dwordx2 s[12:13], s[4:5], 0x18
	s_lshl_b32 s33, s6, 12
	s_mov_b64 s[0:1], -1
	s_waitcnt lgkmcnt(0)
	s_sub_i32 s2, s2, s33
	s_cmpk_gt_i32 s2, 0xfff
	s_cbranch_scc0 .LBB11_211
; %bb.1:
	s_ashr_i32 s48, s33, 31
	s_add_u32 s0, s10, s33
	s_addc_u32 s1, s11, s48
	v_lshlrev_b32_e32 v1, 1, v0
	global_load_ushort v16, v1, s[0:1]
	global_load_ushort v14, v1, s[0:1] offset:512
	global_load_ushort v12, v1, s[0:1] offset:1024
	;; [unrolled: 1-line block ×7, first 2 shown]
	s_add_u32 s0, s12, s33
	s_addc_u32 s1, s13, s48
	global_load_ushort v17, v1, s[0:1]
	global_load_ushort v15, v1, s[0:1] offset:512
	global_load_ushort v13, v1, s[0:1] offset:1024
	;; [unrolled: 1-line block ×7, first 2 shown]
	s_cmp_lt_i32 s3, 1
	s_mov_b64 s[4:5], 0
	s_cbranch_scc1 .LBB11_5
; %bb.2:
	s_cmp_gt_i32 s3, 1
	s_cbranch_scc0 .LBB11_6
; %bb.3:
	s_cmp_eq_u32 s3, 2
	s_cbranch_scc0 .LBB11_7
; %bb.4:
	s_waitcnt vmcnt(7)
	v_cmp_le_u16_sdwa s[0:1], v16, v17 src0_sel:BYTE_0 src1_sel:BYTE_0
	s_mov_b64 s[6:7], 0
	s_branch .LBB11_8
.LBB11_5:
                                        ; implicit-def: $sgpr0_sgpr1
	s_mov_b64 s[6:7], 0
	s_cbranch_execnz .LBB11_11
	s_branch .LBB11_12
.LBB11_6:
	s_mov_b64 s[6:7], 0
                                        ; implicit-def: $sgpr0_sgpr1
	s_cbranch_execnz .LBB11_9
	s_branch .LBB11_10
.LBB11_7:
	s_mov_b64 s[6:7], -1
                                        ; implicit-def: $sgpr0_sgpr1
.LBB11_8:
	s_branch .LBB11_10
.LBB11_9:
	s_waitcnt vmcnt(7)
	v_cmp_gt_u16_sdwa s[14:15], v16, v17 src0_sel:BYTE_0 src1_sel:BYTE_0
	s_andn2_b64 s[0:1], s[0:1], exec
	s_and_b64 s[14:15], s[14:15], exec
	s_or_b64 s[0:1], s[0:1], s[14:15]
.LBB11_10:
	s_branch .LBB11_12
.LBB11_11:
	s_cmp_lg_u32 s3, 0
	s_mov_b64 s[4:5], -1
	s_cselect_b64 s[6:7], -1, 0
.LBB11_12:
	s_andn2_b64 vcc, exec, s[6:7]
	s_cbranch_vccz .LBB11_18
; %bb.13:
	s_andn2_b64 vcc, exec, s[4:5]
	s_cbranch_vccz .LBB11_19
.LBB11_14:
	s_cmp_lt_i32 s3, 1
	s_mov_b64 s[6:7], 0
	s_cbranch_scc1 .LBB11_20
.LBB11_15:
	s_cmp_gt_i32 s3, 1
	s_cbranch_scc0 .LBB11_21
; %bb.16:
	s_cmp_eq_u32 s3, 2
	s_cbranch_scc0 .LBB11_251
; %bb.17:
	s_waitcnt vmcnt(7)
	v_cmp_le_u16_sdwa s[4:5], v16, v17 src0_sel:BYTE_1 src1_sel:BYTE_1
	s_mov_b64 s[14:15], 0
	s_branch .LBB11_23
.LBB11_18:
	s_waitcnt vmcnt(7)
	v_cmp_lt_u16_sdwa s[6:7], v16, v17 src0_sel:BYTE_0 src1_sel:BYTE_0
	s_andn2_b64 s[0:1], s[0:1], exec
	s_and_b64 s[6:7], s[6:7], exec
	s_or_b64 s[0:1], s[0:1], s[6:7]
	s_cbranch_execnz .LBB11_14
.LBB11_19:
	s_waitcnt vmcnt(7)
	v_cmp_ge_u16_sdwa s[4:5], v16, v17 src0_sel:BYTE_0 src1_sel:BYTE_0
	s_andn2_b64 s[0:1], s[0:1], exec
	s_and_b64 s[4:5], s[4:5], exec
	s_or_b64 s[0:1], s[0:1], s[4:5]
	s_cmp_lt_i32 s3, 1
	s_mov_b64 s[6:7], 0
	s_cbranch_scc0 .LBB11_15
.LBB11_20:
                                        ; implicit-def: $sgpr4_sgpr5
	s_mov_b64 s[14:15], 0
	s_cbranch_execnz .LBB11_24
	s_branch .LBB11_25
.LBB11_21:
	s_mov_b64 s[14:15], 0
                                        ; implicit-def: $sgpr4_sgpr5
	s_cbranch_execz .LBB11_23
; %bb.22:
	s_waitcnt vmcnt(7)
	v_cmp_gt_u16_sdwa s[16:17], v16, v17 src0_sel:BYTE_1 src1_sel:BYTE_1
	s_andn2_b64 s[4:5], s[4:5], exec
	s_and_b64 s[16:17], s[16:17], exec
	s_or_b64 s[4:5], s[4:5], s[16:17]
.LBB11_23:
	s_branch .LBB11_25
.LBB11_24:
	s_cmp_lg_u32 s3, 0
	s_mov_b64 s[6:7], -1
	s_cselect_b64 s[14:15], -1, 0
.LBB11_25:
	s_andn2_b64 vcc, exec, s[14:15]
	s_cbranch_vccz .LBB11_31
; %bb.26:
	s_andn2_b64 vcc, exec, s[6:7]
	s_cbranch_vccz .LBB11_32
.LBB11_27:
	s_cmp_lt_i32 s3, 1
	s_mov_b64 s[14:15], 0
	s_cbranch_scc1 .LBB11_33
.LBB11_28:
	s_cmp_gt_i32 s3, 1
	s_cbranch_scc0 .LBB11_34
; %bb.29:
	s_cmp_eq_u32 s3, 2
	s_cbranch_scc0 .LBB11_252
; %bb.30:
	s_waitcnt vmcnt(6)
	v_cmp_le_u16_sdwa s[6:7], v14, v15 src0_sel:BYTE_0 src1_sel:BYTE_0
	s_mov_b64 s[16:17], 0
	s_branch .LBB11_36
.LBB11_31:
	s_waitcnt vmcnt(7)
	v_cmp_lt_u16_sdwa s[14:15], v16, v17 src0_sel:BYTE_1 src1_sel:BYTE_1
	s_andn2_b64 s[4:5], s[4:5], exec
	s_and_b64 s[14:15], s[14:15], exec
	s_or_b64 s[4:5], s[4:5], s[14:15]
	s_cbranch_execnz .LBB11_27
.LBB11_32:
	s_waitcnt vmcnt(7)
	v_cmp_ge_u16_sdwa s[6:7], v16, v17 src0_sel:BYTE_1 src1_sel:BYTE_1
	s_andn2_b64 s[4:5], s[4:5], exec
	s_and_b64 s[6:7], s[6:7], exec
	s_or_b64 s[4:5], s[4:5], s[6:7]
	s_cmp_lt_i32 s3, 1
	s_mov_b64 s[14:15], 0
	s_cbranch_scc0 .LBB11_28
.LBB11_33:
                                        ; implicit-def: $sgpr6_sgpr7
	s_mov_b64 s[16:17], 0
	s_cbranch_execnz .LBB11_37
	s_branch .LBB11_38
.LBB11_34:
	s_mov_b64 s[16:17], 0
                                        ; implicit-def: $sgpr6_sgpr7
	s_cbranch_execz .LBB11_36
; %bb.35:
	s_waitcnt vmcnt(6)
	v_cmp_gt_u16_sdwa s[18:19], v14, v15 src0_sel:BYTE_0 src1_sel:BYTE_0
	s_andn2_b64 s[6:7], s[6:7], exec
	s_and_b64 s[18:19], s[18:19], exec
	s_or_b64 s[6:7], s[6:7], s[18:19]
.LBB11_36:
	s_branch .LBB11_38
.LBB11_37:
	s_cmp_lg_u32 s3, 0
	s_mov_b64 s[14:15], -1
	s_cselect_b64 s[16:17], -1, 0
.LBB11_38:
	s_andn2_b64 vcc, exec, s[16:17]
	s_cbranch_vccz .LBB11_44
; %bb.39:
	s_andn2_b64 vcc, exec, s[14:15]
	s_cbranch_vccz .LBB11_45
.LBB11_40:
	s_cmp_lt_i32 s3, 1
	s_mov_b64 s[16:17], 0
	s_cbranch_scc1 .LBB11_46
.LBB11_41:
	s_cmp_gt_i32 s3, 1
	s_cbranch_scc0 .LBB11_47
; %bb.42:
	s_cmp_eq_u32 s3, 2
	s_cbranch_scc0 .LBB11_253
; %bb.43:
	s_waitcnt vmcnt(6)
	v_cmp_le_u16_sdwa s[14:15], v14, v15 src0_sel:BYTE_1 src1_sel:BYTE_1
	s_mov_b64 s[18:19], 0
	s_branch .LBB11_49
.LBB11_44:
	s_waitcnt vmcnt(6)
	v_cmp_lt_u16_sdwa s[16:17], v14, v15 src0_sel:BYTE_0 src1_sel:BYTE_0
	s_andn2_b64 s[6:7], s[6:7], exec
	s_and_b64 s[16:17], s[16:17], exec
	s_or_b64 s[6:7], s[6:7], s[16:17]
	s_cbranch_execnz .LBB11_40
.LBB11_45:
	s_waitcnt vmcnt(6)
	v_cmp_ge_u16_sdwa s[14:15], v14, v15 src0_sel:BYTE_0 src1_sel:BYTE_0
	s_andn2_b64 s[6:7], s[6:7], exec
	s_and_b64 s[14:15], s[14:15], exec
	s_or_b64 s[6:7], s[6:7], s[14:15]
	s_cmp_lt_i32 s3, 1
	s_mov_b64 s[16:17], 0
	s_cbranch_scc0 .LBB11_41
.LBB11_46:
                                        ; implicit-def: $sgpr14_sgpr15
	s_mov_b64 s[18:19], 0
	s_cbranch_execnz .LBB11_50
	s_branch .LBB11_51
.LBB11_47:
	s_mov_b64 s[18:19], 0
                                        ; implicit-def: $sgpr14_sgpr15
	s_cbranch_execz .LBB11_49
; %bb.48:
	s_waitcnt vmcnt(6)
	v_cmp_gt_u16_sdwa s[20:21], v14, v15 src0_sel:BYTE_1 src1_sel:BYTE_1
	s_andn2_b64 s[14:15], s[14:15], exec
	s_and_b64 s[20:21], s[20:21], exec
	s_or_b64 s[14:15], s[14:15], s[20:21]
.LBB11_49:
	s_branch .LBB11_51
.LBB11_50:
	s_cmp_lg_u32 s3, 0
	s_mov_b64 s[16:17], -1
	s_cselect_b64 s[18:19], -1, 0
.LBB11_51:
	s_andn2_b64 vcc, exec, s[18:19]
	s_cbranch_vccz .LBB11_57
; %bb.52:
	s_andn2_b64 vcc, exec, s[16:17]
	s_cbranch_vccz .LBB11_58
.LBB11_53:
	s_cmp_lt_i32 s3, 1
	s_mov_b64 s[18:19], 0
	s_cbranch_scc1 .LBB11_59
.LBB11_54:
	s_cmp_gt_i32 s3, 1
	s_cbranch_scc0 .LBB11_60
; %bb.55:
	s_cmp_eq_u32 s3, 2
	s_cbranch_scc0 .LBB11_254
; %bb.56:
	s_waitcnt vmcnt(5)
	v_cmp_le_u16_sdwa s[16:17], v12, v13 src0_sel:BYTE_0 src1_sel:BYTE_0
	s_mov_b64 s[20:21], 0
	s_branch .LBB11_62
.LBB11_57:
	s_waitcnt vmcnt(6)
	v_cmp_lt_u16_sdwa s[18:19], v14, v15 src0_sel:BYTE_1 src1_sel:BYTE_1
	s_andn2_b64 s[14:15], s[14:15], exec
	s_and_b64 s[18:19], s[18:19], exec
	s_or_b64 s[14:15], s[14:15], s[18:19]
	s_cbranch_execnz .LBB11_53
.LBB11_58:
	s_waitcnt vmcnt(6)
	v_cmp_ge_u16_sdwa s[16:17], v14, v15 src0_sel:BYTE_1 src1_sel:BYTE_1
	s_andn2_b64 s[14:15], s[14:15], exec
	s_and_b64 s[16:17], s[16:17], exec
	s_or_b64 s[14:15], s[14:15], s[16:17]
	s_cmp_lt_i32 s3, 1
	s_mov_b64 s[18:19], 0
	s_cbranch_scc0 .LBB11_54
.LBB11_59:
                                        ; implicit-def: $sgpr16_sgpr17
	s_mov_b64 s[20:21], 0
	s_cbranch_execnz .LBB11_63
	s_branch .LBB11_64
.LBB11_60:
	s_mov_b64 s[20:21], 0
                                        ; implicit-def: $sgpr16_sgpr17
	s_cbranch_execz .LBB11_62
; %bb.61:
	s_waitcnt vmcnt(5)
	v_cmp_gt_u16_sdwa s[22:23], v12, v13 src0_sel:BYTE_0 src1_sel:BYTE_0
	s_andn2_b64 s[16:17], s[16:17], exec
	s_and_b64 s[22:23], s[22:23], exec
	s_or_b64 s[16:17], s[16:17], s[22:23]
.LBB11_62:
	s_branch .LBB11_64
.LBB11_63:
	s_cmp_lg_u32 s3, 0
	s_mov_b64 s[18:19], -1
	s_cselect_b64 s[20:21], -1, 0
.LBB11_64:
	s_andn2_b64 vcc, exec, s[20:21]
	s_cbranch_vccz .LBB11_70
; %bb.65:
	s_andn2_b64 vcc, exec, s[18:19]
	s_cbranch_vccz .LBB11_71
.LBB11_66:
	s_cmp_lt_i32 s3, 1
	s_mov_b64 s[20:21], 0
	s_cbranch_scc1 .LBB11_72
.LBB11_67:
	s_cmp_gt_i32 s3, 1
	s_cbranch_scc0 .LBB11_73
; %bb.68:
	s_cmp_eq_u32 s3, 2
	s_cbranch_scc0 .LBB11_255
; %bb.69:
	s_waitcnt vmcnt(5)
	v_cmp_le_u16_sdwa s[18:19], v12, v13 src0_sel:BYTE_1 src1_sel:BYTE_1
	s_mov_b64 s[22:23], 0
	s_branch .LBB11_75
.LBB11_70:
	s_waitcnt vmcnt(5)
	v_cmp_lt_u16_sdwa s[20:21], v12, v13 src0_sel:BYTE_0 src1_sel:BYTE_0
	s_andn2_b64 s[16:17], s[16:17], exec
	s_and_b64 s[20:21], s[20:21], exec
	s_or_b64 s[16:17], s[16:17], s[20:21]
	s_cbranch_execnz .LBB11_66
.LBB11_71:
	s_waitcnt vmcnt(5)
	v_cmp_ge_u16_sdwa s[18:19], v12, v13 src0_sel:BYTE_0 src1_sel:BYTE_0
	s_andn2_b64 s[16:17], s[16:17], exec
	s_and_b64 s[18:19], s[18:19], exec
	s_or_b64 s[16:17], s[16:17], s[18:19]
	s_cmp_lt_i32 s3, 1
	s_mov_b64 s[20:21], 0
	s_cbranch_scc0 .LBB11_67
.LBB11_72:
                                        ; implicit-def: $sgpr18_sgpr19
	s_mov_b64 s[22:23], 0
	s_cbranch_execnz .LBB11_76
	s_branch .LBB11_77
.LBB11_73:
	s_mov_b64 s[22:23], 0
                                        ; implicit-def: $sgpr18_sgpr19
	s_cbranch_execz .LBB11_75
; %bb.74:
	s_waitcnt vmcnt(5)
	v_cmp_gt_u16_sdwa s[24:25], v12, v13 src0_sel:BYTE_1 src1_sel:BYTE_1
	s_andn2_b64 s[18:19], s[18:19], exec
	s_and_b64 s[24:25], s[24:25], exec
	s_or_b64 s[18:19], s[18:19], s[24:25]
.LBB11_75:
	s_branch .LBB11_77
.LBB11_76:
	s_cmp_lg_u32 s3, 0
	s_mov_b64 s[20:21], -1
	s_cselect_b64 s[22:23], -1, 0
.LBB11_77:
	s_andn2_b64 vcc, exec, s[22:23]
	s_cbranch_vccz .LBB11_83
; %bb.78:
	s_andn2_b64 vcc, exec, s[20:21]
	s_cbranch_vccz .LBB11_84
.LBB11_79:
	s_cmp_lt_i32 s3, 1
	s_mov_b64 s[22:23], 0
	s_cbranch_scc1 .LBB11_85
.LBB11_80:
	s_cmp_gt_i32 s3, 1
	s_cbranch_scc0 .LBB11_86
; %bb.81:
	s_cmp_eq_u32 s3, 2
	s_cbranch_scc0 .LBB11_256
; %bb.82:
	s_waitcnt vmcnt(4)
	v_cmp_le_u16_sdwa s[20:21], v10, v11 src0_sel:BYTE_0 src1_sel:BYTE_0
	s_mov_b64 s[24:25], 0
	s_branch .LBB11_88
.LBB11_83:
	s_waitcnt vmcnt(5)
	v_cmp_lt_u16_sdwa s[22:23], v12, v13 src0_sel:BYTE_1 src1_sel:BYTE_1
	s_andn2_b64 s[18:19], s[18:19], exec
	s_and_b64 s[22:23], s[22:23], exec
	s_or_b64 s[18:19], s[18:19], s[22:23]
	s_cbranch_execnz .LBB11_79
.LBB11_84:
	s_waitcnt vmcnt(5)
	v_cmp_ge_u16_sdwa s[20:21], v12, v13 src0_sel:BYTE_1 src1_sel:BYTE_1
	s_andn2_b64 s[18:19], s[18:19], exec
	s_and_b64 s[20:21], s[20:21], exec
	s_or_b64 s[18:19], s[18:19], s[20:21]
	s_cmp_lt_i32 s3, 1
	s_mov_b64 s[22:23], 0
	s_cbranch_scc0 .LBB11_80
.LBB11_85:
                                        ; implicit-def: $sgpr20_sgpr21
	s_mov_b64 s[24:25], 0
	s_cbranch_execnz .LBB11_89
	s_branch .LBB11_90
.LBB11_86:
	s_mov_b64 s[24:25], 0
                                        ; implicit-def: $sgpr20_sgpr21
	s_cbranch_execz .LBB11_88
; %bb.87:
	s_waitcnt vmcnt(4)
	v_cmp_gt_u16_sdwa s[26:27], v10, v11 src0_sel:BYTE_0 src1_sel:BYTE_0
	s_andn2_b64 s[20:21], s[20:21], exec
	s_and_b64 s[26:27], s[26:27], exec
	s_or_b64 s[20:21], s[20:21], s[26:27]
.LBB11_88:
	s_branch .LBB11_90
.LBB11_89:
	s_cmp_lg_u32 s3, 0
	s_mov_b64 s[22:23], -1
	s_cselect_b64 s[24:25], -1, 0
.LBB11_90:
	s_andn2_b64 vcc, exec, s[24:25]
	s_cbranch_vccz .LBB11_96
; %bb.91:
	s_andn2_b64 vcc, exec, s[22:23]
	s_cbranch_vccz .LBB11_97
.LBB11_92:
	s_cmp_lt_i32 s3, 1
	s_mov_b64 s[24:25], 0
	s_cbranch_scc1 .LBB11_98
.LBB11_93:
	s_cmp_gt_i32 s3, 1
	s_cbranch_scc0 .LBB11_99
; %bb.94:
	s_cmp_eq_u32 s3, 2
	s_cbranch_scc0 .LBB11_257
; %bb.95:
	s_waitcnt vmcnt(4)
	v_cmp_le_u16_sdwa s[22:23], v10, v11 src0_sel:BYTE_1 src1_sel:BYTE_1
	s_mov_b64 s[26:27], 0
	s_branch .LBB11_101
.LBB11_96:
	s_waitcnt vmcnt(4)
	v_cmp_lt_u16_sdwa s[24:25], v10, v11 src0_sel:BYTE_0 src1_sel:BYTE_0
	s_andn2_b64 s[20:21], s[20:21], exec
	s_and_b64 s[24:25], s[24:25], exec
	s_or_b64 s[20:21], s[20:21], s[24:25]
	s_cbranch_execnz .LBB11_92
.LBB11_97:
	s_waitcnt vmcnt(4)
	v_cmp_ge_u16_sdwa s[22:23], v10, v11 src0_sel:BYTE_0 src1_sel:BYTE_0
	s_andn2_b64 s[20:21], s[20:21], exec
	s_and_b64 s[22:23], s[22:23], exec
	s_or_b64 s[20:21], s[20:21], s[22:23]
	s_cmp_lt_i32 s3, 1
	s_mov_b64 s[24:25], 0
	s_cbranch_scc0 .LBB11_93
.LBB11_98:
                                        ; implicit-def: $sgpr22_sgpr23
	s_mov_b64 s[26:27], 0
	s_cbranch_execnz .LBB11_102
	s_branch .LBB11_103
.LBB11_99:
	s_mov_b64 s[26:27], 0
                                        ; implicit-def: $sgpr22_sgpr23
	s_cbranch_execz .LBB11_101
; %bb.100:
	s_waitcnt vmcnt(4)
	v_cmp_gt_u16_sdwa s[28:29], v10, v11 src0_sel:BYTE_1 src1_sel:BYTE_1
	s_andn2_b64 s[22:23], s[22:23], exec
	s_and_b64 s[28:29], s[28:29], exec
	s_or_b64 s[22:23], s[22:23], s[28:29]
.LBB11_101:
	s_branch .LBB11_103
.LBB11_102:
	s_cmp_lg_u32 s3, 0
	s_mov_b64 s[24:25], -1
	s_cselect_b64 s[26:27], -1, 0
.LBB11_103:
	s_andn2_b64 vcc, exec, s[26:27]
	s_cbranch_vccz .LBB11_109
; %bb.104:
	s_andn2_b64 vcc, exec, s[24:25]
	s_cbranch_vccz .LBB11_110
.LBB11_105:
	s_cmp_lt_i32 s3, 1
	s_mov_b64 s[26:27], 0
	s_cbranch_scc1 .LBB11_111
.LBB11_106:
	s_cmp_gt_i32 s3, 1
	s_cbranch_scc0 .LBB11_112
; %bb.107:
	s_cmp_eq_u32 s3, 2
	s_cbranch_scc0 .LBB11_258
; %bb.108:
	s_waitcnt vmcnt(3)
	v_cmp_le_u16_sdwa s[24:25], v8, v9 src0_sel:BYTE_0 src1_sel:BYTE_0
	s_mov_b64 s[28:29], 0
	s_branch .LBB11_114
.LBB11_109:
	s_waitcnt vmcnt(4)
	v_cmp_lt_u16_sdwa s[26:27], v10, v11 src0_sel:BYTE_1 src1_sel:BYTE_1
	s_andn2_b64 s[22:23], s[22:23], exec
	s_and_b64 s[26:27], s[26:27], exec
	s_or_b64 s[22:23], s[22:23], s[26:27]
	s_cbranch_execnz .LBB11_105
.LBB11_110:
	s_waitcnt vmcnt(4)
	v_cmp_ge_u16_sdwa s[24:25], v10, v11 src0_sel:BYTE_1 src1_sel:BYTE_1
	s_andn2_b64 s[22:23], s[22:23], exec
	s_and_b64 s[24:25], s[24:25], exec
	s_or_b64 s[22:23], s[22:23], s[24:25]
	s_cmp_lt_i32 s3, 1
	s_mov_b64 s[26:27], 0
	s_cbranch_scc0 .LBB11_106
.LBB11_111:
                                        ; implicit-def: $sgpr24_sgpr25
	s_mov_b64 s[28:29], 0
	s_cbranch_execnz .LBB11_115
	s_branch .LBB11_116
.LBB11_112:
	s_mov_b64 s[28:29], 0
                                        ; implicit-def: $sgpr24_sgpr25
	s_cbranch_execz .LBB11_114
; %bb.113:
	s_waitcnt vmcnt(3)
	v_cmp_gt_u16_sdwa s[30:31], v8, v9 src0_sel:BYTE_0 src1_sel:BYTE_0
	s_andn2_b64 s[24:25], s[24:25], exec
	s_and_b64 s[30:31], s[30:31], exec
	s_or_b64 s[24:25], s[24:25], s[30:31]
.LBB11_114:
	s_branch .LBB11_116
.LBB11_115:
	s_cmp_lg_u32 s3, 0
	s_mov_b64 s[26:27], -1
	s_cselect_b64 s[28:29], -1, 0
.LBB11_116:
	s_andn2_b64 vcc, exec, s[28:29]
	s_cbranch_vccz .LBB11_122
; %bb.117:
	s_andn2_b64 vcc, exec, s[26:27]
	s_cbranch_vccz .LBB11_123
.LBB11_118:
	s_cmp_lt_i32 s3, 1
	s_mov_b64 s[28:29], 0
	s_cbranch_scc1 .LBB11_124
.LBB11_119:
	s_cmp_gt_i32 s3, 1
	s_cbranch_scc0 .LBB11_125
; %bb.120:
	s_cmp_eq_u32 s3, 2
	s_cbranch_scc0 .LBB11_259
; %bb.121:
	s_waitcnt vmcnt(3)
	v_cmp_le_u16_sdwa s[26:27], v8, v9 src0_sel:BYTE_1 src1_sel:BYTE_1
	s_mov_b64 s[30:31], 0
	s_branch .LBB11_127
.LBB11_122:
	s_waitcnt vmcnt(3)
	v_cmp_lt_u16_sdwa s[28:29], v8, v9 src0_sel:BYTE_0 src1_sel:BYTE_0
	s_andn2_b64 s[24:25], s[24:25], exec
	s_and_b64 s[28:29], s[28:29], exec
	s_or_b64 s[24:25], s[24:25], s[28:29]
	s_cbranch_execnz .LBB11_118
.LBB11_123:
	s_waitcnt vmcnt(3)
	v_cmp_ge_u16_sdwa s[26:27], v8, v9 src0_sel:BYTE_0 src1_sel:BYTE_0
	s_andn2_b64 s[24:25], s[24:25], exec
	s_and_b64 s[26:27], s[26:27], exec
	s_or_b64 s[24:25], s[24:25], s[26:27]
	s_cmp_lt_i32 s3, 1
	s_mov_b64 s[28:29], 0
	s_cbranch_scc0 .LBB11_119
.LBB11_124:
                                        ; implicit-def: $sgpr26_sgpr27
	s_mov_b64 s[30:31], 0
	s_cbranch_execnz .LBB11_128
	s_branch .LBB11_129
.LBB11_125:
	s_mov_b64 s[30:31], 0
                                        ; implicit-def: $sgpr26_sgpr27
	s_cbranch_execz .LBB11_127
; %bb.126:
	s_waitcnt vmcnt(3)
	v_cmp_gt_u16_sdwa s[34:35], v8, v9 src0_sel:BYTE_1 src1_sel:BYTE_1
	s_andn2_b64 s[26:27], s[26:27], exec
	s_and_b64 s[34:35], s[34:35], exec
	s_or_b64 s[26:27], s[26:27], s[34:35]
.LBB11_127:
	s_branch .LBB11_129
.LBB11_128:
	s_cmp_lg_u32 s3, 0
	s_mov_b64 s[28:29], -1
	s_cselect_b64 s[30:31], -1, 0
.LBB11_129:
	s_andn2_b64 vcc, exec, s[30:31]
	s_cbranch_vccz .LBB11_135
; %bb.130:
	s_andn2_b64 vcc, exec, s[28:29]
	s_cbranch_vccz .LBB11_136
.LBB11_131:
	s_cmp_lt_i32 s3, 1
	s_mov_b64 s[30:31], 0
	s_cbranch_scc1 .LBB11_137
.LBB11_132:
	s_cmp_gt_i32 s3, 1
	s_cbranch_scc0 .LBB11_138
; %bb.133:
	s_cmp_eq_u32 s3, 2
	s_cbranch_scc0 .LBB11_260
; %bb.134:
	s_waitcnt vmcnt(2)
	v_cmp_le_u16_sdwa s[28:29], v6, v7 src0_sel:BYTE_0 src1_sel:BYTE_0
	s_mov_b64 s[34:35], 0
	s_branch .LBB11_140
.LBB11_135:
	s_waitcnt vmcnt(3)
	v_cmp_lt_u16_sdwa s[30:31], v8, v9 src0_sel:BYTE_1 src1_sel:BYTE_1
	s_andn2_b64 s[26:27], s[26:27], exec
	s_and_b64 s[30:31], s[30:31], exec
	s_or_b64 s[26:27], s[26:27], s[30:31]
	s_cbranch_execnz .LBB11_131
.LBB11_136:
	s_waitcnt vmcnt(3)
	v_cmp_ge_u16_sdwa s[28:29], v8, v9 src0_sel:BYTE_1 src1_sel:BYTE_1
	s_andn2_b64 s[26:27], s[26:27], exec
	s_and_b64 s[28:29], s[28:29], exec
	s_or_b64 s[26:27], s[26:27], s[28:29]
	s_cmp_lt_i32 s3, 1
	s_mov_b64 s[30:31], 0
	s_cbranch_scc0 .LBB11_132
.LBB11_137:
                                        ; implicit-def: $sgpr28_sgpr29
	s_mov_b64 s[34:35], 0
	s_cbranch_execnz .LBB11_141
	s_branch .LBB11_142
.LBB11_138:
	s_mov_b64 s[34:35], 0
                                        ; implicit-def: $sgpr28_sgpr29
	s_cbranch_execz .LBB11_140
; %bb.139:
	s_waitcnt vmcnt(2)
	v_cmp_gt_u16_sdwa s[36:37], v6, v7 src0_sel:BYTE_0 src1_sel:BYTE_0
	s_andn2_b64 s[28:29], s[28:29], exec
	s_and_b64 s[36:37], s[36:37], exec
	s_or_b64 s[28:29], s[28:29], s[36:37]
.LBB11_140:
	s_branch .LBB11_142
.LBB11_141:
	s_cmp_lg_u32 s3, 0
	s_mov_b64 s[30:31], -1
	s_cselect_b64 s[34:35], -1, 0
.LBB11_142:
	s_andn2_b64 vcc, exec, s[34:35]
	s_cbranch_vccz .LBB11_148
; %bb.143:
	s_andn2_b64 vcc, exec, s[30:31]
	s_cbranch_vccz .LBB11_149
.LBB11_144:
	s_cmp_lt_i32 s3, 1
	s_mov_b64 s[34:35], 0
	s_cbranch_scc1 .LBB11_150
.LBB11_145:
	s_cmp_gt_i32 s3, 1
	s_cbranch_scc0 .LBB11_151
; %bb.146:
	s_cmp_eq_u32 s3, 2
	s_cbranch_scc0 .LBB11_261
; %bb.147:
	s_waitcnt vmcnt(2)
	v_cmp_le_u16_sdwa s[30:31], v6, v7 src0_sel:BYTE_1 src1_sel:BYTE_1
	s_mov_b64 s[36:37], 0
	s_branch .LBB11_153
.LBB11_148:
	s_waitcnt vmcnt(2)
	v_cmp_lt_u16_sdwa s[34:35], v6, v7 src0_sel:BYTE_0 src1_sel:BYTE_0
	s_andn2_b64 s[28:29], s[28:29], exec
	s_and_b64 s[34:35], s[34:35], exec
	s_or_b64 s[28:29], s[28:29], s[34:35]
	s_cbranch_execnz .LBB11_144
.LBB11_149:
	s_waitcnt vmcnt(2)
	v_cmp_ge_u16_sdwa s[30:31], v6, v7 src0_sel:BYTE_0 src1_sel:BYTE_0
	s_andn2_b64 s[28:29], s[28:29], exec
	s_and_b64 s[30:31], s[30:31], exec
	s_or_b64 s[28:29], s[28:29], s[30:31]
	s_cmp_lt_i32 s3, 1
	s_mov_b64 s[34:35], 0
	s_cbranch_scc0 .LBB11_145
.LBB11_150:
                                        ; implicit-def: $sgpr30_sgpr31
	s_mov_b64 s[36:37], 0
	s_cbranch_execnz .LBB11_154
	s_branch .LBB11_155
.LBB11_151:
	s_mov_b64 s[36:37], 0
                                        ; implicit-def: $sgpr30_sgpr31
	s_cbranch_execz .LBB11_153
; %bb.152:
	s_waitcnt vmcnt(2)
	v_cmp_gt_u16_sdwa s[38:39], v6, v7 src0_sel:BYTE_1 src1_sel:BYTE_1
	s_andn2_b64 s[30:31], s[30:31], exec
	s_and_b64 s[38:39], s[38:39], exec
	s_or_b64 s[30:31], s[30:31], s[38:39]
.LBB11_153:
	s_branch .LBB11_155
.LBB11_154:
	s_cmp_lg_u32 s3, 0
	s_mov_b64 s[34:35], -1
	s_cselect_b64 s[36:37], -1, 0
.LBB11_155:
	s_andn2_b64 vcc, exec, s[36:37]
	s_cbranch_vccz .LBB11_161
; %bb.156:
	s_andn2_b64 vcc, exec, s[34:35]
	s_cbranch_vccz .LBB11_162
.LBB11_157:
	s_cmp_lt_i32 s3, 1
	s_mov_b64 s[36:37], 0
	s_cbranch_scc1 .LBB11_163
.LBB11_158:
	s_cmp_gt_i32 s3, 1
	s_cbranch_scc0 .LBB11_164
; %bb.159:
	s_cmp_eq_u32 s3, 2
	s_cbranch_scc0 .LBB11_262
; %bb.160:
	s_waitcnt vmcnt(1)
	v_cmp_le_u16_sdwa s[34:35], v4, v5 src0_sel:BYTE_0 src1_sel:BYTE_0
	s_mov_b64 s[38:39], 0
	s_branch .LBB11_166
.LBB11_161:
	s_waitcnt vmcnt(2)
	v_cmp_lt_u16_sdwa s[36:37], v6, v7 src0_sel:BYTE_1 src1_sel:BYTE_1
	s_andn2_b64 s[30:31], s[30:31], exec
	s_and_b64 s[36:37], s[36:37], exec
	s_or_b64 s[30:31], s[30:31], s[36:37]
	s_cbranch_execnz .LBB11_157
.LBB11_162:
	s_waitcnt vmcnt(2)
	v_cmp_ge_u16_sdwa s[34:35], v6, v7 src0_sel:BYTE_1 src1_sel:BYTE_1
	s_andn2_b64 s[30:31], s[30:31], exec
	s_and_b64 s[34:35], s[34:35], exec
	s_or_b64 s[30:31], s[30:31], s[34:35]
	s_cmp_lt_i32 s3, 1
	s_mov_b64 s[36:37], 0
	s_cbranch_scc0 .LBB11_158
.LBB11_163:
                                        ; implicit-def: $sgpr34_sgpr35
	s_mov_b64 s[38:39], 0
	s_cbranch_execnz .LBB11_167
	s_branch .LBB11_168
.LBB11_164:
	s_mov_b64 s[38:39], 0
                                        ; implicit-def: $sgpr34_sgpr35
	s_cbranch_execz .LBB11_166
; %bb.165:
	s_waitcnt vmcnt(1)
	v_cmp_gt_u16_sdwa s[40:41], v4, v5 src0_sel:BYTE_0 src1_sel:BYTE_0
	s_andn2_b64 s[34:35], s[34:35], exec
	s_and_b64 s[40:41], s[40:41], exec
	s_or_b64 s[34:35], s[34:35], s[40:41]
.LBB11_166:
	s_branch .LBB11_168
.LBB11_167:
	s_cmp_lg_u32 s3, 0
	s_mov_b64 s[36:37], -1
	s_cselect_b64 s[38:39], -1, 0
.LBB11_168:
	s_andn2_b64 vcc, exec, s[38:39]
	s_cbranch_vccz .LBB11_174
; %bb.169:
	s_andn2_b64 vcc, exec, s[36:37]
	s_cbranch_vccz .LBB11_175
.LBB11_170:
	s_cmp_lt_i32 s3, 1
	s_mov_b64 s[38:39], 0
	s_cbranch_scc1 .LBB11_176
.LBB11_171:
	s_cmp_gt_i32 s3, 1
	s_cbranch_scc0 .LBB11_177
; %bb.172:
	s_cmp_eq_u32 s3, 2
	s_cbranch_scc0 .LBB11_263
; %bb.173:
	s_waitcnt vmcnt(1)
	v_cmp_le_u16_sdwa s[36:37], v4, v5 src0_sel:BYTE_1 src1_sel:BYTE_1
	s_mov_b64 s[40:41], 0
	s_branch .LBB11_179
.LBB11_174:
	s_waitcnt vmcnt(1)
	v_cmp_lt_u16_sdwa s[38:39], v4, v5 src0_sel:BYTE_0 src1_sel:BYTE_0
	s_andn2_b64 s[34:35], s[34:35], exec
	s_and_b64 s[38:39], s[38:39], exec
	s_or_b64 s[34:35], s[34:35], s[38:39]
	s_cbranch_execnz .LBB11_170
.LBB11_175:
	s_waitcnt vmcnt(1)
	v_cmp_ge_u16_sdwa s[36:37], v4, v5 src0_sel:BYTE_0 src1_sel:BYTE_0
	s_andn2_b64 s[34:35], s[34:35], exec
	s_and_b64 s[36:37], s[36:37], exec
	s_or_b64 s[34:35], s[34:35], s[36:37]
	s_cmp_lt_i32 s3, 1
	s_mov_b64 s[38:39], 0
	s_cbranch_scc0 .LBB11_171
.LBB11_176:
                                        ; implicit-def: $sgpr36_sgpr37
	s_mov_b64 s[40:41], 0
	s_cbranch_execnz .LBB11_180
	s_branch .LBB11_181
.LBB11_177:
	s_mov_b64 s[40:41], 0
                                        ; implicit-def: $sgpr36_sgpr37
	s_cbranch_execz .LBB11_179
; %bb.178:
	s_waitcnt vmcnt(1)
	v_cmp_gt_u16_sdwa s[42:43], v4, v5 src0_sel:BYTE_1 src1_sel:BYTE_1
	s_andn2_b64 s[36:37], s[36:37], exec
	s_and_b64 s[42:43], s[42:43], exec
	s_or_b64 s[36:37], s[36:37], s[42:43]
.LBB11_179:
	s_branch .LBB11_181
.LBB11_180:
	s_cmp_lg_u32 s3, 0
	s_mov_b64 s[38:39], -1
	s_cselect_b64 s[40:41], -1, 0
.LBB11_181:
	s_andn2_b64 vcc, exec, s[40:41]
	s_cbranch_vccz .LBB11_187
; %bb.182:
	s_andn2_b64 vcc, exec, s[38:39]
	s_cbranch_vccz .LBB11_188
.LBB11_183:
	s_cmp_lt_i32 s3, 1
	s_mov_b64 s[40:41], 0
	s_cbranch_scc1 .LBB11_189
.LBB11_184:
	s_cmp_gt_i32 s3, 1
	s_cbranch_scc0 .LBB11_190
; %bb.185:
	s_cmp_eq_u32 s3, 2
	s_cbranch_scc0 .LBB11_264
; %bb.186:
	s_waitcnt vmcnt(0)
	v_cmp_le_u16_sdwa s[38:39], v2, v3 src0_sel:BYTE_0 src1_sel:BYTE_0
	s_mov_b64 s[42:43], 0
	s_branch .LBB11_192
.LBB11_187:
	s_waitcnt vmcnt(1)
	v_cmp_lt_u16_sdwa s[40:41], v4, v5 src0_sel:BYTE_1 src1_sel:BYTE_1
	s_andn2_b64 s[36:37], s[36:37], exec
	s_and_b64 s[40:41], s[40:41], exec
	s_or_b64 s[36:37], s[36:37], s[40:41]
	s_cbranch_execnz .LBB11_183
.LBB11_188:
	s_waitcnt vmcnt(1)
	v_cmp_ge_u16_sdwa s[38:39], v4, v5 src0_sel:BYTE_1 src1_sel:BYTE_1
	s_andn2_b64 s[36:37], s[36:37], exec
	s_and_b64 s[38:39], s[38:39], exec
	s_or_b64 s[36:37], s[36:37], s[38:39]
	s_cmp_lt_i32 s3, 1
	s_mov_b64 s[40:41], 0
	s_cbranch_scc0 .LBB11_184
.LBB11_189:
                                        ; implicit-def: $sgpr38_sgpr39
	s_mov_b64 s[42:43], 0
	s_cbranch_execnz .LBB11_193
	s_branch .LBB11_194
.LBB11_190:
	s_mov_b64 s[42:43], 0
                                        ; implicit-def: $sgpr38_sgpr39
	s_cbranch_execz .LBB11_192
; %bb.191:
	s_waitcnt vmcnt(0)
	v_cmp_gt_u16_sdwa s[44:45], v2, v3 src0_sel:BYTE_0 src1_sel:BYTE_0
	s_andn2_b64 s[38:39], s[38:39], exec
	s_and_b64 s[44:45], s[44:45], exec
	s_or_b64 s[38:39], s[38:39], s[44:45]
.LBB11_192:
	s_branch .LBB11_194
.LBB11_193:
	s_cmp_lg_u32 s3, 0
	s_mov_b64 s[40:41], -1
	s_cselect_b64 s[42:43], -1, 0
.LBB11_194:
	s_andn2_b64 vcc, exec, s[42:43]
	s_cbranch_vccz .LBB11_200
; %bb.195:
	s_andn2_b64 vcc, exec, s[40:41]
	s_cbranch_vccz .LBB11_201
.LBB11_196:
	s_cmp_lt_i32 s3, 1
	s_mov_b64 s[42:43], 0
	s_cbranch_scc1 .LBB11_202
.LBB11_197:
	s_cmp_gt_i32 s3, 1
	s_cbranch_scc0 .LBB11_203
; %bb.198:
	s_cmp_eq_u32 s3, 2
	s_cbranch_scc0 .LBB11_265
; %bb.199:
	s_waitcnt vmcnt(0)
	v_cmp_le_u16_sdwa s[40:41], v2, v3 src0_sel:BYTE_1 src1_sel:BYTE_1
	s_mov_b64 s[44:45], 0
	s_branch .LBB11_205
.LBB11_200:
	s_waitcnt vmcnt(0)
	v_cmp_lt_u16_sdwa s[42:43], v2, v3 src0_sel:BYTE_0 src1_sel:BYTE_0
	s_andn2_b64 s[38:39], s[38:39], exec
	s_and_b64 s[42:43], s[42:43], exec
	s_or_b64 s[38:39], s[38:39], s[42:43]
	s_cbranch_execnz .LBB11_196
.LBB11_201:
	s_waitcnt vmcnt(0)
	v_cmp_ge_u16_sdwa s[40:41], v2, v3 src0_sel:BYTE_0 src1_sel:BYTE_0
	s_andn2_b64 s[38:39], s[38:39], exec
	s_and_b64 s[40:41], s[40:41], exec
	s_or_b64 s[38:39], s[38:39], s[40:41]
	s_cmp_lt_i32 s3, 1
	s_mov_b64 s[42:43], 0
	s_cbranch_scc0 .LBB11_197
.LBB11_202:
                                        ; implicit-def: $sgpr40_sgpr41
	s_mov_b64 s[44:45], 0
	s_cbranch_execnz .LBB11_206
	s_branch .LBB11_207
.LBB11_203:
	s_mov_b64 s[44:45], 0
                                        ; implicit-def: $sgpr40_sgpr41
	s_cbranch_execz .LBB11_205
; %bb.204:
	s_waitcnt vmcnt(0)
	v_cmp_gt_u16_sdwa s[46:47], v2, v3 src0_sel:BYTE_1 src1_sel:BYTE_1
	s_andn2_b64 s[40:41], s[40:41], exec
	s_and_b64 s[46:47], s[46:47], exec
	s_or_b64 s[40:41], s[40:41], s[46:47]
.LBB11_205:
	s_branch .LBB11_207
.LBB11_206:
	s_cmp_lg_u32 s3, 0
	s_mov_b64 s[42:43], -1
	s_cselect_b64 s[44:45], -1, 0
.LBB11_207:
	s_andn2_b64 vcc, exec, s[44:45]
	s_cbranch_vccz .LBB11_249
; %bb.208:
	s_andn2_b64 vcc, exec, s[42:43]
	s_cbranch_vccnz .LBB11_210
.LBB11_209:
	s_waitcnt vmcnt(0)
	v_cmp_ge_u16_sdwa s[42:43], v2, v3 src0_sel:BYTE_1 src1_sel:BYTE_1
	s_andn2_b64 s[40:41], s[40:41], exec
	s_and_b64 s[42:43], s[42:43], exec
	s_or_b64 s[40:41], s[40:41], s[42:43]
.LBB11_210:
	s_waitcnt vmcnt(8)
	v_cndmask_b32_e64 v2, 0, 1, s[14:15]
	v_lshlrev_b16_e32 v2, 8, v2
	s_waitcnt vmcnt(0)
	v_cndmask_b32_e64 v3, 0, 1, s[6:7]
	v_or_b32_e32 v2, v3, v2
	v_cndmask_b32_e64 v3, 0, 1, s[4:5]
	v_lshlrev_b16_e32 v3, 8, v3
	v_cndmask_b32_e64 v4, 0, 1, s[0:1]
	v_or_b32_e32 v3, v4, v3
	v_cndmask_b32_e64 v4, 0, 1, s[22:23]
	v_lshlrev_b16_e32 v4, 8, v4
	;; [unrolled: 4-line block ×6, first 2 shown]
	v_cndmask_b32_e64 v9, 0, 1, s[38:39]
	v_or_b32_e32 v8, v9, v8
	v_cndmask_b32_e64 v9, 0, 1, s[36:37]
	s_add_u32 s0, s8, s33
	v_lshlrev_b16_e32 v9, 8, v9
	v_cndmask_b32_e64 v10, 0, 1, s[34:35]
	s_addc_u32 s1, s9, s48
	v_or_b32_e32 v9, v10, v9
	global_store_short v1, v3, s[0:1]
	global_store_short v1, v2, s[0:1] offset:512
	global_store_short v1, v5, s[0:1] offset:1024
	;; [unrolled: 1-line block ×7, first 2 shown]
	s_mov_b64 s[0:1], 0
.LBB11_211:
	s_and_b64 vcc, exec, s[0:1]
	s_cbranch_vccz .LBB11_519
; %bb.212:
	v_cmp_gt_i32_e64 s[0:1], s2, v0
	v_mov_b32_e32 v6, 0
	v_or_b32_e32 v5, s33, v0
	v_mov_b32_e32 v8, 0
	v_mov_b32_e32 v7, 0
	;; [unrolled: 1-line block ×32, first 2 shown]
	s_and_saveexec_b64 s[4:5], s[0:1]
	s_cbranch_execz .LBB11_244
; %bb.213:
	global_load_ubyte v37, v5, s[10:11]
	global_load_ubyte v38, v5, s[12:13]
	v_or_b32_e32 v1, 0x100, v0
	v_cmp_gt_u32_e32 vcc, s2, v1
	v_mov_b32_e32 v36, 0
	v_mov_b32_e32 v35, 0
	;; [unrolled: 1-line block ×30, first 2 shown]
	s_and_saveexec_b64 s[6:7], vcc
	s_cbranch_execz .LBB11_243
; %bb.214:
	v_add_u32_e32 v3, s33, v0
	global_load_ubyte v35, v3, s[10:11] offset:256
	global_load_ubyte v36, v3, s[12:13] offset:256
	v_or_b32_e32 v1, 0x200, v0
	v_mov_b32_e32 v33, 0
	v_cmp_gt_u32_e32 vcc, s2, v1
	v_mov_b32_e32 v34, 0
	v_mov_b32_e32 v31, 0
	;; [unrolled: 1-line block ×27, first 2 shown]
	s_and_saveexec_b64 s[14:15], vcc
	s_cbranch_execz .LBB11_242
; %bb.215:
	v_mov_b32_e32 v2, s11
	v_add_co_u32_e32 v1, vcc, s10, v3
	v_addc_co_u32_e32 v2, vcc, 0, v2, vcc
	v_mov_b32_e32 v4, s13
	v_add_co_u32_e32 v3, vcc, s12, v3
	v_addc_co_u32_e32 v4, vcc, 0, v4, vcc
	global_load_ubyte v34, v[1:2], off offset:512
	global_load_ubyte v33, v[3:4], off offset:512
	v_or_b32_e32 v7, 0x300, v0
	v_cmp_gt_u32_e32 vcc, s2, v7
	v_mov_b32_e32 v31, 0
	v_mov_b32_e32 v32, 0
	;; [unrolled: 1-line block ×26, first 2 shown]
	s_and_saveexec_b64 s[10:11], vcc
	s_cbranch_execz .LBB11_241
; %bb.216:
	global_load_ubyte v32, v[1:2], off offset:768
	global_load_ubyte v31, v[3:4], off offset:768
	v_or_b32_e32 v7, 0x400, v0
	v_cmp_gt_u32_e32 vcc, s2, v7
	v_mov_b32_e32 v29, 0
	v_mov_b32_e32 v30, 0
	;; [unrolled: 1-line block ×24, first 2 shown]
	s_and_saveexec_b64 s[12:13], vcc
	s_cbranch_execz .LBB11_240
; %bb.217:
	global_load_ubyte v30, v[1:2], off offset:1024
	global_load_ubyte v29, v[3:4], off offset:1024
	v_or_b32_e32 v7, 0x500, v0
	v_cmp_gt_u32_e32 vcc, s2, v7
	v_mov_b32_e32 v27, 0
	v_mov_b32_e32 v28, 0
	;; [unrolled: 1-line block ×22, first 2 shown]
	s_and_saveexec_b64 s[16:17], vcc
	s_cbranch_execz .LBB11_239
; %bb.218:
	global_load_ubyte v28, v[1:2], off offset:1280
	global_load_ubyte v27, v[3:4], off offset:1280
	v_or_b32_e32 v7, 0x600, v0
	v_cmp_gt_u32_e32 vcc, s2, v7
	v_mov_b32_e32 v25, 0
	v_mov_b32_e32 v26, 0
	;; [unrolled: 1-line block ×20, first 2 shown]
	s_and_saveexec_b64 s[18:19], vcc
	s_cbranch_execz .LBB11_238
; %bb.219:
	global_load_ubyte v26, v[1:2], off offset:1536
	global_load_ubyte v25, v[3:4], off offset:1536
	v_or_b32_e32 v7, 0x700, v0
	v_cmp_gt_u32_e32 vcc, s2, v7
	v_mov_b32_e32 v23, 0
	v_mov_b32_e32 v24, 0
	;; [unrolled: 1-line block ×18, first 2 shown]
	s_and_saveexec_b64 s[20:21], vcc
	s_cbranch_execz .LBB11_237
; %bb.220:
	global_load_ubyte v24, v[1:2], off offset:1792
	global_load_ubyte v23, v[3:4], off offset:1792
	v_or_b32_e32 v7, 0x800, v0
	v_cmp_gt_u32_e32 vcc, s2, v7
	v_mov_b32_e32 v21, 0
	v_mov_b32_e32 v22, 0
	;; [unrolled: 1-line block ×16, first 2 shown]
	s_and_saveexec_b64 s[22:23], vcc
	s_cbranch_execz .LBB11_236
; %bb.221:
	global_load_ubyte v22, v[1:2], off offset:2048
	global_load_ubyte v21, v[3:4], off offset:2048
	v_or_b32_e32 v7, 0x900, v0
	v_cmp_gt_u32_e32 vcc, s2, v7
	v_mov_b32_e32 v19, 0
	v_mov_b32_e32 v20, 0
	;; [unrolled: 1-line block ×14, first 2 shown]
	s_and_saveexec_b64 s[24:25], vcc
	s_cbranch_execz .LBB11_235
; %bb.222:
	global_load_ubyte v20, v[1:2], off offset:2304
	global_load_ubyte v19, v[3:4], off offset:2304
	v_or_b32_e32 v7, 0xa00, v0
	v_cmp_gt_u32_e32 vcc, s2, v7
	v_mov_b32_e32 v17, 0
	v_mov_b32_e32 v18, 0
	;; [unrolled: 1-line block ×12, first 2 shown]
	s_and_saveexec_b64 s[26:27], vcc
	s_cbranch_execz .LBB11_234
; %bb.223:
	global_load_ubyte v18, v[1:2], off offset:2560
	global_load_ubyte v17, v[3:4], off offset:2560
	v_or_b32_e32 v7, 0xb00, v0
	v_cmp_gt_u32_e32 vcc, s2, v7
	v_mov_b32_e32 v15, 0
	v_mov_b32_e32 v16, 0
	;; [unrolled: 1-line block ×10, first 2 shown]
	s_and_saveexec_b64 s[28:29], vcc
	s_cbranch_execz .LBB11_233
; %bb.224:
	global_load_ubyte v16, v[1:2], off offset:2816
	global_load_ubyte v15, v[3:4], off offset:2816
	v_or_b32_e32 v7, 0xc00, v0
	v_cmp_gt_u32_e32 vcc, s2, v7
	v_mov_b32_e32 v13, 0
	v_mov_b32_e32 v14, 0
	;; [unrolled: 1-line block ×8, first 2 shown]
	s_and_saveexec_b64 s[30:31], vcc
	s_cbranch_execz .LBB11_232
; %bb.225:
	global_load_ubyte v14, v[1:2], off offset:3072
	global_load_ubyte v13, v[3:4], off offset:3072
	v_or_b32_e32 v7, 0xd00, v0
	v_cmp_gt_u32_e32 vcc, s2, v7
	v_mov_b32_e32 v11, 0
	v_mov_b32_e32 v12, 0
	;; [unrolled: 1-line block ×6, first 2 shown]
	s_and_saveexec_b64 s[34:35], vcc
	s_cbranch_execz .LBB11_231
; %bb.226:
	global_load_ubyte v12, v[1:2], off offset:3328
	global_load_ubyte v11, v[3:4], off offset:3328
	v_or_b32_e32 v7, 0xe00, v0
	v_cmp_gt_u32_e32 vcc, s2, v7
	v_mov_b32_e32 v9, 0
	v_mov_b32_e32 v10, 0
	;; [unrolled: 1-line block ×4, first 2 shown]
	s_and_saveexec_b64 s[36:37], vcc
	s_cbranch_execz .LBB11_230
; %bb.227:
	global_load_ubyte v10, v[1:2], off offset:3584
	global_load_ubyte v9, v[3:4], off offset:3584
	v_or_b32_e32 v7, 0xf00, v0
	v_cmp_gt_u32_e32 vcc, s2, v7
	v_mov_b32_e32 v7, 0
	v_mov_b32_e32 v8, 0
	s_and_saveexec_b64 s[38:39], vcc
	s_cbranch_execz .LBB11_229
; %bb.228:
	global_load_ubyte v8, v[1:2], off offset:3840
	global_load_ubyte v7, v[3:4], off offset:3840
.LBB11_229:
	s_or_b64 exec, exec, s[38:39]
.LBB11_230:
	s_or_b64 exec, exec, s[36:37]
.LBB11_231:
	s_or_b64 exec, exec, s[34:35]
.LBB11_232:
	s_or_b64 exec, exec, s[30:31]
.LBB11_233:
	s_or_b64 exec, exec, s[28:29]
.LBB11_234:
	s_or_b64 exec, exec, s[26:27]
.LBB11_235:
	s_or_b64 exec, exec, s[24:25]
.LBB11_236:
	s_or_b64 exec, exec, s[22:23]
.LBB11_237:
	s_or_b64 exec, exec, s[20:21]
.LBB11_238:
	s_or_b64 exec, exec, s[18:19]
.LBB11_239:
	s_or_b64 exec, exec, s[16:17]
.LBB11_240:
	s_or_b64 exec, exec, s[12:13]
.LBB11_241:
	s_or_b64 exec, exec, s[10:11]
.LBB11_242:
	s_or_b64 exec, exec, s[14:15]
.LBB11_243:
	s_or_b64 exec, exec, s[6:7]
.LBB11_244:
	s_or_b64 exec, exec, s[4:5]
	v_mov_b32_e32 v3, v6
	v_mov_b32_e32 v2, v6
	;; [unrolled: 1-line block ×3, first 2 shown]
	s_and_saveexec_b64 s[4:5], s[0:1]
	s_cbranch_execz .LBB11_276
; %bb.245:
	s_cmp_lt_i32 s3, 1
	s_mov_b64 s[6:7], 0
	s_cbranch_scc1 .LBB11_250
; %bb.246:
	s_cmp_gt_i32 s3, 1
	s_cbranch_scc0 .LBB11_266
; %bb.247:
	s_cmp_eq_u32 s3, 2
	s_cbranch_scc0 .LBB11_267
; %bb.248:
	s_waitcnt vmcnt(0)
	v_cmp_le_u16_sdwa s[10:11], v37, v38 src0_sel:BYTE_0 src1_sel:BYTE_0
	s_mov_b64 s[12:13], 0
	s_branch .LBB11_268
.LBB11_249:
	s_waitcnt vmcnt(0)
	v_cmp_lt_u16_sdwa s[44:45], v2, v3 src0_sel:BYTE_1 src1_sel:BYTE_1
	s_andn2_b64 s[40:41], s[40:41], exec
	s_and_b64 s[44:45], s[44:45], exec
	s_or_b64 s[40:41], s[40:41], s[44:45]
	s_cbranch_execz .LBB11_209
	s_branch .LBB11_210
.LBB11_250:
                                        ; implicit-def: $sgpr10_sgpr11
	s_mov_b64 s[12:13], 0
	s_cbranch_execnz .LBB11_271
	s_branch .LBB11_272
.LBB11_251:
	s_mov_b64 s[14:15], -1
                                        ; implicit-def: $sgpr4_sgpr5
	s_branch .LBB11_23
.LBB11_252:
	s_mov_b64 s[16:17], -1
                                        ; implicit-def: $sgpr6_sgpr7
	s_branch .LBB11_36
.LBB11_253:
	s_mov_b64 s[18:19], -1
                                        ; implicit-def: $sgpr14_sgpr15
	s_branch .LBB11_49
.LBB11_254:
	s_mov_b64 s[20:21], -1
                                        ; implicit-def: $sgpr16_sgpr17
	s_branch .LBB11_62
.LBB11_255:
	s_mov_b64 s[22:23], -1
                                        ; implicit-def: $sgpr18_sgpr19
	s_branch .LBB11_75
.LBB11_256:
	s_mov_b64 s[24:25], -1
                                        ; implicit-def: $sgpr20_sgpr21
	s_branch .LBB11_88
.LBB11_257:
	s_mov_b64 s[26:27], -1
                                        ; implicit-def: $sgpr22_sgpr23
	s_branch .LBB11_101
.LBB11_258:
	s_mov_b64 s[28:29], -1
                                        ; implicit-def: $sgpr24_sgpr25
	s_branch .LBB11_114
.LBB11_259:
	s_mov_b64 s[30:31], -1
                                        ; implicit-def: $sgpr26_sgpr27
	s_branch .LBB11_127
.LBB11_260:
	s_mov_b64 s[34:35], -1
                                        ; implicit-def: $sgpr28_sgpr29
	s_branch .LBB11_140
.LBB11_261:
	s_mov_b64 s[36:37], -1
                                        ; implicit-def: $sgpr30_sgpr31
	s_branch .LBB11_153
.LBB11_262:
	s_mov_b64 s[38:39], -1
                                        ; implicit-def: $sgpr34_sgpr35
	s_branch .LBB11_166
.LBB11_263:
	s_mov_b64 s[40:41], -1
                                        ; implicit-def: $sgpr36_sgpr37
	s_branch .LBB11_179
.LBB11_264:
	s_mov_b64 s[42:43], -1
                                        ; implicit-def: $sgpr38_sgpr39
	s_branch .LBB11_192
.LBB11_265:
	s_mov_b64 s[44:45], -1
                                        ; implicit-def: $sgpr40_sgpr41
	s_branch .LBB11_205
.LBB11_266:
	s_mov_b64 s[12:13], 0
                                        ; implicit-def: $sgpr10_sgpr11
	s_cbranch_execnz .LBB11_269
	s_branch .LBB11_270
.LBB11_267:
	s_mov_b64 s[12:13], -1
                                        ; implicit-def: $sgpr10_sgpr11
.LBB11_268:
	s_branch .LBB11_270
.LBB11_269:
	s_waitcnt vmcnt(0)
	v_cmp_gt_u16_sdwa s[14:15], v37, v38 src0_sel:BYTE_0 src1_sel:BYTE_0
	s_andn2_b64 s[10:11], s[10:11], exec
	s_and_b64 s[14:15], s[14:15], exec
	s_or_b64 s[10:11], s[10:11], s[14:15]
.LBB11_270:
	s_branch .LBB11_272
.LBB11_271:
	s_cmp_lg_u32 s3, 0
	s_mov_b64 s[6:7], -1
	s_cselect_b64 s[12:13], -1, 0
.LBB11_272:
	s_andn2_b64 vcc, exec, s[12:13]
	s_cbranch_vccz .LBB11_281
; %bb.273:
	s_andn2_b64 vcc, exec, s[6:7]
	s_cbranch_vccnz .LBB11_275
.LBB11_274:
	s_waitcnt vmcnt(0)
	v_cmp_ge_u16_sdwa s[6:7], v37, v38 src0_sel:BYTE_0 src1_sel:BYTE_0
	s_andn2_b64 s[10:11], s[10:11], exec
	s_and_b64 s[6:7], s[6:7], exec
	s_or_b64 s[10:11], s[10:11], s[6:7]
.LBB11_275:
	v_cndmask_b32_e64 v1, 0, 1, s[10:11]
	v_mov_b32_e32 v3, 0
	v_and_b32_e32 v6, 0xffff, v1
	v_mov_b32_e32 v2, v3
	v_mov_b32_e32 v1, v3
.LBB11_276:
	s_or_b64 exec, exec, s[4:5]
	v_or_b32_e32 v4, 0x100, v0
	v_cmp_gt_i32_e32 vcc, s2, v4
	s_and_saveexec_b64 s[4:5], vcc
	s_cbranch_execz .LBB11_291
; %bb.277:
	s_cmp_lt_i32 s3, 1
	s_mov_b64 s[6:7], 0
	s_cbranch_scc1 .LBB11_282
; %bb.278:
	s_cmp_gt_i32 s3, 1
	s_cbranch_scc0 .LBB11_283
; %bb.279:
	s_cmp_eq_u32 s3, 2
	s_cbranch_scc0 .LBB11_535
; %bb.280:
	s_waitcnt vmcnt(0)
	v_cmp_le_u16_sdwa s[10:11], v35, v36 src0_sel:BYTE_0 src1_sel:BYTE_0
	s_mov_b64 s[12:13], 0
	s_branch .LBB11_285
.LBB11_281:
	s_waitcnt vmcnt(0)
	v_cmp_lt_u16_sdwa s[12:13], v37, v38 src0_sel:BYTE_0 src1_sel:BYTE_0
	s_andn2_b64 s[10:11], s[10:11], exec
	s_and_b64 s[12:13], s[12:13], exec
	s_or_b64 s[10:11], s[10:11], s[12:13]
	s_cbranch_execz .LBB11_274
	s_branch .LBB11_275
.LBB11_282:
                                        ; implicit-def: $sgpr10_sgpr11
	s_mov_b64 s[12:13], 0
	s_cbranch_execnz .LBB11_286
	s_branch .LBB11_287
.LBB11_283:
	s_mov_b64 s[12:13], 0
                                        ; implicit-def: $sgpr10_sgpr11
	s_cbranch_execz .LBB11_285
; %bb.284:
	s_waitcnt vmcnt(0)
	v_cmp_gt_u16_sdwa s[14:15], v35, v36 src0_sel:BYTE_0 src1_sel:BYTE_0
	s_andn2_b64 s[10:11], s[10:11], exec
	s_and_b64 s[14:15], s[14:15], exec
	s_or_b64 s[10:11], s[10:11], s[14:15]
.LBB11_285:
	s_branch .LBB11_287
.LBB11_286:
	s_cmp_lg_u32 s3, 0
	s_mov_b64 s[6:7], -1
	s_cselect_b64 s[12:13], -1, 0
.LBB11_287:
	s_andn2_b64 vcc, exec, s[12:13]
	s_cbranch_vccz .LBB11_296
; %bb.288:
	s_andn2_b64 vcc, exec, s[6:7]
	s_cbranch_vccnz .LBB11_290
.LBB11_289:
	s_waitcnt vmcnt(0)
	v_cmp_ge_u16_sdwa s[6:7], v35, v36 src0_sel:BYTE_0 src1_sel:BYTE_0
	s_andn2_b64 s[10:11], s[10:11], exec
	s_and_b64 s[6:7], s[6:7], exec
	s_or_b64 s[10:11], s[10:11], s[6:7]
.LBB11_290:
	s_waitcnt vmcnt(1)
	v_cndmask_b32_e64 v35, 0, 1, s[10:11]
	v_lshlrev_b16_e32 v35, 8, v35
	v_or_b32_sdwa v35, v6, v35 dst_sel:DWORD dst_unused:UNUSED_PAD src0_sel:BYTE_0 src1_sel:DWORD
	v_and_b32_e32 v35, 0xffff, v35
	s_mov_b32 s6, 0xffff0000
	v_and_or_b32 v6, v6, s6, v35
.LBB11_291:
	s_or_b64 exec, exec, s[4:5]
	s_waitcnt vmcnt(1)
	v_or_b32_e32 v35, 0x200, v0
	v_cmp_gt_i32_e32 vcc, s2, v35
	s_and_saveexec_b64 s[4:5], vcc
	s_cbranch_execz .LBB11_306
; %bb.292:
	s_cmp_lt_i32 s3, 1
	s_mov_b64 s[6:7], 0
	s_cbranch_scc1 .LBB11_297
; %bb.293:
	s_cmp_gt_i32 s3, 1
	s_cbranch_scc0 .LBB11_298
; %bb.294:
	s_cmp_eq_u32 s3, 2
	s_cbranch_scc0 .LBB11_536
; %bb.295:
	s_waitcnt vmcnt(0)
	v_cmp_le_u16_sdwa s[10:11], v34, v33 src0_sel:BYTE_0 src1_sel:BYTE_0
	s_mov_b64 s[12:13], 0
	s_branch .LBB11_300
.LBB11_296:
	s_waitcnt vmcnt(0)
	v_cmp_lt_u16_sdwa s[12:13], v35, v36 src0_sel:BYTE_0 src1_sel:BYTE_0
	s_andn2_b64 s[10:11], s[10:11], exec
	s_and_b64 s[12:13], s[12:13], exec
	s_or_b64 s[10:11], s[10:11], s[12:13]
	s_cbranch_execz .LBB11_289
	s_branch .LBB11_290
.LBB11_297:
                                        ; implicit-def: $sgpr10_sgpr11
	s_mov_b64 s[12:13], 0
	s_cbranch_execnz .LBB11_301
	s_branch .LBB11_302
.LBB11_298:
	s_mov_b64 s[12:13], 0
                                        ; implicit-def: $sgpr10_sgpr11
	s_cbranch_execz .LBB11_300
; %bb.299:
	s_waitcnt vmcnt(0)
	v_cmp_gt_u16_sdwa s[14:15], v34, v33 src0_sel:BYTE_0 src1_sel:BYTE_0
	s_andn2_b64 s[10:11], s[10:11], exec
	s_and_b64 s[14:15], s[14:15], exec
	s_or_b64 s[10:11], s[10:11], s[14:15]
.LBB11_300:
	s_branch .LBB11_302
.LBB11_301:
	s_cmp_lg_u32 s3, 0
	s_mov_b64 s[6:7], -1
	s_cselect_b64 s[12:13], -1, 0
.LBB11_302:
	s_andn2_b64 vcc, exec, s[12:13]
	s_cbranch_vccz .LBB11_311
; %bb.303:
	s_andn2_b64 vcc, exec, s[6:7]
	s_cbranch_vccnz .LBB11_305
.LBB11_304:
	s_waitcnt vmcnt(0)
	v_cmp_ge_u16_sdwa s[6:7], v34, v33 src0_sel:BYTE_0 src1_sel:BYTE_0
	s_andn2_b64 s[10:11], s[10:11], exec
	s_and_b64 s[6:7], s[6:7], exec
	s_or_b64 s[10:11], s[10:11], s[6:7]
.LBB11_305:
	s_movk_i32 s6, 0xff00
	s_waitcnt vmcnt(0)
	v_and_b32_sdwa v33, v6, s6 dst_sel:DWORD dst_unused:UNUSED_PAD src0_sel:WORD_1 src1_sel:DWORD
	v_cndmask_b32_e64 v34, 0, 1, s[10:11]
	v_or_b32_sdwa v33, v34, v33 dst_sel:WORD_1 dst_unused:UNUSED_PAD src0_sel:DWORD src1_sel:DWORD
	s_mov_b32 s6, 0xffff
	v_and_or_b32 v6, v6, s6, v33
.LBB11_306:
	s_or_b64 exec, exec, s[4:5]
	s_waitcnt vmcnt(0)
	v_or_b32_e32 v33, 0x300, v0
	v_cmp_gt_i32_e32 vcc, s2, v33
	s_and_saveexec_b64 s[4:5], vcc
	s_cbranch_execz .LBB11_321
; %bb.307:
	s_cmp_lt_i32 s3, 1
	s_mov_b64 s[6:7], 0
	s_cbranch_scc1 .LBB11_312
; %bb.308:
	s_cmp_gt_i32 s3, 1
	s_cbranch_scc0 .LBB11_313
; %bb.309:
	s_cmp_eq_u32 s3, 2
	s_cbranch_scc0 .LBB11_537
; %bb.310:
	v_cmp_le_u16_sdwa s[10:11], v32, v31 src0_sel:BYTE_0 src1_sel:BYTE_0
	s_mov_b64 s[12:13], 0
	s_branch .LBB11_315
.LBB11_311:
	s_waitcnt vmcnt(0)
	v_cmp_lt_u16_sdwa s[12:13], v34, v33 src0_sel:BYTE_0 src1_sel:BYTE_0
	s_andn2_b64 s[10:11], s[10:11], exec
	s_and_b64 s[12:13], s[12:13], exec
	s_or_b64 s[10:11], s[10:11], s[12:13]
	s_cbranch_execz .LBB11_304
	s_branch .LBB11_305
.LBB11_312:
                                        ; implicit-def: $sgpr10_sgpr11
	s_mov_b64 s[12:13], 0
	s_cbranch_execnz .LBB11_316
	s_branch .LBB11_317
.LBB11_313:
	s_mov_b64 s[12:13], 0
                                        ; implicit-def: $sgpr10_sgpr11
	s_cbranch_execz .LBB11_315
; %bb.314:
	v_cmp_gt_u16_sdwa s[14:15], v32, v31 src0_sel:BYTE_0 src1_sel:BYTE_0
	s_andn2_b64 s[10:11], s[10:11], exec
	s_and_b64 s[14:15], s[14:15], exec
	s_or_b64 s[10:11], s[10:11], s[14:15]
.LBB11_315:
	s_branch .LBB11_317
.LBB11_316:
	s_cmp_lg_u32 s3, 0
	s_mov_b64 s[6:7], -1
	s_cselect_b64 s[12:13], -1, 0
.LBB11_317:
	s_andn2_b64 vcc, exec, s[12:13]
	s_cbranch_vccz .LBB11_326
; %bb.318:
	s_andn2_b64 vcc, exec, s[6:7]
	s_cbranch_vccnz .LBB11_320
.LBB11_319:
	v_cmp_ge_u16_sdwa s[6:7], v32, v31 src0_sel:BYTE_0 src1_sel:BYTE_0
	s_andn2_b64 s[10:11], s[10:11], exec
	s_and_b64 s[6:7], s[6:7], exec
	s_or_b64 s[10:11], s[10:11], s[6:7]
.LBB11_320:
	s_movk_i32 s6, 0xff
	v_cndmask_b32_e64 v32, 0, 1, s[10:11]
	v_and_b32_sdwa v31, v6, s6 dst_sel:DWORD dst_unused:UNUSED_PAD src0_sel:WORD_1 src1_sel:DWORD
	v_lshlrev_b16_e32 v32, 8, v32
	v_or_b32_sdwa v31, v31, v32 dst_sel:WORD_1 dst_unused:UNUSED_PAD src0_sel:DWORD src1_sel:DWORD
	s_mov_b32 s6, 0xffff
	v_and_or_b32 v6, v6, s6, v31
.LBB11_321:
	s_or_b64 exec, exec, s[4:5]
	v_or_b32_e32 v31, 0x400, v0
	v_cmp_gt_i32_e32 vcc, s2, v31
	s_and_saveexec_b64 s[4:5], vcc
	s_cbranch_execz .LBB11_336
; %bb.322:
	s_cmp_lt_i32 s3, 1
	s_mov_b64 s[6:7], 0
	s_cbranch_scc1 .LBB11_327
; %bb.323:
	s_cmp_gt_i32 s3, 1
	s_cbranch_scc0 .LBB11_328
; %bb.324:
	s_cmp_eq_u32 s3, 2
	s_cbranch_scc0 .LBB11_538
; %bb.325:
	v_cmp_le_u16_sdwa s[10:11], v30, v29 src0_sel:BYTE_0 src1_sel:BYTE_0
	s_mov_b64 s[12:13], 0
	s_branch .LBB11_330
.LBB11_326:
	v_cmp_lt_u16_sdwa s[12:13], v32, v31 src0_sel:BYTE_0 src1_sel:BYTE_0
	s_andn2_b64 s[10:11], s[10:11], exec
	s_and_b64 s[12:13], s[12:13], exec
	s_or_b64 s[10:11], s[10:11], s[12:13]
	s_cbranch_execz .LBB11_319
	s_branch .LBB11_320
.LBB11_327:
                                        ; implicit-def: $sgpr10_sgpr11
	s_mov_b64 s[12:13], 0
	s_cbranch_execnz .LBB11_331
	s_branch .LBB11_332
.LBB11_328:
	s_mov_b64 s[12:13], 0
                                        ; implicit-def: $sgpr10_sgpr11
	s_cbranch_execz .LBB11_330
; %bb.329:
	v_cmp_gt_u16_sdwa s[14:15], v30, v29 src0_sel:BYTE_0 src1_sel:BYTE_0
	s_andn2_b64 s[10:11], s[10:11], exec
	s_and_b64 s[14:15], s[14:15], exec
	s_or_b64 s[10:11], s[10:11], s[14:15]
.LBB11_330:
	s_branch .LBB11_332
.LBB11_331:
	s_cmp_lg_u32 s3, 0
	s_mov_b64 s[6:7], -1
	s_cselect_b64 s[12:13], -1, 0
.LBB11_332:
	s_andn2_b64 vcc, exec, s[12:13]
	s_cbranch_vccz .LBB11_341
; %bb.333:
	s_andn2_b64 vcc, exec, s[6:7]
	s_cbranch_vccnz .LBB11_335
.LBB11_334:
	v_cmp_ge_u16_sdwa s[6:7], v30, v29 src0_sel:BYTE_0 src1_sel:BYTE_0
	s_andn2_b64 s[10:11], s[10:11], exec
	s_and_b64 s[6:7], s[6:7], exec
	s_or_b64 s[10:11], s[10:11], s[6:7]
.LBB11_335:
	v_and_b32_e32 v29, 0xffffff00, v3
	v_cndmask_b32_e64 v30, 0, 1, s[10:11]
	v_or_b32_e32 v29, v30, v29
	v_and_b32_e32 v29, 0xffff, v29
	s_mov_b32 s6, 0xffff0000
	v_and_or_b32 v3, v3, s6, v29
.LBB11_336:
	s_or_b64 exec, exec, s[4:5]
	v_or_b32_e32 v29, 0x500, v0
	v_cmp_gt_i32_e32 vcc, s2, v29
	s_and_saveexec_b64 s[4:5], vcc
	s_cbranch_execz .LBB11_351
; %bb.337:
	s_cmp_lt_i32 s3, 1
	s_mov_b64 s[6:7], 0
	s_cbranch_scc1 .LBB11_342
; %bb.338:
	s_cmp_gt_i32 s3, 1
	s_cbranch_scc0 .LBB11_343
; %bb.339:
	s_cmp_eq_u32 s3, 2
	s_cbranch_scc0 .LBB11_539
; %bb.340:
	v_cmp_le_u16_sdwa s[10:11], v28, v27 src0_sel:BYTE_0 src1_sel:BYTE_0
	s_mov_b64 s[12:13], 0
	s_branch .LBB11_345
.LBB11_341:
	v_cmp_lt_u16_sdwa s[12:13], v30, v29 src0_sel:BYTE_0 src1_sel:BYTE_0
	s_andn2_b64 s[10:11], s[10:11], exec
	s_and_b64 s[12:13], s[12:13], exec
	s_or_b64 s[10:11], s[10:11], s[12:13]
	s_cbranch_execz .LBB11_334
	s_branch .LBB11_335
.LBB11_342:
                                        ; implicit-def: $sgpr10_sgpr11
	s_mov_b64 s[12:13], 0
	s_cbranch_execnz .LBB11_346
	s_branch .LBB11_347
.LBB11_343:
	s_mov_b64 s[12:13], 0
                                        ; implicit-def: $sgpr10_sgpr11
	s_cbranch_execz .LBB11_345
; %bb.344:
	v_cmp_gt_u16_sdwa s[14:15], v28, v27 src0_sel:BYTE_0 src1_sel:BYTE_0
	s_andn2_b64 s[10:11], s[10:11], exec
	s_and_b64 s[14:15], s[14:15], exec
	s_or_b64 s[10:11], s[10:11], s[14:15]
.LBB11_345:
	s_branch .LBB11_347
.LBB11_346:
	s_cmp_lg_u32 s3, 0
	s_mov_b64 s[6:7], -1
	s_cselect_b64 s[12:13], -1, 0
.LBB11_347:
	s_andn2_b64 vcc, exec, s[12:13]
	s_cbranch_vccz .LBB11_356
; %bb.348:
	s_andn2_b64 vcc, exec, s[6:7]
	s_cbranch_vccnz .LBB11_350
.LBB11_349:
	v_cmp_ge_u16_sdwa s[6:7], v28, v27 src0_sel:BYTE_0 src1_sel:BYTE_0
	s_andn2_b64 s[10:11], s[10:11], exec
	s_and_b64 s[6:7], s[6:7], exec
	s_or_b64 s[10:11], s[10:11], s[6:7]
.LBB11_350:
	v_cndmask_b32_e64 v27, 0, 1, s[10:11]
	v_lshlrev_b16_e32 v27, 8, v27
	v_or_b32_sdwa v27, v3, v27 dst_sel:DWORD dst_unused:UNUSED_PAD src0_sel:BYTE_0 src1_sel:DWORD
	v_and_b32_e32 v27, 0xffff, v27
	s_mov_b32 s6, 0xffff0000
	v_and_or_b32 v3, v3, s6, v27
.LBB11_351:
	s_or_b64 exec, exec, s[4:5]
	v_or_b32_e32 v27, 0x600, v0
	v_cmp_gt_i32_e32 vcc, s2, v27
	s_and_saveexec_b64 s[4:5], vcc
	s_cbranch_execz .LBB11_366
; %bb.352:
	s_cmp_lt_i32 s3, 1
	s_mov_b64 s[6:7], 0
	s_cbranch_scc1 .LBB11_357
; %bb.353:
	s_cmp_gt_i32 s3, 1
	s_cbranch_scc0 .LBB11_358
; %bb.354:
	s_cmp_eq_u32 s3, 2
	s_cbranch_scc0 .LBB11_540
; %bb.355:
	v_cmp_le_u16_sdwa s[10:11], v26, v25 src0_sel:BYTE_0 src1_sel:BYTE_0
	s_mov_b64 s[12:13], 0
	s_branch .LBB11_360
.LBB11_356:
	v_cmp_lt_u16_sdwa s[12:13], v28, v27 src0_sel:BYTE_0 src1_sel:BYTE_0
	s_andn2_b64 s[10:11], s[10:11], exec
	s_and_b64 s[12:13], s[12:13], exec
	s_or_b64 s[10:11], s[10:11], s[12:13]
	s_cbranch_execz .LBB11_349
	s_branch .LBB11_350
.LBB11_357:
                                        ; implicit-def: $sgpr10_sgpr11
	s_mov_b64 s[12:13], 0
	s_cbranch_execnz .LBB11_361
	s_branch .LBB11_362
.LBB11_358:
	s_mov_b64 s[12:13], 0
                                        ; implicit-def: $sgpr10_sgpr11
	s_cbranch_execz .LBB11_360
; %bb.359:
	v_cmp_gt_u16_sdwa s[14:15], v26, v25 src0_sel:BYTE_0 src1_sel:BYTE_0
	s_andn2_b64 s[10:11], s[10:11], exec
	s_and_b64 s[14:15], s[14:15], exec
	s_or_b64 s[10:11], s[10:11], s[14:15]
.LBB11_360:
	s_branch .LBB11_362
.LBB11_361:
	s_cmp_lg_u32 s3, 0
	s_mov_b64 s[6:7], -1
	s_cselect_b64 s[12:13], -1, 0
.LBB11_362:
	s_andn2_b64 vcc, exec, s[12:13]
	s_cbranch_vccz .LBB11_371
; %bb.363:
	s_andn2_b64 vcc, exec, s[6:7]
	s_cbranch_vccnz .LBB11_365
.LBB11_364:
	v_cmp_ge_u16_sdwa s[6:7], v26, v25 src0_sel:BYTE_0 src1_sel:BYTE_0
	s_andn2_b64 s[10:11], s[10:11], exec
	s_and_b64 s[6:7], s[6:7], exec
	s_or_b64 s[10:11], s[10:11], s[6:7]
.LBB11_365:
	s_movk_i32 s6, 0xff00
	v_and_b32_sdwa v25, v3, s6 dst_sel:DWORD dst_unused:UNUSED_PAD src0_sel:WORD_1 src1_sel:DWORD
	v_cndmask_b32_e64 v26, 0, 1, s[10:11]
	v_or_b32_sdwa v25, v26, v25 dst_sel:WORD_1 dst_unused:UNUSED_PAD src0_sel:DWORD src1_sel:DWORD
	s_mov_b32 s6, 0xffff
	v_and_or_b32 v3, v3, s6, v25
.LBB11_366:
	s_or_b64 exec, exec, s[4:5]
	v_or_b32_e32 v25, 0x700, v0
	v_cmp_gt_i32_e32 vcc, s2, v25
	s_and_saveexec_b64 s[4:5], vcc
	s_cbranch_execz .LBB11_381
; %bb.367:
	s_cmp_lt_i32 s3, 1
	s_mov_b64 s[6:7], 0
	s_cbranch_scc1 .LBB11_372
; %bb.368:
	s_cmp_gt_i32 s3, 1
	s_cbranch_scc0 .LBB11_373
; %bb.369:
	s_cmp_eq_u32 s3, 2
	s_cbranch_scc0 .LBB11_541
; %bb.370:
	v_cmp_le_u16_sdwa s[10:11], v24, v23 src0_sel:BYTE_0 src1_sel:BYTE_0
	s_mov_b64 s[12:13], 0
	s_branch .LBB11_375
.LBB11_371:
	v_cmp_lt_u16_sdwa s[12:13], v26, v25 src0_sel:BYTE_0 src1_sel:BYTE_0
	s_andn2_b64 s[10:11], s[10:11], exec
	s_and_b64 s[12:13], s[12:13], exec
	s_or_b64 s[10:11], s[10:11], s[12:13]
	s_cbranch_execz .LBB11_364
	s_branch .LBB11_365
.LBB11_372:
                                        ; implicit-def: $sgpr10_sgpr11
	s_mov_b64 s[12:13], 0
	s_cbranch_execnz .LBB11_376
	s_branch .LBB11_377
.LBB11_373:
	s_mov_b64 s[12:13], 0
                                        ; implicit-def: $sgpr10_sgpr11
	s_cbranch_execz .LBB11_375
; %bb.374:
	v_cmp_gt_u16_sdwa s[14:15], v24, v23 src0_sel:BYTE_0 src1_sel:BYTE_0
	s_andn2_b64 s[10:11], s[10:11], exec
	s_and_b64 s[14:15], s[14:15], exec
	s_or_b64 s[10:11], s[10:11], s[14:15]
.LBB11_375:
	s_branch .LBB11_377
.LBB11_376:
	s_cmp_lg_u32 s3, 0
	s_mov_b64 s[6:7], -1
	s_cselect_b64 s[12:13], -1, 0
.LBB11_377:
	s_andn2_b64 vcc, exec, s[12:13]
	s_cbranch_vccz .LBB11_386
; %bb.378:
	s_andn2_b64 vcc, exec, s[6:7]
	s_cbranch_vccnz .LBB11_380
.LBB11_379:
	v_cmp_ge_u16_sdwa s[6:7], v24, v23 src0_sel:BYTE_0 src1_sel:BYTE_0
	s_andn2_b64 s[10:11], s[10:11], exec
	s_and_b64 s[6:7], s[6:7], exec
	s_or_b64 s[10:11], s[10:11], s[6:7]
.LBB11_380:
	s_movk_i32 s6, 0xff
	v_cndmask_b32_e64 v24, 0, 1, s[10:11]
	v_and_b32_sdwa v23, v3, s6 dst_sel:DWORD dst_unused:UNUSED_PAD src0_sel:WORD_1 src1_sel:DWORD
	v_lshlrev_b16_e32 v24, 8, v24
	v_or_b32_sdwa v23, v23, v24 dst_sel:WORD_1 dst_unused:UNUSED_PAD src0_sel:DWORD src1_sel:DWORD
	s_mov_b32 s6, 0xffff
	v_and_or_b32 v3, v3, s6, v23
.LBB11_381:
	s_or_b64 exec, exec, s[4:5]
	v_or_b32_e32 v23, 0x800, v0
	v_cmp_gt_i32_e32 vcc, s2, v23
	s_and_saveexec_b64 s[4:5], vcc
	s_cbranch_execz .LBB11_396
; %bb.382:
	s_cmp_lt_i32 s3, 1
	s_mov_b64 s[6:7], 0
	s_cbranch_scc1 .LBB11_387
; %bb.383:
	s_cmp_gt_i32 s3, 1
	s_cbranch_scc0 .LBB11_388
; %bb.384:
	s_cmp_eq_u32 s3, 2
	s_cbranch_scc0 .LBB11_542
; %bb.385:
	v_cmp_le_u16_sdwa s[10:11], v22, v21 src0_sel:BYTE_0 src1_sel:BYTE_0
	s_mov_b64 s[12:13], 0
	s_branch .LBB11_390
.LBB11_386:
	v_cmp_lt_u16_sdwa s[12:13], v24, v23 src0_sel:BYTE_0 src1_sel:BYTE_0
	s_andn2_b64 s[10:11], s[10:11], exec
	s_and_b64 s[12:13], s[12:13], exec
	s_or_b64 s[10:11], s[10:11], s[12:13]
	s_cbranch_execz .LBB11_379
	s_branch .LBB11_380
.LBB11_387:
                                        ; implicit-def: $sgpr10_sgpr11
	s_mov_b64 s[12:13], 0
	s_cbranch_execnz .LBB11_391
	s_branch .LBB11_392
.LBB11_388:
	s_mov_b64 s[12:13], 0
                                        ; implicit-def: $sgpr10_sgpr11
	s_cbranch_execz .LBB11_390
; %bb.389:
	v_cmp_gt_u16_sdwa s[14:15], v22, v21 src0_sel:BYTE_0 src1_sel:BYTE_0
	s_andn2_b64 s[10:11], s[10:11], exec
	s_and_b64 s[14:15], s[14:15], exec
	s_or_b64 s[10:11], s[10:11], s[14:15]
.LBB11_390:
	s_branch .LBB11_392
.LBB11_391:
	s_cmp_lg_u32 s3, 0
	s_mov_b64 s[6:7], -1
	s_cselect_b64 s[12:13], -1, 0
.LBB11_392:
	s_andn2_b64 vcc, exec, s[12:13]
	s_cbranch_vccz .LBB11_401
; %bb.393:
	s_andn2_b64 vcc, exec, s[6:7]
	s_cbranch_vccnz .LBB11_395
.LBB11_394:
	v_cmp_ge_u16_sdwa s[6:7], v22, v21 src0_sel:BYTE_0 src1_sel:BYTE_0
	s_andn2_b64 s[10:11], s[10:11], exec
	s_and_b64 s[6:7], s[6:7], exec
	s_or_b64 s[10:11], s[10:11], s[6:7]
.LBB11_395:
	v_and_b32_e32 v21, 0xffffff00, v2
	v_cndmask_b32_e64 v22, 0, 1, s[10:11]
	v_or_b32_e32 v21, v22, v21
	v_and_b32_e32 v21, 0xffff, v21
	s_mov_b32 s6, 0xffff0000
	v_and_or_b32 v2, v2, s6, v21
.LBB11_396:
	s_or_b64 exec, exec, s[4:5]
	v_or_b32_e32 v21, 0x900, v0
	v_cmp_gt_i32_e32 vcc, s2, v21
	s_and_saveexec_b64 s[4:5], vcc
	s_cbranch_execz .LBB11_411
; %bb.397:
	s_cmp_lt_i32 s3, 1
	s_mov_b64 s[6:7], 0
	s_cbranch_scc1 .LBB11_402
; %bb.398:
	s_cmp_gt_i32 s3, 1
	s_cbranch_scc0 .LBB11_403
; %bb.399:
	s_cmp_eq_u32 s3, 2
	s_cbranch_scc0 .LBB11_543
; %bb.400:
	v_cmp_le_u16_sdwa s[10:11], v20, v19 src0_sel:BYTE_0 src1_sel:BYTE_0
	s_mov_b64 s[12:13], 0
	s_branch .LBB11_405
.LBB11_401:
	v_cmp_lt_u16_sdwa s[12:13], v22, v21 src0_sel:BYTE_0 src1_sel:BYTE_0
	s_andn2_b64 s[10:11], s[10:11], exec
	s_and_b64 s[12:13], s[12:13], exec
	s_or_b64 s[10:11], s[10:11], s[12:13]
	s_cbranch_execz .LBB11_394
	s_branch .LBB11_395
.LBB11_402:
                                        ; implicit-def: $sgpr10_sgpr11
	s_mov_b64 s[12:13], 0
	s_cbranch_execnz .LBB11_406
	s_branch .LBB11_407
.LBB11_403:
	s_mov_b64 s[12:13], 0
                                        ; implicit-def: $sgpr10_sgpr11
	s_cbranch_execz .LBB11_405
; %bb.404:
	v_cmp_gt_u16_sdwa s[14:15], v20, v19 src0_sel:BYTE_0 src1_sel:BYTE_0
	s_andn2_b64 s[10:11], s[10:11], exec
	s_and_b64 s[14:15], s[14:15], exec
	s_or_b64 s[10:11], s[10:11], s[14:15]
.LBB11_405:
	s_branch .LBB11_407
.LBB11_406:
	s_cmp_lg_u32 s3, 0
	s_mov_b64 s[6:7], -1
	s_cselect_b64 s[12:13], -1, 0
.LBB11_407:
	s_andn2_b64 vcc, exec, s[12:13]
	s_cbranch_vccz .LBB11_416
; %bb.408:
	s_andn2_b64 vcc, exec, s[6:7]
	s_cbranch_vccnz .LBB11_410
.LBB11_409:
	v_cmp_ge_u16_sdwa s[6:7], v20, v19 src0_sel:BYTE_0 src1_sel:BYTE_0
	s_andn2_b64 s[10:11], s[10:11], exec
	s_and_b64 s[6:7], s[6:7], exec
	s_or_b64 s[10:11], s[10:11], s[6:7]
.LBB11_410:
	v_cndmask_b32_e64 v19, 0, 1, s[10:11]
	v_lshlrev_b16_e32 v19, 8, v19
	v_or_b32_sdwa v19, v2, v19 dst_sel:DWORD dst_unused:UNUSED_PAD src0_sel:BYTE_0 src1_sel:DWORD
	v_and_b32_e32 v19, 0xffff, v19
	s_mov_b32 s6, 0xffff0000
	v_and_or_b32 v2, v2, s6, v19
.LBB11_411:
	s_or_b64 exec, exec, s[4:5]
	v_or_b32_e32 v19, 0xa00, v0
	v_cmp_gt_i32_e32 vcc, s2, v19
	s_and_saveexec_b64 s[4:5], vcc
	s_cbranch_execz .LBB11_426
; %bb.412:
	s_cmp_lt_i32 s3, 1
	s_mov_b64 s[6:7], 0
	s_cbranch_scc1 .LBB11_417
; %bb.413:
	s_cmp_gt_i32 s3, 1
	s_cbranch_scc0 .LBB11_418
; %bb.414:
	s_cmp_eq_u32 s3, 2
	s_cbranch_scc0 .LBB11_544
; %bb.415:
	v_cmp_le_u16_sdwa s[10:11], v18, v17 src0_sel:BYTE_0 src1_sel:BYTE_0
	s_mov_b64 s[12:13], 0
	s_branch .LBB11_420
.LBB11_416:
	v_cmp_lt_u16_sdwa s[12:13], v20, v19 src0_sel:BYTE_0 src1_sel:BYTE_0
	s_andn2_b64 s[10:11], s[10:11], exec
	s_and_b64 s[12:13], s[12:13], exec
	s_or_b64 s[10:11], s[10:11], s[12:13]
	s_cbranch_execz .LBB11_409
	s_branch .LBB11_410
.LBB11_417:
                                        ; implicit-def: $sgpr10_sgpr11
	s_mov_b64 s[12:13], 0
	s_cbranch_execnz .LBB11_421
	s_branch .LBB11_422
.LBB11_418:
	s_mov_b64 s[12:13], 0
                                        ; implicit-def: $sgpr10_sgpr11
	s_cbranch_execz .LBB11_420
; %bb.419:
	v_cmp_gt_u16_sdwa s[14:15], v18, v17 src0_sel:BYTE_0 src1_sel:BYTE_0
	s_andn2_b64 s[10:11], s[10:11], exec
	s_and_b64 s[14:15], s[14:15], exec
	s_or_b64 s[10:11], s[10:11], s[14:15]
.LBB11_420:
	s_branch .LBB11_422
.LBB11_421:
	s_cmp_lg_u32 s3, 0
	s_mov_b64 s[6:7], -1
	s_cselect_b64 s[12:13], -1, 0
.LBB11_422:
	s_andn2_b64 vcc, exec, s[12:13]
	s_cbranch_vccz .LBB11_431
; %bb.423:
	s_andn2_b64 vcc, exec, s[6:7]
	s_cbranch_vccnz .LBB11_425
.LBB11_424:
	v_cmp_ge_u16_sdwa s[6:7], v18, v17 src0_sel:BYTE_0 src1_sel:BYTE_0
	s_andn2_b64 s[10:11], s[10:11], exec
	s_and_b64 s[6:7], s[6:7], exec
	s_or_b64 s[10:11], s[10:11], s[6:7]
.LBB11_425:
	s_movk_i32 s6, 0xff00
	v_and_b32_sdwa v17, v2, s6 dst_sel:DWORD dst_unused:UNUSED_PAD src0_sel:WORD_1 src1_sel:DWORD
	v_cndmask_b32_e64 v18, 0, 1, s[10:11]
	v_or_b32_sdwa v17, v18, v17 dst_sel:WORD_1 dst_unused:UNUSED_PAD src0_sel:DWORD src1_sel:DWORD
	s_mov_b32 s6, 0xffff
	v_and_or_b32 v2, v2, s6, v17
.LBB11_426:
	s_or_b64 exec, exec, s[4:5]
	v_or_b32_e32 v17, 0xb00, v0
	v_cmp_gt_i32_e32 vcc, s2, v17
	s_and_saveexec_b64 s[4:5], vcc
	s_cbranch_execz .LBB11_441
; %bb.427:
	s_cmp_lt_i32 s3, 1
	s_mov_b64 s[6:7], 0
	s_cbranch_scc1 .LBB11_432
; %bb.428:
	s_cmp_gt_i32 s3, 1
	s_cbranch_scc0 .LBB11_433
; %bb.429:
	s_cmp_eq_u32 s3, 2
	s_cbranch_scc0 .LBB11_545
; %bb.430:
	v_cmp_le_u16_sdwa s[10:11], v16, v15 src0_sel:BYTE_0 src1_sel:BYTE_0
	s_mov_b64 s[12:13], 0
	s_branch .LBB11_435
.LBB11_431:
	v_cmp_lt_u16_sdwa s[12:13], v18, v17 src0_sel:BYTE_0 src1_sel:BYTE_0
	s_andn2_b64 s[10:11], s[10:11], exec
	s_and_b64 s[12:13], s[12:13], exec
	s_or_b64 s[10:11], s[10:11], s[12:13]
	s_cbranch_execz .LBB11_424
	s_branch .LBB11_425
.LBB11_432:
                                        ; implicit-def: $sgpr10_sgpr11
	s_mov_b64 s[12:13], 0
	s_cbranch_execnz .LBB11_436
	s_branch .LBB11_437
.LBB11_433:
	s_mov_b64 s[12:13], 0
                                        ; implicit-def: $sgpr10_sgpr11
	s_cbranch_execz .LBB11_435
; %bb.434:
	v_cmp_gt_u16_sdwa s[14:15], v16, v15 src0_sel:BYTE_0 src1_sel:BYTE_0
	s_andn2_b64 s[10:11], s[10:11], exec
	s_and_b64 s[14:15], s[14:15], exec
	s_or_b64 s[10:11], s[10:11], s[14:15]
.LBB11_435:
	s_branch .LBB11_437
.LBB11_436:
	s_cmp_lg_u32 s3, 0
	s_mov_b64 s[6:7], -1
	s_cselect_b64 s[12:13], -1, 0
.LBB11_437:
	s_andn2_b64 vcc, exec, s[12:13]
	s_cbranch_vccz .LBB11_446
; %bb.438:
	s_andn2_b64 vcc, exec, s[6:7]
	s_cbranch_vccnz .LBB11_440
.LBB11_439:
	v_cmp_ge_u16_sdwa s[6:7], v16, v15 src0_sel:BYTE_0 src1_sel:BYTE_0
	s_andn2_b64 s[10:11], s[10:11], exec
	s_and_b64 s[6:7], s[6:7], exec
	s_or_b64 s[10:11], s[10:11], s[6:7]
.LBB11_440:
	s_movk_i32 s6, 0xff
	v_cndmask_b32_e64 v16, 0, 1, s[10:11]
	v_and_b32_sdwa v15, v2, s6 dst_sel:DWORD dst_unused:UNUSED_PAD src0_sel:WORD_1 src1_sel:DWORD
	v_lshlrev_b16_e32 v16, 8, v16
	v_or_b32_sdwa v15, v15, v16 dst_sel:WORD_1 dst_unused:UNUSED_PAD src0_sel:DWORD src1_sel:DWORD
	s_mov_b32 s6, 0xffff
	v_and_or_b32 v2, v2, s6, v15
.LBB11_441:
	s_or_b64 exec, exec, s[4:5]
	v_or_b32_e32 v15, 0xc00, v0
	v_cmp_gt_i32_e32 vcc, s2, v15
	s_and_saveexec_b64 s[4:5], vcc
	s_cbranch_execz .LBB11_456
; %bb.442:
	s_cmp_lt_i32 s3, 1
	s_mov_b64 s[6:7], 0
	s_cbranch_scc1 .LBB11_447
; %bb.443:
	s_cmp_gt_i32 s3, 1
	s_cbranch_scc0 .LBB11_448
; %bb.444:
	s_cmp_eq_u32 s3, 2
	s_cbranch_scc0 .LBB11_546
; %bb.445:
	v_cmp_le_u16_sdwa s[10:11], v14, v13 src0_sel:BYTE_0 src1_sel:BYTE_0
	s_mov_b64 s[12:13], 0
	s_branch .LBB11_450
.LBB11_446:
	v_cmp_lt_u16_sdwa s[12:13], v16, v15 src0_sel:BYTE_0 src1_sel:BYTE_0
	s_andn2_b64 s[10:11], s[10:11], exec
	s_and_b64 s[12:13], s[12:13], exec
	s_or_b64 s[10:11], s[10:11], s[12:13]
	s_cbranch_execz .LBB11_439
	s_branch .LBB11_440
.LBB11_447:
                                        ; implicit-def: $sgpr10_sgpr11
	s_mov_b64 s[12:13], 0
	s_cbranch_execnz .LBB11_451
	s_branch .LBB11_452
.LBB11_448:
	s_mov_b64 s[12:13], 0
                                        ; implicit-def: $sgpr10_sgpr11
	s_cbranch_execz .LBB11_450
; %bb.449:
	v_cmp_gt_u16_sdwa s[14:15], v14, v13 src0_sel:BYTE_0 src1_sel:BYTE_0
	s_andn2_b64 s[10:11], s[10:11], exec
	s_and_b64 s[14:15], s[14:15], exec
	s_or_b64 s[10:11], s[10:11], s[14:15]
.LBB11_450:
	s_branch .LBB11_452
.LBB11_451:
	s_cmp_lg_u32 s3, 0
	s_mov_b64 s[6:7], -1
	s_cselect_b64 s[12:13], -1, 0
.LBB11_452:
	s_andn2_b64 vcc, exec, s[12:13]
	s_cbranch_vccz .LBB11_461
; %bb.453:
	s_andn2_b64 vcc, exec, s[6:7]
	s_cbranch_vccnz .LBB11_455
.LBB11_454:
	v_cmp_ge_u16_sdwa s[6:7], v14, v13 src0_sel:BYTE_0 src1_sel:BYTE_0
	s_andn2_b64 s[10:11], s[10:11], exec
	s_and_b64 s[6:7], s[6:7], exec
	s_or_b64 s[10:11], s[10:11], s[6:7]
.LBB11_455:
	v_and_b32_e32 v13, 0xffffff00, v1
	v_cndmask_b32_e64 v14, 0, 1, s[10:11]
	v_or_b32_e32 v13, v14, v13
	v_and_b32_e32 v13, 0xffff, v13
	s_mov_b32 s6, 0xffff0000
	v_and_or_b32 v1, v1, s6, v13
.LBB11_456:
	s_or_b64 exec, exec, s[4:5]
	v_or_b32_e32 v13, 0xd00, v0
	v_cmp_gt_i32_e32 vcc, s2, v13
	s_and_saveexec_b64 s[4:5], vcc
	s_cbranch_execz .LBB11_471
; %bb.457:
	s_cmp_lt_i32 s3, 1
	s_mov_b64 s[6:7], 0
	s_cbranch_scc1 .LBB11_462
; %bb.458:
	s_cmp_gt_i32 s3, 1
	s_cbranch_scc0 .LBB11_463
; %bb.459:
	s_cmp_eq_u32 s3, 2
	s_cbranch_scc0 .LBB11_547
; %bb.460:
	v_cmp_le_u16_sdwa s[10:11], v12, v11 src0_sel:BYTE_0 src1_sel:BYTE_0
	s_mov_b64 s[12:13], 0
	s_branch .LBB11_465
.LBB11_461:
	v_cmp_lt_u16_sdwa s[12:13], v14, v13 src0_sel:BYTE_0 src1_sel:BYTE_0
	s_andn2_b64 s[10:11], s[10:11], exec
	s_and_b64 s[12:13], s[12:13], exec
	s_or_b64 s[10:11], s[10:11], s[12:13]
	s_cbranch_execz .LBB11_454
	s_branch .LBB11_455
.LBB11_462:
                                        ; implicit-def: $sgpr10_sgpr11
	s_mov_b64 s[12:13], 0
	s_cbranch_execnz .LBB11_466
	s_branch .LBB11_467
.LBB11_463:
	s_mov_b64 s[12:13], 0
                                        ; implicit-def: $sgpr10_sgpr11
	s_cbranch_execz .LBB11_465
; %bb.464:
	v_cmp_gt_u16_sdwa s[14:15], v12, v11 src0_sel:BYTE_0 src1_sel:BYTE_0
	s_andn2_b64 s[10:11], s[10:11], exec
	s_and_b64 s[14:15], s[14:15], exec
	s_or_b64 s[10:11], s[10:11], s[14:15]
.LBB11_465:
	s_branch .LBB11_467
.LBB11_466:
	s_cmp_lg_u32 s3, 0
	s_mov_b64 s[6:7], -1
	s_cselect_b64 s[12:13], -1, 0
.LBB11_467:
	s_andn2_b64 vcc, exec, s[12:13]
	s_cbranch_vccz .LBB11_476
; %bb.468:
	s_andn2_b64 vcc, exec, s[6:7]
	s_cbranch_vccnz .LBB11_470
.LBB11_469:
	v_cmp_ge_u16_sdwa s[6:7], v12, v11 src0_sel:BYTE_0 src1_sel:BYTE_0
	s_andn2_b64 s[10:11], s[10:11], exec
	s_and_b64 s[6:7], s[6:7], exec
	s_or_b64 s[10:11], s[10:11], s[6:7]
.LBB11_470:
	v_cndmask_b32_e64 v11, 0, 1, s[10:11]
	v_lshlrev_b16_e32 v11, 8, v11
	v_or_b32_sdwa v11, v1, v11 dst_sel:DWORD dst_unused:UNUSED_PAD src0_sel:BYTE_0 src1_sel:DWORD
	v_and_b32_e32 v11, 0xffff, v11
	s_mov_b32 s6, 0xffff0000
	v_and_or_b32 v1, v1, s6, v11
.LBB11_471:
	s_or_b64 exec, exec, s[4:5]
	v_or_b32_e32 v11, 0xe00, v0
	v_cmp_gt_i32_e32 vcc, s2, v11
	s_and_saveexec_b64 s[4:5], vcc
	s_cbranch_execz .LBB11_486
; %bb.472:
	s_cmp_lt_i32 s3, 1
	s_mov_b64 s[6:7], 0
	s_cbranch_scc1 .LBB11_477
; %bb.473:
	s_cmp_gt_i32 s3, 1
	s_cbranch_scc0 .LBB11_478
; %bb.474:
	s_cmp_eq_u32 s3, 2
	s_cbranch_scc0 .LBB11_548
; %bb.475:
	v_cmp_le_u16_sdwa s[10:11], v10, v9 src0_sel:BYTE_0 src1_sel:BYTE_0
	s_mov_b64 s[12:13], 0
	s_branch .LBB11_480
.LBB11_476:
	v_cmp_lt_u16_sdwa s[12:13], v12, v11 src0_sel:BYTE_0 src1_sel:BYTE_0
	s_andn2_b64 s[10:11], s[10:11], exec
	s_and_b64 s[12:13], s[12:13], exec
	s_or_b64 s[10:11], s[10:11], s[12:13]
	s_cbranch_execz .LBB11_469
	s_branch .LBB11_470
.LBB11_477:
                                        ; implicit-def: $sgpr10_sgpr11
	s_mov_b64 s[12:13], 0
	s_cbranch_execnz .LBB11_481
	s_branch .LBB11_482
.LBB11_478:
	s_mov_b64 s[12:13], 0
                                        ; implicit-def: $sgpr10_sgpr11
	s_cbranch_execz .LBB11_480
; %bb.479:
	v_cmp_gt_u16_sdwa s[14:15], v10, v9 src0_sel:BYTE_0 src1_sel:BYTE_0
	s_andn2_b64 s[10:11], s[10:11], exec
	s_and_b64 s[14:15], s[14:15], exec
	s_or_b64 s[10:11], s[10:11], s[14:15]
.LBB11_480:
	s_branch .LBB11_482
.LBB11_481:
	s_cmp_lg_u32 s3, 0
	s_mov_b64 s[6:7], -1
	s_cselect_b64 s[12:13], -1, 0
.LBB11_482:
	s_andn2_b64 vcc, exec, s[12:13]
	s_cbranch_vccz .LBB11_491
; %bb.483:
	s_andn2_b64 vcc, exec, s[6:7]
	s_cbranch_vccnz .LBB11_485
.LBB11_484:
	v_cmp_ge_u16_sdwa s[6:7], v10, v9 src0_sel:BYTE_0 src1_sel:BYTE_0
	s_andn2_b64 s[10:11], s[10:11], exec
	s_and_b64 s[6:7], s[6:7], exec
	s_or_b64 s[10:11], s[10:11], s[6:7]
.LBB11_485:
	s_movk_i32 s6, 0xff00
	v_and_b32_sdwa v9, v1, s6 dst_sel:DWORD dst_unused:UNUSED_PAD src0_sel:WORD_1 src1_sel:DWORD
	v_cndmask_b32_e64 v10, 0, 1, s[10:11]
	v_or_b32_sdwa v9, v10, v9 dst_sel:WORD_1 dst_unused:UNUSED_PAD src0_sel:DWORD src1_sel:DWORD
	s_mov_b32 s6, 0xffff
	v_and_or_b32 v1, v1, s6, v9
.LBB11_486:
	s_or_b64 exec, exec, s[4:5]
	v_or_b32_e32 v9, 0xf00, v0
	v_cmp_gt_i32_e32 vcc, s2, v9
	s_and_saveexec_b64 s[4:5], vcc
	s_cbranch_execz .LBB11_501
; %bb.487:
	s_cmp_lt_i32 s3, 1
	s_mov_b64 s[6:7], 0
	s_cbranch_scc1 .LBB11_492
; %bb.488:
	s_cmp_gt_i32 s3, 1
	s_cbranch_scc0 .LBB11_493
; %bb.489:
	s_cmp_eq_u32 s3, 2
	s_cbranch_scc0 .LBB11_549
; %bb.490:
	v_cmp_le_u16_sdwa s[10:11], v8, v7 src0_sel:BYTE_0 src1_sel:BYTE_0
	s_mov_b64 s[12:13], 0
	s_branch .LBB11_495
.LBB11_491:
	v_cmp_lt_u16_sdwa s[12:13], v10, v9 src0_sel:BYTE_0 src1_sel:BYTE_0
	s_andn2_b64 s[10:11], s[10:11], exec
	s_and_b64 s[12:13], s[12:13], exec
	s_or_b64 s[10:11], s[10:11], s[12:13]
	s_cbranch_execz .LBB11_484
	s_branch .LBB11_485
.LBB11_492:
                                        ; implicit-def: $sgpr10_sgpr11
	s_mov_b64 s[12:13], 0
	s_cbranch_execnz .LBB11_496
	s_branch .LBB11_497
.LBB11_493:
	s_mov_b64 s[12:13], 0
                                        ; implicit-def: $sgpr10_sgpr11
	s_cbranch_execz .LBB11_495
; %bb.494:
	v_cmp_gt_u16_sdwa s[14:15], v8, v7 src0_sel:BYTE_0 src1_sel:BYTE_0
	s_andn2_b64 s[10:11], s[10:11], exec
	s_and_b64 s[14:15], s[14:15], exec
	s_or_b64 s[10:11], s[10:11], s[14:15]
.LBB11_495:
	s_branch .LBB11_497
.LBB11_496:
	s_cmp_lg_u32 s3, 0
	s_mov_b64 s[6:7], -1
	s_cselect_b64 s[12:13], -1, 0
.LBB11_497:
	s_andn2_b64 vcc, exec, s[12:13]
	s_cbranch_vccz .LBB11_534
; %bb.498:
	s_andn2_b64 vcc, exec, s[6:7]
	s_cbranch_vccnz .LBB11_500
.LBB11_499:
	v_cmp_ge_u16_sdwa s[6:7], v8, v7 src0_sel:BYTE_0 src1_sel:BYTE_0
	s_andn2_b64 s[10:11], s[10:11], exec
	s_and_b64 s[6:7], s[6:7], exec
	s_or_b64 s[10:11], s[10:11], s[6:7]
.LBB11_500:
	s_movk_i32 s3, 0xff
	v_cndmask_b32_e64 v8, 0, 1, s[10:11]
	v_and_b32_sdwa v7, v1, s3 dst_sel:DWORD dst_unused:UNUSED_PAD src0_sel:WORD_1 src1_sel:DWORD
	v_lshlrev_b16_e32 v8, 8, v8
	v_or_b32_sdwa v7, v7, v8 dst_sel:WORD_1 dst_unused:UNUSED_PAD src0_sel:DWORD src1_sel:DWORD
	s_mov_b32 s3, 0xffff
	v_and_or_b32 v1, v1, s3, v7
.LBB11_501:
	s_or_b64 exec, exec, s[4:5]
	s_and_saveexec_b64 s[4:5], s[0:1]
	s_xor_b64 s[0:1], exec, s[4:5]
	s_cbranch_execz .LBB11_503
; %bb.502:
	v_mov_b32_e32 v0, v4
	global_store_byte v5, v6, s[8:9]
.LBB11_503:
	s_or_b64 exec, exec, s[0:1]
	v_cmp_gt_i32_e32 vcc, s2, v0
	s_and_saveexec_b64 s[0:1], vcc
	s_cbranch_execnz .LBB11_520
; %bb.504:
	s_or_b64 exec, exec, s[0:1]
	v_cmp_gt_i32_e32 vcc, s2, v0
	s_and_saveexec_b64 s[0:1], vcc
	s_cbranch_execnz .LBB11_521
.LBB11_505:
	s_or_b64 exec, exec, s[0:1]
	v_cmp_gt_i32_e32 vcc, s2, v0
	s_and_saveexec_b64 s[0:1], vcc
	s_cbranch_execnz .LBB11_522
.LBB11_506:
	s_or_b64 exec, exec, s[0:1]
	v_cmp_gt_i32_e32 vcc, s2, v0
	s_and_saveexec_b64 s[0:1], vcc
	s_cbranch_execnz .LBB11_523
.LBB11_507:
	s_or_b64 exec, exec, s[0:1]
	v_cmp_gt_i32_e32 vcc, s2, v0
	s_and_saveexec_b64 s[0:1], vcc
	s_cbranch_execnz .LBB11_524
.LBB11_508:
	s_or_b64 exec, exec, s[0:1]
	v_cmp_gt_i32_e32 vcc, s2, v0
	s_and_saveexec_b64 s[0:1], vcc
	s_cbranch_execnz .LBB11_525
.LBB11_509:
	s_or_b64 exec, exec, s[0:1]
	v_cmp_gt_i32_e32 vcc, s2, v0
	s_and_saveexec_b64 s[0:1], vcc
	s_cbranch_execnz .LBB11_526
.LBB11_510:
	s_or_b64 exec, exec, s[0:1]
	v_cmp_gt_i32_e32 vcc, s2, v0
	s_and_saveexec_b64 s[0:1], vcc
	s_cbranch_execnz .LBB11_527
.LBB11_511:
	s_or_b64 exec, exec, s[0:1]
	v_cmp_gt_i32_e32 vcc, s2, v0
	s_and_saveexec_b64 s[0:1], vcc
	s_cbranch_execnz .LBB11_528
.LBB11_512:
	s_or_b64 exec, exec, s[0:1]
	v_cmp_gt_i32_e32 vcc, s2, v0
	s_and_saveexec_b64 s[0:1], vcc
	s_cbranch_execnz .LBB11_529
.LBB11_513:
	s_or_b64 exec, exec, s[0:1]
	v_cmp_gt_i32_e32 vcc, s2, v0
	s_and_saveexec_b64 s[0:1], vcc
	s_cbranch_execnz .LBB11_530
.LBB11_514:
	s_or_b64 exec, exec, s[0:1]
	v_cmp_gt_i32_e32 vcc, s2, v0
	s_and_saveexec_b64 s[0:1], vcc
	s_cbranch_execnz .LBB11_531
.LBB11_515:
	s_or_b64 exec, exec, s[0:1]
	v_cmp_gt_i32_e32 vcc, s2, v0
	s_and_saveexec_b64 s[0:1], vcc
	s_cbranch_execnz .LBB11_532
.LBB11_516:
	s_or_b64 exec, exec, s[0:1]
	v_cmp_gt_i32_e32 vcc, s2, v0
	s_and_saveexec_b64 s[0:1], vcc
	s_cbranch_execnz .LBB11_533
.LBB11_517:
	s_or_b64 exec, exec, s[0:1]
	v_cmp_gt_i32_e32 vcc, s2, v0
	s_and_saveexec_b64 s[0:1], vcc
	s_cbranch_execz .LBB11_519
.LBB11_518:
	v_lshrrev_b32_e32 v1, 24, v1
	v_add_u32_e32 v0, s33, v0
	global_store_byte v0, v1, s[8:9]
.LBB11_519:
	s_endpgm
.LBB11_520:
	v_lshrrev_b32_e32 v4, 8, v6
	v_add_u32_e32 v5, s33, v0
	v_add_u32_e32 v0, 0x100, v0
	global_store_byte v5, v4, s[8:9]
	s_or_b64 exec, exec, s[0:1]
	v_cmp_gt_i32_e32 vcc, s2, v0
	s_and_saveexec_b64 s[0:1], vcc
	s_cbranch_execz .LBB11_505
.LBB11_521:
	v_add_u32_e32 v4, s33, v0
	v_add_u32_e32 v0, 0x100, v0
	global_store_byte_d16_hi v4, v6, s[8:9]
	s_or_b64 exec, exec, s[0:1]
	v_cmp_gt_i32_e32 vcc, s2, v0
	s_and_saveexec_b64 s[0:1], vcc
	s_cbranch_execz .LBB11_506
.LBB11_522:
	v_lshrrev_b32_e32 v4, 24, v6
	v_add_u32_e32 v5, s33, v0
	v_add_u32_e32 v0, 0x100, v0
	global_store_byte v5, v4, s[8:9]
	s_or_b64 exec, exec, s[0:1]
	v_cmp_gt_i32_e32 vcc, s2, v0
	s_and_saveexec_b64 s[0:1], vcc
	s_cbranch_execz .LBB11_507
.LBB11_523:
	v_add_u32_e32 v4, s33, v0
	v_add_u32_e32 v0, 0x100, v0
	global_store_byte v4, v3, s[8:9]
	s_or_b64 exec, exec, s[0:1]
	v_cmp_gt_i32_e32 vcc, s2, v0
	s_and_saveexec_b64 s[0:1], vcc
	s_cbranch_execz .LBB11_508
.LBB11_524:
	v_lshrrev_b32_e32 v4, 8, v3
	v_add_u32_e32 v5, s33, v0
	v_add_u32_e32 v0, 0x100, v0
	global_store_byte v5, v4, s[8:9]
	s_or_b64 exec, exec, s[0:1]
	v_cmp_gt_i32_e32 vcc, s2, v0
	s_and_saveexec_b64 s[0:1], vcc
	s_cbranch_execz .LBB11_509
.LBB11_525:
	v_add_u32_e32 v4, s33, v0
	v_add_u32_e32 v0, 0x100, v0
	global_store_byte_d16_hi v4, v3, s[8:9]
	s_or_b64 exec, exec, s[0:1]
	v_cmp_gt_i32_e32 vcc, s2, v0
	s_and_saveexec_b64 s[0:1], vcc
	s_cbranch_execz .LBB11_510
.LBB11_526:
	v_lshrrev_b32_e32 v3, 24, v3
	v_add_u32_e32 v4, s33, v0
	v_add_u32_e32 v0, 0x100, v0
	global_store_byte v4, v3, s[8:9]
	s_or_b64 exec, exec, s[0:1]
	v_cmp_gt_i32_e32 vcc, s2, v0
	s_and_saveexec_b64 s[0:1], vcc
	s_cbranch_execz .LBB11_511
.LBB11_527:
	v_add_u32_e32 v3, s33, v0
	v_add_u32_e32 v0, 0x100, v0
	global_store_byte v3, v2, s[8:9]
	s_or_b64 exec, exec, s[0:1]
	v_cmp_gt_i32_e32 vcc, s2, v0
	s_and_saveexec_b64 s[0:1], vcc
	s_cbranch_execz .LBB11_512
.LBB11_528:
	v_lshrrev_b32_e32 v3, 8, v2
	v_add_u32_e32 v4, s33, v0
	v_add_u32_e32 v0, 0x100, v0
	global_store_byte v4, v3, s[8:9]
	s_or_b64 exec, exec, s[0:1]
	v_cmp_gt_i32_e32 vcc, s2, v0
	s_and_saveexec_b64 s[0:1], vcc
	s_cbranch_execz .LBB11_513
.LBB11_529:
	v_add_u32_e32 v3, s33, v0
	v_add_u32_e32 v0, 0x100, v0
	global_store_byte_d16_hi v3, v2, s[8:9]
	s_or_b64 exec, exec, s[0:1]
	v_cmp_gt_i32_e32 vcc, s2, v0
	s_and_saveexec_b64 s[0:1], vcc
	s_cbranch_execz .LBB11_514
.LBB11_530:
	v_lshrrev_b32_e32 v2, 24, v2
	v_add_u32_e32 v3, s33, v0
	v_add_u32_e32 v0, 0x100, v0
	global_store_byte v3, v2, s[8:9]
	s_or_b64 exec, exec, s[0:1]
	v_cmp_gt_i32_e32 vcc, s2, v0
	s_and_saveexec_b64 s[0:1], vcc
	s_cbranch_execz .LBB11_515
.LBB11_531:
	v_add_u32_e32 v2, s33, v0
	v_add_u32_e32 v0, 0x100, v0
	global_store_byte v2, v1, s[8:9]
	s_or_b64 exec, exec, s[0:1]
	v_cmp_gt_i32_e32 vcc, s2, v0
	s_and_saveexec_b64 s[0:1], vcc
	s_cbranch_execz .LBB11_516
.LBB11_532:
	v_lshrrev_b32_e32 v2, 8, v1
	v_add_u32_e32 v3, s33, v0
	v_add_u32_e32 v0, 0x100, v0
	global_store_byte v3, v2, s[8:9]
	s_or_b64 exec, exec, s[0:1]
	v_cmp_gt_i32_e32 vcc, s2, v0
	s_and_saveexec_b64 s[0:1], vcc
	s_cbranch_execz .LBB11_517
.LBB11_533:
	v_add_u32_e32 v2, s33, v0
	v_add_u32_e32 v0, 0x100, v0
	global_store_byte_d16_hi v2, v1, s[8:9]
	s_or_b64 exec, exec, s[0:1]
	v_cmp_gt_i32_e32 vcc, s2, v0
	s_and_saveexec_b64 s[0:1], vcc
	s_cbranch_execnz .LBB11_518
	s_branch .LBB11_519
.LBB11_534:
	v_cmp_lt_u16_sdwa s[12:13], v8, v7 src0_sel:BYTE_0 src1_sel:BYTE_0
	s_andn2_b64 s[10:11], s[10:11], exec
	s_and_b64 s[12:13], s[12:13], exec
	s_or_b64 s[10:11], s[10:11], s[12:13]
	s_cbranch_execz .LBB11_499
	s_branch .LBB11_500
.LBB11_535:
	s_mov_b64 s[12:13], -1
                                        ; implicit-def: $sgpr10_sgpr11
	s_branch .LBB11_285
.LBB11_536:
	s_mov_b64 s[12:13], -1
                                        ; implicit-def: $sgpr10_sgpr11
	s_branch .LBB11_300
.LBB11_537:
	s_mov_b64 s[12:13], -1
                                        ; implicit-def: $sgpr10_sgpr11
	s_branch .LBB11_315
.LBB11_538:
	s_mov_b64 s[12:13], -1
                                        ; implicit-def: $sgpr10_sgpr11
	s_branch .LBB11_330
.LBB11_539:
	s_mov_b64 s[12:13], -1
                                        ; implicit-def: $sgpr10_sgpr11
	s_branch .LBB11_345
.LBB11_540:
	s_mov_b64 s[12:13], -1
                                        ; implicit-def: $sgpr10_sgpr11
	s_branch .LBB11_360
.LBB11_541:
	s_mov_b64 s[12:13], -1
                                        ; implicit-def: $sgpr10_sgpr11
	s_branch .LBB11_375
.LBB11_542:
	s_mov_b64 s[12:13], -1
                                        ; implicit-def: $sgpr10_sgpr11
	s_branch .LBB11_390
.LBB11_543:
	s_mov_b64 s[12:13], -1
                                        ; implicit-def: $sgpr10_sgpr11
	s_branch .LBB11_405
.LBB11_544:
	s_mov_b64 s[12:13], -1
                                        ; implicit-def: $sgpr10_sgpr11
	s_branch .LBB11_420
.LBB11_545:
	s_mov_b64 s[12:13], -1
                                        ; implicit-def: $sgpr10_sgpr11
	s_branch .LBB11_435
.LBB11_546:
	s_mov_b64 s[12:13], -1
                                        ; implicit-def: $sgpr10_sgpr11
	s_branch .LBB11_450
.LBB11_547:
	s_mov_b64 s[12:13], -1
                                        ; implicit-def: $sgpr10_sgpr11
	s_branch .LBB11_465
.LBB11_548:
	s_mov_b64 s[12:13], -1
                                        ; implicit-def: $sgpr10_sgpr11
	s_branch .LBB11_480
.LBB11_549:
	s_mov_b64 s[12:13], -1
                                        ; implicit-def: $sgpr10_sgpr11
	s_branch .LBB11_495
	.section	.rodata,"a",@progbits
	.p2align	6, 0x0
	.amdhsa_kernel _ZN2at6native29vectorized_elementwise_kernelILi2ENS0_12_GLOBAL__N_114CompareFunctorIhEESt5arrayIPcLm3EEEEviT0_T1_
		.amdhsa_group_segment_fixed_size 0
		.amdhsa_private_segment_fixed_size 0
		.amdhsa_kernarg_size 32
		.amdhsa_user_sgpr_count 6
		.amdhsa_user_sgpr_private_segment_buffer 1
		.amdhsa_user_sgpr_dispatch_ptr 0
		.amdhsa_user_sgpr_queue_ptr 0
		.amdhsa_user_sgpr_kernarg_segment_ptr 1
		.amdhsa_user_sgpr_dispatch_id 0
		.amdhsa_user_sgpr_flat_scratch_init 0
		.amdhsa_user_sgpr_private_segment_size 0
		.amdhsa_uses_dynamic_stack 0
		.amdhsa_system_sgpr_private_segment_wavefront_offset 0
		.amdhsa_system_sgpr_workgroup_id_x 1
		.amdhsa_system_sgpr_workgroup_id_y 0
		.amdhsa_system_sgpr_workgroup_id_z 0
		.amdhsa_system_sgpr_workgroup_info 0
		.amdhsa_system_vgpr_workitem_id 0
		.amdhsa_next_free_vgpr 39
		.amdhsa_next_free_sgpr 49
		.amdhsa_reserve_vcc 1
		.amdhsa_reserve_flat_scratch 0
		.amdhsa_float_round_mode_32 0
		.amdhsa_float_round_mode_16_64 0
		.amdhsa_float_denorm_mode_32 3
		.amdhsa_float_denorm_mode_16_64 3
		.amdhsa_dx10_clamp 1
		.amdhsa_ieee_mode 1
		.amdhsa_fp16_overflow 0
		.amdhsa_exception_fp_ieee_invalid_op 0
		.amdhsa_exception_fp_denorm_src 0
		.amdhsa_exception_fp_ieee_div_zero 0
		.amdhsa_exception_fp_ieee_overflow 0
		.amdhsa_exception_fp_ieee_underflow 0
		.amdhsa_exception_fp_ieee_inexact 0
		.amdhsa_exception_int_div_zero 0
	.end_amdhsa_kernel
	.section	.text._ZN2at6native29vectorized_elementwise_kernelILi2ENS0_12_GLOBAL__N_114CompareFunctorIhEESt5arrayIPcLm3EEEEviT0_T1_,"axG",@progbits,_ZN2at6native29vectorized_elementwise_kernelILi2ENS0_12_GLOBAL__N_114CompareFunctorIhEESt5arrayIPcLm3EEEEviT0_T1_,comdat
.Lfunc_end11:
	.size	_ZN2at6native29vectorized_elementwise_kernelILi2ENS0_12_GLOBAL__N_114CompareFunctorIhEESt5arrayIPcLm3EEEEviT0_T1_, .Lfunc_end11-_ZN2at6native29vectorized_elementwise_kernelILi2ENS0_12_GLOBAL__N_114CompareFunctorIhEESt5arrayIPcLm3EEEEviT0_T1_
                                        ; -- End function
	.set _ZN2at6native29vectorized_elementwise_kernelILi2ENS0_12_GLOBAL__N_114CompareFunctorIhEESt5arrayIPcLm3EEEEviT0_T1_.num_vgpr, 39
	.set _ZN2at6native29vectorized_elementwise_kernelILi2ENS0_12_GLOBAL__N_114CompareFunctorIhEESt5arrayIPcLm3EEEEviT0_T1_.num_agpr, 0
	.set _ZN2at6native29vectorized_elementwise_kernelILi2ENS0_12_GLOBAL__N_114CompareFunctorIhEESt5arrayIPcLm3EEEEviT0_T1_.numbered_sgpr, 49
	.set _ZN2at6native29vectorized_elementwise_kernelILi2ENS0_12_GLOBAL__N_114CompareFunctorIhEESt5arrayIPcLm3EEEEviT0_T1_.num_named_barrier, 0
	.set _ZN2at6native29vectorized_elementwise_kernelILi2ENS0_12_GLOBAL__N_114CompareFunctorIhEESt5arrayIPcLm3EEEEviT0_T1_.private_seg_size, 0
	.set _ZN2at6native29vectorized_elementwise_kernelILi2ENS0_12_GLOBAL__N_114CompareFunctorIhEESt5arrayIPcLm3EEEEviT0_T1_.uses_vcc, 1
	.set _ZN2at6native29vectorized_elementwise_kernelILi2ENS0_12_GLOBAL__N_114CompareFunctorIhEESt5arrayIPcLm3EEEEviT0_T1_.uses_flat_scratch, 0
	.set _ZN2at6native29vectorized_elementwise_kernelILi2ENS0_12_GLOBAL__N_114CompareFunctorIhEESt5arrayIPcLm3EEEEviT0_T1_.has_dyn_sized_stack, 0
	.set _ZN2at6native29vectorized_elementwise_kernelILi2ENS0_12_GLOBAL__N_114CompareFunctorIhEESt5arrayIPcLm3EEEEviT0_T1_.has_recursion, 0
	.set _ZN2at6native29vectorized_elementwise_kernelILi2ENS0_12_GLOBAL__N_114CompareFunctorIhEESt5arrayIPcLm3EEEEviT0_T1_.has_indirect_call, 0
	.section	.AMDGPU.csdata,"",@progbits
; Kernel info:
; codeLenInByte = 10104
; TotalNumSgprs: 53
; NumVgprs: 39
; ScratchSize: 0
; MemoryBound: 0
; FloatMode: 240
; IeeeMode: 1
; LDSByteSize: 0 bytes/workgroup (compile time only)
; SGPRBlocks: 6
; VGPRBlocks: 9
; NumSGPRsForWavesPerEU: 53
; NumVGPRsForWavesPerEU: 39
; Occupancy: 6
; WaveLimiterHint : 1
; COMPUTE_PGM_RSRC2:SCRATCH_EN: 0
; COMPUTE_PGM_RSRC2:USER_SGPR: 6
; COMPUTE_PGM_RSRC2:TRAP_HANDLER: 0
; COMPUTE_PGM_RSRC2:TGID_X_EN: 1
; COMPUTE_PGM_RSRC2:TGID_Y_EN: 0
; COMPUTE_PGM_RSRC2:TGID_Z_EN: 0
; COMPUTE_PGM_RSRC2:TIDIG_COMP_CNT: 0
	.section	.text._ZN2at6native27unrolled_elementwise_kernelINS0_12_GLOBAL__N_114CompareFunctorIhEESt5arrayIPcLm3EELi4E23TrivialOffsetCalculatorILi2EjES8_ILi1EjENS0_6memory15LoadWithoutCastENSB_16StoreWithoutCastEEEviT_T0_T2_T3_T4_T5_,"axG",@progbits,_ZN2at6native27unrolled_elementwise_kernelINS0_12_GLOBAL__N_114CompareFunctorIhEESt5arrayIPcLm3EELi4E23TrivialOffsetCalculatorILi2EjES8_ILi1EjENS0_6memory15LoadWithoutCastENSB_16StoreWithoutCastEEEviT_T0_T2_T3_T4_T5_,comdat
	.globl	_ZN2at6native27unrolled_elementwise_kernelINS0_12_GLOBAL__N_114CompareFunctorIhEESt5arrayIPcLm3EELi4E23TrivialOffsetCalculatorILi2EjES8_ILi1EjENS0_6memory15LoadWithoutCastENSB_16StoreWithoutCastEEEviT_T0_T2_T3_T4_T5_ ; -- Begin function _ZN2at6native27unrolled_elementwise_kernelINS0_12_GLOBAL__N_114CompareFunctorIhEESt5arrayIPcLm3EELi4E23TrivialOffsetCalculatorILi2EjES8_ILi1EjENS0_6memory15LoadWithoutCastENSB_16StoreWithoutCastEEEviT_T0_T2_T3_T4_T5_
	.p2align	8
	.type	_ZN2at6native27unrolled_elementwise_kernelINS0_12_GLOBAL__N_114CompareFunctorIhEESt5arrayIPcLm3EELi4E23TrivialOffsetCalculatorILi2EjES8_ILi1EjENS0_6memory15LoadWithoutCastENSB_16StoreWithoutCastEEEviT_T0_T2_T3_T4_T5_,@function
_ZN2at6native27unrolled_elementwise_kernelINS0_12_GLOBAL__N_114CompareFunctorIhEESt5arrayIPcLm3EELi4E23TrivialOffsetCalculatorILi2EjES8_ILi1EjENS0_6memory15LoadWithoutCastENSB_16StoreWithoutCastEEEviT_T0_T2_T3_T4_T5_: ; @_ZN2at6native27unrolled_elementwise_kernelINS0_12_GLOBAL__N_114CompareFunctorIhEESt5arrayIPcLm3EELi4E23TrivialOffsetCalculatorILi2EjES8_ILi1EjENS0_6memory15LoadWithoutCastENSB_16StoreWithoutCastEEEviT_T0_T2_T3_T4_T5_
; %bb.0:
	s_load_dwordx2 s[2:3], s[4:5], 0x0
	s_load_dwordx4 s[8:11], s[4:5], 0x8
	s_load_dwordx2 s[12:13], s[4:5], 0x18
	s_lshl_b32 s18, s6, 10
	v_mov_b32_e32 v4, 0
	s_waitcnt lgkmcnt(0)
	s_sub_i32 s2, s2, s18
	v_cmp_gt_i32_e64 s[0:1], s2, v0
	v_or_b32_e32 v1, s18, v0
	v_mov_b32_e32 v3, 0
	v_mov_b32_e32 v2, 0
	;; [unrolled: 1-line block ×8, first 2 shown]
	s_and_saveexec_b64 s[4:5], s[0:1]
	s_cbranch_execz .LBB12_8
; %bb.1:
	global_load_ubyte v7, v1, s[10:11]
	global_load_ubyte v10, v1, s[12:13]
	v_or_b32_e32 v11, 0x100, v0
	v_cmp_gt_u32_e32 vcc, s2, v11
	v_mov_b32_e32 v9, 0
	v_mov_b32_e32 v8, 0
	;; [unrolled: 1-line block ×6, first 2 shown]
	s_and_saveexec_b64 s[6:7], vcc
	s_cbranch_execz .LBB12_7
; %bb.2:
	v_add_u32_e32 v2, s18, v11
	global_load_ubyte v8, v2, s[10:11]
	global_load_ubyte v9, v2, s[12:13]
	v_or_b32_e32 v11, 0x200, v0
	v_cmp_gt_u32_e32 vcc, s2, v11
	v_mov_b32_e32 v5, 0
	v_mov_b32_e32 v6, 0
	;; [unrolled: 1-line block ×4, first 2 shown]
	s_and_saveexec_b64 s[14:15], vcc
	s_cbranch_execz .LBB12_6
; %bb.3:
	v_add_u32_e32 v2, s18, v11
	global_load_ubyte v6, v2, s[10:11]
	global_load_ubyte v5, v2, s[12:13]
	v_or_b32_e32 v11, 0x300, v0
	v_cmp_gt_u32_e32 vcc, s2, v11
	v_mov_b32_e32 v2, 0
	v_mov_b32_e32 v3, 0
	s_and_saveexec_b64 s[16:17], vcc
	s_cbranch_execz .LBB12_5
; %bb.4:
	v_add_u32_e32 v11, s18, v11
	global_load_ubyte v3, v11, s[10:11]
	global_load_ubyte v2, v11, s[12:13]
.LBB12_5:
	s_or_b64 exec, exec, s[16:17]
.LBB12_6:
	s_or_b64 exec, exec, s[14:15]
.LBB12_7:
	s_or_b64 exec, exec, s[6:7]
.LBB12_8:
	s_or_b64 exec, exec, s[4:5]
	s_and_saveexec_b64 s[4:5], s[0:1]
	s_cbranch_execz .LBB12_24
; %bb.9:
	s_cmp_lt_i32 s3, 1
	s_mov_b64 s[6:7], 0
	s_cbranch_scc1 .LBB12_13
; %bb.10:
	s_cmp_gt_i32 s3, 1
	s_cbranch_scc0 .LBB12_14
; %bb.11:
	s_cmp_eq_u32 s3, 2
	s_cbranch_scc0 .LBB12_15
; %bb.12:
	s_waitcnt vmcnt(0)
	v_cmp_le_u16_sdwa s[10:11], v7, v10 src0_sel:BYTE_0 src1_sel:BYTE_0
	s_mov_b64 s[12:13], 0
	s_branch .LBB12_16
.LBB12_13:
                                        ; implicit-def: $sgpr10_sgpr11
	s_mov_b64 s[12:13], 0
	s_cbranch_execnz .LBB12_19
	s_branch .LBB12_20
.LBB12_14:
	s_mov_b64 s[12:13], 0
                                        ; implicit-def: $sgpr10_sgpr11
	s_cbranch_execnz .LBB12_17
	s_branch .LBB12_18
.LBB12_15:
	s_mov_b64 s[12:13], -1
                                        ; implicit-def: $sgpr10_sgpr11
.LBB12_16:
	s_branch .LBB12_18
.LBB12_17:
	s_waitcnt vmcnt(0)
	v_cmp_gt_u16_sdwa s[14:15], v7, v10 src0_sel:BYTE_0 src1_sel:BYTE_0
	s_andn2_b64 s[10:11], s[10:11], exec
	s_and_b64 s[14:15], s[14:15], exec
	s_or_b64 s[10:11], s[10:11], s[14:15]
.LBB12_18:
	s_branch .LBB12_20
.LBB12_19:
	s_cmp_lg_u32 s3, 0
	s_mov_b64 s[6:7], -1
	s_cselect_b64 s[12:13], -1, 0
.LBB12_20:
	s_andn2_b64 vcc, exec, s[12:13]
	s_cbranch_vccz .LBB12_29
; %bb.21:
	s_andn2_b64 vcc, exec, s[6:7]
	s_cbranch_vccnz .LBB12_23
.LBB12_22:
	s_waitcnt vmcnt(0)
	v_cmp_ge_u16_sdwa s[6:7], v7, v10 src0_sel:BYTE_0 src1_sel:BYTE_0
	s_andn2_b64 s[10:11], s[10:11], exec
	s_and_b64 s[6:7], s[6:7], exec
	s_or_b64 s[10:11], s[10:11], s[6:7]
.LBB12_23:
	v_cndmask_b32_e64 v4, 0, 1, s[10:11]
.LBB12_24:
	s_or_b64 exec, exec, s[4:5]
	s_waitcnt vmcnt(1)
	v_or_b32_e32 v7, 0x100, v0
	v_cmp_gt_i32_e32 vcc, s2, v7
	s_and_saveexec_b64 s[4:5], vcc
	s_cbranch_execz .LBB12_39
; %bb.25:
	s_cmp_lt_i32 s3, 1
	s_mov_b64 s[6:7], 0
	s_cbranch_scc1 .LBB12_30
; %bb.26:
	s_cmp_gt_i32 s3, 1
	s_cbranch_scc0 .LBB12_31
; %bb.27:
	s_cmp_eq_u32 s3, 2
	s_cbranch_scc0 .LBB12_79
; %bb.28:
	s_waitcnt vmcnt(0)
	v_cmp_le_u16_sdwa s[10:11], v8, v9 src0_sel:BYTE_0 src1_sel:BYTE_0
	s_mov_b64 s[12:13], 0
	s_branch .LBB12_33
.LBB12_29:
	s_waitcnt vmcnt(0)
	v_cmp_lt_u16_sdwa s[12:13], v7, v10 src0_sel:BYTE_0 src1_sel:BYTE_0
	s_andn2_b64 s[10:11], s[10:11], exec
	s_and_b64 s[12:13], s[12:13], exec
	s_or_b64 s[10:11], s[10:11], s[12:13]
	s_cbranch_execz .LBB12_22
	s_branch .LBB12_23
.LBB12_30:
                                        ; implicit-def: $sgpr10_sgpr11
	s_mov_b64 s[12:13], 0
	s_cbranch_execnz .LBB12_34
	s_branch .LBB12_35
.LBB12_31:
	s_mov_b64 s[12:13], 0
                                        ; implicit-def: $sgpr10_sgpr11
	s_cbranch_execz .LBB12_33
; %bb.32:
	s_waitcnt vmcnt(0)
	v_cmp_gt_u16_sdwa s[14:15], v8, v9 src0_sel:BYTE_0 src1_sel:BYTE_0
	s_andn2_b64 s[10:11], s[10:11], exec
	s_and_b64 s[14:15], s[14:15], exec
	s_or_b64 s[10:11], s[10:11], s[14:15]
.LBB12_33:
	s_branch .LBB12_35
.LBB12_34:
	s_cmp_lg_u32 s3, 0
	s_mov_b64 s[6:7], -1
	s_cselect_b64 s[12:13], -1, 0
.LBB12_35:
	s_andn2_b64 vcc, exec, s[12:13]
	s_cbranch_vccz .LBB12_44
; %bb.36:
	s_andn2_b64 vcc, exec, s[6:7]
	s_cbranch_vccnz .LBB12_38
.LBB12_37:
	s_waitcnt vmcnt(0)
	v_cmp_ge_u16_sdwa s[6:7], v8, v9 src0_sel:BYTE_0 src1_sel:BYTE_0
	s_andn2_b64 s[10:11], s[10:11], exec
	s_and_b64 s[6:7], s[6:7], exec
	s_or_b64 s[10:11], s[10:11], s[6:7]
.LBB12_38:
	v_cndmask_b32_e64 v8, 0, 1, s[10:11]
	v_lshlrev_b16_e32 v8, 8, v8
	v_or_b32_e32 v4, v4, v8
	v_and_b32_e32 v4, 0xffff, v4
.LBB12_39:
	s_or_b64 exec, exec, s[4:5]
	v_or_b32_e32 v8, 0x200, v0
	v_cmp_gt_i32_e32 vcc, s2, v8
	s_and_saveexec_b64 s[4:5], vcc
	s_cbranch_execz .LBB12_54
; %bb.40:
	s_cmp_lt_i32 s3, 1
	s_mov_b64 s[6:7], 0
	s_cbranch_scc1 .LBB12_45
; %bb.41:
	s_cmp_gt_i32 s3, 1
	s_cbranch_scc0 .LBB12_46
; %bb.42:
	s_cmp_eq_u32 s3, 2
	s_cbranch_scc0 .LBB12_80
; %bb.43:
	s_waitcnt vmcnt(0)
	v_cmp_le_u16_sdwa s[10:11], v6, v5 src0_sel:BYTE_0 src1_sel:BYTE_0
	s_mov_b64 s[12:13], 0
	s_branch .LBB12_48
.LBB12_44:
	s_waitcnt vmcnt(0)
	v_cmp_lt_u16_sdwa s[12:13], v8, v9 src0_sel:BYTE_0 src1_sel:BYTE_0
	s_andn2_b64 s[10:11], s[10:11], exec
	s_and_b64 s[12:13], s[12:13], exec
	s_or_b64 s[10:11], s[10:11], s[12:13]
	s_cbranch_execz .LBB12_37
	s_branch .LBB12_38
.LBB12_45:
                                        ; implicit-def: $sgpr10_sgpr11
	s_mov_b64 s[12:13], 0
	s_cbranch_execnz .LBB12_49
	s_branch .LBB12_50
.LBB12_46:
	s_mov_b64 s[12:13], 0
                                        ; implicit-def: $sgpr10_sgpr11
	s_cbranch_execz .LBB12_48
; %bb.47:
	s_waitcnt vmcnt(0)
	v_cmp_gt_u16_sdwa s[14:15], v6, v5 src0_sel:BYTE_0 src1_sel:BYTE_0
	s_andn2_b64 s[10:11], s[10:11], exec
	s_and_b64 s[14:15], s[14:15], exec
	s_or_b64 s[10:11], s[10:11], s[14:15]
.LBB12_48:
	s_branch .LBB12_50
.LBB12_49:
	s_cmp_lg_u32 s3, 0
	s_mov_b64 s[6:7], -1
	s_cselect_b64 s[12:13], -1, 0
.LBB12_50:
	s_andn2_b64 vcc, exec, s[12:13]
	s_cbranch_vccz .LBB12_59
; %bb.51:
	s_andn2_b64 vcc, exec, s[6:7]
	s_cbranch_vccnz .LBB12_53
.LBB12_52:
	s_waitcnt vmcnt(0)
	v_cmp_ge_u16_sdwa s[6:7], v6, v5 src0_sel:BYTE_0 src1_sel:BYTE_0
	s_andn2_b64 s[10:11], s[10:11], exec
	s_and_b64 s[6:7], s[6:7], exec
	s_or_b64 s[10:11], s[10:11], s[6:7]
.LBB12_53:
	s_waitcnt vmcnt(0)
	v_cndmask_b32_e64 v5, 0, 1, s[10:11]
	v_lshl_or_b32 v4, v5, 16, v4
.LBB12_54:
	s_or_b64 exec, exec, s[4:5]
	s_waitcnt vmcnt(0)
	v_or_b32_e32 v5, 0x300, v0
	v_cmp_gt_i32_e32 vcc, s2, v5
	s_and_saveexec_b64 s[4:5], vcc
	s_cbranch_execz .LBB12_69
; %bb.55:
	s_cmp_lt_i32 s3, 1
	s_mov_b64 s[6:7], 0
	s_cbranch_scc1 .LBB12_60
; %bb.56:
	s_cmp_gt_i32 s3, 1
	s_cbranch_scc0 .LBB12_61
; %bb.57:
	s_cmp_eq_u32 s3, 2
	s_cbranch_scc0 .LBB12_81
; %bb.58:
	v_cmp_le_u16_sdwa s[10:11], v3, v2 src0_sel:BYTE_0 src1_sel:BYTE_0
	s_mov_b64 s[12:13], 0
	s_branch .LBB12_63
.LBB12_59:
	s_waitcnt vmcnt(0)
	v_cmp_lt_u16_sdwa s[12:13], v6, v5 src0_sel:BYTE_0 src1_sel:BYTE_0
	s_andn2_b64 s[10:11], s[10:11], exec
	s_and_b64 s[12:13], s[12:13], exec
	s_or_b64 s[10:11], s[10:11], s[12:13]
	s_cbranch_execz .LBB12_52
	s_branch .LBB12_53
.LBB12_60:
                                        ; implicit-def: $sgpr10_sgpr11
	s_mov_b64 s[12:13], 0
	s_cbranch_execnz .LBB12_64
	s_branch .LBB12_65
.LBB12_61:
	s_mov_b64 s[12:13], 0
                                        ; implicit-def: $sgpr10_sgpr11
	s_cbranch_execz .LBB12_63
; %bb.62:
	v_cmp_gt_u16_sdwa s[14:15], v3, v2 src0_sel:BYTE_0 src1_sel:BYTE_0
	s_andn2_b64 s[10:11], s[10:11], exec
	s_and_b64 s[14:15], s[14:15], exec
	s_or_b64 s[10:11], s[10:11], s[14:15]
.LBB12_63:
	s_branch .LBB12_65
.LBB12_64:
	s_cmp_lg_u32 s3, 0
	s_mov_b64 s[6:7], -1
	s_cselect_b64 s[12:13], -1, 0
.LBB12_65:
	s_andn2_b64 vcc, exec, s[12:13]
	s_cbranch_vccz .LBB12_78
; %bb.66:
	s_andn2_b64 vcc, exec, s[6:7]
	s_cbranch_vccnz .LBB12_68
.LBB12_67:
	v_cmp_ge_u16_sdwa s[6:7], v3, v2 src0_sel:BYTE_0 src1_sel:BYTE_0
	s_andn2_b64 s[10:11], s[10:11], exec
	s_and_b64 s[6:7], s[6:7], exec
	s_or_b64 s[10:11], s[10:11], s[6:7]
.LBB12_68:
	v_cndmask_b32_e64 v2, 0, 1, s[10:11]
	v_lshlrev_b16_e32 v2, 8, v2
	v_or_b32_sdwa v2, v4, v2 dst_sel:WORD_1 dst_unused:UNUSED_PAD src0_sel:WORD_1 src1_sel:DWORD
	s_mov_b32 s3, 0xffff
	v_and_or_b32 v4, v4, s3, v2
.LBB12_69:
	s_or_b64 exec, exec, s[4:5]
	s_and_saveexec_b64 s[4:5], s[0:1]
	s_xor_b64 s[0:1], exec, s[4:5]
	s_cbranch_execz .LBB12_71
; %bb.70:
	v_mov_b32_e32 v0, v7
	global_store_byte v1, v4, s[8:9]
.LBB12_71:
	s_or_b64 exec, exec, s[0:1]
	v_cmp_gt_i32_e32 vcc, s2, v0
	s_and_saveexec_b64 s[0:1], vcc
	s_cbranch_execnz .LBB12_75
; %bb.72:
	s_or_b64 exec, exec, s[0:1]
	v_cmp_gt_i32_e32 vcc, s2, v0
	s_and_saveexec_b64 s[0:1], vcc
	s_cbranch_execnz .LBB12_76
.LBB12_73:
	s_or_b64 exec, exec, s[0:1]
	v_cmp_gt_i32_e32 vcc, s2, v0
	s_and_saveexec_b64 s[0:1], vcc
	s_cbranch_execnz .LBB12_77
.LBB12_74:
	s_endpgm
.LBB12_75:
	v_add_u32_e32 v1, 0x100, v0
	v_add_u32_e32 v0, s18, v0
	v_lshrrev_b32_e32 v2, 8, v4
	global_store_byte v0, v2, s[8:9]
	v_mov_b32_e32 v0, v1
	s_or_b64 exec, exec, s[0:1]
	v_cmp_gt_i32_e32 vcc, s2, v0
	s_and_saveexec_b64 s[0:1], vcc
	s_cbranch_execz .LBB12_73
.LBB12_76:
	v_add_u32_e32 v1, 0x100, v0
	v_add_u32_e32 v0, s18, v0
	global_store_byte_d16_hi v0, v4, s[8:9]
	v_mov_b32_e32 v0, v1
	s_or_b64 exec, exec, s[0:1]
	v_cmp_gt_i32_e32 vcc, s2, v0
	s_and_saveexec_b64 s[0:1], vcc
	s_cbranch_execz .LBB12_74
.LBB12_77:
	v_add_u32_e32 v0, s18, v0
	v_lshrrev_b32_e32 v1, 24, v4
	global_store_byte v0, v1, s[8:9]
	s_endpgm
.LBB12_78:
	v_cmp_lt_u16_sdwa s[12:13], v3, v2 src0_sel:BYTE_0 src1_sel:BYTE_0
	s_andn2_b64 s[10:11], s[10:11], exec
	s_and_b64 s[12:13], s[12:13], exec
	s_or_b64 s[10:11], s[10:11], s[12:13]
	s_cbranch_execz .LBB12_67
	s_branch .LBB12_68
.LBB12_79:
	s_mov_b64 s[12:13], -1
                                        ; implicit-def: $sgpr10_sgpr11
	s_branch .LBB12_33
.LBB12_80:
	s_mov_b64 s[12:13], -1
                                        ; implicit-def: $sgpr10_sgpr11
	s_branch .LBB12_48
.LBB12_81:
	s_mov_b64 s[12:13], -1
                                        ; implicit-def: $sgpr10_sgpr11
	s_branch .LBB12_63
	.section	.rodata,"a",@progbits
	.p2align	6, 0x0
	.amdhsa_kernel _ZN2at6native27unrolled_elementwise_kernelINS0_12_GLOBAL__N_114CompareFunctorIhEESt5arrayIPcLm3EELi4E23TrivialOffsetCalculatorILi2EjES8_ILi1EjENS0_6memory15LoadWithoutCastENSB_16StoreWithoutCastEEEviT_T0_T2_T3_T4_T5_
		.amdhsa_group_segment_fixed_size 0
		.amdhsa_private_segment_fixed_size 0
		.amdhsa_kernarg_size 36
		.amdhsa_user_sgpr_count 6
		.amdhsa_user_sgpr_private_segment_buffer 1
		.amdhsa_user_sgpr_dispatch_ptr 0
		.amdhsa_user_sgpr_queue_ptr 0
		.amdhsa_user_sgpr_kernarg_segment_ptr 1
		.amdhsa_user_sgpr_dispatch_id 0
		.amdhsa_user_sgpr_flat_scratch_init 0
		.amdhsa_user_sgpr_private_segment_size 0
		.amdhsa_uses_dynamic_stack 0
		.amdhsa_system_sgpr_private_segment_wavefront_offset 0
		.amdhsa_system_sgpr_workgroup_id_x 1
		.amdhsa_system_sgpr_workgroup_id_y 0
		.amdhsa_system_sgpr_workgroup_id_z 0
		.amdhsa_system_sgpr_workgroup_info 0
		.amdhsa_system_vgpr_workitem_id 0
		.amdhsa_next_free_vgpr 12
		.amdhsa_next_free_sgpr 19
		.amdhsa_reserve_vcc 1
		.amdhsa_reserve_flat_scratch 0
		.amdhsa_float_round_mode_32 0
		.amdhsa_float_round_mode_16_64 0
		.amdhsa_float_denorm_mode_32 3
		.amdhsa_float_denorm_mode_16_64 3
		.amdhsa_dx10_clamp 1
		.amdhsa_ieee_mode 1
		.amdhsa_fp16_overflow 0
		.amdhsa_exception_fp_ieee_invalid_op 0
		.amdhsa_exception_fp_denorm_src 0
		.amdhsa_exception_fp_ieee_div_zero 0
		.amdhsa_exception_fp_ieee_overflow 0
		.amdhsa_exception_fp_ieee_underflow 0
		.amdhsa_exception_fp_ieee_inexact 0
		.amdhsa_exception_int_div_zero 0
	.end_amdhsa_kernel
	.section	.text._ZN2at6native27unrolled_elementwise_kernelINS0_12_GLOBAL__N_114CompareFunctorIhEESt5arrayIPcLm3EELi4E23TrivialOffsetCalculatorILi2EjES8_ILi1EjENS0_6memory15LoadWithoutCastENSB_16StoreWithoutCastEEEviT_T0_T2_T3_T4_T5_,"axG",@progbits,_ZN2at6native27unrolled_elementwise_kernelINS0_12_GLOBAL__N_114CompareFunctorIhEESt5arrayIPcLm3EELi4E23TrivialOffsetCalculatorILi2EjES8_ILi1EjENS0_6memory15LoadWithoutCastENSB_16StoreWithoutCastEEEviT_T0_T2_T3_T4_T5_,comdat
.Lfunc_end12:
	.size	_ZN2at6native27unrolled_elementwise_kernelINS0_12_GLOBAL__N_114CompareFunctorIhEESt5arrayIPcLm3EELi4E23TrivialOffsetCalculatorILi2EjES8_ILi1EjENS0_6memory15LoadWithoutCastENSB_16StoreWithoutCastEEEviT_T0_T2_T3_T4_T5_, .Lfunc_end12-_ZN2at6native27unrolled_elementwise_kernelINS0_12_GLOBAL__N_114CompareFunctorIhEESt5arrayIPcLm3EELi4E23TrivialOffsetCalculatorILi2EjES8_ILi1EjENS0_6memory15LoadWithoutCastENSB_16StoreWithoutCastEEEviT_T0_T2_T3_T4_T5_
                                        ; -- End function
	.set _ZN2at6native27unrolled_elementwise_kernelINS0_12_GLOBAL__N_114CompareFunctorIhEESt5arrayIPcLm3EELi4E23TrivialOffsetCalculatorILi2EjES8_ILi1EjENS0_6memory15LoadWithoutCastENSB_16StoreWithoutCastEEEviT_T0_T2_T3_T4_T5_.num_vgpr, 12
	.set _ZN2at6native27unrolled_elementwise_kernelINS0_12_GLOBAL__N_114CompareFunctorIhEESt5arrayIPcLm3EELi4E23TrivialOffsetCalculatorILi2EjES8_ILi1EjENS0_6memory15LoadWithoutCastENSB_16StoreWithoutCastEEEviT_T0_T2_T3_T4_T5_.num_agpr, 0
	.set _ZN2at6native27unrolled_elementwise_kernelINS0_12_GLOBAL__N_114CompareFunctorIhEESt5arrayIPcLm3EELi4E23TrivialOffsetCalculatorILi2EjES8_ILi1EjENS0_6memory15LoadWithoutCastENSB_16StoreWithoutCastEEEviT_T0_T2_T3_T4_T5_.numbered_sgpr, 19
	.set _ZN2at6native27unrolled_elementwise_kernelINS0_12_GLOBAL__N_114CompareFunctorIhEESt5arrayIPcLm3EELi4E23TrivialOffsetCalculatorILi2EjES8_ILi1EjENS0_6memory15LoadWithoutCastENSB_16StoreWithoutCastEEEviT_T0_T2_T3_T4_T5_.num_named_barrier, 0
	.set _ZN2at6native27unrolled_elementwise_kernelINS0_12_GLOBAL__N_114CompareFunctorIhEESt5arrayIPcLm3EELi4E23TrivialOffsetCalculatorILi2EjES8_ILi1EjENS0_6memory15LoadWithoutCastENSB_16StoreWithoutCastEEEviT_T0_T2_T3_T4_T5_.private_seg_size, 0
	.set _ZN2at6native27unrolled_elementwise_kernelINS0_12_GLOBAL__N_114CompareFunctorIhEESt5arrayIPcLm3EELi4E23TrivialOffsetCalculatorILi2EjES8_ILi1EjENS0_6memory15LoadWithoutCastENSB_16StoreWithoutCastEEEviT_T0_T2_T3_T4_T5_.uses_vcc, 1
	.set _ZN2at6native27unrolled_elementwise_kernelINS0_12_GLOBAL__N_114CompareFunctorIhEESt5arrayIPcLm3EELi4E23TrivialOffsetCalculatorILi2EjES8_ILi1EjENS0_6memory15LoadWithoutCastENSB_16StoreWithoutCastEEEviT_T0_T2_T3_T4_T5_.uses_flat_scratch, 0
	.set _ZN2at6native27unrolled_elementwise_kernelINS0_12_GLOBAL__N_114CompareFunctorIhEESt5arrayIPcLm3EELi4E23TrivialOffsetCalculatorILi2EjES8_ILi1EjENS0_6memory15LoadWithoutCastENSB_16StoreWithoutCastEEEviT_T0_T2_T3_T4_T5_.has_dyn_sized_stack, 0
	.set _ZN2at6native27unrolled_elementwise_kernelINS0_12_GLOBAL__N_114CompareFunctorIhEESt5arrayIPcLm3EELi4E23TrivialOffsetCalculatorILi2EjES8_ILi1EjENS0_6memory15LoadWithoutCastENSB_16StoreWithoutCastEEEviT_T0_T2_T3_T4_T5_.has_recursion, 0
	.set _ZN2at6native27unrolled_elementwise_kernelINS0_12_GLOBAL__N_114CompareFunctorIhEESt5arrayIPcLm3EELi4E23TrivialOffsetCalculatorILi2EjES8_ILi1EjENS0_6memory15LoadWithoutCastENSB_16StoreWithoutCastEEEviT_T0_T2_T3_T4_T5_.has_indirect_call, 0
	.section	.AMDGPU.csdata,"",@progbits
; Kernel info:
; codeLenInByte = 1392
; TotalNumSgprs: 23
; NumVgprs: 12
; ScratchSize: 0
; MemoryBound: 0
; FloatMode: 240
; IeeeMode: 1
; LDSByteSize: 0 bytes/workgroup (compile time only)
; SGPRBlocks: 2
; VGPRBlocks: 2
; NumSGPRsForWavesPerEU: 23
; NumVGPRsForWavesPerEU: 12
; Occupancy: 10
; WaveLimiterHint : 0
; COMPUTE_PGM_RSRC2:SCRATCH_EN: 0
; COMPUTE_PGM_RSRC2:USER_SGPR: 6
; COMPUTE_PGM_RSRC2:TRAP_HANDLER: 0
; COMPUTE_PGM_RSRC2:TGID_X_EN: 1
; COMPUTE_PGM_RSRC2:TGID_Y_EN: 0
; COMPUTE_PGM_RSRC2:TGID_Z_EN: 0
; COMPUTE_PGM_RSRC2:TIDIG_COMP_CNT: 0
	.section	.text._ZN2at6native32elementwise_kernel_manual_unrollILi128ELi8EZNS0_22gpu_kernel_impl_nocastINS0_12_GLOBAL__N_114CompareFunctorIhEEEEvRNS_18TensorIteratorBaseERKT_EUlibE_EEviT1_,"axG",@progbits,_ZN2at6native32elementwise_kernel_manual_unrollILi128ELi8EZNS0_22gpu_kernel_impl_nocastINS0_12_GLOBAL__N_114CompareFunctorIhEEEEvRNS_18TensorIteratorBaseERKT_EUlibE_EEviT1_,comdat
	.globl	_ZN2at6native32elementwise_kernel_manual_unrollILi128ELi8EZNS0_22gpu_kernel_impl_nocastINS0_12_GLOBAL__N_114CompareFunctorIhEEEEvRNS_18TensorIteratorBaseERKT_EUlibE_EEviT1_ ; -- Begin function _ZN2at6native32elementwise_kernel_manual_unrollILi128ELi8EZNS0_22gpu_kernel_impl_nocastINS0_12_GLOBAL__N_114CompareFunctorIhEEEEvRNS_18TensorIteratorBaseERKT_EUlibE_EEviT1_
	.p2align	8
	.type	_ZN2at6native32elementwise_kernel_manual_unrollILi128ELi8EZNS0_22gpu_kernel_impl_nocastINS0_12_GLOBAL__N_114CompareFunctorIhEEEEvRNS_18TensorIteratorBaseERKT_EUlibE_EEviT1_,@function
_ZN2at6native32elementwise_kernel_manual_unrollILi128ELi8EZNS0_22gpu_kernel_impl_nocastINS0_12_GLOBAL__N_114CompareFunctorIhEEEEvRNS_18TensorIteratorBaseERKT_EUlibE_EEviT1_: ; @_ZN2at6native32elementwise_kernel_manual_unrollILi128ELi8EZNS0_22gpu_kernel_impl_nocastINS0_12_GLOBAL__N_114CompareFunctorIhEEEEvRNS_18TensorIteratorBaseERKT_EUlibE_EEviT1_
; %bb.0:
	s_load_dword s43, s[4:5], 0x0
	s_load_dword s33, s[4:5], 0x8
	s_add_u32 s12, s4, 8
	s_addc_u32 s13, s5, 0
	v_lshl_or_b32 v21, s6, 10, v0
	v_or_b32_e32 v37, 0x380, v21
	s_waitcnt lgkmcnt(0)
	s_add_i32 s40, s33, -1
	s_cmp_gt_u32 s40, 1
	v_cmp_le_i32_e32 vcc, s43, v37
	s_cselect_b64 s[14:15], -1, 0
	s_and_saveexec_b64 s[0:1], vcc
	s_xor_b64 s[16:17], exec, s[0:1]
	s_cbranch_execz .LBB13_211
; %bb.1:
	s_load_dwordx4 s[8:11], s[12:13], 0x4
	s_load_dwordx2 s[22:23], s[12:13], 0x14
	s_load_dwordx4 s[4:7], s[12:13], 0xc4
	s_load_dwordx2 s[20:21], s[12:13], 0xd4
	s_load_dwordx2 s[18:19], s[12:13], 0x198
	s_load_dwordx4 s[0:3], s[12:13], 0x188
	s_load_dword s41, s[12:13], 0x1a0
	s_cmp_lg_u32 s33, 0
	s_cselect_b64 s[26:27], -1, 0
	s_min_u32 s42, s40, 15
	s_cmp_gt_u32 s33, 1
	s_cselect_b64 s[24:25], -1, 0
	v_cmp_gt_i32_e32 vcc, s43, v21
	s_and_saveexec_b64 s[28:29], vcc
	s_cbranch_execnz .LBB13_9
; %bb.2:
	s_or_b64 exec, exec, s[28:29]
	v_cmp_gt_i32_e32 vcc, s43, v21
	s_and_saveexec_b64 s[28:29], vcc
	s_cbranch_execnz .LBB13_35
.LBB13_3:
	s_or_b64 exec, exec, s[28:29]
	v_cmp_gt_i32_e32 vcc, s43, v21
	s_and_saveexec_b64 s[28:29], vcc
	s_cbranch_execnz .LBB13_60
.LBB13_4:
	s_or_b64 exec, exec, s[28:29]
	v_cmp_gt_i32_e32 vcc, s43, v21
	s_and_saveexec_b64 s[28:29], vcc
	s_cbranch_execnz .LBB13_85
.LBB13_5:
	s_or_b64 exec, exec, s[28:29]
	v_cmp_gt_i32_e32 vcc, s43, v21
	s_and_saveexec_b64 s[28:29], vcc
	s_cbranch_execnz .LBB13_110
.LBB13_6:
	s_or_b64 exec, exec, s[28:29]
	v_cmp_gt_i32_e32 vcc, s43, v21
	s_and_saveexec_b64 s[28:29], vcc
	s_cbranch_execnz .LBB13_135
.LBB13_7:
	s_or_b64 exec, exec, s[28:29]
	v_cmp_gt_i32_e32 vcc, s43, v21
	s_and_saveexec_b64 s[28:29], vcc
	s_cbranch_execnz .LBB13_160
.LBB13_8:
	s_or_b64 exec, exec, s[28:29]
	v_cmp_gt_i32_e32 vcc, s43, v21
	s_and_saveexec_b64 s[28:29], vcc
	s_cbranch_execnz .LBB13_185
	s_branch .LBB13_210
.LBB13_9:
	s_andn2_b64 vcc, exec, s[14:15]
	s_cbranch_vccnz .LBB13_15
; %bb.10:
	s_andn2_b64 vcc, exec, s[26:27]
	s_cbranch_vccnz .LBB13_16
; %bb.11:
	s_add_i32 s30, s42, 1
	s_and_b32 s34, s30, 30
	s_add_u32 s30, s12, 0xffffffe8
	s_addc_u32 s31, s13, -1
	v_mov_b32_e32 v2, 0
	v_mov_b32_e32 v4, 0
	;; [unrolled: 1-line block ×4, first 2 shown]
.LBB13_12:                              ; =>This Inner Loop Header: Depth=1
	s_load_dwordx4 s[36:39], s[30:31], 0x1c
	s_load_dwordx2 s[48:49], s[30:31], 0x2c
	s_load_dwordx2 s[50:51], s[30:31], 0xec
	s_load_dwordx4 s[44:47], s[30:31], 0xdc
	s_add_u32 s30, s30, 24
	s_waitcnt lgkmcnt(0)
	v_mul_hi_u32 v3, s37, v1
	s_addc_u32 s31, s31, 0
	s_add_i32 s34, s34, -2
	s_cmp_lg_u32 s34, 0
	v_add_u32_e32 v3, v1, v3
	v_lshrrev_b32_e32 v3, s38, v3
	v_mul_lo_u32 v5, v3, s36
	v_mul_hi_u32 v6, s48, v3
	v_sub_u32_e32 v5, v1, v5
	v_add_u32_e32 v1, v3, v6
	v_lshrrev_b32_e32 v1, s49, v1
	v_mul_lo_u32 v8, v1, s39
	v_mul_lo_u32 v6, v5, s44
	;; [unrolled: 1-line block ×4, first 2 shown]
	v_sub_u32_e32 v3, v3, v8
	v_mul_lo_u32 v8, v3, s47
	v_mul_lo_u32 v9, v3, s50
	;; [unrolled: 1-line block ×3, first 2 shown]
	v_add3_u32 v0, v6, v0, v8
	v_add3_u32 v4, v7, v4, v9
	;; [unrolled: 1-line block ×3, first 2 shown]
	s_cbranch_scc1 .LBB13_12
; %bb.13:
	s_bitcmp1_b32 s42, 0
	s_cselect_b64 s[34:35], -1, 0
	s_and_b64 vcc, exec, s[34:35]
	s_cbranch_vccnz .LBB13_17
; %bb.14:
	s_load_dwordx2 s[34:35], s[30:31], 0x1c
	s_load_dword s38, s[30:31], 0x24
	s_load_dwordx2 s[36:37], s[30:31], 0xdc
	s_waitcnt lgkmcnt(0)
	v_mul_hi_u32 v3, s35, v1
	v_add_u32_e32 v3, v1, v3
	v_lshrrev_b32_e32 v3, s38, v3
	v_mul_lo_u32 v3, v3, s34
	s_load_dword s34, s[30:31], 0xe4
	v_sub_u32_e32 v3, v1, v3
	v_mad_u64_u32 v[0:1], s[30:31], v3, s36, v[0:1]
	v_mad_u64_u32 v[4:5], s[30:31], v3, s37, v[4:5]
	s_waitcnt lgkmcnt(0)
	v_mad_u64_u32 v[2:3], s[30:31], v3, s34, v[2:3]
	s_cbranch_execz .LBB13_18
	s_branch .LBB13_20
.LBB13_15:
                                        ; implicit-def: $vgpr0
                                        ; implicit-def: $vgpr4
                                        ; implicit-def: $vgpr2
	s_branch .LBB13_18
.LBB13_16:
	v_mov_b32_e32 v0, 0
	v_mov_b32_e32 v4, 0
	;; [unrolled: 1-line block ×3, first 2 shown]
.LBB13_17:
	s_cbranch_execnz .LBB13_20
.LBB13_18:
	s_waitcnt lgkmcnt(0)
	v_mul_hi_u32 v0, s9, v21
	s_andn2_b64 vcc, exec, s[24:25]
	v_add_u32_e32 v0, v21, v0
	v_lshrrev_b32_e32 v1, s10, v0
	v_mul_lo_u32 v0, v1, s8
	v_sub_u32_e32 v2, v21, v0
	v_mul_lo_u32 v0, v2, s4
	v_mul_lo_u32 v4, v2, s5
	v_mul_lo_u32 v2, v2, s6
	s_cbranch_vccnz .LBB13_20
; %bb.19:
	v_mul_hi_u32 v3, s22, v1
	v_add_u32_e32 v3, v1, v3
	v_lshrrev_b32_e32 v3, s23, v3
	v_mul_lo_u32 v3, v3, s11
	v_sub_u32_e32 v3, v1, v3
	v_mad_u64_u32 v[0:1], s[30:31], v3, s7, v[0:1]
	v_mad_u64_u32 v[4:5], s[30:31], v3, s20, v[4:5]
	;; [unrolled: 1-line block ×3, first 2 shown]
.LBB13_20:
	s_waitcnt lgkmcnt(0)
	global_load_ubyte v1, v4, s[2:3]
	global_load_ubyte v3, v2, s[18:19]
	s_cmp_lt_i32 s41, 1
	s_mov_b64 s[30:31], 0
	s_cbranch_scc1 .LBB13_24
; %bb.21:
	s_cmp_gt_i32 s41, 1
	s_cbranch_scc0 .LBB13_25
; %bb.22:
	s_cmp_eq_u32 s41, 2
	s_cbranch_scc0 .LBB13_26
; %bb.23:
	s_waitcnt vmcnt(0)
	v_cmp_le_u16_sdwa s[34:35], v1, v3 src0_sel:BYTE_0 src1_sel:BYTE_0
	s_mov_b64 s[36:37], 0
	s_branch .LBB13_27
.LBB13_24:
                                        ; implicit-def: $sgpr34_sgpr35
	s_mov_b64 s[36:37], 0
	s_cbranch_execnz .LBB13_30
	s_branch .LBB13_31
.LBB13_25:
	s_mov_b64 s[36:37], 0
                                        ; implicit-def: $sgpr34_sgpr35
	s_cbranch_execnz .LBB13_28
	s_branch .LBB13_29
.LBB13_26:
	s_mov_b64 s[36:37], -1
                                        ; implicit-def: $sgpr34_sgpr35
.LBB13_27:
	s_branch .LBB13_29
.LBB13_28:
	s_waitcnt vmcnt(0)
	v_cmp_gt_u16_sdwa s[38:39], v1, v3 src0_sel:BYTE_0 src1_sel:BYTE_0
	s_andn2_b64 s[34:35], s[34:35], exec
	s_and_b64 s[38:39], s[38:39], exec
	s_or_b64 s[34:35], s[34:35], s[38:39]
.LBB13_29:
	s_branch .LBB13_31
.LBB13_30:
	s_cmp_lg_u32 s41, 0
	s_mov_b64 s[30:31], -1
	s_cselect_b64 s[36:37], -1, 0
.LBB13_31:
	s_andn2_b64 vcc, exec, s[36:37]
	s_cbranch_vccz .LBB13_41
; %bb.32:
	s_andn2_b64 vcc, exec, s[30:31]
	s_cbranch_vccnz .LBB13_34
.LBB13_33:
	s_waitcnt vmcnt(0)
	v_cmp_ge_u16_sdwa s[30:31], v1, v3 src0_sel:BYTE_0 src1_sel:BYTE_0
	s_andn2_b64 s[34:35], s[34:35], exec
	s_and_b64 s[30:31], s[30:31], exec
	s_or_b64 s[34:35], s[34:35], s[30:31]
.LBB13_34:
	s_waitcnt vmcnt(1)
	v_cndmask_b32_e64 v1, 0, 1, s[34:35]
	v_add_u32_e32 v21, 0x80, v21
	global_store_byte v0, v1, s[0:1]
	s_or_b64 exec, exec, s[28:29]
	v_cmp_gt_i32_e32 vcc, s43, v21
	s_and_saveexec_b64 s[28:29], vcc
	s_cbranch_execz .LBB13_3
.LBB13_35:
	s_andn2_b64 vcc, exec, s[14:15]
	s_cbranch_vccnz .LBB13_42
; %bb.36:
	s_andn2_b64 vcc, exec, s[26:27]
	s_cbranch_vccnz .LBB13_43
; %bb.37:
	s_add_i32 s30, s42, 1
	s_and_b32 s34, s30, 30
	s_add_u32 s30, s12, 0xffffffe8
	s_addc_u32 s31, s13, -1
	v_mov_b32_e32 v2, 0
	v_mov_b32_e32 v4, 0
	;; [unrolled: 1-line block ×4, first 2 shown]
.LBB13_38:                              ; =>This Inner Loop Header: Depth=1
	s_load_dwordx4 s[36:39], s[30:31], 0x1c
	s_load_dwordx2 s[48:49], s[30:31], 0x2c
	s_load_dwordx2 s[50:51], s[30:31], 0xec
	s_load_dwordx4 s[44:47], s[30:31], 0xdc
	s_add_u32 s30, s30, 24
	s_waitcnt vmcnt(1) lgkmcnt(0)
	v_mul_hi_u32 v3, s37, v1
	s_addc_u32 s31, s31, 0
	s_add_i32 s34, s34, -2
	s_cmp_eq_u32 s34, 0
	v_add_u32_e32 v3, v1, v3
	v_lshrrev_b32_e32 v3, s38, v3
	v_mul_lo_u32 v5, v3, s36
	v_mul_hi_u32 v6, s48, v3
	v_sub_u32_e32 v5, v1, v5
	v_add_u32_e32 v1, v3, v6
	v_lshrrev_b32_e32 v1, s49, v1
	v_mul_lo_u32 v8, v1, s39
	v_mul_lo_u32 v6, v5, s44
	;; [unrolled: 1-line block ×4, first 2 shown]
	v_sub_u32_e32 v3, v3, v8
	v_mul_lo_u32 v8, v3, s47
	v_mul_lo_u32 v9, v3, s50
	;; [unrolled: 1-line block ×3, first 2 shown]
	v_add3_u32 v0, v6, v0, v8
	v_add3_u32 v4, v7, v4, v9
	;; [unrolled: 1-line block ×3, first 2 shown]
	s_cbranch_scc0 .LBB13_38
; %bb.39:
	s_bitcmp1_b32 s42, 0
	s_cselect_b64 s[34:35], -1, 0
	s_and_b64 vcc, exec, s[34:35]
	s_cbranch_vccnz .LBB13_44
; %bb.40:
	s_load_dwordx2 s[34:35], s[30:31], 0x1c
	s_load_dword s38, s[30:31], 0x24
	s_load_dwordx2 s[36:37], s[30:31], 0xdc
	s_waitcnt lgkmcnt(0)
	v_mul_hi_u32 v3, s35, v1
	v_add_u32_e32 v3, v1, v3
	v_lshrrev_b32_e32 v3, s38, v3
	v_mul_lo_u32 v3, v3, s34
	s_load_dword s34, s[30:31], 0xe4
	v_sub_u32_e32 v3, v1, v3
	v_mad_u64_u32 v[0:1], s[30:31], v3, s36, v[0:1]
	v_mad_u64_u32 v[4:5], s[30:31], v3, s37, v[4:5]
	s_waitcnt lgkmcnt(0)
	v_mad_u64_u32 v[2:3], s[30:31], v3, s34, v[2:3]
	s_branch .LBB13_44
.LBB13_41:
	s_waitcnt vmcnt(0)
	v_cmp_lt_u16_sdwa s[36:37], v1, v3 src0_sel:BYTE_0 src1_sel:BYTE_0
	s_andn2_b64 s[34:35], s[34:35], exec
	s_and_b64 s[36:37], s[36:37], exec
	s_or_b64 s[34:35], s[34:35], s[36:37]
	s_cbranch_execz .LBB13_33
	s_branch .LBB13_34
.LBB13_42:
                                        ; implicit-def: $vgpr0
                                        ; implicit-def: $vgpr4
                                        ; implicit-def: $vgpr2
	s_branch .LBB13_45
.LBB13_43:
	v_mov_b32_e32 v0, 0
	v_mov_b32_e32 v4, 0
	v_mov_b32_e32 v2, 0
.LBB13_44:
	s_cbranch_execnz .LBB13_47
.LBB13_45:
	s_waitcnt lgkmcnt(0)
	v_mul_hi_u32 v0, s9, v21
	s_andn2_b64 vcc, exec, s[24:25]
	v_add_u32_e32 v0, v21, v0
	v_lshrrev_b32_e32 v1, s10, v0
	v_mul_lo_u32 v0, v1, s8
	v_sub_u32_e32 v2, v21, v0
	v_mul_lo_u32 v0, v2, s4
	v_mul_lo_u32 v4, v2, s5
	;; [unrolled: 1-line block ×3, first 2 shown]
	s_cbranch_vccnz .LBB13_47
; %bb.46:
	s_waitcnt vmcnt(1)
	v_mul_hi_u32 v3, s22, v1
	v_add_u32_e32 v3, v1, v3
	v_lshrrev_b32_e32 v3, s23, v3
	v_mul_lo_u32 v3, v3, s11
	v_sub_u32_e32 v3, v1, v3
	v_mad_u64_u32 v[0:1], s[30:31], v3, s7, v[0:1]
	v_mad_u64_u32 v[4:5], s[30:31], v3, s20, v[4:5]
	;; [unrolled: 1-line block ×3, first 2 shown]
.LBB13_47:
	s_waitcnt lgkmcnt(0)
	global_load_ubyte v1, v4, s[2:3]
	global_load_ubyte v3, v2, s[18:19]
	s_cmp_lt_i32 s41, 1
	s_mov_b64 s[30:31], 0
	s_cbranch_scc1 .LBB13_51
; %bb.48:
	s_cmp_gt_i32 s41, 1
	s_cbranch_scc0 .LBB13_52
; %bb.49:
	s_cmp_eq_u32 s41, 2
	s_cbranch_scc0 .LBB13_423
; %bb.50:
	s_waitcnt vmcnt(0)
	v_cmp_le_u16_sdwa s[34:35], v1, v3 src0_sel:BYTE_0 src1_sel:BYTE_0
	s_mov_b64 s[36:37], 0
	s_branch .LBB13_54
.LBB13_51:
                                        ; implicit-def: $sgpr34_sgpr35
	s_mov_b64 s[36:37], 0
	s_cbranch_execnz .LBB13_55
	s_branch .LBB13_56
.LBB13_52:
	s_mov_b64 s[36:37], 0
                                        ; implicit-def: $sgpr34_sgpr35
	s_cbranch_execz .LBB13_54
; %bb.53:
	s_waitcnt vmcnt(0)
	v_cmp_gt_u16_sdwa s[38:39], v1, v3 src0_sel:BYTE_0 src1_sel:BYTE_0
	s_andn2_b64 s[34:35], s[34:35], exec
	s_and_b64 s[38:39], s[38:39], exec
	s_or_b64 s[34:35], s[34:35], s[38:39]
.LBB13_54:
	s_branch .LBB13_56
.LBB13_55:
	s_cmp_lg_u32 s41, 0
	s_mov_b64 s[30:31], -1
	s_cselect_b64 s[36:37], -1, 0
.LBB13_56:
	s_andn2_b64 vcc, exec, s[36:37]
	s_cbranch_vccz .LBB13_66
; %bb.57:
	s_andn2_b64 vcc, exec, s[30:31]
	s_cbranch_vccnz .LBB13_59
.LBB13_58:
	s_waitcnt vmcnt(0)
	v_cmp_ge_u16_sdwa s[30:31], v1, v3 src0_sel:BYTE_0 src1_sel:BYTE_0
	s_andn2_b64 s[34:35], s[34:35], exec
	s_and_b64 s[30:31], s[30:31], exec
	s_or_b64 s[34:35], s[34:35], s[30:31]
.LBB13_59:
	s_waitcnt vmcnt(1)
	v_cndmask_b32_e64 v1, 0, 1, s[34:35]
	v_add_u32_e32 v21, 0x80, v21
	global_store_byte v0, v1, s[0:1]
	s_or_b64 exec, exec, s[28:29]
	v_cmp_gt_i32_e32 vcc, s43, v21
	s_and_saveexec_b64 s[28:29], vcc
	s_cbranch_execz .LBB13_4
.LBB13_60:
	s_andn2_b64 vcc, exec, s[14:15]
	s_cbranch_vccnz .LBB13_67
; %bb.61:
	s_andn2_b64 vcc, exec, s[26:27]
	s_cbranch_vccnz .LBB13_68
; %bb.62:
	s_add_i32 s30, s42, 1
	s_and_b32 s34, s30, 30
	s_add_u32 s30, s12, 0xffffffe8
	s_addc_u32 s31, s13, -1
	v_mov_b32_e32 v2, 0
	v_mov_b32_e32 v4, 0
	;; [unrolled: 1-line block ×4, first 2 shown]
.LBB13_63:                              ; =>This Inner Loop Header: Depth=1
	s_load_dwordx4 s[36:39], s[30:31], 0x1c
	s_load_dwordx2 s[48:49], s[30:31], 0x2c
	s_load_dwordx2 s[50:51], s[30:31], 0xec
	s_load_dwordx4 s[44:47], s[30:31], 0xdc
	s_add_u32 s30, s30, 24
	s_waitcnt vmcnt(1) lgkmcnt(0)
	v_mul_hi_u32 v3, s37, v1
	s_addc_u32 s31, s31, 0
	s_add_i32 s34, s34, -2
	s_cmp_eq_u32 s34, 0
	v_add_u32_e32 v3, v1, v3
	v_lshrrev_b32_e32 v3, s38, v3
	v_mul_lo_u32 v5, v3, s36
	v_mul_hi_u32 v6, s48, v3
	v_sub_u32_e32 v5, v1, v5
	v_add_u32_e32 v1, v3, v6
	v_lshrrev_b32_e32 v1, s49, v1
	v_mul_lo_u32 v8, v1, s39
	v_mul_lo_u32 v6, v5, s44
	;; [unrolled: 1-line block ×4, first 2 shown]
	v_sub_u32_e32 v3, v3, v8
	v_mul_lo_u32 v8, v3, s47
	v_mul_lo_u32 v9, v3, s50
	;; [unrolled: 1-line block ×3, first 2 shown]
	v_add3_u32 v0, v6, v0, v8
	v_add3_u32 v4, v7, v4, v9
	;; [unrolled: 1-line block ×3, first 2 shown]
	s_cbranch_scc0 .LBB13_63
; %bb.64:
	s_bitcmp1_b32 s42, 0
	s_cselect_b64 s[34:35], -1, 0
	s_and_b64 vcc, exec, s[34:35]
	s_cbranch_vccnz .LBB13_69
; %bb.65:
	s_load_dwordx2 s[34:35], s[30:31], 0x1c
	s_load_dword s38, s[30:31], 0x24
	s_load_dwordx2 s[36:37], s[30:31], 0xdc
	s_waitcnt lgkmcnt(0)
	v_mul_hi_u32 v3, s35, v1
	v_add_u32_e32 v3, v1, v3
	v_lshrrev_b32_e32 v3, s38, v3
	v_mul_lo_u32 v3, v3, s34
	s_load_dword s34, s[30:31], 0xe4
	v_sub_u32_e32 v3, v1, v3
	v_mad_u64_u32 v[0:1], s[30:31], v3, s36, v[0:1]
	v_mad_u64_u32 v[4:5], s[30:31], v3, s37, v[4:5]
	s_waitcnt lgkmcnt(0)
	v_mad_u64_u32 v[2:3], s[30:31], v3, s34, v[2:3]
	s_branch .LBB13_69
.LBB13_66:
	s_waitcnt vmcnt(0)
	v_cmp_lt_u16_sdwa s[36:37], v1, v3 src0_sel:BYTE_0 src1_sel:BYTE_0
	s_andn2_b64 s[34:35], s[34:35], exec
	s_and_b64 s[36:37], s[36:37], exec
	s_or_b64 s[34:35], s[34:35], s[36:37]
	s_cbranch_execz .LBB13_58
	s_branch .LBB13_59
.LBB13_67:
                                        ; implicit-def: $vgpr0
                                        ; implicit-def: $vgpr4
                                        ; implicit-def: $vgpr2
	s_branch .LBB13_70
.LBB13_68:
	v_mov_b32_e32 v0, 0
	v_mov_b32_e32 v4, 0
	;; [unrolled: 1-line block ×3, first 2 shown]
.LBB13_69:
	s_cbranch_execnz .LBB13_72
.LBB13_70:
	s_waitcnt lgkmcnt(0)
	v_mul_hi_u32 v0, s9, v21
	s_andn2_b64 vcc, exec, s[24:25]
	v_add_u32_e32 v0, v21, v0
	v_lshrrev_b32_e32 v1, s10, v0
	v_mul_lo_u32 v0, v1, s8
	v_sub_u32_e32 v2, v21, v0
	v_mul_lo_u32 v0, v2, s4
	v_mul_lo_u32 v4, v2, s5
	;; [unrolled: 1-line block ×3, first 2 shown]
	s_cbranch_vccnz .LBB13_72
; %bb.71:
	s_waitcnt vmcnt(1)
	v_mul_hi_u32 v3, s22, v1
	v_add_u32_e32 v3, v1, v3
	v_lshrrev_b32_e32 v3, s23, v3
	v_mul_lo_u32 v3, v3, s11
	v_sub_u32_e32 v3, v1, v3
	v_mad_u64_u32 v[0:1], s[30:31], v3, s7, v[0:1]
	v_mad_u64_u32 v[4:5], s[30:31], v3, s20, v[4:5]
	;; [unrolled: 1-line block ×3, first 2 shown]
.LBB13_72:
	s_waitcnt lgkmcnt(0)
	global_load_ubyte v1, v4, s[2:3]
	global_load_ubyte v3, v2, s[18:19]
	s_cmp_lt_i32 s41, 1
	s_mov_b64 s[30:31], 0
	s_cbranch_scc1 .LBB13_76
; %bb.73:
	s_cmp_gt_i32 s41, 1
	s_cbranch_scc0 .LBB13_77
; %bb.74:
	s_cmp_eq_u32 s41, 2
	s_cbranch_scc0 .LBB13_424
; %bb.75:
	s_waitcnt vmcnt(0)
	v_cmp_le_u16_sdwa s[34:35], v1, v3 src0_sel:BYTE_0 src1_sel:BYTE_0
	s_mov_b64 s[36:37], 0
	s_branch .LBB13_79
.LBB13_76:
                                        ; implicit-def: $sgpr34_sgpr35
	s_mov_b64 s[36:37], 0
	s_cbranch_execnz .LBB13_80
	s_branch .LBB13_81
.LBB13_77:
	s_mov_b64 s[36:37], 0
                                        ; implicit-def: $sgpr34_sgpr35
	s_cbranch_execz .LBB13_79
; %bb.78:
	s_waitcnt vmcnt(0)
	v_cmp_gt_u16_sdwa s[38:39], v1, v3 src0_sel:BYTE_0 src1_sel:BYTE_0
	s_andn2_b64 s[34:35], s[34:35], exec
	s_and_b64 s[38:39], s[38:39], exec
	s_or_b64 s[34:35], s[34:35], s[38:39]
.LBB13_79:
	s_branch .LBB13_81
.LBB13_80:
	s_cmp_lg_u32 s41, 0
	s_mov_b64 s[30:31], -1
	s_cselect_b64 s[36:37], -1, 0
.LBB13_81:
	s_andn2_b64 vcc, exec, s[36:37]
	s_cbranch_vccz .LBB13_91
; %bb.82:
	s_andn2_b64 vcc, exec, s[30:31]
	s_cbranch_vccnz .LBB13_84
.LBB13_83:
	s_waitcnt vmcnt(0)
	v_cmp_ge_u16_sdwa s[30:31], v1, v3 src0_sel:BYTE_0 src1_sel:BYTE_0
	s_andn2_b64 s[34:35], s[34:35], exec
	s_and_b64 s[30:31], s[30:31], exec
	s_or_b64 s[34:35], s[34:35], s[30:31]
.LBB13_84:
	s_waitcnt vmcnt(1)
	v_cndmask_b32_e64 v1, 0, 1, s[34:35]
	v_add_u32_e32 v21, 0x80, v21
	global_store_byte v0, v1, s[0:1]
	s_or_b64 exec, exec, s[28:29]
	v_cmp_gt_i32_e32 vcc, s43, v21
	s_and_saveexec_b64 s[28:29], vcc
	s_cbranch_execz .LBB13_5
.LBB13_85:
	s_andn2_b64 vcc, exec, s[14:15]
	s_cbranch_vccnz .LBB13_92
; %bb.86:
	s_andn2_b64 vcc, exec, s[26:27]
	s_cbranch_vccnz .LBB13_93
; %bb.87:
	s_add_i32 s30, s42, 1
	s_and_b32 s34, s30, 30
	s_add_u32 s30, s12, 0xffffffe8
	s_addc_u32 s31, s13, -1
	v_mov_b32_e32 v2, 0
	v_mov_b32_e32 v4, 0
	;; [unrolled: 1-line block ×4, first 2 shown]
.LBB13_88:                              ; =>This Inner Loop Header: Depth=1
	s_load_dwordx4 s[36:39], s[30:31], 0x1c
	s_load_dwordx2 s[48:49], s[30:31], 0x2c
	s_load_dwordx2 s[50:51], s[30:31], 0xec
	s_load_dwordx4 s[44:47], s[30:31], 0xdc
	s_add_u32 s30, s30, 24
	s_waitcnt vmcnt(1) lgkmcnt(0)
	v_mul_hi_u32 v3, s37, v1
	s_addc_u32 s31, s31, 0
	s_add_i32 s34, s34, -2
	s_cmp_eq_u32 s34, 0
	v_add_u32_e32 v3, v1, v3
	v_lshrrev_b32_e32 v3, s38, v3
	v_mul_lo_u32 v5, v3, s36
	v_mul_hi_u32 v6, s48, v3
	v_sub_u32_e32 v5, v1, v5
	v_add_u32_e32 v1, v3, v6
	v_lshrrev_b32_e32 v1, s49, v1
	v_mul_lo_u32 v8, v1, s39
	v_mul_lo_u32 v6, v5, s44
	;; [unrolled: 1-line block ×4, first 2 shown]
	v_sub_u32_e32 v3, v3, v8
	v_mul_lo_u32 v8, v3, s47
	v_mul_lo_u32 v9, v3, s50
	;; [unrolled: 1-line block ×3, first 2 shown]
	v_add3_u32 v0, v6, v0, v8
	v_add3_u32 v4, v7, v4, v9
	;; [unrolled: 1-line block ×3, first 2 shown]
	s_cbranch_scc0 .LBB13_88
; %bb.89:
	s_bitcmp1_b32 s42, 0
	s_cselect_b64 s[34:35], -1, 0
	s_and_b64 vcc, exec, s[34:35]
	s_cbranch_vccnz .LBB13_94
; %bb.90:
	s_load_dwordx2 s[34:35], s[30:31], 0x1c
	s_load_dword s38, s[30:31], 0x24
	s_load_dwordx2 s[36:37], s[30:31], 0xdc
	s_waitcnt lgkmcnt(0)
	v_mul_hi_u32 v3, s35, v1
	v_add_u32_e32 v3, v1, v3
	v_lshrrev_b32_e32 v3, s38, v3
	v_mul_lo_u32 v3, v3, s34
	s_load_dword s34, s[30:31], 0xe4
	v_sub_u32_e32 v3, v1, v3
	v_mad_u64_u32 v[0:1], s[30:31], v3, s36, v[0:1]
	v_mad_u64_u32 v[4:5], s[30:31], v3, s37, v[4:5]
	s_waitcnt lgkmcnt(0)
	v_mad_u64_u32 v[2:3], s[30:31], v3, s34, v[2:3]
	s_branch .LBB13_94
.LBB13_91:
	s_waitcnt vmcnt(0)
	v_cmp_lt_u16_sdwa s[36:37], v1, v3 src0_sel:BYTE_0 src1_sel:BYTE_0
	s_andn2_b64 s[34:35], s[34:35], exec
	s_and_b64 s[36:37], s[36:37], exec
	s_or_b64 s[34:35], s[34:35], s[36:37]
	s_cbranch_execz .LBB13_83
	s_branch .LBB13_84
.LBB13_92:
                                        ; implicit-def: $vgpr0
                                        ; implicit-def: $vgpr4
                                        ; implicit-def: $vgpr2
	s_branch .LBB13_95
.LBB13_93:
	v_mov_b32_e32 v0, 0
	v_mov_b32_e32 v4, 0
	;; [unrolled: 1-line block ×3, first 2 shown]
.LBB13_94:
	s_cbranch_execnz .LBB13_97
.LBB13_95:
	s_waitcnt lgkmcnt(0)
	v_mul_hi_u32 v0, s9, v21
	s_andn2_b64 vcc, exec, s[24:25]
	v_add_u32_e32 v0, v21, v0
	v_lshrrev_b32_e32 v1, s10, v0
	v_mul_lo_u32 v0, v1, s8
	v_sub_u32_e32 v2, v21, v0
	v_mul_lo_u32 v0, v2, s4
	v_mul_lo_u32 v4, v2, s5
	;; [unrolled: 1-line block ×3, first 2 shown]
	s_cbranch_vccnz .LBB13_97
; %bb.96:
	s_waitcnt vmcnt(1)
	v_mul_hi_u32 v3, s22, v1
	v_add_u32_e32 v3, v1, v3
	v_lshrrev_b32_e32 v3, s23, v3
	v_mul_lo_u32 v3, v3, s11
	v_sub_u32_e32 v3, v1, v3
	v_mad_u64_u32 v[0:1], s[30:31], v3, s7, v[0:1]
	v_mad_u64_u32 v[4:5], s[30:31], v3, s20, v[4:5]
	;; [unrolled: 1-line block ×3, first 2 shown]
.LBB13_97:
	s_waitcnt lgkmcnt(0)
	global_load_ubyte v1, v4, s[2:3]
	global_load_ubyte v3, v2, s[18:19]
	s_cmp_lt_i32 s41, 1
	s_mov_b64 s[30:31], 0
	s_cbranch_scc1 .LBB13_101
; %bb.98:
	s_cmp_gt_i32 s41, 1
	s_cbranch_scc0 .LBB13_102
; %bb.99:
	s_cmp_eq_u32 s41, 2
	s_cbranch_scc0 .LBB13_425
; %bb.100:
	s_waitcnt vmcnt(0)
	v_cmp_le_u16_sdwa s[34:35], v1, v3 src0_sel:BYTE_0 src1_sel:BYTE_0
	s_mov_b64 s[36:37], 0
	s_branch .LBB13_104
.LBB13_101:
                                        ; implicit-def: $sgpr34_sgpr35
	s_mov_b64 s[36:37], 0
	s_cbranch_execnz .LBB13_105
	s_branch .LBB13_106
.LBB13_102:
	s_mov_b64 s[36:37], 0
                                        ; implicit-def: $sgpr34_sgpr35
	s_cbranch_execz .LBB13_104
; %bb.103:
	s_waitcnt vmcnt(0)
	v_cmp_gt_u16_sdwa s[38:39], v1, v3 src0_sel:BYTE_0 src1_sel:BYTE_0
	s_andn2_b64 s[34:35], s[34:35], exec
	s_and_b64 s[38:39], s[38:39], exec
	s_or_b64 s[34:35], s[34:35], s[38:39]
.LBB13_104:
	s_branch .LBB13_106
.LBB13_105:
	s_cmp_lg_u32 s41, 0
	s_mov_b64 s[30:31], -1
	s_cselect_b64 s[36:37], -1, 0
.LBB13_106:
	s_andn2_b64 vcc, exec, s[36:37]
	s_cbranch_vccz .LBB13_116
; %bb.107:
	s_andn2_b64 vcc, exec, s[30:31]
	s_cbranch_vccnz .LBB13_109
.LBB13_108:
	s_waitcnt vmcnt(0)
	v_cmp_ge_u16_sdwa s[30:31], v1, v3 src0_sel:BYTE_0 src1_sel:BYTE_0
	s_andn2_b64 s[34:35], s[34:35], exec
	s_and_b64 s[30:31], s[30:31], exec
	s_or_b64 s[34:35], s[34:35], s[30:31]
.LBB13_109:
	s_waitcnt vmcnt(1)
	v_cndmask_b32_e64 v1, 0, 1, s[34:35]
	v_add_u32_e32 v21, 0x80, v21
	global_store_byte v0, v1, s[0:1]
	s_or_b64 exec, exec, s[28:29]
	v_cmp_gt_i32_e32 vcc, s43, v21
	s_and_saveexec_b64 s[28:29], vcc
	s_cbranch_execz .LBB13_6
.LBB13_110:
	s_andn2_b64 vcc, exec, s[14:15]
	s_cbranch_vccnz .LBB13_117
; %bb.111:
	s_andn2_b64 vcc, exec, s[26:27]
	s_cbranch_vccnz .LBB13_118
; %bb.112:
	s_add_i32 s30, s42, 1
	s_and_b32 s34, s30, 30
	s_add_u32 s30, s12, 0xffffffe8
	s_addc_u32 s31, s13, -1
	v_mov_b32_e32 v2, 0
	v_mov_b32_e32 v4, 0
	;; [unrolled: 1-line block ×4, first 2 shown]
.LBB13_113:                             ; =>This Inner Loop Header: Depth=1
	s_load_dwordx4 s[36:39], s[30:31], 0x1c
	s_load_dwordx2 s[48:49], s[30:31], 0x2c
	s_load_dwordx2 s[50:51], s[30:31], 0xec
	s_load_dwordx4 s[44:47], s[30:31], 0xdc
	s_add_u32 s30, s30, 24
	s_waitcnt vmcnt(1) lgkmcnt(0)
	v_mul_hi_u32 v3, s37, v1
	s_addc_u32 s31, s31, 0
	s_add_i32 s34, s34, -2
	s_cmp_eq_u32 s34, 0
	v_add_u32_e32 v3, v1, v3
	v_lshrrev_b32_e32 v3, s38, v3
	v_mul_lo_u32 v5, v3, s36
	v_mul_hi_u32 v6, s48, v3
	v_sub_u32_e32 v5, v1, v5
	v_add_u32_e32 v1, v3, v6
	v_lshrrev_b32_e32 v1, s49, v1
	v_mul_lo_u32 v8, v1, s39
	v_mul_lo_u32 v6, v5, s44
	;; [unrolled: 1-line block ×4, first 2 shown]
	v_sub_u32_e32 v3, v3, v8
	v_mul_lo_u32 v8, v3, s47
	v_mul_lo_u32 v9, v3, s50
	;; [unrolled: 1-line block ×3, first 2 shown]
	v_add3_u32 v0, v6, v0, v8
	v_add3_u32 v4, v7, v4, v9
	v_add3_u32 v2, v5, v2, v3
	s_cbranch_scc0 .LBB13_113
; %bb.114:
	s_bitcmp1_b32 s42, 0
	s_cselect_b64 s[34:35], -1, 0
	s_and_b64 vcc, exec, s[34:35]
	s_cbranch_vccnz .LBB13_119
; %bb.115:
	s_load_dwordx2 s[34:35], s[30:31], 0x1c
	s_load_dword s38, s[30:31], 0x24
	s_load_dwordx2 s[36:37], s[30:31], 0xdc
	s_waitcnt lgkmcnt(0)
	v_mul_hi_u32 v3, s35, v1
	v_add_u32_e32 v3, v1, v3
	v_lshrrev_b32_e32 v3, s38, v3
	v_mul_lo_u32 v3, v3, s34
	s_load_dword s34, s[30:31], 0xe4
	v_sub_u32_e32 v3, v1, v3
	v_mad_u64_u32 v[0:1], s[30:31], v3, s36, v[0:1]
	v_mad_u64_u32 v[4:5], s[30:31], v3, s37, v[4:5]
	s_waitcnt lgkmcnt(0)
	v_mad_u64_u32 v[2:3], s[30:31], v3, s34, v[2:3]
	s_branch .LBB13_119
.LBB13_116:
	s_waitcnt vmcnt(0)
	v_cmp_lt_u16_sdwa s[36:37], v1, v3 src0_sel:BYTE_0 src1_sel:BYTE_0
	s_andn2_b64 s[34:35], s[34:35], exec
	s_and_b64 s[36:37], s[36:37], exec
	s_or_b64 s[34:35], s[34:35], s[36:37]
	s_cbranch_execz .LBB13_108
	s_branch .LBB13_109
.LBB13_117:
                                        ; implicit-def: $vgpr0
                                        ; implicit-def: $vgpr4
                                        ; implicit-def: $vgpr2
	s_branch .LBB13_120
.LBB13_118:
	v_mov_b32_e32 v0, 0
	v_mov_b32_e32 v4, 0
	;; [unrolled: 1-line block ×3, first 2 shown]
.LBB13_119:
	s_cbranch_execnz .LBB13_122
.LBB13_120:
	s_waitcnt lgkmcnt(0)
	v_mul_hi_u32 v0, s9, v21
	s_andn2_b64 vcc, exec, s[24:25]
	v_add_u32_e32 v0, v21, v0
	v_lshrrev_b32_e32 v1, s10, v0
	v_mul_lo_u32 v0, v1, s8
	v_sub_u32_e32 v2, v21, v0
	v_mul_lo_u32 v0, v2, s4
	v_mul_lo_u32 v4, v2, s5
	v_mul_lo_u32 v2, v2, s6
	s_cbranch_vccnz .LBB13_122
; %bb.121:
	s_waitcnt vmcnt(1)
	v_mul_hi_u32 v3, s22, v1
	v_add_u32_e32 v3, v1, v3
	v_lshrrev_b32_e32 v3, s23, v3
	v_mul_lo_u32 v3, v3, s11
	v_sub_u32_e32 v3, v1, v3
	v_mad_u64_u32 v[0:1], s[30:31], v3, s7, v[0:1]
	v_mad_u64_u32 v[4:5], s[30:31], v3, s20, v[4:5]
	;; [unrolled: 1-line block ×3, first 2 shown]
.LBB13_122:
	s_waitcnt lgkmcnt(0)
	global_load_ubyte v1, v4, s[2:3]
	global_load_ubyte v3, v2, s[18:19]
	s_cmp_lt_i32 s41, 1
	s_mov_b64 s[30:31], 0
	s_cbranch_scc1 .LBB13_126
; %bb.123:
	s_cmp_gt_i32 s41, 1
	s_cbranch_scc0 .LBB13_127
; %bb.124:
	s_cmp_eq_u32 s41, 2
	s_cbranch_scc0 .LBB13_426
; %bb.125:
	s_waitcnt vmcnt(0)
	v_cmp_le_u16_sdwa s[34:35], v1, v3 src0_sel:BYTE_0 src1_sel:BYTE_0
	s_mov_b64 s[36:37], 0
	s_branch .LBB13_129
.LBB13_126:
                                        ; implicit-def: $sgpr34_sgpr35
	s_mov_b64 s[36:37], 0
	s_cbranch_execnz .LBB13_130
	s_branch .LBB13_131
.LBB13_127:
	s_mov_b64 s[36:37], 0
                                        ; implicit-def: $sgpr34_sgpr35
	s_cbranch_execz .LBB13_129
; %bb.128:
	s_waitcnt vmcnt(0)
	v_cmp_gt_u16_sdwa s[38:39], v1, v3 src0_sel:BYTE_0 src1_sel:BYTE_0
	s_andn2_b64 s[34:35], s[34:35], exec
	s_and_b64 s[38:39], s[38:39], exec
	s_or_b64 s[34:35], s[34:35], s[38:39]
.LBB13_129:
	s_branch .LBB13_131
.LBB13_130:
	s_cmp_lg_u32 s41, 0
	s_mov_b64 s[30:31], -1
	s_cselect_b64 s[36:37], -1, 0
.LBB13_131:
	s_andn2_b64 vcc, exec, s[36:37]
	s_cbranch_vccz .LBB13_141
; %bb.132:
	s_andn2_b64 vcc, exec, s[30:31]
	s_cbranch_vccnz .LBB13_134
.LBB13_133:
	s_waitcnt vmcnt(0)
	v_cmp_ge_u16_sdwa s[30:31], v1, v3 src0_sel:BYTE_0 src1_sel:BYTE_0
	s_andn2_b64 s[34:35], s[34:35], exec
	s_and_b64 s[30:31], s[30:31], exec
	s_or_b64 s[34:35], s[34:35], s[30:31]
.LBB13_134:
	s_waitcnt vmcnt(1)
	v_cndmask_b32_e64 v1, 0, 1, s[34:35]
	v_add_u32_e32 v21, 0x80, v21
	global_store_byte v0, v1, s[0:1]
	s_or_b64 exec, exec, s[28:29]
	v_cmp_gt_i32_e32 vcc, s43, v21
	s_and_saveexec_b64 s[28:29], vcc
	s_cbranch_execz .LBB13_7
.LBB13_135:
	s_andn2_b64 vcc, exec, s[14:15]
	s_cbranch_vccnz .LBB13_142
; %bb.136:
	s_andn2_b64 vcc, exec, s[26:27]
	s_cbranch_vccnz .LBB13_143
; %bb.137:
	s_add_i32 s30, s42, 1
	s_and_b32 s34, s30, 30
	s_add_u32 s30, s12, 0xffffffe8
	s_addc_u32 s31, s13, -1
	v_mov_b32_e32 v2, 0
	v_mov_b32_e32 v4, 0
	;; [unrolled: 1-line block ×4, first 2 shown]
.LBB13_138:                             ; =>This Inner Loop Header: Depth=1
	s_load_dwordx4 s[36:39], s[30:31], 0x1c
	s_load_dwordx2 s[48:49], s[30:31], 0x2c
	s_load_dwordx2 s[50:51], s[30:31], 0xec
	s_load_dwordx4 s[44:47], s[30:31], 0xdc
	s_add_u32 s30, s30, 24
	s_waitcnt vmcnt(1) lgkmcnt(0)
	v_mul_hi_u32 v3, s37, v1
	s_addc_u32 s31, s31, 0
	s_add_i32 s34, s34, -2
	s_cmp_eq_u32 s34, 0
	v_add_u32_e32 v3, v1, v3
	v_lshrrev_b32_e32 v3, s38, v3
	v_mul_lo_u32 v5, v3, s36
	v_mul_hi_u32 v6, s48, v3
	v_sub_u32_e32 v5, v1, v5
	v_add_u32_e32 v1, v3, v6
	v_lshrrev_b32_e32 v1, s49, v1
	v_mul_lo_u32 v8, v1, s39
	v_mul_lo_u32 v6, v5, s44
	;; [unrolled: 1-line block ×4, first 2 shown]
	v_sub_u32_e32 v3, v3, v8
	v_mul_lo_u32 v8, v3, s47
	v_mul_lo_u32 v9, v3, s50
	;; [unrolled: 1-line block ×3, first 2 shown]
	v_add3_u32 v0, v6, v0, v8
	v_add3_u32 v4, v7, v4, v9
	;; [unrolled: 1-line block ×3, first 2 shown]
	s_cbranch_scc0 .LBB13_138
; %bb.139:
	s_bitcmp1_b32 s42, 0
	s_cselect_b64 s[34:35], -1, 0
	s_and_b64 vcc, exec, s[34:35]
	s_cbranch_vccnz .LBB13_144
; %bb.140:
	s_load_dwordx2 s[34:35], s[30:31], 0x1c
	s_load_dword s38, s[30:31], 0x24
	s_load_dwordx2 s[36:37], s[30:31], 0xdc
	s_waitcnt lgkmcnt(0)
	v_mul_hi_u32 v3, s35, v1
	v_add_u32_e32 v3, v1, v3
	v_lshrrev_b32_e32 v3, s38, v3
	v_mul_lo_u32 v3, v3, s34
	s_load_dword s34, s[30:31], 0xe4
	v_sub_u32_e32 v3, v1, v3
	v_mad_u64_u32 v[0:1], s[30:31], v3, s36, v[0:1]
	v_mad_u64_u32 v[4:5], s[30:31], v3, s37, v[4:5]
	s_waitcnt lgkmcnt(0)
	v_mad_u64_u32 v[2:3], s[30:31], v3, s34, v[2:3]
	s_branch .LBB13_144
.LBB13_141:
	s_waitcnt vmcnt(0)
	v_cmp_lt_u16_sdwa s[36:37], v1, v3 src0_sel:BYTE_0 src1_sel:BYTE_0
	s_andn2_b64 s[34:35], s[34:35], exec
	s_and_b64 s[36:37], s[36:37], exec
	s_or_b64 s[34:35], s[34:35], s[36:37]
	s_cbranch_execz .LBB13_133
	s_branch .LBB13_134
.LBB13_142:
                                        ; implicit-def: $vgpr0
                                        ; implicit-def: $vgpr4
                                        ; implicit-def: $vgpr2
	s_branch .LBB13_145
.LBB13_143:
	v_mov_b32_e32 v0, 0
	v_mov_b32_e32 v4, 0
	;; [unrolled: 1-line block ×3, first 2 shown]
.LBB13_144:
	s_cbranch_execnz .LBB13_147
.LBB13_145:
	s_waitcnt lgkmcnt(0)
	v_mul_hi_u32 v0, s9, v21
	s_andn2_b64 vcc, exec, s[24:25]
	v_add_u32_e32 v0, v21, v0
	v_lshrrev_b32_e32 v1, s10, v0
	v_mul_lo_u32 v0, v1, s8
	v_sub_u32_e32 v2, v21, v0
	v_mul_lo_u32 v0, v2, s4
	v_mul_lo_u32 v4, v2, s5
	v_mul_lo_u32 v2, v2, s6
	s_cbranch_vccnz .LBB13_147
; %bb.146:
	s_waitcnt vmcnt(1)
	v_mul_hi_u32 v3, s22, v1
	v_add_u32_e32 v3, v1, v3
	v_lshrrev_b32_e32 v3, s23, v3
	v_mul_lo_u32 v3, v3, s11
	v_sub_u32_e32 v3, v1, v3
	v_mad_u64_u32 v[0:1], s[30:31], v3, s7, v[0:1]
	v_mad_u64_u32 v[4:5], s[30:31], v3, s20, v[4:5]
	v_mad_u64_u32 v[2:3], s[30:31], v3, s21, v[2:3]
.LBB13_147:
	s_waitcnt lgkmcnt(0)
	global_load_ubyte v1, v4, s[2:3]
	global_load_ubyte v3, v2, s[18:19]
	s_cmp_lt_i32 s41, 1
	s_mov_b64 s[30:31], 0
	s_cbranch_scc1 .LBB13_151
; %bb.148:
	s_cmp_gt_i32 s41, 1
	s_cbranch_scc0 .LBB13_152
; %bb.149:
	s_cmp_eq_u32 s41, 2
	s_cbranch_scc0 .LBB13_427
; %bb.150:
	s_waitcnt vmcnt(0)
	v_cmp_le_u16_sdwa s[34:35], v1, v3 src0_sel:BYTE_0 src1_sel:BYTE_0
	s_mov_b64 s[36:37], 0
	s_branch .LBB13_154
.LBB13_151:
                                        ; implicit-def: $sgpr34_sgpr35
	s_mov_b64 s[36:37], 0
	s_cbranch_execnz .LBB13_155
	s_branch .LBB13_156
.LBB13_152:
	s_mov_b64 s[36:37], 0
                                        ; implicit-def: $sgpr34_sgpr35
	s_cbranch_execz .LBB13_154
; %bb.153:
	s_waitcnt vmcnt(0)
	v_cmp_gt_u16_sdwa s[38:39], v1, v3 src0_sel:BYTE_0 src1_sel:BYTE_0
	s_andn2_b64 s[34:35], s[34:35], exec
	s_and_b64 s[38:39], s[38:39], exec
	s_or_b64 s[34:35], s[34:35], s[38:39]
.LBB13_154:
	s_branch .LBB13_156
.LBB13_155:
	s_cmp_lg_u32 s41, 0
	s_mov_b64 s[30:31], -1
	s_cselect_b64 s[36:37], -1, 0
.LBB13_156:
	s_andn2_b64 vcc, exec, s[36:37]
	s_cbranch_vccz .LBB13_166
; %bb.157:
	s_andn2_b64 vcc, exec, s[30:31]
	s_cbranch_vccnz .LBB13_159
.LBB13_158:
	s_waitcnt vmcnt(0)
	v_cmp_ge_u16_sdwa s[30:31], v1, v3 src0_sel:BYTE_0 src1_sel:BYTE_0
	s_andn2_b64 s[34:35], s[34:35], exec
	s_and_b64 s[30:31], s[30:31], exec
	s_or_b64 s[34:35], s[34:35], s[30:31]
.LBB13_159:
	s_waitcnt vmcnt(1)
	v_cndmask_b32_e64 v1, 0, 1, s[34:35]
	v_add_u32_e32 v21, 0x80, v21
	global_store_byte v0, v1, s[0:1]
	s_or_b64 exec, exec, s[28:29]
	v_cmp_gt_i32_e32 vcc, s43, v21
	s_and_saveexec_b64 s[28:29], vcc
	s_cbranch_execz .LBB13_8
.LBB13_160:
	s_andn2_b64 vcc, exec, s[14:15]
	s_cbranch_vccnz .LBB13_167
; %bb.161:
	s_andn2_b64 vcc, exec, s[26:27]
	s_cbranch_vccnz .LBB13_168
; %bb.162:
	s_add_i32 s30, s42, 1
	s_and_b32 s34, s30, 30
	s_add_u32 s30, s12, 0xffffffe8
	s_addc_u32 s31, s13, -1
	v_mov_b32_e32 v2, 0
	v_mov_b32_e32 v4, 0
	;; [unrolled: 1-line block ×4, first 2 shown]
.LBB13_163:                             ; =>This Inner Loop Header: Depth=1
	s_load_dwordx4 s[36:39], s[30:31], 0x1c
	s_load_dwordx2 s[48:49], s[30:31], 0x2c
	s_load_dwordx2 s[50:51], s[30:31], 0xec
	s_load_dwordx4 s[44:47], s[30:31], 0xdc
	s_add_u32 s30, s30, 24
	s_waitcnt vmcnt(1) lgkmcnt(0)
	v_mul_hi_u32 v3, s37, v1
	s_addc_u32 s31, s31, 0
	s_add_i32 s34, s34, -2
	s_cmp_eq_u32 s34, 0
	v_add_u32_e32 v3, v1, v3
	v_lshrrev_b32_e32 v3, s38, v3
	v_mul_lo_u32 v5, v3, s36
	v_mul_hi_u32 v6, s48, v3
	v_sub_u32_e32 v5, v1, v5
	v_add_u32_e32 v1, v3, v6
	v_lshrrev_b32_e32 v1, s49, v1
	v_mul_lo_u32 v8, v1, s39
	v_mul_lo_u32 v6, v5, s44
	;; [unrolled: 1-line block ×4, first 2 shown]
	v_sub_u32_e32 v3, v3, v8
	v_mul_lo_u32 v8, v3, s47
	v_mul_lo_u32 v9, v3, s50
	v_mul_lo_u32 v3, v3, s51
	v_add3_u32 v0, v6, v0, v8
	v_add3_u32 v4, v7, v4, v9
	;; [unrolled: 1-line block ×3, first 2 shown]
	s_cbranch_scc0 .LBB13_163
; %bb.164:
	s_bitcmp1_b32 s42, 0
	s_cselect_b64 s[34:35], -1, 0
	s_and_b64 vcc, exec, s[34:35]
	s_cbranch_vccnz .LBB13_169
; %bb.165:
	s_load_dwordx2 s[34:35], s[30:31], 0x1c
	s_load_dword s38, s[30:31], 0x24
	s_load_dwordx2 s[36:37], s[30:31], 0xdc
	s_waitcnt lgkmcnt(0)
	v_mul_hi_u32 v3, s35, v1
	v_add_u32_e32 v3, v1, v3
	v_lshrrev_b32_e32 v3, s38, v3
	v_mul_lo_u32 v3, v3, s34
	s_load_dword s34, s[30:31], 0xe4
	v_sub_u32_e32 v3, v1, v3
	v_mad_u64_u32 v[0:1], s[30:31], v3, s36, v[0:1]
	v_mad_u64_u32 v[4:5], s[30:31], v3, s37, v[4:5]
	s_waitcnt lgkmcnt(0)
	v_mad_u64_u32 v[2:3], s[30:31], v3, s34, v[2:3]
	s_branch .LBB13_169
.LBB13_166:
	s_waitcnt vmcnt(0)
	v_cmp_lt_u16_sdwa s[36:37], v1, v3 src0_sel:BYTE_0 src1_sel:BYTE_0
	s_andn2_b64 s[34:35], s[34:35], exec
	s_and_b64 s[36:37], s[36:37], exec
	s_or_b64 s[34:35], s[34:35], s[36:37]
	s_cbranch_execz .LBB13_158
	s_branch .LBB13_159
.LBB13_167:
                                        ; implicit-def: $vgpr0
                                        ; implicit-def: $vgpr4
                                        ; implicit-def: $vgpr2
	s_branch .LBB13_170
.LBB13_168:
	v_mov_b32_e32 v0, 0
	v_mov_b32_e32 v4, 0
	;; [unrolled: 1-line block ×3, first 2 shown]
.LBB13_169:
	s_cbranch_execnz .LBB13_172
.LBB13_170:
	s_waitcnt lgkmcnt(0)
	v_mul_hi_u32 v0, s9, v21
	s_andn2_b64 vcc, exec, s[24:25]
	v_add_u32_e32 v0, v21, v0
	v_lshrrev_b32_e32 v1, s10, v0
	v_mul_lo_u32 v0, v1, s8
	v_sub_u32_e32 v2, v21, v0
	v_mul_lo_u32 v0, v2, s4
	v_mul_lo_u32 v4, v2, s5
	;; [unrolled: 1-line block ×3, first 2 shown]
	s_cbranch_vccnz .LBB13_172
; %bb.171:
	s_waitcnt vmcnt(1)
	v_mul_hi_u32 v3, s22, v1
	v_add_u32_e32 v3, v1, v3
	v_lshrrev_b32_e32 v3, s23, v3
	v_mul_lo_u32 v3, v3, s11
	v_sub_u32_e32 v3, v1, v3
	v_mad_u64_u32 v[0:1], s[30:31], v3, s7, v[0:1]
	v_mad_u64_u32 v[4:5], s[30:31], v3, s20, v[4:5]
	;; [unrolled: 1-line block ×3, first 2 shown]
.LBB13_172:
	s_waitcnt lgkmcnt(0)
	global_load_ubyte v1, v4, s[2:3]
	global_load_ubyte v3, v2, s[18:19]
	s_cmp_lt_i32 s41, 1
	s_mov_b64 s[30:31], 0
	s_cbranch_scc1 .LBB13_176
; %bb.173:
	s_cmp_gt_i32 s41, 1
	s_cbranch_scc0 .LBB13_177
; %bb.174:
	s_cmp_eq_u32 s41, 2
	s_cbranch_scc0 .LBB13_428
; %bb.175:
	s_waitcnt vmcnt(0)
	v_cmp_le_u16_sdwa s[34:35], v1, v3 src0_sel:BYTE_0 src1_sel:BYTE_0
	s_mov_b64 s[36:37], 0
	s_branch .LBB13_179
.LBB13_176:
                                        ; implicit-def: $sgpr34_sgpr35
	s_mov_b64 s[36:37], 0
	s_cbranch_execnz .LBB13_180
	s_branch .LBB13_181
.LBB13_177:
	s_mov_b64 s[36:37], 0
                                        ; implicit-def: $sgpr34_sgpr35
	s_cbranch_execz .LBB13_179
; %bb.178:
	s_waitcnt vmcnt(0)
	v_cmp_gt_u16_sdwa s[38:39], v1, v3 src0_sel:BYTE_0 src1_sel:BYTE_0
	s_andn2_b64 s[34:35], s[34:35], exec
	s_and_b64 s[38:39], s[38:39], exec
	s_or_b64 s[34:35], s[34:35], s[38:39]
.LBB13_179:
	s_branch .LBB13_181
.LBB13_180:
	s_cmp_lg_u32 s41, 0
	s_mov_b64 s[30:31], -1
	s_cselect_b64 s[36:37], -1, 0
.LBB13_181:
	s_andn2_b64 vcc, exec, s[36:37]
	s_cbranch_vccz .LBB13_191
; %bb.182:
	s_andn2_b64 vcc, exec, s[30:31]
	s_cbranch_vccnz .LBB13_184
.LBB13_183:
	s_waitcnt vmcnt(0)
	v_cmp_ge_u16_sdwa s[30:31], v1, v3 src0_sel:BYTE_0 src1_sel:BYTE_0
	s_andn2_b64 s[34:35], s[34:35], exec
	s_and_b64 s[30:31], s[30:31], exec
	s_or_b64 s[34:35], s[34:35], s[30:31]
.LBB13_184:
	s_waitcnt vmcnt(1)
	v_cndmask_b32_e64 v1, 0, 1, s[34:35]
	v_add_u32_e32 v21, 0x80, v21
	global_store_byte v0, v1, s[0:1]
	s_or_b64 exec, exec, s[28:29]
	v_cmp_gt_i32_e32 vcc, s43, v21
	s_and_saveexec_b64 s[28:29], vcc
	s_cbranch_execz .LBB13_210
.LBB13_185:
	s_andn2_b64 vcc, exec, s[14:15]
	s_cbranch_vccnz .LBB13_192
; %bb.186:
	s_andn2_b64 vcc, exec, s[26:27]
	s_cbranch_vccnz .LBB13_193
; %bb.187:
	s_add_i32 s26, s42, 1
	s_and_b32 s30, s26, 30
	s_add_u32 s26, s12, 0xffffffe8
	s_addc_u32 s27, s13, -1
	v_mov_b32_e32 v2, 0
	v_mov_b32_e32 v4, 0
	;; [unrolled: 1-line block ×4, first 2 shown]
.LBB13_188:                             ; =>This Inner Loop Header: Depth=1
	s_load_dwordx4 s[36:39], s[26:27], 0x1c
	s_load_dwordx2 s[34:35], s[26:27], 0x2c
	s_load_dwordx2 s[48:49], s[26:27], 0xec
	s_load_dwordx4 s[44:47], s[26:27], 0xdc
	s_add_u32 s26, s26, 24
	s_waitcnt vmcnt(1) lgkmcnt(0)
	v_mul_hi_u32 v3, s37, v1
	s_addc_u32 s27, s27, 0
	s_add_i32 s30, s30, -2
	s_cmp_eq_u32 s30, 0
	v_add_u32_e32 v3, v1, v3
	v_lshrrev_b32_e32 v3, s38, v3
	v_mul_lo_u32 v5, v3, s36
	v_mul_hi_u32 v6, s34, v3
	v_sub_u32_e32 v5, v1, v5
	v_add_u32_e32 v1, v3, v6
	v_lshrrev_b32_e32 v1, s35, v1
	v_mul_lo_u32 v8, v1, s39
	v_mul_lo_u32 v6, v5, s44
	;; [unrolled: 1-line block ×4, first 2 shown]
	v_sub_u32_e32 v3, v3, v8
	v_mul_lo_u32 v8, v3, s47
	v_mul_lo_u32 v9, v3, s48
	;; [unrolled: 1-line block ×3, first 2 shown]
	v_add3_u32 v0, v6, v0, v8
	v_add3_u32 v4, v7, v4, v9
	;; [unrolled: 1-line block ×3, first 2 shown]
	s_cbranch_scc0 .LBB13_188
; %bb.189:
	s_bitcmp1_b32 s42, 0
	s_cselect_b64 s[30:31], -1, 0
	s_and_b64 vcc, exec, s[30:31]
	s_cbranch_vccnz .LBB13_194
; %bb.190:
	s_load_dwordx2 s[30:31], s[26:27], 0x1c
	s_load_dword s36, s[26:27], 0x24
	s_load_dwordx2 s[34:35], s[26:27], 0xdc
	s_waitcnt lgkmcnt(0)
	v_mul_hi_u32 v3, s31, v1
	v_add_u32_e32 v3, v1, v3
	v_lshrrev_b32_e32 v3, s36, v3
	v_mul_lo_u32 v3, v3, s30
	s_load_dword s30, s[26:27], 0xe4
	v_sub_u32_e32 v3, v1, v3
	v_mad_u64_u32 v[0:1], s[26:27], v3, s34, v[0:1]
	v_mad_u64_u32 v[4:5], s[26:27], v3, s35, v[4:5]
	s_waitcnt lgkmcnt(0)
	v_mad_u64_u32 v[2:3], s[26:27], v3, s30, v[2:3]
	s_branch .LBB13_194
.LBB13_191:
	s_waitcnt vmcnt(0)
	v_cmp_lt_u16_sdwa s[36:37], v1, v3 src0_sel:BYTE_0 src1_sel:BYTE_0
	s_andn2_b64 s[34:35], s[34:35], exec
	s_and_b64 s[36:37], s[36:37], exec
	s_or_b64 s[34:35], s[34:35], s[36:37]
	s_cbranch_execz .LBB13_183
	s_branch .LBB13_184
.LBB13_192:
                                        ; implicit-def: $vgpr0
                                        ; implicit-def: $vgpr4
                                        ; implicit-def: $vgpr2
	s_branch .LBB13_195
.LBB13_193:
	v_mov_b32_e32 v0, 0
	v_mov_b32_e32 v4, 0
	;; [unrolled: 1-line block ×3, first 2 shown]
.LBB13_194:
	s_cbranch_execnz .LBB13_197
.LBB13_195:
	s_waitcnt lgkmcnt(0)
	v_mul_hi_u32 v0, s9, v21
	s_andn2_b64 vcc, exec, s[24:25]
	v_add_u32_e32 v0, v21, v0
	v_lshrrev_b32_e32 v1, s10, v0
	v_mul_lo_u32 v0, v1, s8
	v_sub_u32_e32 v2, v21, v0
	v_mul_lo_u32 v0, v2, s4
	v_mul_lo_u32 v4, v2, s5
	;; [unrolled: 1-line block ×3, first 2 shown]
	s_cbranch_vccnz .LBB13_197
; %bb.196:
	s_waitcnt vmcnt(1)
	v_mul_hi_u32 v3, s22, v1
	v_add_u32_e32 v3, v1, v3
	v_lshrrev_b32_e32 v3, s23, v3
	v_mul_lo_u32 v3, v3, s11
	v_sub_u32_e32 v3, v1, v3
	v_mad_u64_u32 v[0:1], s[4:5], v3, s7, v[0:1]
	v_mad_u64_u32 v[4:5], s[4:5], v3, s20, v[4:5]
	;; [unrolled: 1-line block ×3, first 2 shown]
.LBB13_197:
	s_waitcnt lgkmcnt(0)
	global_load_ubyte v1, v4, s[2:3]
	global_load_ubyte v3, v2, s[18:19]
	s_cmp_lt_i32 s41, 1
	s_mov_b64 s[2:3], 0
	s_cbranch_scc1 .LBB13_201
; %bb.198:
	s_cmp_gt_i32 s41, 1
	s_cbranch_scc0 .LBB13_202
; %bb.199:
	s_cmp_eq_u32 s41, 2
	s_cbranch_scc0 .LBB13_429
; %bb.200:
	s_waitcnt vmcnt(0)
	v_cmp_le_u16_sdwa s[4:5], v1, v3 src0_sel:BYTE_0 src1_sel:BYTE_0
	s_mov_b64 s[6:7], 0
	s_branch .LBB13_204
.LBB13_201:
                                        ; implicit-def: $sgpr4_sgpr5
	s_mov_b64 s[6:7], 0
	s_cbranch_execnz .LBB13_205
	s_branch .LBB13_206
.LBB13_202:
	s_mov_b64 s[6:7], 0
                                        ; implicit-def: $sgpr4_sgpr5
	s_cbranch_execz .LBB13_204
; %bb.203:
	s_waitcnt vmcnt(0)
	v_cmp_gt_u16_sdwa s[8:9], v1, v3 src0_sel:BYTE_0 src1_sel:BYTE_0
	s_andn2_b64 s[4:5], s[4:5], exec
	s_and_b64 s[8:9], s[8:9], exec
	s_or_b64 s[4:5], s[4:5], s[8:9]
.LBB13_204:
	s_branch .LBB13_206
.LBB13_205:
	s_cmp_lg_u32 s41, 0
	s_mov_b64 s[2:3], -1
	s_cselect_b64 s[6:7], -1, 0
.LBB13_206:
	s_andn2_b64 vcc, exec, s[6:7]
	s_cbranch_vccz .LBB13_220
; %bb.207:
	s_andn2_b64 vcc, exec, s[2:3]
	s_cbranch_vccnz .LBB13_209
.LBB13_208:
	s_waitcnt vmcnt(0)
	v_cmp_ge_u16_sdwa s[2:3], v1, v3 src0_sel:BYTE_0 src1_sel:BYTE_0
	s_andn2_b64 s[4:5], s[4:5], exec
	s_and_b64 s[2:3], s[2:3], exec
	s_or_b64 s[4:5], s[4:5], s[2:3]
.LBB13_209:
	s_waitcnt vmcnt(1)
	v_cndmask_b32_e64 v1, 0, 1, s[4:5]
	global_store_byte v0, v1, s[0:1]
.LBB13_210:
	s_or_b64 exec, exec, s[28:29]
                                        ; implicit-def: $vgpr37
                                        ; implicit-def: $vgpr21
.LBB13_211:
	s_waitcnt lgkmcnt(0)
	s_andn2_saveexec_b64 s[0:1], s[16:17]
	s_cbranch_execz .LBB13_218
; %bb.212:
	v_cndmask_b32_e64 v0, 0, 1, s[14:15]
	v_cmp_ne_u32_e64 s[0:1], 1, v0
	s_andn2_b64 vcc, exec, s[14:15]
	s_cbranch_vccnz .LBB13_219
; %bb.213:
	s_cmp_lg_u32 s33, 0
	s_cbranch_scc0 .LBB13_221
; %bb.214:
	s_min_u32 s4, s40, 15
	s_add_i32 s2, s4, 1
	s_and_b32 s5, s2, 30
	s_add_u32 s2, s12, 0xffffffe8
	s_addc_u32 s3, s13, -1
	v_mov_b32_e32 v6, 0
	v_mov_b32_e32 v8, 0
	;; [unrolled: 1-line block ×4, first 2 shown]
.LBB13_215:                             ; =>This Inner Loop Header: Depth=1
	s_load_dwordx4 s[8:11], s[2:3], 0x1c
	s_load_dwordx2 s[6:7], s[2:3], 0x2c
	s_load_dwordx2 s[14:15], s[2:3], 0xec
	s_load_dwordx4 s[16:19], s[2:3], 0xdc
	s_add_u32 s2, s2, 24
	s_waitcnt lgkmcnt(0)
	v_mul_hi_u32 v2, s9, v1
	s_addc_u32 s3, s3, 0
	s_add_i32 s5, s5, -2
	s_cmp_lg_u32 s5, 0
	v_add_u32_e32 v2, v1, v2
	v_lshrrev_b32_e32 v2, s10, v2
	s_waitcnt vmcnt(1)
	v_mul_lo_u32 v3, v2, s8
	v_mul_hi_u32 v4, s6, v2
	v_sub_u32_e32 v3, v1, v3
	v_add_u32_e32 v1, v2, v4
	v_lshrrev_b32_e32 v1, s7, v1
	v_mul_lo_u32 v7, v1, s11
	v_mul_lo_u32 v4, v3, s16
	;; [unrolled: 1-line block ×4, first 2 shown]
	v_sub_u32_e32 v2, v2, v7
	v_mul_lo_u32 v7, v2, s19
	v_mul_lo_u32 v9, v2, s14
	;; [unrolled: 1-line block ×3, first 2 shown]
	v_add3_u32 v0, v4, v0, v7
	v_add3_u32 v8, v5, v8, v9
	;; [unrolled: 1-line block ×3, first 2 shown]
	s_cbranch_scc1 .LBB13_215
; %bb.216:
	s_bitcmp1_b32 s4, 0
	s_cselect_b64 s[4:5], -1, 0
	s_and_b64 vcc, exec, s[4:5]
	s_cbranch_vccnz .LBB13_222
; %bb.217:
	s_load_dwordx2 s[4:5], s[2:3], 0x1c
	s_load_dword s8, s[2:3], 0x24
	s_load_dwordx2 s[6:7], s[2:3], 0xdc
	s_waitcnt lgkmcnt(0)
	v_mul_hi_u32 v2, s5, v1
	v_add_u32_e32 v2, v1, v2
	v_lshrrev_b32_e32 v2, s8, v2
	v_mul_lo_u32 v2, v2, s4
	s_load_dword s4, s[2:3], 0xe4
	v_sub_u32_e32 v2, v1, v2
	v_mad_u64_u32 v[0:1], s[2:3], v2, s6, v[0:1]
	v_mad_u64_u32 v[8:9], s[2:3], v2, s7, v[8:9]
	s_waitcnt lgkmcnt(0)
	v_mad_u64_u32 v[6:7], s[2:3], v2, s4, v[6:7]
	s_cbranch_execz .LBB13_223
	s_branch .LBB13_225
.LBB13_218:
	s_endpgm
.LBB13_219:
                                        ; implicit-def: $vgpr0
                                        ; implicit-def: $vgpr8
                                        ; implicit-def: $vgpr6
	s_branch .LBB13_223
.LBB13_220:
	s_waitcnt vmcnt(0)
	v_cmp_lt_u16_sdwa s[6:7], v1, v3 src0_sel:BYTE_0 src1_sel:BYTE_0
	s_andn2_b64 s[4:5], s[4:5], exec
	s_and_b64 s[6:7], s[6:7], exec
	s_or_b64 s[4:5], s[4:5], s[6:7]
	s_cbranch_execz .LBB13_208
	s_branch .LBB13_209
.LBB13_221:
	v_mov_b32_e32 v0, 0
	v_mov_b32_e32 v8, 0
	;; [unrolled: 1-line block ×3, first 2 shown]
.LBB13_222:
	s_cbranch_execnz .LBB13_225
.LBB13_223:
	s_load_dwordx4 s[4:7], s[12:13], 0x4
	s_load_dwordx4 s[8:11], s[12:13], 0xc4
	s_cmp_lt_u32 s33, 2
	s_waitcnt lgkmcnt(0)
	v_mul_hi_u32 v0, s5, v21
	v_add_u32_e32 v0, v21, v0
	v_lshrrev_b32_e32 v1, s6, v0
	v_mul_lo_u32 v0, v1, s4
	v_sub_u32_e32 v2, v21, v0
	v_mul_lo_u32 v0, v2, s8
	v_mul_lo_u32 v8, v2, s9
	;; [unrolled: 1-line block ×3, first 2 shown]
	s_cbranch_scc1 .LBB13_225
; %bb.224:
	s_load_dwordx4 s[4:7], s[12:13], 0x10
	s_load_dwordx4 s[8:11], s[12:13], 0xd0
	s_waitcnt lgkmcnt(0)
	v_mul_hi_u32 v2, s5, v1
	v_add_u32_e32 v2, v1, v2
	v_lshrrev_b32_e32 v2, s6, v2
	v_mul_lo_u32 v2, v2, s4
	v_sub_u32_e32 v2, v1, v2
	v_mad_u64_u32 v[0:1], s[2:3], v2, s8, v[0:1]
	v_mad_u64_u32 v[8:9], s[2:3], v2, s9, v[8:9]
	;; [unrolled: 1-line block ×3, first 2 shown]
.LBB13_225:
	s_and_b64 vcc, exec, s[0:1]
	s_waitcnt vmcnt(1)
	v_add_u32_e32 v3, 0x80, v21
	s_cbranch_vccnz .LBB13_231
; %bb.226:
	s_cmp_lg_u32 s33, 0
	s_cbranch_scc0 .LBB13_232
; %bb.227:
	s_min_u32 s4, s40, 15
	s_add_i32 s2, s4, 1
	s_and_b32 s5, s2, 30
	s_add_u32 s2, s12, 0xffffffe8
	s_addc_u32 s3, s13, -1
	v_mov_b32_e32 v9, 0
	v_mov_b32_e32 v11, 0
	;; [unrolled: 1-line block ×4, first 2 shown]
.LBB13_228:                             ; =>This Inner Loop Header: Depth=1
	s_load_dwordx4 s[8:11], s[2:3], 0x1c
	s_load_dwordx2 s[6:7], s[2:3], 0x2c
	s_load_dwordx2 s[14:15], s[2:3], 0xec
	s_load_dwordx4 s[16:19], s[2:3], 0xdc
	s_add_u32 s2, s2, 24
	s_waitcnt lgkmcnt(0)
	v_mul_hi_u32 v4, s9, v2
	s_addc_u32 s3, s3, 0
	s_add_i32 s5, s5, -2
	s_cmp_lg_u32 s5, 0
	v_add_u32_e32 v4, v2, v4
	v_lshrrev_b32_e32 v4, s10, v4
	v_mul_lo_u32 v5, v4, s8
	v_mul_hi_u32 v7, s6, v4
	v_sub_u32_e32 v5, v2, v5
	v_add_u32_e32 v2, v4, v7
	v_lshrrev_b32_e32 v2, s7, v2
	v_mul_lo_u32 v12, v2, s11
	v_mul_lo_u32 v7, v5, s16
	;; [unrolled: 1-line block ×4, first 2 shown]
	v_sub_u32_e32 v4, v4, v12
	v_mul_lo_u32 v12, v4, s19
	v_mul_lo_u32 v13, v4, s14
	;; [unrolled: 1-line block ×3, first 2 shown]
	v_add3_u32 v1, v7, v1, v12
	v_add3_u32 v11, v10, v11, v13
	;; [unrolled: 1-line block ×3, first 2 shown]
	s_cbranch_scc1 .LBB13_228
; %bb.229:
	s_bitcmp1_b32 s4, 0
	s_cselect_b64 s[4:5], -1, 0
	s_and_b64 vcc, exec, s[4:5]
	s_cbranch_vccnz .LBB13_233
; %bb.230:
	s_load_dwordx2 s[4:5], s[2:3], 0x1c
	s_load_dword s8, s[2:3], 0x24
	s_load_dwordx2 s[6:7], s[2:3], 0xdc
	s_waitcnt lgkmcnt(0)
	v_mul_hi_u32 v4, s5, v2
	v_add_u32_e32 v4, v2, v4
	v_lshrrev_b32_e32 v4, s8, v4
	v_mul_lo_u32 v4, v4, s4
	s_load_dword s4, s[2:3], 0xe4
	v_sub_u32_e32 v4, v2, v4
	v_mad_u64_u32 v[1:2], s[2:3], v4, s6, v[1:2]
	v_mad_u64_u32 v[11:12], s[2:3], v4, s7, v[11:12]
	s_waitcnt lgkmcnt(0)
	v_mad_u64_u32 v[9:10], s[2:3], v4, s4, v[9:10]
	s_cbranch_execz .LBB13_234
	s_branch .LBB13_236
.LBB13_231:
                                        ; implicit-def: $vgpr1
                                        ; implicit-def: $vgpr11
                                        ; implicit-def: $vgpr9
	s_branch .LBB13_234
.LBB13_232:
	v_mov_b32_e32 v1, 0
	v_mov_b32_e32 v11, 0
	;; [unrolled: 1-line block ×3, first 2 shown]
.LBB13_233:
	s_cbranch_execnz .LBB13_236
.LBB13_234:
	s_load_dwordx4 s[4:7], s[12:13], 0x4
	s_load_dwordx4 s[8:11], s[12:13], 0xc4
	s_cmp_lt_u32 s33, 2
	s_waitcnt lgkmcnt(0)
	v_mul_hi_u32 v1, s5, v3
	v_add_u32_e32 v1, v3, v1
	v_lshrrev_b32_e32 v2, s6, v1
	v_mul_lo_u32 v1, v2, s4
	v_sub_u32_e32 v3, v3, v1
	v_mul_lo_u32 v1, v3, s8
	v_mul_lo_u32 v11, v3, s9
	;; [unrolled: 1-line block ×3, first 2 shown]
	s_cbranch_scc1 .LBB13_236
; %bb.235:
	s_load_dwordx4 s[4:7], s[12:13], 0x10
	s_load_dwordx4 s[8:11], s[12:13], 0xd0
	s_waitcnt lgkmcnt(0)
	v_mul_hi_u32 v3, s5, v2
	v_add_u32_e32 v3, v2, v3
	v_lshrrev_b32_e32 v3, s6, v3
	v_mul_lo_u32 v3, v3, s4
	v_sub_u32_e32 v3, v2, v3
	v_mad_u64_u32 v[1:2], s[2:3], v3, s8, v[1:2]
	v_mad_u64_u32 v[11:12], s[2:3], v3, s9, v[11:12]
	;; [unrolled: 1-line block ×3, first 2 shown]
.LBB13_236:
	s_and_b64 vcc, exec, s[0:1]
	v_add_u32_e32 v4, 0x100, v21
	s_cbranch_vccnz .LBB13_242
; %bb.237:
	s_cmp_lg_u32 s33, 0
	s_cbranch_scc0 .LBB13_243
; %bb.238:
	s_min_u32 s4, s40, 15
	s_add_i32 s2, s4, 1
	s_and_b32 s5, s2, 30
	s_add_u32 s2, s12, 0xffffffe8
	s_addc_u32 s3, s13, -1
	v_mov_b32_e32 v14, 0
	v_mov_b32_e32 v16, 0
	;; [unrolled: 1-line block ×4, first 2 shown]
.LBB13_239:                             ; =>This Inner Loop Header: Depth=1
	s_load_dwordx4 s[8:11], s[2:3], 0x1c
	s_load_dwordx2 s[6:7], s[2:3], 0x2c
	s_load_dwordx2 s[14:15], s[2:3], 0xec
	s_load_dwordx4 s[16:19], s[2:3], 0xdc
	s_add_u32 s2, s2, 24
	s_waitcnt lgkmcnt(0)
	v_mul_hi_u32 v5, s9, v3
	s_addc_u32 s3, s3, 0
	s_add_i32 s5, s5, -2
	s_cmp_lg_u32 s5, 0
	v_add_u32_e32 v5, v3, v5
	v_lshrrev_b32_e32 v5, s10, v5
	v_mul_lo_u32 v7, v5, s8
	v_mul_hi_u32 v10, s6, v5
	v_sub_u32_e32 v7, v3, v7
	v_add_u32_e32 v3, v5, v10
	v_lshrrev_b32_e32 v3, s7, v3
	v_mul_lo_u32 v13, v3, s11
	v_mul_lo_u32 v10, v7, s16
	;; [unrolled: 1-line block ×4, first 2 shown]
	v_sub_u32_e32 v5, v5, v13
	v_mul_lo_u32 v13, v5, s19
	v_mul_lo_u32 v15, v5, s14
	;; [unrolled: 1-line block ×3, first 2 shown]
	v_add3_u32 v2, v10, v2, v13
	v_add3_u32 v16, v12, v16, v15
	;; [unrolled: 1-line block ×3, first 2 shown]
	s_cbranch_scc1 .LBB13_239
; %bb.240:
	s_bitcmp1_b32 s4, 0
	s_cselect_b64 s[4:5], -1, 0
	s_and_b64 vcc, exec, s[4:5]
	s_cbranch_vccnz .LBB13_244
; %bb.241:
	s_load_dwordx2 s[4:5], s[2:3], 0x1c
	s_load_dword s8, s[2:3], 0x24
	s_load_dwordx2 s[6:7], s[2:3], 0xdc
	s_waitcnt lgkmcnt(0)
	v_mul_hi_u32 v5, s5, v3
	v_add_u32_e32 v5, v3, v5
	v_lshrrev_b32_e32 v5, s8, v5
	v_mul_lo_u32 v5, v5, s4
	s_load_dword s4, s[2:3], 0xe4
	v_sub_u32_e32 v5, v3, v5
	v_mad_u64_u32 v[2:3], s[2:3], v5, s6, v[2:3]
	v_mad_u64_u32 v[16:17], s[2:3], v5, s7, v[16:17]
	s_waitcnt lgkmcnt(0)
	v_mad_u64_u32 v[14:15], s[2:3], v5, s4, v[14:15]
	s_cbranch_execz .LBB13_245
	s_branch .LBB13_247
.LBB13_242:
                                        ; implicit-def: $vgpr2
                                        ; implicit-def: $vgpr16
                                        ; implicit-def: $vgpr14
	s_branch .LBB13_245
.LBB13_243:
	v_mov_b32_e32 v2, 0
	v_mov_b32_e32 v16, 0
	;; [unrolled: 1-line block ×3, first 2 shown]
.LBB13_244:
	s_cbranch_execnz .LBB13_247
.LBB13_245:
	s_load_dwordx4 s[4:7], s[12:13], 0x4
	s_load_dwordx4 s[8:11], s[12:13], 0xc4
	s_cmp_lt_u32 s33, 2
	s_waitcnt lgkmcnt(0)
	v_mul_hi_u32 v2, s5, v4
	v_add_u32_e32 v2, v4, v2
	v_lshrrev_b32_e32 v3, s6, v2
	v_mul_lo_u32 v2, v3, s4
	v_sub_u32_e32 v4, v4, v2
	v_mul_lo_u32 v2, v4, s8
	v_mul_lo_u32 v16, v4, s9
	;; [unrolled: 1-line block ×3, first 2 shown]
	s_cbranch_scc1 .LBB13_247
; %bb.246:
	s_load_dwordx4 s[4:7], s[12:13], 0x10
	s_load_dwordx4 s[8:11], s[12:13], 0xd0
	s_waitcnt lgkmcnt(0)
	v_mul_hi_u32 v4, s5, v3
	v_add_u32_e32 v4, v3, v4
	v_lshrrev_b32_e32 v4, s6, v4
	v_mul_lo_u32 v4, v4, s4
	v_sub_u32_e32 v4, v3, v4
	v_mad_u64_u32 v[2:3], s[2:3], v4, s8, v[2:3]
	v_mad_u64_u32 v[16:17], s[2:3], v4, s9, v[16:17]
	;; [unrolled: 1-line block ×3, first 2 shown]
.LBB13_247:
	s_and_b64 vcc, exec, s[0:1]
	v_add_u32_e32 v5, 0x180, v21
	s_cbranch_vccnz .LBB13_253
; %bb.248:
	s_cmp_lg_u32 s33, 0
	s_cbranch_scc0 .LBB13_254
; %bb.249:
	s_min_u32 s4, s40, 15
	s_add_i32 s2, s4, 1
	s_and_b32 s5, s2, 30
	s_add_u32 s2, s12, 0xffffffe8
	s_addc_u32 s3, s13, -1
	v_mov_b32_e32 v17, 0
	v_mov_b32_e32 v19, 0
	;; [unrolled: 1-line block ×4, first 2 shown]
.LBB13_250:                             ; =>This Inner Loop Header: Depth=1
	s_load_dwordx4 s[8:11], s[2:3], 0x1c
	s_load_dwordx2 s[6:7], s[2:3], 0x2c
	s_load_dwordx2 s[14:15], s[2:3], 0xec
	s_load_dwordx4 s[16:19], s[2:3], 0xdc
	s_add_u32 s2, s2, 24
	s_waitcnt lgkmcnt(0)
	v_mul_hi_u32 v7, s9, v4
	s_addc_u32 s3, s3, 0
	s_add_i32 s5, s5, -2
	s_cmp_lg_u32 s5, 0
	v_add_u32_e32 v7, v4, v7
	v_lshrrev_b32_e32 v7, s10, v7
	v_mul_lo_u32 v10, v7, s8
	v_mul_hi_u32 v12, s6, v7
	v_sub_u32_e32 v10, v4, v10
	v_add_u32_e32 v4, v7, v12
	v_lshrrev_b32_e32 v4, s7, v4
	v_mul_lo_u32 v15, v4, s11
	v_mul_lo_u32 v12, v10, s16
	;; [unrolled: 1-line block ×4, first 2 shown]
	v_sub_u32_e32 v7, v7, v15
	v_mul_lo_u32 v15, v7, s19
	v_mul_lo_u32 v18, v7, s14
	;; [unrolled: 1-line block ×3, first 2 shown]
	v_add3_u32 v3, v12, v3, v15
	v_add3_u32 v19, v13, v19, v18
	;; [unrolled: 1-line block ×3, first 2 shown]
	s_cbranch_scc1 .LBB13_250
; %bb.251:
	s_bitcmp1_b32 s4, 0
	s_cselect_b64 s[4:5], -1, 0
	s_and_b64 vcc, exec, s[4:5]
	s_cbranch_vccnz .LBB13_255
; %bb.252:
	s_load_dwordx2 s[4:5], s[2:3], 0x1c
	s_load_dword s8, s[2:3], 0x24
	s_load_dwordx2 s[6:7], s[2:3], 0xdc
	s_waitcnt lgkmcnt(0)
	v_mul_hi_u32 v7, s5, v4
	v_add_u32_e32 v7, v4, v7
	v_lshrrev_b32_e32 v7, s8, v7
	v_mul_lo_u32 v7, v7, s4
	s_load_dword s4, s[2:3], 0xe4
	v_sub_u32_e32 v7, v4, v7
	v_mad_u64_u32 v[3:4], s[2:3], v7, s6, v[3:4]
	v_mad_u64_u32 v[19:20], s[2:3], v7, s7, v[19:20]
	s_waitcnt lgkmcnt(0)
	v_mad_u64_u32 v[17:18], s[2:3], v7, s4, v[17:18]
	s_cbranch_execz .LBB13_256
	s_branch .LBB13_258
.LBB13_253:
                                        ; implicit-def: $vgpr3
                                        ; implicit-def: $vgpr19
                                        ; implicit-def: $vgpr17
	s_branch .LBB13_256
.LBB13_254:
	v_mov_b32_e32 v3, 0
	v_mov_b32_e32 v19, 0
	;; [unrolled: 1-line block ×3, first 2 shown]
.LBB13_255:
	s_cbranch_execnz .LBB13_258
.LBB13_256:
	s_load_dwordx4 s[4:7], s[12:13], 0x4
	s_load_dwordx4 s[8:11], s[12:13], 0xc4
	s_cmp_lt_u32 s33, 2
	s_waitcnt lgkmcnt(0)
	v_mul_hi_u32 v3, s5, v5
	v_add_u32_e32 v3, v5, v3
	v_lshrrev_b32_e32 v4, s6, v3
	v_mul_lo_u32 v3, v4, s4
	v_sub_u32_e32 v5, v5, v3
	v_mul_lo_u32 v3, v5, s8
	v_mul_lo_u32 v19, v5, s9
	;; [unrolled: 1-line block ×3, first 2 shown]
	s_cbranch_scc1 .LBB13_258
; %bb.257:
	s_load_dwordx4 s[4:7], s[12:13], 0x10
	s_load_dwordx4 s[8:11], s[12:13], 0xd0
	s_waitcnt lgkmcnt(0)
	v_mul_hi_u32 v5, s5, v4
	v_add_u32_e32 v5, v4, v5
	v_lshrrev_b32_e32 v5, s6, v5
	v_mul_lo_u32 v5, v5, s4
	v_sub_u32_e32 v5, v4, v5
	v_mad_u64_u32 v[3:4], s[2:3], v5, s8, v[3:4]
	v_mad_u64_u32 v[19:20], s[2:3], v5, s9, v[19:20]
	;; [unrolled: 1-line block ×3, first 2 shown]
.LBB13_258:
	s_and_b64 vcc, exec, s[0:1]
	v_add_u32_e32 v7, 0x200, v21
	s_cbranch_vccnz .LBB13_264
; %bb.259:
	s_cmp_lg_u32 s33, 0
	s_cbranch_scc0 .LBB13_265
; %bb.260:
	s_min_u32 s4, s40, 15
	s_add_i32 s2, s4, 1
	s_and_b32 s5, s2, 30
	s_add_u32 s2, s12, 0xffffffe8
	s_addc_u32 s3, s13, -1
	v_mov_b32_e32 v22, 0
	v_mov_b32_e32 v24, 0
	;; [unrolled: 1-line block ×4, first 2 shown]
.LBB13_261:                             ; =>This Inner Loop Header: Depth=1
	s_load_dwordx4 s[8:11], s[2:3], 0x1c
	s_load_dwordx2 s[6:7], s[2:3], 0x2c
	s_load_dwordx2 s[14:15], s[2:3], 0xec
	s_load_dwordx4 s[16:19], s[2:3], 0xdc
	s_add_u32 s2, s2, 24
	s_waitcnt lgkmcnt(0)
	v_mul_hi_u32 v10, s9, v5
	s_addc_u32 s3, s3, 0
	s_add_i32 s5, s5, -2
	s_cmp_lg_u32 s5, 0
	v_add_u32_e32 v10, v5, v10
	v_lshrrev_b32_e32 v10, s10, v10
	v_mul_lo_u32 v12, v10, s8
	v_mul_hi_u32 v13, s6, v10
	v_sub_u32_e32 v12, v5, v12
	v_add_u32_e32 v5, v10, v13
	v_lshrrev_b32_e32 v5, s7, v5
	v_mul_lo_u32 v18, v5, s11
	v_mul_lo_u32 v13, v12, s16
	;; [unrolled: 1-line block ×4, first 2 shown]
	v_sub_u32_e32 v10, v10, v18
	v_mul_lo_u32 v18, v10, s19
	v_mul_lo_u32 v20, v10, s14
	;; [unrolled: 1-line block ×3, first 2 shown]
	v_add3_u32 v4, v13, v4, v18
	v_add3_u32 v24, v15, v24, v20
	;; [unrolled: 1-line block ×3, first 2 shown]
	s_cbranch_scc1 .LBB13_261
; %bb.262:
	s_bitcmp1_b32 s4, 0
	s_cselect_b64 s[4:5], -1, 0
	s_and_b64 vcc, exec, s[4:5]
	s_cbranch_vccnz .LBB13_266
; %bb.263:
	s_load_dwordx2 s[4:5], s[2:3], 0x1c
	s_load_dword s8, s[2:3], 0x24
	s_load_dwordx2 s[6:7], s[2:3], 0xdc
	s_waitcnt lgkmcnt(0)
	v_mul_hi_u32 v10, s5, v5
	v_add_u32_e32 v10, v5, v10
	v_lshrrev_b32_e32 v10, s8, v10
	v_mul_lo_u32 v10, v10, s4
	s_load_dword s4, s[2:3], 0xe4
	v_sub_u32_e32 v10, v5, v10
	v_mad_u64_u32 v[4:5], s[2:3], v10, s6, v[4:5]
	v_mad_u64_u32 v[24:25], s[2:3], v10, s7, v[24:25]
	s_waitcnt lgkmcnt(0)
	v_mad_u64_u32 v[22:23], s[2:3], v10, s4, v[22:23]
	s_cbranch_execz .LBB13_267
	s_branch .LBB13_269
.LBB13_264:
                                        ; implicit-def: $vgpr4
                                        ; implicit-def: $vgpr24
                                        ; implicit-def: $vgpr22
	s_branch .LBB13_267
.LBB13_265:
	v_mov_b32_e32 v4, 0
	v_mov_b32_e32 v24, 0
	;; [unrolled: 1-line block ×3, first 2 shown]
.LBB13_266:
	s_cbranch_execnz .LBB13_269
.LBB13_267:
	s_load_dwordx4 s[4:7], s[12:13], 0x4
	s_load_dwordx4 s[8:11], s[12:13], 0xc4
	s_cmp_lt_u32 s33, 2
	s_waitcnt lgkmcnt(0)
	v_mul_hi_u32 v4, s5, v7
	v_add_u32_e32 v4, v7, v4
	v_lshrrev_b32_e32 v5, s6, v4
	v_mul_lo_u32 v4, v5, s4
	v_sub_u32_e32 v7, v7, v4
	v_mul_lo_u32 v4, v7, s8
	v_mul_lo_u32 v24, v7, s9
	;; [unrolled: 1-line block ×3, first 2 shown]
	s_cbranch_scc1 .LBB13_269
; %bb.268:
	s_load_dwordx4 s[4:7], s[12:13], 0x10
	s_load_dwordx4 s[8:11], s[12:13], 0xd0
	s_waitcnt lgkmcnt(0)
	v_mul_hi_u32 v7, s5, v5
	v_add_u32_e32 v7, v5, v7
	v_lshrrev_b32_e32 v7, s6, v7
	v_mul_lo_u32 v7, v7, s4
	v_sub_u32_e32 v7, v5, v7
	v_mad_u64_u32 v[4:5], s[2:3], v7, s8, v[4:5]
	v_mad_u64_u32 v[24:25], s[2:3], v7, s9, v[24:25]
	;; [unrolled: 1-line block ×3, first 2 shown]
.LBB13_269:
	s_and_b64 vcc, exec, s[0:1]
	v_add_u32_e32 v5, 0x280, v21
	s_cbranch_vccnz .LBB13_275
; %bb.270:
	s_cmp_lg_u32 s33, 0
	s_cbranch_scc0 .LBB13_276
; %bb.271:
	s_min_u32 s4, s40, 15
	s_add_i32 s2, s4, 1
	s_and_b32 s5, s2, 30
	s_add_u32 s2, s12, 0xffffffe8
	s_addc_u32 s3, s13, -1
	v_mov_b32_e32 v25, 0
	v_mov_b32_e32 v27, 0
	v_mov_b32_e32 v12, 0
	v_mov_b32_e32 v7, v5
.LBB13_272:                             ; =>This Inner Loop Header: Depth=1
	s_load_dwordx4 s[8:11], s[2:3], 0x1c
	s_load_dwordx2 s[6:7], s[2:3], 0x2c
	s_load_dwordx2 s[14:15], s[2:3], 0xec
	s_load_dwordx4 s[16:19], s[2:3], 0xdc
	s_add_u32 s2, s2, 24
	s_waitcnt lgkmcnt(0)
	v_mul_hi_u32 v10, s9, v7
	s_addc_u32 s3, s3, 0
	s_add_i32 s5, s5, -2
	s_cmp_lg_u32 s5, 0
	v_add_u32_e32 v10, v7, v10
	v_lshrrev_b32_e32 v10, s10, v10
	v_mul_lo_u32 v13, v10, s8
	v_mul_hi_u32 v15, s6, v10
	v_sub_u32_e32 v13, v7, v13
	v_add_u32_e32 v7, v10, v15
	v_lshrrev_b32_e32 v7, s7, v7
	v_mul_lo_u32 v20, v7, s11
	v_mul_lo_u32 v15, v13, s16
	;; [unrolled: 1-line block ×4, first 2 shown]
	v_sub_u32_e32 v10, v10, v20
	v_mul_lo_u32 v20, v10, s19
	v_mul_lo_u32 v23, v10, s14
	v_mul_lo_u32 v10, v10, s15
	v_add3_u32 v12, v15, v12, v20
	v_add3_u32 v27, v18, v27, v23
	;; [unrolled: 1-line block ×3, first 2 shown]
	s_cbranch_scc1 .LBB13_272
; %bb.273:
	s_bitcmp1_b32 s4, 0
	s_cselect_b64 s[4:5], -1, 0
	s_and_b64 vcc, exec, s[4:5]
	s_cbranch_vccnz .LBB13_277
; %bb.274:
	s_load_dwordx2 s[4:5], s[2:3], 0x1c
	s_load_dword s8, s[2:3], 0x24
	s_load_dwordx2 s[6:7], s[2:3], 0xdc
	s_waitcnt lgkmcnt(0)
	v_mul_hi_u32 v10, s5, v7
	v_add_u32_e32 v10, v7, v10
	v_lshrrev_b32_e32 v10, s8, v10
	v_mul_lo_u32 v10, v10, s4
	s_load_dword s4, s[2:3], 0xe4
	v_sub_u32_e32 v7, v7, v10
	v_mad_u64_u32 v[12:13], s[2:3], v7, s6, v[12:13]
	v_mad_u64_u32 v[27:28], s[2:3], v7, s7, v[27:28]
	s_waitcnt lgkmcnt(0)
	v_mad_u64_u32 v[25:26], s[2:3], v7, s4, v[25:26]
	s_cbranch_execz .LBB13_278
	s_branch .LBB13_280
.LBB13_275:
                                        ; implicit-def: $vgpr12
                                        ; implicit-def: $vgpr27
                                        ; implicit-def: $vgpr25
	s_branch .LBB13_278
.LBB13_276:
	v_mov_b32_e32 v12, 0
	v_mov_b32_e32 v27, 0
	v_mov_b32_e32 v25, 0
.LBB13_277:
	s_cbranch_execnz .LBB13_280
.LBB13_278:
	s_load_dwordx4 s[4:7], s[12:13], 0x4
	s_load_dwordx4 s[8:11], s[12:13], 0xc4
	s_cmp_lt_u32 s33, 2
	s_waitcnt lgkmcnt(0)
	v_mul_hi_u32 v7, s5, v5
	v_add_u32_e32 v7, v5, v7
	v_lshrrev_b32_e32 v7, s6, v7
	v_mul_lo_u32 v10, v7, s4
	v_sub_u32_e32 v5, v5, v10
	v_mul_lo_u32 v12, v5, s8
	v_mul_lo_u32 v27, v5, s9
	;; [unrolled: 1-line block ×3, first 2 shown]
	s_cbranch_scc1 .LBB13_280
; %bb.279:
	s_load_dwordx4 s[4:7], s[12:13], 0x10
	s_load_dwordx4 s[8:11], s[12:13], 0xd0
	s_waitcnt lgkmcnt(0)
	v_mul_hi_u32 v5, s5, v7
	v_add_u32_e32 v5, v7, v5
	v_lshrrev_b32_e32 v5, s6, v5
	v_mul_lo_u32 v5, v5, s4
	v_sub_u32_e32 v5, v7, v5
	v_mad_u64_u32 v[12:13], s[2:3], v5, s8, v[12:13]
	v_mad_u64_u32 v[27:28], s[2:3], v5, s9, v[27:28]
	;; [unrolled: 1-line block ×3, first 2 shown]
.LBB13_280:
	s_and_b64 vcc, exec, s[0:1]
	v_add_u32_e32 v5, 0x300, v21
	s_cbranch_vccnz .LBB13_286
; %bb.281:
	s_cmp_lg_u32 s33, 0
	s_cbranch_scc0 .LBB13_287
; %bb.282:
	s_min_u32 s4, s40, 15
	s_add_i32 s2, s4, 1
	s_and_b32 s5, s2, 30
	s_add_u32 s2, s12, 0xffffffe8
	s_addc_u32 s3, s13, -1
	v_mov_b32_e32 v30, 0
	v_mov_b32_e32 v32, 0
	v_mov_b32_e32 v20, 0
	v_mov_b32_e32 v7, v5
.LBB13_283:                             ; =>This Inner Loop Header: Depth=1
	s_load_dwordx4 s[8:11], s[2:3], 0x1c
	s_load_dwordx2 s[6:7], s[2:3], 0x2c
	s_load_dwordx2 s[14:15], s[2:3], 0xec
	s_load_dwordx4 s[16:19], s[2:3], 0xdc
	s_add_u32 s2, s2, 24
	s_waitcnt lgkmcnt(0)
	v_mul_hi_u32 v10, s9, v7
	s_addc_u32 s3, s3, 0
	s_add_i32 s5, s5, -2
	s_cmp_lg_u32 s5, 0
	v_add_u32_e32 v10, v7, v10
	v_lshrrev_b32_e32 v10, s10, v10
	v_mul_lo_u32 v13, v10, s8
	v_mul_hi_u32 v15, s6, v10
	v_sub_u32_e32 v13, v7, v13
	v_add_u32_e32 v7, v10, v15
	v_lshrrev_b32_e32 v7, s7, v7
	v_mul_lo_u32 v21, v7, s11
	v_mul_lo_u32 v15, v13, s16
	;; [unrolled: 1-line block ×4, first 2 shown]
	v_sub_u32_e32 v10, v10, v21
	v_mul_lo_u32 v21, v10, s19
	v_mul_lo_u32 v23, v10, s14
	;; [unrolled: 1-line block ×3, first 2 shown]
	v_add3_u32 v20, v15, v20, v21
	v_add3_u32 v32, v18, v32, v23
	;; [unrolled: 1-line block ×3, first 2 shown]
	s_cbranch_scc1 .LBB13_283
; %bb.284:
	s_bitcmp1_b32 s4, 0
	s_cselect_b64 s[4:5], -1, 0
	s_and_b64 vcc, exec, s[4:5]
	s_cbranch_vccnz .LBB13_288
; %bb.285:
	s_load_dwordx2 s[4:5], s[2:3], 0x1c
	s_load_dword s8, s[2:3], 0x24
	s_load_dwordx2 s[6:7], s[2:3], 0xdc
	s_waitcnt lgkmcnt(0)
	v_mul_hi_u32 v10, s5, v7
	v_add_u32_e32 v10, v7, v10
	v_lshrrev_b32_e32 v10, s8, v10
	v_mul_lo_u32 v10, v10, s4
	s_load_dword s4, s[2:3], 0xe4
	v_sub_u32_e32 v7, v7, v10
	v_mad_u64_u32 v[20:21], s[2:3], v7, s6, v[20:21]
	v_mad_u64_u32 v[32:33], s[2:3], v7, s7, v[32:33]
	s_waitcnt lgkmcnt(0)
	v_mad_u64_u32 v[30:31], s[2:3], v7, s4, v[30:31]
	s_cbranch_execz .LBB13_289
	s_branch .LBB13_291
.LBB13_286:
                                        ; implicit-def: $vgpr20
                                        ; implicit-def: $vgpr32
                                        ; implicit-def: $vgpr30
	s_branch .LBB13_289
.LBB13_287:
	v_mov_b32_e32 v20, 0
	v_mov_b32_e32 v32, 0
	;; [unrolled: 1-line block ×3, first 2 shown]
.LBB13_288:
	s_cbranch_execnz .LBB13_291
.LBB13_289:
	s_load_dwordx4 s[4:7], s[12:13], 0x4
	s_load_dwordx4 s[8:11], s[12:13], 0xc4
	s_cmp_lt_u32 s33, 2
	s_waitcnt lgkmcnt(0)
	v_mul_hi_u32 v7, s5, v5
	v_add_u32_e32 v7, v5, v7
	v_lshrrev_b32_e32 v7, s6, v7
	v_mul_lo_u32 v10, v7, s4
	v_sub_u32_e32 v5, v5, v10
	v_mul_lo_u32 v20, v5, s8
	v_mul_lo_u32 v32, v5, s9
	;; [unrolled: 1-line block ×3, first 2 shown]
	s_cbranch_scc1 .LBB13_291
; %bb.290:
	s_load_dwordx4 s[4:7], s[12:13], 0x10
	s_load_dwordx4 s[8:11], s[12:13], 0xd0
	s_waitcnt lgkmcnt(0)
	v_mul_hi_u32 v5, s5, v7
	v_add_u32_e32 v5, v7, v5
	v_lshrrev_b32_e32 v5, s6, v5
	v_mul_lo_u32 v5, v5, s4
	v_sub_u32_e32 v5, v7, v5
	v_mad_u64_u32 v[20:21], s[2:3], v5, s8, v[20:21]
	v_mad_u64_u32 v[32:33], s[2:3], v5, s9, v[32:33]
	;; [unrolled: 1-line block ×3, first 2 shown]
.LBB13_291:
	s_and_b64 vcc, exec, s[0:1]
	s_cbranch_vccnz .LBB13_297
; %bb.292:
	s_cmp_lg_u32 s33, 0
	s_cbranch_scc0 .LBB13_298
; %bb.293:
	s_min_u32 s2, s40, 15
	s_add_i32 s0, s2, 1
	s_and_b32 s3, s0, 30
	s_add_u32 s0, s12, 0xffffffe8
	s_addc_u32 s1, s13, -1
	v_mov_b32_e32 v35, 0
	v_mov_b32_e32 v33, 0
	;; [unrolled: 1-line block ×4, first 2 shown]
.LBB13_294:                             ; =>This Inner Loop Header: Depth=1
	s_load_dwordx4 s[4:7], s[0:1], 0x1c
	s_load_dwordx2 s[14:15], s[0:1], 0x2c
	s_load_dwordx2 s[16:17], s[0:1], 0xec
	s_load_dwordx4 s[8:11], s[0:1], 0xdc
	s_add_u32 s0, s0, 24
	s_waitcnt lgkmcnt(0)
	v_mul_hi_u32 v7, s5, v5
	s_addc_u32 s1, s1, 0
	s_add_i32 s3, s3, -2
	s_cmp_lg_u32 s3, 0
	v_add_u32_e32 v7, v5, v7
	v_lshrrev_b32_e32 v7, s6, v7
	v_mul_lo_u32 v10, v7, s4
	v_mul_hi_u32 v13, s14, v7
	v_sub_u32_e32 v10, v5, v10
	v_add_u32_e32 v5, v7, v13
	v_lshrrev_b32_e32 v5, s15, v5
	v_mul_lo_u32 v18, v5, s7
	v_mul_lo_u32 v13, v10, s8
	;; [unrolled: 1-line block ×4, first 2 shown]
	v_sub_u32_e32 v7, v7, v18
	v_mul_lo_u32 v18, v7, s11
	v_mul_lo_u32 v21, v7, s16
	;; [unrolled: 1-line block ×3, first 2 shown]
	v_add3_u32 v28, v13, v28, v18
	v_add3_u32 v33, v15, v33, v21
	;; [unrolled: 1-line block ×3, first 2 shown]
	s_cbranch_scc1 .LBB13_294
; %bb.295:
	s_bitcmp1_b32 s2, 0
	s_cselect_b64 s[2:3], -1, 0
	s_and_b64 vcc, exec, s[2:3]
	s_cbranch_vccnz .LBB13_299
; %bb.296:
	s_load_dwordx2 s[2:3], s[0:1], 0x1c
	s_load_dword s6, s[0:1], 0x24
	s_load_dwordx2 s[4:5], s[0:1], 0xdc
	s_waitcnt lgkmcnt(0)
	v_mul_hi_u32 v7, s3, v5
	v_add_u32_e32 v7, v5, v7
	v_lshrrev_b32_e32 v7, s6, v7
	v_mul_lo_u32 v7, v7, s2
	s_load_dword s2, s[0:1], 0xe4
	v_sub_u32_e32 v5, v5, v7
	v_mad_u64_u32 v[28:29], s[0:1], v5, s4, v[28:29]
	v_mad_u64_u32 v[33:34], s[0:1], v5, s5, v[33:34]
	s_waitcnt lgkmcnt(0)
	v_mad_u64_u32 v[35:36], s[0:1], v5, s2, v[35:36]
	s_cbranch_execz .LBB13_300
	s_branch .LBB13_302
.LBB13_297:
                                        ; implicit-def: $vgpr28
                                        ; implicit-def: $vgpr33
                                        ; implicit-def: $vgpr35
	s_branch .LBB13_300
.LBB13_298:
	v_mov_b32_e32 v28, 0
	v_mov_b32_e32 v33, 0
	;; [unrolled: 1-line block ×3, first 2 shown]
.LBB13_299:
	s_cbranch_execnz .LBB13_302
.LBB13_300:
	s_load_dwordx4 s[0:3], s[12:13], 0x4
	s_load_dwordx4 s[4:7], s[12:13], 0xc4
	s_cmp_lt_u32 s33, 2
	s_waitcnt lgkmcnt(0)
	v_mul_hi_u32 v5, s1, v37
	v_add_u32_e32 v5, v37, v5
	v_lshrrev_b32_e32 v5, s2, v5
	v_mul_lo_u32 v7, v5, s0
	v_sub_u32_e32 v7, v37, v7
	v_mul_lo_u32 v28, v7, s4
	v_mul_lo_u32 v33, v7, s5
	;; [unrolled: 1-line block ×3, first 2 shown]
	s_cbranch_scc1 .LBB13_302
; %bb.301:
	s_load_dwordx4 s[0:3], s[12:13], 0x10
	s_load_dwordx4 s[4:7], s[12:13], 0xd0
	s_waitcnt lgkmcnt(0)
	v_mul_hi_u32 v7, s1, v5
	v_add_u32_e32 v7, v5, v7
	v_lshrrev_b32_e32 v7, s2, v7
	v_mul_lo_u32 v7, v7, s0
	v_sub_u32_e32 v5, v5, v7
	v_mad_u64_u32 v[28:29], s[0:1], v5, s4, v[28:29]
	v_mad_u64_u32 v[33:34], s[0:1], v5, s5, v[33:34]
	;; [unrolled: 1-line block ×3, first 2 shown]
.LBB13_302:
	s_load_dwordx4 s[0:3], s[12:13], 0x188
	s_load_dwordx2 s[6:7], s[12:13], 0x198
	s_load_dword s26, s[12:13], 0x1a0
	s_mov_b64 s[8:9], 0
	s_waitcnt lgkmcnt(0)
	global_load_ubyte v5, v8, s[2:3]
	global_load_ubyte v7, v6, s[6:7]
	s_cmp_lt_i32 s26, 1
	s_cbranch_scc1 .LBB13_306
; %bb.303:
	s_cmp_gt_i32 s26, 1
	s_cbranch_scc0 .LBB13_307
; %bb.304:
	s_cmp_eq_u32 s26, 2
	s_cbranch_scc0 .LBB13_308
; %bb.305:
	s_waitcnt vmcnt(0)
	v_cmp_le_u16_sdwa s[4:5], v5, v7 src0_sel:BYTE_0 src1_sel:BYTE_0
	s_mov_b64 s[10:11], 0
	s_branch .LBB13_309
.LBB13_306:
                                        ; implicit-def: $sgpr4_sgpr5
	s_mov_b64 s[10:11], 0
	s_cbranch_execnz .LBB13_312
	s_branch .LBB13_313
.LBB13_307:
	s_mov_b64 s[10:11], 0
                                        ; implicit-def: $sgpr4_sgpr5
	s_cbranch_execnz .LBB13_310
	s_branch .LBB13_311
.LBB13_308:
	s_mov_b64 s[10:11], -1
                                        ; implicit-def: $sgpr4_sgpr5
.LBB13_309:
	s_branch .LBB13_311
.LBB13_310:
	s_waitcnt vmcnt(0)
	v_cmp_gt_u16_sdwa s[12:13], v5, v7 src0_sel:BYTE_0 src1_sel:BYTE_0
	s_andn2_b64 s[4:5], s[4:5], exec
	s_and_b64 s[12:13], s[12:13], exec
	s_or_b64 s[4:5], s[4:5], s[12:13]
.LBB13_311:
	s_branch .LBB13_313
.LBB13_312:
	s_cmp_lg_u32 s26, 0
	s_mov_b64 s[8:9], -1
	s_cselect_b64 s[10:11], -1, 0
.LBB13_313:
	s_andn2_b64 vcc, exec, s[10:11]
	s_cbranch_vccz .LBB13_320
; %bb.314:
	s_andn2_b64 vcc, exec, s[8:9]
	s_cbranch_vccnz .LBB13_316
.LBB13_315:
	s_waitcnt vmcnt(0)
	v_cmp_ge_u16_sdwa s[8:9], v5, v7 src0_sel:BYTE_0 src1_sel:BYTE_0
	s_andn2_b64 s[4:5], s[4:5], exec
	s_and_b64 s[8:9], s[8:9], exec
	s_or_b64 s[4:5], s[4:5], s[8:9]
.LBB13_316:
	global_load_ubyte v5, v11, s[2:3]
	global_load_ubyte v6, v9, s[6:7]
	s_cmp_lt_i32 s26, 1
	s_mov_b64 s[10:11], 0
	s_cbranch_scc1 .LBB13_321
; %bb.317:
	s_cmp_gt_i32 s26, 1
	s_cbranch_scc0 .LBB13_322
; %bb.318:
	s_cmp_eq_u32 s26, 2
	s_cbranch_scc0 .LBB13_323
; %bb.319:
	s_waitcnt vmcnt(0)
	v_cmp_le_u16_sdwa s[8:9], v5, v6 src0_sel:BYTE_0 src1_sel:BYTE_0
	s_mov_b64 s[12:13], 0
	s_branch .LBB13_324
.LBB13_320:
	s_waitcnt vmcnt(0)
	v_cmp_lt_u16_sdwa s[10:11], v5, v7 src0_sel:BYTE_0 src1_sel:BYTE_0
	s_andn2_b64 s[4:5], s[4:5], exec
	s_and_b64 s[10:11], s[10:11], exec
	s_or_b64 s[4:5], s[4:5], s[10:11]
	s_cbranch_execz .LBB13_315
	s_branch .LBB13_316
.LBB13_321:
                                        ; implicit-def: $sgpr8_sgpr9
	s_mov_b64 s[12:13], 0
	s_cbranch_execnz .LBB13_327
	s_branch .LBB13_328
.LBB13_322:
	s_mov_b64 s[12:13], 0
                                        ; implicit-def: $sgpr8_sgpr9
	s_cbranch_execnz .LBB13_325
	s_branch .LBB13_326
.LBB13_323:
	s_mov_b64 s[12:13], -1
                                        ; implicit-def: $sgpr8_sgpr9
.LBB13_324:
	s_branch .LBB13_326
.LBB13_325:
	s_waitcnt vmcnt(0)
	v_cmp_gt_u16_sdwa s[14:15], v5, v6 src0_sel:BYTE_0 src1_sel:BYTE_0
	s_andn2_b64 s[8:9], s[8:9], exec
	s_and_b64 s[14:15], s[14:15], exec
	s_or_b64 s[8:9], s[8:9], s[14:15]
.LBB13_326:
	s_branch .LBB13_328
.LBB13_327:
	s_cmp_lg_u32 s26, 0
	s_mov_b64 s[10:11], -1
	s_cselect_b64 s[12:13], -1, 0
.LBB13_328:
	s_andn2_b64 vcc, exec, s[12:13]
	s_cbranch_vccz .LBB13_335
; %bb.329:
	s_andn2_b64 vcc, exec, s[10:11]
	s_cbranch_vccnz .LBB13_331
.LBB13_330:
	s_waitcnt vmcnt(0)
	v_cmp_ge_u16_sdwa s[10:11], v5, v6 src0_sel:BYTE_0 src1_sel:BYTE_0
	s_andn2_b64 s[8:9], s[8:9], exec
	s_and_b64 s[10:11], s[10:11], exec
	s_or_b64 s[8:9], s[8:9], s[10:11]
.LBB13_331:
	global_load_ubyte v5, v16, s[2:3]
	global_load_ubyte v6, v14, s[6:7]
	s_cmp_lt_i32 s26, 1
	s_mov_b64 s[12:13], 0
	s_cbranch_scc1 .LBB13_336
; %bb.332:
	s_cmp_gt_i32 s26, 1
	s_cbranch_scc0 .LBB13_337
; %bb.333:
	s_cmp_eq_u32 s26, 2
	s_cbranch_scc0 .LBB13_338
; %bb.334:
	s_waitcnt vmcnt(0)
	v_cmp_le_u16_sdwa s[10:11], v5, v6 src0_sel:BYTE_0 src1_sel:BYTE_0
	s_mov_b64 s[14:15], 0
	s_branch .LBB13_339
.LBB13_335:
	s_waitcnt vmcnt(0)
	v_cmp_lt_u16_sdwa s[12:13], v5, v6 src0_sel:BYTE_0 src1_sel:BYTE_0
	s_andn2_b64 s[8:9], s[8:9], exec
	s_and_b64 s[12:13], s[12:13], exec
	s_or_b64 s[8:9], s[8:9], s[12:13]
	s_cbranch_execz .LBB13_330
	s_branch .LBB13_331
.LBB13_336:
                                        ; implicit-def: $sgpr10_sgpr11
	s_mov_b64 s[14:15], 0
	s_cbranch_execnz .LBB13_342
	s_branch .LBB13_343
.LBB13_337:
	s_mov_b64 s[14:15], 0
                                        ; implicit-def: $sgpr10_sgpr11
	s_cbranch_execnz .LBB13_340
	s_branch .LBB13_341
.LBB13_338:
	s_mov_b64 s[14:15], -1
                                        ; implicit-def: $sgpr10_sgpr11
.LBB13_339:
	s_branch .LBB13_341
.LBB13_340:
	s_waitcnt vmcnt(0)
	v_cmp_gt_u16_sdwa s[16:17], v5, v6 src0_sel:BYTE_0 src1_sel:BYTE_0
	s_andn2_b64 s[10:11], s[10:11], exec
	s_and_b64 s[16:17], s[16:17], exec
	s_or_b64 s[10:11], s[10:11], s[16:17]
.LBB13_341:
	s_branch .LBB13_343
.LBB13_342:
	s_cmp_lg_u32 s26, 0
	s_mov_b64 s[12:13], -1
	s_cselect_b64 s[14:15], -1, 0
.LBB13_343:
	s_andn2_b64 vcc, exec, s[14:15]
	s_cbranch_vccz .LBB13_350
; %bb.344:
	s_andn2_b64 vcc, exec, s[12:13]
	s_cbranch_vccnz .LBB13_346
.LBB13_345:
	s_waitcnt vmcnt(0)
	v_cmp_ge_u16_sdwa s[12:13], v5, v6 src0_sel:BYTE_0 src1_sel:BYTE_0
	s_andn2_b64 s[10:11], s[10:11], exec
	s_and_b64 s[12:13], s[12:13], exec
	s_or_b64 s[10:11], s[10:11], s[12:13]
.LBB13_346:
	global_load_ubyte v5, v19, s[2:3]
	global_load_ubyte v6, v17, s[6:7]
	s_cmp_lt_i32 s26, 1
	s_mov_b64 s[14:15], 0
	s_cbranch_scc1 .LBB13_351
; %bb.347:
	s_cmp_gt_i32 s26, 1
	s_cbranch_scc0 .LBB13_352
; %bb.348:
	s_cmp_eq_u32 s26, 2
	s_cbranch_scc0 .LBB13_353
; %bb.349:
	s_waitcnt vmcnt(0)
	v_cmp_le_u16_sdwa s[12:13], v5, v6 src0_sel:BYTE_0 src1_sel:BYTE_0
	s_mov_b64 s[16:17], 0
	s_branch .LBB13_354
.LBB13_350:
	s_waitcnt vmcnt(0)
	v_cmp_lt_u16_sdwa s[14:15], v5, v6 src0_sel:BYTE_0 src1_sel:BYTE_0
	s_andn2_b64 s[10:11], s[10:11], exec
	s_and_b64 s[14:15], s[14:15], exec
	s_or_b64 s[10:11], s[10:11], s[14:15]
	s_cbranch_execz .LBB13_345
	s_branch .LBB13_346
.LBB13_351:
                                        ; implicit-def: $sgpr12_sgpr13
	s_mov_b64 s[16:17], 0
	s_cbranch_execnz .LBB13_357
	s_branch .LBB13_358
.LBB13_352:
	s_mov_b64 s[16:17], 0
                                        ; implicit-def: $sgpr12_sgpr13
	s_cbranch_execnz .LBB13_355
	s_branch .LBB13_356
.LBB13_353:
	s_mov_b64 s[16:17], -1
                                        ; implicit-def: $sgpr12_sgpr13
.LBB13_354:
	s_branch .LBB13_356
.LBB13_355:
	s_waitcnt vmcnt(0)
	v_cmp_gt_u16_sdwa s[18:19], v5, v6 src0_sel:BYTE_0 src1_sel:BYTE_0
	s_andn2_b64 s[12:13], s[12:13], exec
	s_and_b64 s[18:19], s[18:19], exec
	s_or_b64 s[12:13], s[12:13], s[18:19]
.LBB13_356:
	s_branch .LBB13_358
.LBB13_357:
	s_cmp_lg_u32 s26, 0
	s_mov_b64 s[14:15], -1
	s_cselect_b64 s[16:17], -1, 0
.LBB13_358:
	s_andn2_b64 vcc, exec, s[16:17]
	s_cbranch_vccz .LBB13_365
; %bb.359:
	s_andn2_b64 vcc, exec, s[14:15]
	s_cbranch_vccnz .LBB13_361
.LBB13_360:
	s_waitcnt vmcnt(0)
	v_cmp_ge_u16_sdwa s[14:15], v5, v6 src0_sel:BYTE_0 src1_sel:BYTE_0
	s_andn2_b64 s[12:13], s[12:13], exec
	s_and_b64 s[14:15], s[14:15], exec
	s_or_b64 s[12:13], s[12:13], s[14:15]
.LBB13_361:
	global_load_ubyte v5, v24, s[2:3]
	global_load_ubyte v6, v22, s[6:7]
	s_cmp_lt_i32 s26, 1
	s_mov_b64 s[16:17], 0
	s_cbranch_scc1 .LBB13_366
; %bb.362:
	s_cmp_gt_i32 s26, 1
	s_cbranch_scc0 .LBB13_367
; %bb.363:
	s_cmp_eq_u32 s26, 2
	s_cbranch_scc0 .LBB13_368
; %bb.364:
	s_waitcnt vmcnt(0)
	v_cmp_le_u16_sdwa s[14:15], v5, v6 src0_sel:BYTE_0 src1_sel:BYTE_0
	s_mov_b64 s[18:19], 0
	s_branch .LBB13_369
.LBB13_365:
	s_waitcnt vmcnt(0)
	v_cmp_lt_u16_sdwa s[16:17], v5, v6 src0_sel:BYTE_0 src1_sel:BYTE_0
	s_andn2_b64 s[12:13], s[12:13], exec
	s_and_b64 s[16:17], s[16:17], exec
	s_or_b64 s[12:13], s[12:13], s[16:17]
	s_cbranch_execz .LBB13_360
	s_branch .LBB13_361
.LBB13_366:
                                        ; implicit-def: $sgpr14_sgpr15
	s_mov_b64 s[18:19], 0
	s_cbranch_execnz .LBB13_372
	s_branch .LBB13_373
.LBB13_367:
	s_mov_b64 s[18:19], 0
                                        ; implicit-def: $sgpr14_sgpr15
	s_cbranch_execnz .LBB13_370
	s_branch .LBB13_371
.LBB13_368:
	s_mov_b64 s[18:19], -1
                                        ; implicit-def: $sgpr14_sgpr15
.LBB13_369:
	s_branch .LBB13_371
.LBB13_370:
	s_waitcnt vmcnt(0)
	v_cmp_gt_u16_sdwa s[20:21], v5, v6 src0_sel:BYTE_0 src1_sel:BYTE_0
	s_andn2_b64 s[14:15], s[14:15], exec
	s_and_b64 s[20:21], s[20:21], exec
	s_or_b64 s[14:15], s[14:15], s[20:21]
.LBB13_371:
	s_branch .LBB13_373
.LBB13_372:
	s_cmp_lg_u32 s26, 0
	s_mov_b64 s[16:17], -1
	s_cselect_b64 s[18:19], -1, 0
.LBB13_373:
	s_andn2_b64 vcc, exec, s[18:19]
	s_cbranch_vccz .LBB13_380
; %bb.374:
	s_andn2_b64 vcc, exec, s[16:17]
	s_cbranch_vccnz .LBB13_376
.LBB13_375:
	s_waitcnt vmcnt(0)
	v_cmp_ge_u16_sdwa s[16:17], v5, v6 src0_sel:BYTE_0 src1_sel:BYTE_0
	s_andn2_b64 s[14:15], s[14:15], exec
	s_and_b64 s[16:17], s[16:17], exec
	s_or_b64 s[14:15], s[14:15], s[16:17]
.LBB13_376:
	global_load_ubyte v5, v27, s[2:3]
	global_load_ubyte v6, v25, s[6:7]
	s_cmp_lt_i32 s26, 1
	s_mov_b64 s[18:19], 0
	s_cbranch_scc1 .LBB13_381
; %bb.377:
	s_cmp_gt_i32 s26, 1
	s_cbranch_scc0 .LBB13_382
; %bb.378:
	s_cmp_eq_u32 s26, 2
	s_cbranch_scc0 .LBB13_383
; %bb.379:
	s_waitcnt vmcnt(0)
	v_cmp_le_u16_sdwa s[16:17], v5, v6 src0_sel:BYTE_0 src1_sel:BYTE_0
	s_mov_b64 s[20:21], 0
	s_branch .LBB13_384
.LBB13_380:
	s_waitcnt vmcnt(0)
	v_cmp_lt_u16_sdwa s[18:19], v5, v6 src0_sel:BYTE_0 src1_sel:BYTE_0
	s_andn2_b64 s[14:15], s[14:15], exec
	s_and_b64 s[18:19], s[18:19], exec
	s_or_b64 s[14:15], s[14:15], s[18:19]
	s_cbranch_execz .LBB13_375
	s_branch .LBB13_376
.LBB13_381:
                                        ; implicit-def: $sgpr16_sgpr17
	s_mov_b64 s[20:21], 0
	s_cbranch_execnz .LBB13_387
	s_branch .LBB13_388
.LBB13_382:
	s_mov_b64 s[20:21], 0
                                        ; implicit-def: $sgpr16_sgpr17
	s_cbranch_execnz .LBB13_385
	s_branch .LBB13_386
.LBB13_383:
	s_mov_b64 s[20:21], -1
                                        ; implicit-def: $sgpr16_sgpr17
.LBB13_384:
	s_branch .LBB13_386
.LBB13_385:
	s_waitcnt vmcnt(0)
	v_cmp_gt_u16_sdwa s[22:23], v5, v6 src0_sel:BYTE_0 src1_sel:BYTE_0
	s_andn2_b64 s[16:17], s[16:17], exec
	s_and_b64 s[22:23], s[22:23], exec
	s_or_b64 s[16:17], s[16:17], s[22:23]
.LBB13_386:
	s_branch .LBB13_388
.LBB13_387:
	s_cmp_lg_u32 s26, 0
	s_mov_b64 s[18:19], -1
	s_cselect_b64 s[20:21], -1, 0
.LBB13_388:
	s_andn2_b64 vcc, exec, s[20:21]
	s_cbranch_vccz .LBB13_395
; %bb.389:
	s_andn2_b64 vcc, exec, s[18:19]
	s_cbranch_vccnz .LBB13_391
.LBB13_390:
	s_waitcnt vmcnt(0)
	v_cmp_ge_u16_sdwa s[18:19], v5, v6 src0_sel:BYTE_0 src1_sel:BYTE_0
	s_andn2_b64 s[16:17], s[16:17], exec
	s_and_b64 s[18:19], s[18:19], exec
	s_or_b64 s[16:17], s[16:17], s[18:19]
.LBB13_391:
	global_load_ubyte v5, v32, s[2:3]
	global_load_ubyte v6, v30, s[6:7]
	s_cmp_lt_i32 s26, 1
	s_mov_b64 s[20:21], 0
	s_cbranch_scc1 .LBB13_396
; %bb.392:
	s_cmp_gt_i32 s26, 1
	s_cbranch_scc0 .LBB13_397
; %bb.393:
	s_cmp_eq_u32 s26, 2
	s_cbranch_scc0 .LBB13_398
; %bb.394:
	s_waitcnt vmcnt(0)
	v_cmp_le_u16_sdwa s[18:19], v5, v6 src0_sel:BYTE_0 src1_sel:BYTE_0
	s_mov_b64 s[22:23], 0
	s_branch .LBB13_399
.LBB13_395:
	s_waitcnt vmcnt(0)
	v_cmp_lt_u16_sdwa s[20:21], v5, v6 src0_sel:BYTE_0 src1_sel:BYTE_0
	s_andn2_b64 s[16:17], s[16:17], exec
	s_and_b64 s[20:21], s[20:21], exec
	s_or_b64 s[16:17], s[16:17], s[20:21]
	s_cbranch_execz .LBB13_390
	s_branch .LBB13_391
.LBB13_396:
                                        ; implicit-def: $sgpr18_sgpr19
	s_mov_b64 s[22:23], 0
	s_cbranch_execnz .LBB13_402
	s_branch .LBB13_403
.LBB13_397:
	s_mov_b64 s[22:23], 0
                                        ; implicit-def: $sgpr18_sgpr19
	s_cbranch_execnz .LBB13_400
	s_branch .LBB13_401
.LBB13_398:
	s_mov_b64 s[22:23], -1
                                        ; implicit-def: $sgpr18_sgpr19
.LBB13_399:
	s_branch .LBB13_401
.LBB13_400:
	s_waitcnt vmcnt(0)
	v_cmp_gt_u16_sdwa s[24:25], v5, v6 src0_sel:BYTE_0 src1_sel:BYTE_0
	s_andn2_b64 s[18:19], s[18:19], exec
	s_and_b64 s[24:25], s[24:25], exec
	s_or_b64 s[18:19], s[18:19], s[24:25]
.LBB13_401:
	s_branch .LBB13_403
.LBB13_402:
	s_cmp_lg_u32 s26, 0
	s_mov_b64 s[20:21], -1
	s_cselect_b64 s[22:23], -1, 0
.LBB13_403:
	s_andn2_b64 vcc, exec, s[22:23]
	s_cbranch_vccz .LBB13_410
; %bb.404:
	s_andn2_b64 vcc, exec, s[20:21]
	s_cbranch_vccnz .LBB13_406
.LBB13_405:
	s_waitcnt vmcnt(0)
	v_cmp_ge_u16_sdwa s[20:21], v5, v6 src0_sel:BYTE_0 src1_sel:BYTE_0
	s_andn2_b64 s[18:19], s[18:19], exec
	s_and_b64 s[20:21], s[20:21], exec
	s_or_b64 s[18:19], s[18:19], s[20:21]
.LBB13_406:
	global_load_ubyte v5, v33, s[2:3]
	global_load_ubyte v6, v35, s[6:7]
	s_cmp_lt_i32 s26, 1
	s_mov_b64 s[6:7], 0
	s_cbranch_scc1 .LBB13_411
; %bb.407:
	s_cmp_gt_i32 s26, 1
	s_cbranch_scc0 .LBB13_412
; %bb.408:
	s_cmp_eq_u32 s26, 2
	s_cbranch_scc0 .LBB13_413
; %bb.409:
	s_waitcnt vmcnt(0)
	v_cmp_le_u16_sdwa s[2:3], v5, v6 src0_sel:BYTE_0 src1_sel:BYTE_0
	s_mov_b64 s[20:21], 0
	s_branch .LBB13_414
.LBB13_410:
	s_waitcnt vmcnt(0)
	v_cmp_lt_u16_sdwa s[22:23], v5, v6 src0_sel:BYTE_0 src1_sel:BYTE_0
	s_andn2_b64 s[18:19], s[18:19], exec
	s_and_b64 s[22:23], s[22:23], exec
	s_or_b64 s[18:19], s[18:19], s[22:23]
	s_cbranch_execz .LBB13_405
	s_branch .LBB13_406
.LBB13_411:
                                        ; implicit-def: $sgpr2_sgpr3
	s_mov_b64 s[20:21], 0
	s_cbranch_execnz .LBB13_417
	s_branch .LBB13_418
.LBB13_412:
	s_mov_b64 s[20:21], 0
                                        ; implicit-def: $sgpr2_sgpr3
	s_cbranch_execnz .LBB13_415
	s_branch .LBB13_416
.LBB13_413:
	s_mov_b64 s[20:21], -1
                                        ; implicit-def: $sgpr2_sgpr3
.LBB13_414:
	s_branch .LBB13_416
.LBB13_415:
	s_waitcnt vmcnt(0)
	v_cmp_gt_u16_sdwa s[22:23], v5, v6 src0_sel:BYTE_0 src1_sel:BYTE_0
	s_andn2_b64 s[2:3], s[2:3], exec
	s_and_b64 s[22:23], s[22:23], exec
	s_or_b64 s[2:3], s[2:3], s[22:23]
.LBB13_416:
	s_branch .LBB13_418
.LBB13_417:
	s_cmp_lg_u32 s26, 0
	s_mov_b64 s[6:7], -1
	s_cselect_b64 s[20:21], -1, 0
.LBB13_418:
	s_andn2_b64 vcc, exec, s[20:21]
	s_cbranch_vccz .LBB13_422
; %bb.419:
	s_andn2_b64 vcc, exec, s[6:7]
	s_cbranch_vccnz .LBB13_421
.LBB13_420:
	s_waitcnt vmcnt(0)
	v_cmp_ge_u16_sdwa s[6:7], v5, v6 src0_sel:BYTE_0 src1_sel:BYTE_0
	s_andn2_b64 s[2:3], s[2:3], exec
	s_and_b64 s[6:7], s[6:7], exec
	s_or_b64 s[2:3], s[2:3], s[6:7]
.LBB13_421:
	v_cndmask_b32_e64 v11, 0, 1, s[4:5]
	s_waitcnt vmcnt(1)
	v_cndmask_b32_e64 v5, 0, 1, s[18:19]
	s_waitcnt vmcnt(0)
	v_cndmask_b32_e64 v6, 0, 1, s[16:17]
	v_cndmask_b32_e64 v7, 0, 1, s[14:15]
	v_cndmask_b32_e64 v8, 0, 1, s[12:13]
	v_cndmask_b32_e64 v9, 0, 1, s[10:11]
	v_cndmask_b32_e64 v10, 0, 1, s[8:9]
	v_cndmask_b32_e64 v13, 0, 1, s[2:3]
	global_store_byte v0, v11, s[0:1]
	global_store_byte v1, v10, s[0:1]
	;; [unrolled: 1-line block ×8, first 2 shown]
	s_endpgm
.LBB13_422:
	s_waitcnt vmcnt(0)
	v_cmp_lt_u16_sdwa s[20:21], v5, v6 src0_sel:BYTE_0 src1_sel:BYTE_0
	s_andn2_b64 s[2:3], s[2:3], exec
	s_and_b64 s[20:21], s[20:21], exec
	s_or_b64 s[2:3], s[2:3], s[20:21]
	s_cbranch_execz .LBB13_420
	s_branch .LBB13_421
.LBB13_423:
	s_mov_b64 s[36:37], -1
                                        ; implicit-def: $sgpr34_sgpr35
	s_branch .LBB13_54
.LBB13_424:
	s_mov_b64 s[36:37], -1
                                        ; implicit-def: $sgpr34_sgpr35
	s_branch .LBB13_79
.LBB13_425:
	s_mov_b64 s[36:37], -1
                                        ; implicit-def: $sgpr34_sgpr35
	s_branch .LBB13_104
.LBB13_426:
	s_mov_b64 s[36:37], -1
                                        ; implicit-def: $sgpr34_sgpr35
	s_branch .LBB13_129
.LBB13_427:
	s_mov_b64 s[36:37], -1
                                        ; implicit-def: $sgpr34_sgpr35
	s_branch .LBB13_154
.LBB13_428:
	s_mov_b64 s[36:37], -1
                                        ; implicit-def: $sgpr34_sgpr35
	s_branch .LBB13_179
.LBB13_429:
	s_mov_b64 s[6:7], -1
                                        ; implicit-def: $sgpr4_sgpr5
	s_branch .LBB13_204
	.section	.rodata,"a",@progbits
	.p2align	6, 0x0
	.amdhsa_kernel _ZN2at6native32elementwise_kernel_manual_unrollILi128ELi8EZNS0_22gpu_kernel_impl_nocastINS0_12_GLOBAL__N_114CompareFunctorIhEEEEvRNS_18TensorIteratorBaseERKT_EUlibE_EEviT1_
		.amdhsa_group_segment_fixed_size 0
		.amdhsa_private_segment_fixed_size 0
		.amdhsa_kernarg_size 432
		.amdhsa_user_sgpr_count 6
		.amdhsa_user_sgpr_private_segment_buffer 1
		.amdhsa_user_sgpr_dispatch_ptr 0
		.amdhsa_user_sgpr_queue_ptr 0
		.amdhsa_user_sgpr_kernarg_segment_ptr 1
		.amdhsa_user_sgpr_dispatch_id 0
		.amdhsa_user_sgpr_flat_scratch_init 0
		.amdhsa_user_sgpr_private_segment_size 0
		.amdhsa_uses_dynamic_stack 0
		.amdhsa_system_sgpr_private_segment_wavefront_offset 0
		.amdhsa_system_sgpr_workgroup_id_x 1
		.amdhsa_system_sgpr_workgroup_id_y 0
		.amdhsa_system_sgpr_workgroup_id_z 0
		.amdhsa_system_sgpr_workgroup_info 0
		.amdhsa_system_vgpr_workitem_id 0
		.amdhsa_next_free_vgpr 38
		.amdhsa_next_free_sgpr 52
		.amdhsa_reserve_vcc 1
		.amdhsa_reserve_flat_scratch 0
		.amdhsa_float_round_mode_32 0
		.amdhsa_float_round_mode_16_64 0
		.amdhsa_float_denorm_mode_32 3
		.amdhsa_float_denorm_mode_16_64 3
		.amdhsa_dx10_clamp 1
		.amdhsa_ieee_mode 1
		.amdhsa_fp16_overflow 0
		.amdhsa_exception_fp_ieee_invalid_op 0
		.amdhsa_exception_fp_denorm_src 0
		.amdhsa_exception_fp_ieee_div_zero 0
		.amdhsa_exception_fp_ieee_overflow 0
		.amdhsa_exception_fp_ieee_underflow 0
		.amdhsa_exception_fp_ieee_inexact 0
		.amdhsa_exception_int_div_zero 0
	.end_amdhsa_kernel
	.section	.text._ZN2at6native32elementwise_kernel_manual_unrollILi128ELi8EZNS0_22gpu_kernel_impl_nocastINS0_12_GLOBAL__N_114CompareFunctorIhEEEEvRNS_18TensorIteratorBaseERKT_EUlibE_EEviT1_,"axG",@progbits,_ZN2at6native32elementwise_kernel_manual_unrollILi128ELi8EZNS0_22gpu_kernel_impl_nocastINS0_12_GLOBAL__N_114CompareFunctorIhEEEEvRNS_18TensorIteratorBaseERKT_EUlibE_EEviT1_,comdat
.Lfunc_end13:
	.size	_ZN2at6native32elementwise_kernel_manual_unrollILi128ELi8EZNS0_22gpu_kernel_impl_nocastINS0_12_GLOBAL__N_114CompareFunctorIhEEEEvRNS_18TensorIteratorBaseERKT_EUlibE_EEviT1_, .Lfunc_end13-_ZN2at6native32elementwise_kernel_manual_unrollILi128ELi8EZNS0_22gpu_kernel_impl_nocastINS0_12_GLOBAL__N_114CompareFunctorIhEEEEvRNS_18TensorIteratorBaseERKT_EUlibE_EEviT1_
                                        ; -- End function
	.set _ZN2at6native32elementwise_kernel_manual_unrollILi128ELi8EZNS0_22gpu_kernel_impl_nocastINS0_12_GLOBAL__N_114CompareFunctorIhEEEEvRNS_18TensorIteratorBaseERKT_EUlibE_EEviT1_.num_vgpr, 38
	.set _ZN2at6native32elementwise_kernel_manual_unrollILi128ELi8EZNS0_22gpu_kernel_impl_nocastINS0_12_GLOBAL__N_114CompareFunctorIhEEEEvRNS_18TensorIteratorBaseERKT_EUlibE_EEviT1_.num_agpr, 0
	.set _ZN2at6native32elementwise_kernel_manual_unrollILi128ELi8EZNS0_22gpu_kernel_impl_nocastINS0_12_GLOBAL__N_114CompareFunctorIhEEEEvRNS_18TensorIteratorBaseERKT_EUlibE_EEviT1_.numbered_sgpr, 52
	.set _ZN2at6native32elementwise_kernel_manual_unrollILi128ELi8EZNS0_22gpu_kernel_impl_nocastINS0_12_GLOBAL__N_114CompareFunctorIhEEEEvRNS_18TensorIteratorBaseERKT_EUlibE_EEviT1_.num_named_barrier, 0
	.set _ZN2at6native32elementwise_kernel_manual_unrollILi128ELi8EZNS0_22gpu_kernel_impl_nocastINS0_12_GLOBAL__N_114CompareFunctorIhEEEEvRNS_18TensorIteratorBaseERKT_EUlibE_EEviT1_.private_seg_size, 0
	.set _ZN2at6native32elementwise_kernel_manual_unrollILi128ELi8EZNS0_22gpu_kernel_impl_nocastINS0_12_GLOBAL__N_114CompareFunctorIhEEEEvRNS_18TensorIteratorBaseERKT_EUlibE_EEviT1_.uses_vcc, 1
	.set _ZN2at6native32elementwise_kernel_manual_unrollILi128ELi8EZNS0_22gpu_kernel_impl_nocastINS0_12_GLOBAL__N_114CompareFunctorIhEEEEvRNS_18TensorIteratorBaseERKT_EUlibE_EEviT1_.uses_flat_scratch, 0
	.set _ZN2at6native32elementwise_kernel_manual_unrollILi128ELi8EZNS0_22gpu_kernel_impl_nocastINS0_12_GLOBAL__N_114CompareFunctorIhEEEEvRNS_18TensorIteratorBaseERKT_EUlibE_EEviT1_.has_dyn_sized_stack, 0
	.set _ZN2at6native32elementwise_kernel_manual_unrollILi128ELi8EZNS0_22gpu_kernel_impl_nocastINS0_12_GLOBAL__N_114CompareFunctorIhEEEEvRNS_18TensorIteratorBaseERKT_EUlibE_EEviT1_.has_recursion, 0
	.set _ZN2at6native32elementwise_kernel_manual_unrollILi128ELi8EZNS0_22gpu_kernel_impl_nocastINS0_12_GLOBAL__N_114CompareFunctorIhEEEEvRNS_18TensorIteratorBaseERKT_EUlibE_EEviT1_.has_indirect_call, 0
	.section	.AMDGPU.csdata,"",@progbits
; Kernel info:
; codeLenInByte = 12324
; TotalNumSgprs: 56
; NumVgprs: 38
; ScratchSize: 0
; MemoryBound: 0
; FloatMode: 240
; IeeeMode: 1
; LDSByteSize: 0 bytes/workgroup (compile time only)
; SGPRBlocks: 6
; VGPRBlocks: 9
; NumSGPRsForWavesPerEU: 56
; NumVGPRsForWavesPerEU: 38
; Occupancy: 6
; WaveLimiterHint : 1
; COMPUTE_PGM_RSRC2:SCRATCH_EN: 0
; COMPUTE_PGM_RSRC2:USER_SGPR: 6
; COMPUTE_PGM_RSRC2:TRAP_HANDLER: 0
; COMPUTE_PGM_RSRC2:TGID_X_EN: 1
; COMPUTE_PGM_RSRC2:TGID_Y_EN: 0
; COMPUTE_PGM_RSRC2:TGID_Z_EN: 0
; COMPUTE_PGM_RSRC2:TIDIG_COMP_CNT: 0
	.section	.text._ZN2at6native32elementwise_kernel_manual_unrollILi128ELi4EZNS0_15gpu_kernel_implINS0_12_GLOBAL__N_114CompareFunctorIhEEEEvRNS_18TensorIteratorBaseERKT_EUlibE_EEviT1_,"axG",@progbits,_ZN2at6native32elementwise_kernel_manual_unrollILi128ELi4EZNS0_15gpu_kernel_implINS0_12_GLOBAL__N_114CompareFunctorIhEEEEvRNS_18TensorIteratorBaseERKT_EUlibE_EEviT1_,comdat
	.globl	_ZN2at6native32elementwise_kernel_manual_unrollILi128ELi4EZNS0_15gpu_kernel_implINS0_12_GLOBAL__N_114CompareFunctorIhEEEEvRNS_18TensorIteratorBaseERKT_EUlibE_EEviT1_ ; -- Begin function _ZN2at6native32elementwise_kernel_manual_unrollILi128ELi4EZNS0_15gpu_kernel_implINS0_12_GLOBAL__N_114CompareFunctorIhEEEEvRNS_18TensorIteratorBaseERKT_EUlibE_EEviT1_
	.p2align	8
	.type	_ZN2at6native32elementwise_kernel_manual_unrollILi128ELi4EZNS0_15gpu_kernel_implINS0_12_GLOBAL__N_114CompareFunctorIhEEEEvRNS_18TensorIteratorBaseERKT_EUlibE_EEviT1_,@function
_ZN2at6native32elementwise_kernel_manual_unrollILi128ELi4EZNS0_15gpu_kernel_implINS0_12_GLOBAL__N_114CompareFunctorIhEEEEvRNS_18TensorIteratorBaseERKT_EUlibE_EEviT1_: ; @_ZN2at6native32elementwise_kernel_manual_unrollILi128ELi4EZNS0_15gpu_kernel_implINS0_12_GLOBAL__N_114CompareFunctorIhEEEEvRNS_18TensorIteratorBaseERKT_EUlibE_EEviT1_
; %bb.0:
	s_load_dword s33, s[4:5], 0x30
	s_load_dword s48, s[4:5], 0x0
	s_load_dwordx4 s[8:11], s[4:5], 0x8
	s_load_dwordx2 s[2:3], s[4:5], 0x18
	s_load_dwordx4 s[12:15], s[4:5], 0x20
	v_lshl_or_b32 v5, s6, 9, v0
	v_or_b32_e32 v0, 0x180, v5
	s_waitcnt lgkmcnt(0)
	s_lshr_b32 s55, s33, 8
	s_lshr_b32 s54, s33, 16
	v_cmp_le_i32_e32 vcc, s48, v0
	s_mov_b64 s[4:5], 0
	s_mov_b64 s[16:17], 0
	s_and_saveexec_b64 s[0:1], vcc
	s_xor_b64 s[6:7], exec, s[0:1]
	s_cbranch_execz .LBB14_1578
; %bb.1:
	v_cmp_gt_i32_e32 vcc, s48, v5
	s_mov_b64 s[0:1], -1
	s_mov_b64 s[26:27], 0
	s_mov_b64 s[20:21], 0
	;; [unrolled: 1-line block ×3, first 2 shown]
	s_and_saveexec_b64 s[22:23], vcc
	s_cbranch_execz .LBB14_391
; %bb.2:
	v_mul_lo_u32 v0, v5, s13
	v_mov_b32_e32 v1, s11
	s_and_b32 s18, s55, 0xff
	s_cmp_lt_i32 s18, 11
	v_ashrrev_i32_e32 v3, 31, v0
	v_add_co_u32_e32 v2, vcc, s10, v0
	v_addc_co_u32_e32 v3, vcc, v1, v3, vcc
	s_cbranch_scc1 .LBB14_9
; %bb.3:
	s_and_b32 s19, 0xffff, s18
	s_cmp_gt_i32 s19, 25
	s_cbranch_scc0 .LBB14_18
; %bb.4:
	s_cmp_gt_i32 s19, 28
	s_cbranch_scc0 .LBB14_25
; %bb.5:
	;; [unrolled: 3-line block ×4, first 2 shown]
	s_cmp_eq_u32 s19, 46
	s_cbranch_scc0 .LBB14_53
; %bb.8:
	global_load_dword v0, v[2:3], off
	s_mov_b32 s0, 0x2f800000
	s_mov_b32 s1, 0xcf800000
	s_waitcnt vmcnt(0)
	v_lshlrev_b32_e32 v0, 16, v0
	v_trunc_f32_e32 v0, v0
	v_mul_f32_e64 v1, |v0|, s0
	v_floor_f32_e32 v1, v1
	v_fma_f32 v1, v1, s1, |v0|
	v_cvt_u32_f32_e32 v1, v1
	v_ashrrev_i32_e32 v0, 31, v0
	s_mov_b64 s[0:1], -1
	v_xor_b32_e32 v1, v1, v0
	v_sub_u32_e32 v0, v1, v0
	s_branch .LBB14_55
.LBB14_9:
                                        ; implicit-def: $vgpr0
	s_mov_b64 s[0:1], 0
	s_cbranch_execnz .LBB14_117
.LBB14_10:
	s_andn2_b64 vcc, exec, s[0:1]
	s_cbranch_vccnz .LBB14_164
.LBB14_11:
	s_waitcnt vmcnt(0)
	v_mul_lo_u32 v1, v5, s14
	v_mov_b32_e32 v2, s3
	s_and_b32 s24, s54, 0xff
	s_cmp_lt_i32 s24, 11
	v_ashrrev_i32_e32 v3, 31, v1
	v_add_co_u32_e32 v1, vcc, s2, v1
	v_addc_co_u32_e32 v2, vcc, v2, v3, vcc
	s_cbranch_scc1 .LBB14_19
; %bb.12:
	s_and_b32 s25, 0xffff, s24
	s_cmp_gt_i32 s25, 25
	s_cbranch_scc0 .LBB14_26
; %bb.13:
	s_cmp_gt_i32 s25, 28
	s_cbranch_scc0 .LBB14_31
; %bb.14:
	;; [unrolled: 3-line block ×4, first 2 shown]
	s_cmp_eq_u32 s25, 46
	s_mov_b64 s[16:17], 0
	s_cbranch_scc0 .LBB14_165
; %bb.17:
	global_load_dword v3, v[1:2], off
	s_mov_b32 s0, 0x2f800000
	s_mov_b32 s1, 0xcf800000
	s_mov_b64 s[18:19], 0
	s_waitcnt vmcnt(0)
	v_lshlrev_b32_e32 v3, 16, v3
	v_trunc_f32_e32 v3, v3
	v_mul_f32_e64 v4, |v3|, s0
	v_floor_f32_e32 v4, v4
	v_fma_f32 v4, v4, s1, |v3|
	v_cvt_u32_f32_e32 v4, v4
	v_ashrrev_i32_e32 v3, 31, v3
	s_mov_b64 s[0:1], -1
	v_xor_b32_e32 v4, v4, v3
	v_sub_u32_e32 v3, v4, v3
	s_branch .LBB14_167
.LBB14_18:
	s_mov_b64 s[0:1], 0
                                        ; implicit-def: $vgpr0
	s_cbranch_execnz .LBB14_84
	s_branch .LBB14_116
.LBB14_19:
	s_mov_b64 s[18:19], 0
                                        ; implicit-def: $vgpr3
	s_mov_b64 s[0:1], 0
	s_cbranch_execnz .LBB14_340
.LBB14_20:
	s_andn2_b64 vcc, exec, s[0:1]
	s_cbranch_vccnz .LBB14_388
.LBB14_21:
	s_cmp_lt_i32 s15, 1
	s_mov_b64 s[0:1], 0
	s_cbranch_scc1 .LBB14_27
; %bb.22:
	s_cmp_gt_i32 s15, 1
	s_cbranch_scc0 .LBB14_32
; %bb.23:
	s_cmp_eq_u32 s15, 2
	s_cbranch_scc0 .LBB14_35
; %bb.24:
	s_waitcnt vmcnt(0)
	v_cmp_le_u16_sdwa s[16:17], v0, v3 src0_sel:BYTE_0 src1_sel:BYTE_0
	s_mov_b64 s[24:25], 0
	s_branch .LBB14_36
.LBB14_25:
	s_mov_b64 s[16:17], -1
	s_mov_b64 s[0:1], 0
                                        ; implicit-def: $vgpr0
	s_branch .LBB14_67
.LBB14_26:
	s_mov_b64 s[16:17], -1
	s_mov_b64 s[18:19], 0
	s_mov_b64 s[0:1], 0
                                        ; implicit-def: $vgpr3
	s_branch .LBB14_306
.LBB14_27:
                                        ; implicit-def: $sgpr16_sgpr17
	s_mov_b64 s[24:25], 0
	s_cbranch_execnz .LBB14_40
.LBB14_28:
	s_andn2_b64 vcc, exec, s[24:25]
	s_cbranch_vccnz .LBB14_41
.LBB14_29:
	s_waitcnt vmcnt(0)
	v_cmp_lt_u16_sdwa s[24:25], v0, v3 src0_sel:BYTE_0 src1_sel:BYTE_0
	s_andn2_b64 s[16:17], s[16:17], exec
	s_and_b64 s[24:25], s[24:25], exec
	s_or_b64 s[16:17], s[16:17], s[24:25]
	s_cbranch_execz .LBB14_42
	s_branch .LBB14_43
.LBB14_30:
	s_mov_b64 s[16:17], -1
	s_mov_b64 s[0:1], 0
                                        ; implicit-def: $vgpr0
	s_branch .LBB14_62
.LBB14_31:
	s_mov_b64 s[16:17], -1
	s_mov_b64 s[18:19], 0
	s_mov_b64 s[0:1], 0
                                        ; implicit-def: $vgpr3
	s_branch .LBB14_289
.LBB14_32:
	s_mov_b64 s[28:29], -1
	s_mov_b64 s[24:25], 0
                                        ; implicit-def: $sgpr16_sgpr17
	s_branch .LBB14_37
.LBB14_33:
	s_mov_b64 s[16:17], -1
	s_branch .LBB14_54
.LBB14_34:
	s_mov_b64 s[16:17], -1
	s_mov_b64 s[18:19], 0
	s_mov_b64 s[0:1], 0
                                        ; implicit-def: $vgpr3
	s_branch .LBB14_284
.LBB14_35:
	s_mov_b64 s[24:25], -1
                                        ; implicit-def: $sgpr16_sgpr17
.LBB14_36:
	s_mov_b64 s[28:29], 0
.LBB14_37:
	s_and_b64 vcc, exec, s[28:29]
	s_cbranch_vccz .LBB14_39
; %bb.38:
	s_waitcnt vmcnt(0)
	v_cmp_gt_u16_sdwa s[28:29], v0, v3 src0_sel:BYTE_0 src1_sel:BYTE_0
	s_andn2_b64 s[16:17], s[16:17], exec
	s_and_b64 s[28:29], s[28:29], exec
	s_or_b64 s[16:17], s[16:17], s[28:29]
.LBB14_39:
	s_branch .LBB14_28
.LBB14_40:
	s_cmp_lg_u32 s15, 0
	s_mov_b64 s[0:1], -1
	s_cselect_b64 s[24:25], -1, 0
	s_andn2_b64 vcc, exec, s[24:25]
	s_cbranch_vccz .LBB14_29
.LBB14_41:
	s_andn2_b64 vcc, exec, s[0:1]
	s_cbranch_vccnz .LBB14_43
.LBB14_42:
	s_waitcnt vmcnt(0)
	v_cmp_ge_u16_sdwa s[0:1], v0, v3 src0_sel:BYTE_0 src1_sel:BYTE_0
	s_andn2_b64 s[16:17], s[16:17], exec
	s_and_b64 s[0:1], s[0:1], exec
	s_or_b64 s[16:17], s[16:17], s[0:1]
.LBB14_43:
	v_mul_lo_u32 v0, v5, s12
	v_mov_b32_e32 v1, s9
	s_and_b32 s34, s33, 0xff
	s_cmp_lt_i32 s34, 11
	v_ashrrev_i32_e32 v2, 31, v0
	v_add_co_u32_e32 v0, vcc, s8, v0
	v_addc_co_u32_e32 v1, vcc, v1, v2, vcc
	s_cbranch_scc1 .LBB14_50
; %bb.44:
	s_and_b32 s35, 0xffff, s34
	s_cmp_gt_i32 s35, 25
	s_cbranch_scc0 .LBB14_51
; %bb.45:
	s_cmp_gt_i32 s35, 28
	s_cbranch_scc0 .LBB14_52
; %bb.46:
	;; [unrolled: 3-line block ×4, first 2 shown]
	s_mov_b64 s[28:29], 0
	s_mov_b64 s[0:1], -1
	s_cmp_eq_u32 s35, 46
	s_mov_b64 s[24:25], 0
	s_cbranch_scc0 .LBB14_171
; %bb.49:
	v_cndmask_b32_e64 v2, 0, 1.0, s[16:17]
	s_waitcnt vmcnt(0)
	v_bfe_u32 v3, v2, 16, 1
	s_movk_i32 s0, 0x7fff
	v_add3_u32 v2, v2, v3, s0
	v_lshrrev_b32_e32 v2, 16, v2
	global_store_dword v[0:1], v2, off
	s_mov_b64 s[24:25], -1
	s_mov_b64 s[0:1], 0
	s_branch .LBB14_171
.LBB14_50:
	s_mov_b64 s[28:29], -1
	s_mov_b64 s[0:1], 0
	s_mov_b64 s[24:25], 0
	s_branch .LBB14_240
.LBB14_51:
	s_mov_b64 s[28:29], -1
	s_mov_b64 s[0:1], 0
	s_mov_b64 s[24:25], 0
	s_branch .LBB14_198
.LBB14_52:
	s_mov_b64 s[28:29], -1
	s_mov_b64 s[0:1], 0
	s_mov_b64 s[24:25], 0
	s_branch .LBB14_181
.LBB14_53:
	s_mov_b64 s[20:21], -1
.LBB14_54:
	s_mov_b64 s[0:1], 0
                                        ; implicit-def: $vgpr0
.LBB14_55:
	s_and_b64 vcc, exec, s[16:17]
	s_cbranch_vccz .LBB14_61
; %bb.56:
	s_cmp_eq_u32 s19, 44
	s_cbranch_scc0 .LBB14_60
; %bb.57:
	global_load_ubyte v0, v[2:3], off
	s_mov_b32 s0, 0x2f800000
	s_mov_b32 s1, 0xcf800000
	s_mov_b64 s[20:21], 0
	s_waitcnt vmcnt(0)
	v_lshlrev_b32_e32 v1, 23, v0
	v_trunc_f32_e32 v1, v1
	v_mul_f32_e64 v4, |v1|, s0
	v_floor_f32_e32 v4, v4
	v_fma_f32 v4, v4, s1, |v1|
	v_cvt_u32_f32_e32 v4, v4
	v_ashrrev_i32_e32 v1, 31, v1
	v_cmp_ne_u32_e32 vcc, 0, v0
	s_mov_b64 s[0:1], -1
	v_xor_b32_e32 v4, v4, v1
	v_sub_u32_e32 v1, v4, v1
	v_cndmask_b32_e32 v0, 0, v1, vcc
	s_branch .LBB14_61
.LBB14_58:
	s_mov_b64 s[16:17], -1
	s_mov_b64 s[18:19], 0
	s_branch .LBB14_166
.LBB14_59:
	s_mov_b64 s[28:29], -1
	s_mov_b64 s[0:1], 0
	s_mov_b64 s[24:25], 0
	s_branch .LBB14_177
.LBB14_60:
	s_mov_b64 s[20:21], -1
                                        ; implicit-def: $vgpr0
.LBB14_61:
	s_mov_b64 s[16:17], 0
.LBB14_62:
	s_and_b64 vcc, exec, s[16:17]
	s_cbranch_vccz .LBB14_66
; %bb.63:
	s_cmp_eq_u32 s19, 29
	s_cbranch_scc0 .LBB14_65
; %bb.64:
	global_load_dwordx2 v[0:1], v[2:3], off
	s_mov_b64 s[0:1], -1
	s_mov_b64 s[20:21], 0
	s_branch .LBB14_66
.LBB14_65:
	s_mov_b64 s[20:21], -1
                                        ; implicit-def: $vgpr0
.LBB14_66:
	s_mov_b64 s[16:17], 0
.LBB14_67:
	s_and_b64 vcc, exec, s[16:17]
	s_cbranch_vccz .LBB14_83
; %bb.68:
	s_cmp_lt_i32 s19, 27
	s_cbranch_scc1 .LBB14_71
; %bb.69:
	s_cmp_gt_i32 s19, 27
	s_cbranch_scc0 .LBB14_72
; %bb.70:
	global_load_dword v0, v[2:3], off
	s_mov_b64 s[0:1], 0
	s_branch .LBB14_73
.LBB14_71:
	s_mov_b64 s[0:1], -1
                                        ; implicit-def: $vgpr0
	s_branch .LBB14_76
.LBB14_72:
	s_mov_b64 s[0:1], -1
                                        ; implicit-def: $vgpr0
.LBB14_73:
	s_andn2_b64 vcc, exec, s[0:1]
	s_cbranch_vccnz .LBB14_75
; %bb.74:
	global_load_ushort v0, v[2:3], off
.LBB14_75:
	s_mov_b64 s[0:1], 0
.LBB14_76:
	s_andn2_b64 vcc, exec, s[0:1]
	s_cbranch_vccnz .LBB14_82
; %bb.77:
	global_load_ubyte v1, v[2:3], off
	s_movk_i32 s0, 0x7f
	s_mov_b64 s[16:17], 0
	s_waitcnt vmcnt(0)
	v_cmp_lt_i16_e32 vcc, s0, v1
	s_and_saveexec_b64 s[0:1], vcc
	s_xor_b64 s[0:1], exec, s[0:1]
	s_cbranch_execz .LBB14_93
; %bb.78:
	s_movk_i32 s16, 0x80
	v_cmp_ne_u16_e32 vcc, s16, v1
	s_and_b64 s[16:17], vcc, exec
	s_andn2_saveexec_b64 s[0:1], s[0:1]
	s_cbranch_execnz .LBB14_94
.LBB14_79:
	s_or_b64 exec, exec, s[0:1]
	v_mov_b32_e32 v0, 0
	s_and_saveexec_b64 s[0:1], s[16:17]
	s_cbranch_execz .LBB14_81
.LBB14_80:
	v_lshlrev_b32_e32 v0, 24, v1
	v_and_b32_e32 v1, 0xffff, v1
	v_and_b32_e32 v4, 7, v1
	v_ffbh_u32_e32 v7, v4
	v_min_u32_e32 v7, 32, v7
	v_subrev_u32_e32 v8, 28, v7
	v_bfe_u32 v6, v1, 3, 4
	v_lshlrev_b32_e32 v1, v8, v1
	v_sub_u32_e32 v7, 29, v7
	v_and_b32_e32 v1, 7, v1
	v_cmp_eq_u32_e32 vcc, 0, v6
	v_cndmask_b32_e32 v6, v6, v7, vcc
	v_cndmask_b32_e32 v1, v4, v1, vcc
	v_mov_b32_e32 v4, 0x3b800000
	v_lshlrev_b32_e32 v1, 20, v1
	v_and_b32_e32 v0, 0x80000000, v0
	v_lshl_add_u32 v4, v6, 23, v4
	v_or3_b32 v0, v0, v4, v1
	v_trunc_f32_e32 v0, v0
	s_mov_b32 s16, 0x2f800000
	v_mul_f32_e64 v1, |v0|, s16
	v_floor_f32_e32 v1, v1
	s_mov_b32 s16, 0xcf800000
	v_fma_f32 v1, v1, s16, |v0|
	v_cvt_u32_f32_e32 v1, v1
	v_ashrrev_i32_e32 v0, 31, v0
	v_xor_b32_e32 v1, v1, v0
	v_sub_u32_e32 v0, v1, v0
.LBB14_81:
	s_or_b64 exec, exec, s[0:1]
.LBB14_82:
	s_mov_b64 s[0:1], -1
.LBB14_83:
	s_branch .LBB14_116
.LBB14_84:
	s_cmp_gt_i32 s19, 22
	s_cbranch_scc0 .LBB14_92
; %bb.85:
	s_cmp_lt_i32 s19, 24
	s_cbranch_scc1 .LBB14_95
; %bb.86:
	s_cmp_gt_i32 s19, 24
	s_cbranch_scc0 .LBB14_96
; %bb.87:
	global_load_ubyte v1, v[2:3], off
	s_movk_i32 s0, 0x7f
	s_mov_b64 s[16:17], 0
	s_waitcnt vmcnt(0)
	v_cmp_lt_i16_e32 vcc, s0, v1
	s_and_saveexec_b64 s[0:1], vcc
	s_xor_b64 s[0:1], exec, s[0:1]
	s_cbranch_execz .LBB14_108
; %bb.88:
	s_movk_i32 s16, 0x80
	v_cmp_ne_u16_e32 vcc, s16, v1
	s_and_b64 s[16:17], vcc, exec
	s_andn2_saveexec_b64 s[0:1], s[0:1]
	s_cbranch_execnz .LBB14_109
.LBB14_89:
	s_or_b64 exec, exec, s[0:1]
	v_mov_b32_e32 v0, 0
	s_and_saveexec_b64 s[0:1], s[16:17]
	s_cbranch_execz .LBB14_91
.LBB14_90:
	v_lshlrev_b32_e32 v0, 24, v1
	v_and_b32_e32 v1, 0xffff, v1
	v_and_b32_e32 v4, 3, v1
	v_ffbh_u32_e32 v7, v4
	v_min_u32_e32 v7, 32, v7
	v_subrev_u32_e32 v8, 29, v7
	v_bfe_u32 v6, v1, 2, 5
	v_lshlrev_b32_e32 v1, v8, v1
	v_sub_u32_e32 v7, 30, v7
	v_and_b32_e32 v1, 3, v1
	v_cmp_eq_u32_e32 vcc, 0, v6
	v_cndmask_b32_e32 v6, v6, v7, vcc
	v_cndmask_b32_e32 v1, v4, v1, vcc
	v_mov_b32_e32 v4, 0x37800000
	v_lshlrev_b32_e32 v1, 21, v1
	v_and_b32_e32 v0, 0x80000000, v0
	v_lshl_add_u32 v4, v6, 23, v4
	v_or3_b32 v0, v0, v4, v1
	v_trunc_f32_e32 v0, v0
	s_mov_b32 s16, 0x2f800000
	v_mul_f32_e64 v1, |v0|, s16
	v_floor_f32_e32 v1, v1
	s_mov_b32 s16, 0xcf800000
	v_fma_f32 v1, v1, s16, |v0|
	v_cvt_u32_f32_e32 v1, v1
	v_ashrrev_i32_e32 v0, 31, v0
	v_xor_b32_e32 v1, v1, v0
	v_sub_u32_e32 v0, v1, v0
.LBB14_91:
	s_or_b64 exec, exec, s[0:1]
	s_mov_b64 s[0:1], 0
	s_branch .LBB14_97
.LBB14_92:
	s_mov_b64 s[16:17], -1
                                        ; implicit-def: $vgpr0
	s_branch .LBB14_103
.LBB14_93:
	s_andn2_saveexec_b64 s[0:1], s[0:1]
	s_cbranch_execz .LBB14_79
.LBB14_94:
	v_cmp_ne_u16_e32 vcc, 0, v1
	s_andn2_b64 s[16:17], s[16:17], exec
	s_and_b64 s[24:25], vcc, exec
	s_or_b64 s[16:17], s[16:17], s[24:25]
	s_or_b64 exec, exec, s[0:1]
	v_mov_b32_e32 v0, 0
	s_and_saveexec_b64 s[0:1], s[16:17]
	s_cbranch_execnz .LBB14_80
	s_branch .LBB14_81
.LBB14_95:
	s_mov_b64 s[0:1], -1
                                        ; implicit-def: $vgpr0
	s_branch .LBB14_100
.LBB14_96:
	s_mov_b64 s[0:1], -1
                                        ; implicit-def: $vgpr0
.LBB14_97:
	s_and_b64 vcc, exec, s[0:1]
	s_cbranch_vccz .LBB14_99
; %bb.98:
	global_load_ubyte v0, v[2:3], off
	s_mov_b32 s0, 0x7f800000
	s_brev_b32 s1, 1
	s_mov_b32 s16, 0x2f800000
	s_waitcnt vmcnt(0)
	v_lshlrev_b32_e32 v0, 24, v0
	v_and_b32_e32 v1, 0x7f000000, v0
	v_ffbh_u32_e32 v4, v1
	v_min_u32_e32 v4, 32, v4
	v_sub_u32_e64 v4, v4, 4 clamp
	v_lshlrev_b32_e32 v7, v4, v1
	v_lshlrev_b32_e32 v4, 23, v4
	v_lshrrev_b32_e32 v7, 4, v7
	v_add_u32_e32 v6, 0x1000000, v1
	v_sub_u32_e32 v4, v7, v4
	v_ashrrev_i32_e32 v6, 8, v6
	v_add_u32_e32 v4, 0x3c000000, v4
	v_and_or_b32 v4, v6, s0, v4
	v_cmp_ne_u32_e32 vcc, 0, v1
	v_cndmask_b32_e32 v1, 0, v4, vcc
	v_and_or_b32 v0, v0, s1, v1
	v_trunc_f32_e32 v0, v0
	v_mul_f32_e64 v1, |v0|, s16
	v_floor_f32_e32 v1, v1
	s_mov_b32 s0, 0xcf800000
	v_fma_f32 v1, v1, s0, |v0|
	v_cvt_u32_f32_e32 v1, v1
	v_ashrrev_i32_e32 v0, 31, v0
	v_xor_b32_e32 v1, v1, v0
	v_sub_u32_e32 v0, v1, v0
.LBB14_99:
	s_mov_b64 s[0:1], 0
.LBB14_100:
	s_andn2_b64 vcc, exec, s[0:1]
	s_cbranch_vccnz .LBB14_102
; %bb.101:
	global_load_ubyte v0, v[2:3], off
	s_movk_i32 s0, 0x7f00
	s_brev_b32 s1, 16
	s_brev_b32 s16, 1
	s_mov_b32 s17, 0x2f800000
	s_waitcnt vmcnt(0)
	v_lshlrev_b16_e32 v1, 8, v0
	v_lshlrev_b32_e32 v0, 25, v0
	v_lshrrev_b32_e32 v4, 4, v0
	v_and_or_b32 v6, v1, s0, 0.5
	v_or_b32_e32 v4, 0x70000000, v4
	v_add_f32_e32 v6, -0.5, v6
	v_mul_f32_e32 v4, 0x7800000, v4
	v_cmp_gt_u32_e32 vcc, s1, v0
	v_bfe_i32 v1, v1, 0, 16
	v_cndmask_b32_e32 v0, v4, v6, vcc
	v_and_or_b32 v0, v1, s16, v0
	v_trunc_f32_e32 v0, v0
	v_mul_f32_e64 v1, |v0|, s17
	v_floor_f32_e32 v1, v1
	s_mov_b32 s0, 0xcf800000
	v_fma_f32 v1, v1, s0, |v0|
	v_cvt_u32_f32_e32 v1, v1
	v_ashrrev_i32_e32 v0, 31, v0
	v_xor_b32_e32 v1, v1, v0
	v_sub_u32_e32 v0, v1, v0
.LBB14_102:
	s_mov_b64 s[16:17], 0
	s_mov_b64 s[0:1], -1
.LBB14_103:
	s_andn2_b64 vcc, exec, s[16:17]
	s_cbranch_vccnz .LBB14_116
; %bb.104:
	s_cmp_gt_i32 s19, 14
	s_cbranch_scc0 .LBB14_107
; %bb.105:
	s_cmp_eq_u32 s19, 15
	s_cbranch_scc0 .LBB14_110
; %bb.106:
	global_load_ushort v0, v[2:3], off
	s_mov_b32 s0, 0x2f800000
	s_mov_b32 s1, 0xcf800000
	s_mov_b64 s[20:21], 0
	s_waitcnt vmcnt(0)
	v_lshlrev_b32_e32 v0, 16, v0
	v_trunc_f32_e32 v0, v0
	v_mul_f32_e64 v1, |v0|, s0
	v_floor_f32_e32 v1, v1
	v_fma_f32 v1, v1, s1, |v0|
	v_cvt_u32_f32_e32 v1, v1
	v_ashrrev_i32_e32 v0, 31, v0
	s_mov_b64 s[0:1], -1
	v_xor_b32_e32 v1, v1, v0
	v_sub_u32_e32 v0, v1, v0
	s_branch .LBB14_111
.LBB14_107:
	s_mov_b64 s[16:17], -1
                                        ; implicit-def: $vgpr0
	s_branch .LBB14_112
.LBB14_108:
	s_andn2_saveexec_b64 s[0:1], s[0:1]
	s_cbranch_execz .LBB14_89
.LBB14_109:
	v_cmp_ne_u16_e32 vcc, 0, v1
	s_andn2_b64 s[16:17], s[16:17], exec
	s_and_b64 s[24:25], vcc, exec
	s_or_b64 s[16:17], s[16:17], s[24:25]
	s_or_b64 exec, exec, s[0:1]
	v_mov_b32_e32 v0, 0
	s_and_saveexec_b64 s[0:1], s[16:17]
	s_cbranch_execnz .LBB14_90
	s_branch .LBB14_91
.LBB14_110:
	s_mov_b64 s[20:21], -1
                                        ; implicit-def: $vgpr0
.LBB14_111:
	s_mov_b64 s[16:17], 0
.LBB14_112:
	s_and_b64 vcc, exec, s[16:17]
	s_cbranch_vccz .LBB14_116
; %bb.113:
	s_cmp_eq_u32 s19, 11
	s_cbranch_scc0 .LBB14_115
; %bb.114:
	global_load_ubyte v0, v[2:3], off
	s_mov_b64 s[0:1], -1
	s_mov_b64 s[20:21], 0
	s_waitcnt vmcnt(0)
	v_cmp_ne_u16_e32 vcc, 0, v0
	v_cndmask_b32_e64 v0, 0, 1, vcc
	s_branch .LBB14_116
.LBB14_115:
	s_mov_b64 s[20:21], -1
                                        ; implicit-def: $vgpr0
.LBB14_116:
	s_branch .LBB14_10
.LBB14_117:
	s_and_b32 s16, 0xffff, s18
	s_cmp_lt_i32 s16, 5
	s_cbranch_scc1 .LBB14_122
; %bb.118:
	s_cmp_lt_i32 s16, 8
	s_cbranch_scc1 .LBB14_123
; %bb.119:
	;; [unrolled: 3-line block ×3, first 2 shown]
	s_cmp_gt_i32 s16, 9
	s_cbranch_scc0 .LBB14_125
; %bb.121:
	global_load_dwordx2 v[0:1], v[2:3], off
	s_movk_i32 s0, 0xffe0
	s_waitcnt vmcnt(0)
	v_trunc_f64_e32 v[0:1], v[0:1]
	v_ldexp_f64 v[6:7], v[0:1], s0
	s_mov_b32 s0, 0
	s_mov_b32 s1, 0xc1f00000
	v_floor_f64_e32 v[6:7], v[6:7]
	v_fma_f64 v[0:1], v[6:7], s[0:1], v[0:1]
	s_mov_b64 s[0:1], 0
	v_cvt_u32_f64_e32 v0, v[0:1]
	s_branch .LBB14_126
.LBB14_122:
                                        ; implicit-def: $vgpr0
	s_branch .LBB14_144
.LBB14_123:
	s_mov_b64 s[0:1], -1
                                        ; implicit-def: $vgpr0
	s_branch .LBB14_132
.LBB14_124:
	s_mov_b64 s[0:1], -1
                                        ; implicit-def: $vgpr0
	s_branch .LBB14_129
.LBB14_125:
	s_mov_b64 s[0:1], -1
                                        ; implicit-def: $vgpr0
.LBB14_126:
	s_andn2_b64 vcc, exec, s[0:1]
	s_cbranch_vccnz .LBB14_128
; %bb.127:
	global_load_dword v0, v[2:3], off
	s_mov_b32 s0, 0x2f800000
	s_waitcnt vmcnt(0)
	v_trunc_f32_e32 v0, v0
	v_mul_f32_e64 v1, |v0|, s0
	v_floor_f32_e32 v1, v1
	s_mov_b32 s0, 0xcf800000
	v_fma_f32 v1, v1, s0, |v0|
	v_cvt_u32_f32_e32 v1, v1
	v_ashrrev_i32_e32 v0, 31, v0
	v_xor_b32_e32 v1, v1, v0
	v_sub_u32_e32 v0, v1, v0
.LBB14_128:
	s_mov_b64 s[0:1], 0
.LBB14_129:
	s_andn2_b64 vcc, exec, s[0:1]
	s_cbranch_vccnz .LBB14_131
; %bb.130:
	global_load_dword v0, v[2:3], off
	s_waitcnt vmcnt(0)
	v_cvt_f32_f16_e32 v0, v0
	v_cvt_i32_f32_e32 v0, v0
.LBB14_131:
	s_mov_b64 s[0:1], 0
.LBB14_132:
	s_andn2_b64 vcc, exec, s[0:1]
	s_cbranch_vccnz .LBB14_143
; %bb.133:
	s_cmp_lt_i32 s16, 6
	s_cbranch_scc1 .LBB14_136
; %bb.134:
	s_cmp_gt_i32 s16, 6
	s_cbranch_scc0 .LBB14_137
; %bb.135:
	global_load_dwordx2 v[0:1], v[2:3], off
	s_movk_i32 s0, 0xffe0
	s_waitcnt vmcnt(0)
	v_trunc_f64_e32 v[0:1], v[0:1]
	v_ldexp_f64 v[6:7], v[0:1], s0
	s_mov_b32 s0, 0
	s_mov_b32 s1, 0xc1f00000
	v_floor_f64_e32 v[6:7], v[6:7]
	v_fma_f64 v[0:1], v[6:7], s[0:1], v[0:1]
	s_mov_b64 s[0:1], 0
	v_cvt_u32_f64_e32 v0, v[0:1]
	s_branch .LBB14_138
.LBB14_136:
	s_mov_b64 s[0:1], -1
                                        ; implicit-def: $vgpr0
	s_branch .LBB14_141
.LBB14_137:
	s_mov_b64 s[0:1], -1
                                        ; implicit-def: $vgpr0
.LBB14_138:
	s_andn2_b64 vcc, exec, s[0:1]
	s_cbranch_vccnz .LBB14_140
; %bb.139:
	global_load_dword v0, v[2:3], off
	s_mov_b32 s0, 0x2f800000
	s_waitcnt vmcnt(0)
	v_trunc_f32_e32 v0, v0
	v_mul_f32_e64 v1, |v0|, s0
	v_floor_f32_e32 v1, v1
	s_mov_b32 s0, 0xcf800000
	v_fma_f32 v1, v1, s0, |v0|
	v_cvt_u32_f32_e32 v1, v1
	v_ashrrev_i32_e32 v0, 31, v0
	v_xor_b32_e32 v1, v1, v0
	v_sub_u32_e32 v0, v1, v0
.LBB14_140:
	s_mov_b64 s[0:1], 0
.LBB14_141:
	s_andn2_b64 vcc, exec, s[0:1]
	s_cbranch_vccnz .LBB14_143
; %bb.142:
	global_load_ushort v0, v[2:3], off
	s_waitcnt vmcnt(0)
	v_cvt_f32_f16_e32 v0, v0
	v_cvt_i32_f32_e32 v0, v0
.LBB14_143:
	s_cbranch_execnz .LBB14_163
.LBB14_144:
	s_cmp_lt_i32 s16, 2
	s_cbranch_scc1 .LBB14_148
; %bb.145:
	s_cmp_lt_i32 s16, 3
	s_cbranch_scc1 .LBB14_149
; %bb.146:
	s_cmp_gt_i32 s16, 3
	s_cbranch_scc0 .LBB14_150
; %bb.147:
	global_load_dwordx2 v[0:1], v[2:3], off
	s_mov_b64 s[0:1], 0
	s_branch .LBB14_151
.LBB14_148:
	s_mov_b64 s[0:1], -1
                                        ; implicit-def: $vgpr0
	s_branch .LBB14_157
.LBB14_149:
	s_mov_b64 s[0:1], -1
                                        ; implicit-def: $vgpr0
	s_branch .LBB14_154
.LBB14_150:
	s_mov_b64 s[0:1], -1
                                        ; implicit-def: $vgpr0
.LBB14_151:
	s_andn2_b64 vcc, exec, s[0:1]
	s_cbranch_vccnz .LBB14_153
; %bb.152:
	global_load_dword v0, v[2:3], off
.LBB14_153:
	s_mov_b64 s[0:1], 0
.LBB14_154:
	s_andn2_b64 vcc, exec, s[0:1]
	s_cbranch_vccnz .LBB14_156
; %bb.155:
	global_load_ushort v0, v[2:3], off
.LBB14_156:
	s_mov_b64 s[0:1], 0
.LBB14_157:
	s_andn2_b64 vcc, exec, s[0:1]
	s_cbranch_vccnz .LBB14_163
; %bb.158:
	s_cmp_gt_i32 s16, 0
	s_cbranch_scc0 .LBB14_160
; %bb.159:
	global_load_ubyte v0, v[2:3], off
	s_mov_b64 s[0:1], 0
	s_branch .LBB14_161
.LBB14_160:
	s_mov_b64 s[0:1], -1
                                        ; implicit-def: $vgpr0
.LBB14_161:
	s_andn2_b64 vcc, exec, s[0:1]
	s_cbranch_vccnz .LBB14_163
; %bb.162:
	global_load_ubyte v0, v[2:3], off
.LBB14_163:
	s_branch .LBB14_11
.LBB14_164:
	s_mov_b64 s[0:1], 0
	s_mov_b64 s[18:19], 0
	s_branch .LBB14_389
.LBB14_165:
	s_mov_b64 s[18:19], -1
.LBB14_166:
	s_mov_b64 s[0:1], 0
                                        ; implicit-def: $vgpr3
.LBB14_167:
	s_and_b64 vcc, exec, s[16:17]
	s_cbranch_vccz .LBB14_283
; %bb.168:
	s_cmp_eq_u32 s25, 44
	s_cbranch_scc0 .LBB14_282
; %bb.169:
	global_load_ubyte v3, v[1:2], off
	s_mov_b32 s0, 0x2f800000
	s_mov_b32 s1, 0xcf800000
	s_mov_b64 s[18:19], 0
	s_waitcnt vmcnt(0)
	v_lshlrev_b32_e32 v4, 23, v3
	v_trunc_f32_e32 v4, v4
	v_mul_f32_e64 v6, |v4|, s0
	v_floor_f32_e32 v6, v6
	v_fma_f32 v6, v6, s1, |v4|
	v_cvt_u32_f32_e32 v6, v6
	v_ashrrev_i32_e32 v4, 31, v4
	v_cmp_ne_u32_e32 vcc, 0, v3
	s_mov_b64 s[0:1], -1
	v_xor_b32_e32 v6, v6, v4
	v_sub_u32_e32 v4, v6, v4
	v_cndmask_b32_e32 v3, 0, v4, vcc
	s_branch .LBB14_283
.LBB14_170:
	s_mov_b64 s[28:29], -1
	s_mov_b64 s[0:1], 0
	s_mov_b64 s[24:25], 0
.LBB14_171:
	s_and_b64 vcc, exec, s[28:29]
	s_cbranch_vccz .LBB14_176
; %bb.172:
	s_cmp_eq_u32 s35, 44
	s_mov_b64 s[0:1], -1
	s_cbranch_scc0 .LBB14_176
; %bb.173:
	s_waitcnt vmcnt(0)
	v_cndmask_b32_e64 v3, 0, 1.0, s[16:17]
	v_lshrrev_b32_e32 v2, 23, v3
	s_movk_i32 s0, 0xff
	v_cmp_ne_u32_e32 vcc, s0, v2
	v_mov_b32_e32 v4, 0xff
	s_and_saveexec_b64 s[24:25], vcc
; %bb.174:
	s_mov_b32 s0, 0x3fffff
	v_and_b32_e32 v4, 0x400000, v3
	v_and_or_b32 v3, v3, s0, v2
	v_cmp_ne_u32_e32 vcc, 0, v4
	v_cmp_ne_u32_e64 s[0:1], 0, v3
	s_and_b64 s[0:1], vcc, s[0:1]
	v_cndmask_b32_e64 v3, 0, 1, s[0:1]
	v_add_u32_e32 v4, v2, v3
; %bb.175:
	s_or_b64 exec, exec, s[24:25]
	s_mov_b64 s[24:25], -1
	s_mov_b64 s[0:1], 0
	global_store_byte v[0:1], v4, off
.LBB14_176:
	s_mov_b64 s[28:29], 0
.LBB14_177:
	s_and_b64 vcc, exec, s[28:29]
	s_cbranch_vccz .LBB14_180
; %bb.178:
	s_cmp_eq_u32 s35, 29
	s_mov_b64 s[0:1], -1
	s_cbranch_scc0 .LBB14_180
; %bb.179:
	s_mov_b32 s0, 0
	v_cndmask_b32_e64 v2, 0, 1, s[16:17]
	s_waitcnt vmcnt(0)
	v_mov_b32_e32 v3, s0
	global_store_dwordx2 v[0:1], v[2:3], off
	s_mov_b64 s[24:25], -1
	s_mov_b64 s[0:1], 0
.LBB14_180:
	s_mov_b64 s[28:29], 0
.LBB14_181:
	s_and_b64 vcc, exec, s[28:29]
	s_cbranch_vccz .LBB14_197
; %bb.182:
	s_cmp_lt_i32 s35, 27
	s_mov_b64 s[24:25], -1
	s_cbranch_scc1 .LBB14_188
; %bb.183:
	s_cmp_gt_i32 s35, 27
	s_cbranch_scc0 .LBB14_185
; %bb.184:
	v_cndmask_b32_e64 v2, 0, 1, s[16:17]
	s_mov_b64 s[24:25], 0
	global_store_dword v[0:1], v2, off
.LBB14_185:
	s_andn2_b64 vcc, exec, s[24:25]
	s_cbranch_vccnz .LBB14_187
; %bb.186:
	v_cndmask_b32_e64 v2, 0, 1, s[16:17]
	global_store_short v[0:1], v2, off
.LBB14_187:
	s_mov_b64 s[24:25], 0
.LBB14_188:
	s_andn2_b64 vcc, exec, s[24:25]
	s_cbranch_vccnz .LBB14_196
; %bb.189:
	s_waitcnt vmcnt(0)
	v_cndmask_b32_e64 v3, 0, 1.0, s[16:17]
	s_mov_b32 s24, 0x43800000
	v_cmp_gt_u32_e32 vcc, s24, v3
	v_mov_b32_e32 v4, 0x80
	s_and_saveexec_b64 s[24:25], vcc
	s_cbranch_execz .LBB14_195
; %bb.190:
	s_mov_b32 s28, 0x3bffffff
	v_cmp_lt_u32_e32 vcc, s28, v3
	s_mov_b64 s[28:29], 0
                                        ; implicit-def: $vgpr2
	s_and_saveexec_b64 s[30:31], vcc
	s_xor_b64 s[30:31], exec, s[30:31]
	s_cbranch_execz .LBB14_420
; %bb.191:
	v_bfe_u32 v2, v3, 20, 1
	s_mov_b32 s36, 0x487ffff
	v_add3_u32 v2, v3, v2, s36
	s_mov_b64 s[28:29], exec
	v_lshrrev_b32_e32 v2, 20, v2
                                        ; implicit-def: $vgpr3
	s_andn2_saveexec_b64 s[30:31], s[30:31]
	s_cbranch_execnz .LBB14_421
.LBB14_192:
	s_or_b64 exec, exec, s[30:31]
	v_mov_b32_e32 v4, 0
	s_and_saveexec_b64 s[30:31], s[28:29]
.LBB14_193:
	v_mov_b32_e32 v4, v2
.LBB14_194:
	s_or_b64 exec, exec, s[30:31]
.LBB14_195:
	s_or_b64 exec, exec, s[24:25]
	global_store_byte v[0:1], v4, off
.LBB14_196:
	s_mov_b64 s[24:25], -1
.LBB14_197:
	s_mov_b64 s[28:29], 0
.LBB14_198:
	s_and_b64 vcc, exec, s[28:29]
	s_cbranch_vccz .LBB14_239
; %bb.199:
	s_cmp_gt_i32 s35, 22
	s_mov_b64 s[28:29], -1
	s_cbranch_scc0 .LBB14_231
; %bb.200:
	s_cmp_lt_i32 s35, 24
	s_mov_b64 s[24:25], -1
	s_cbranch_scc1 .LBB14_220
; %bb.201:
	s_cmp_gt_i32 s35, 24
	s_cbranch_scc0 .LBB14_209
; %bb.202:
	s_waitcnt vmcnt(0)
	v_cndmask_b32_e64 v3, 0, 1.0, s[16:17]
	s_mov_b32 s24, 0x47800000
	v_cmp_gt_u32_e32 vcc, s24, v3
	v_mov_b32_e32 v4, 0x80
	s_and_saveexec_b64 s[24:25], vcc
	s_cbranch_execz .LBB14_208
; %bb.203:
	s_mov_b32 s28, 0x37ffffff
	v_cmp_lt_u32_e32 vcc, s28, v3
	s_mov_b64 s[28:29], 0
                                        ; implicit-def: $vgpr2
	s_and_saveexec_b64 s[30:31], vcc
	s_xor_b64 s[30:31], exec, s[30:31]
	s_cbranch_execz .LBB14_535
; %bb.204:
	v_bfe_u32 v2, v3, 21, 1
	s_mov_b32 s36, 0x88fffff
	v_add3_u32 v2, v3, v2, s36
	s_mov_b64 s[28:29], exec
	v_lshrrev_b32_e32 v2, 21, v2
                                        ; implicit-def: $vgpr3
	s_andn2_saveexec_b64 s[30:31], s[30:31]
	s_cbranch_execnz .LBB14_536
.LBB14_205:
	s_or_b64 exec, exec, s[30:31]
	v_mov_b32_e32 v4, 0
	s_and_saveexec_b64 s[30:31], s[28:29]
.LBB14_206:
	v_mov_b32_e32 v4, v2
.LBB14_207:
	s_or_b64 exec, exec, s[30:31]
.LBB14_208:
	s_or_b64 exec, exec, s[24:25]
	s_mov_b64 s[24:25], 0
	global_store_byte v[0:1], v4, off
.LBB14_209:
	s_and_b64 vcc, exec, s[24:25]
	s_cbranch_vccz .LBB14_219
; %bb.210:
	v_cndmask_b32_e64 v2, 0, 1.0, s[16:17]
	s_mov_b32 s24, 0x43f00000
	v_cmp_gt_u32_e32 vcc, s24, v2
                                        ; implicit-def: $vgpr3
	s_and_saveexec_b64 s[24:25], vcc
	s_xor_b64 s[24:25], exec, s[24:25]
	s_cbranch_execz .LBB14_216
; %bb.211:
	s_mov_b32 s28, 0x3c7fffff
	v_cmp_lt_u32_e32 vcc, s28, v2
                                        ; implicit-def: $vgpr3
	s_and_saveexec_b64 s[28:29], vcc
	s_xor_b64 s[28:29], exec, s[28:29]
	s_cbranch_execz .LBB14_213
; %bb.212:
	s_waitcnt vmcnt(0)
	v_bfe_u32 v3, v2, 20, 1
	s_mov_b32 s30, 0x407ffff
	v_add3_u32 v2, v2, v3, s30
	v_lshrrev_b32_e32 v3, 20, v2
	v_and_b32_e32 v2, 0xff00000, v2
	s_mov_b32 s30, 0x7f00000
	v_mov_b32_e32 v4, 0x7e
	v_cmp_ne_u32_e32 vcc, s30, v2
	v_cndmask_b32_e32 v3, v4, v3, vcc
                                        ; implicit-def: $vgpr2
.LBB14_213:
	s_andn2_saveexec_b64 s[28:29], s[28:29]
	s_cbranch_execz .LBB14_215
; %bb.214:
	s_waitcnt vmcnt(0)
	v_add_f32_e32 v3, 0x46800000, v2
.LBB14_215:
	s_or_b64 exec, exec, s[28:29]
                                        ; implicit-def: $vgpr2
.LBB14_216:
	s_andn2_saveexec_b64 s[24:25], s[24:25]
	s_cbranch_execz .LBB14_218
; %bb.217:
	s_mov_b32 s28, 0x7f800000
	s_waitcnt vmcnt(0)
	v_mov_b32_e32 v3, 0x7e
	v_mov_b32_e32 v4, 0x7f
	v_cmp_lt_u32_e32 vcc, s28, v2
	v_cndmask_b32_e32 v3, v3, v4, vcc
.LBB14_218:
	s_or_b64 exec, exec, s[24:25]
	s_waitcnt vmcnt(0)
	global_store_byte v[0:1], v3, off
.LBB14_219:
	s_mov_b64 s[24:25], 0
.LBB14_220:
	s_andn2_b64 vcc, exec, s[24:25]
	s_cbranch_vccnz .LBB14_230
; %bb.221:
	v_cndmask_b32_e64 v2, 0, 1.0, s[16:17]
	s_mov_b32 s24, 0x47800000
	v_cmp_gt_u32_e32 vcc, s24, v2
                                        ; implicit-def: $vgpr3
	s_and_saveexec_b64 s[24:25], vcc
	s_xor_b64 s[24:25], exec, s[24:25]
	s_cbranch_execz .LBB14_227
; %bb.222:
	s_mov_b32 s28, 0x387fffff
	v_cmp_lt_u32_e32 vcc, s28, v2
                                        ; implicit-def: $vgpr3
	s_and_saveexec_b64 s[28:29], vcc
	s_xor_b64 s[28:29], exec, s[28:29]
	s_cbranch_execz .LBB14_224
; %bb.223:
	s_waitcnt vmcnt(0)
	v_bfe_u32 v3, v2, 21, 1
	s_mov_b32 s30, 0x80fffff
	v_add3_u32 v2, v2, v3, s30
	v_lshrrev_b32_e32 v3, 21, v2
                                        ; implicit-def: $vgpr2
.LBB14_224:
	s_andn2_saveexec_b64 s[28:29], s[28:29]
	s_cbranch_execz .LBB14_226
; %bb.225:
	s_waitcnt vmcnt(0)
	v_add_f32_e32 v3, 0x43000000, v2
.LBB14_226:
	s_or_b64 exec, exec, s[28:29]
                                        ; implicit-def: $vgpr2
.LBB14_227:
	s_andn2_saveexec_b64 s[24:25], s[24:25]
	s_cbranch_execz .LBB14_229
; %bb.228:
	s_mov_b32 s28, 0x7f800000
	s_waitcnt vmcnt(0)
	v_mov_b32_e32 v3, 0x7c
	v_mov_b32_e32 v4, 0x7f
	v_cmp_lt_u32_e32 vcc, s28, v2
	v_cndmask_b32_e32 v3, v3, v4, vcc
.LBB14_229:
	s_or_b64 exec, exec, s[24:25]
	s_waitcnt vmcnt(0)
	global_store_byte v[0:1], v3, off
.LBB14_230:
	s_mov_b64 s[28:29], 0
	s_mov_b64 s[24:25], -1
.LBB14_231:
	s_andn2_b64 vcc, exec, s[28:29]
	s_cbranch_vccnz .LBB14_239
; %bb.232:
	s_cmp_gt_i32 s35, 14
	s_mov_b64 s[28:29], -1
	s_cbranch_scc0 .LBB14_236
; %bb.233:
	s_cmp_eq_u32 s35, 15
	s_mov_b64 s[0:1], -1
	s_cbranch_scc0 .LBB14_235
; %bb.234:
	v_cndmask_b32_e64 v2, 0, 1.0, s[16:17]
	s_waitcnt vmcnt(0)
	v_bfe_u32 v3, v2, 16, 1
	s_movk_i32 s0, 0x7fff
	v_add3_u32 v2, v2, v3, s0
	global_store_short_d16_hi v[0:1], v2, off
	s_mov_b64 s[24:25], -1
	s_mov_b64 s[0:1], 0
.LBB14_235:
	s_mov_b64 s[28:29], 0
.LBB14_236:
	s_and_b64 vcc, exec, s[28:29]
	s_cbranch_vccz .LBB14_239
; %bb.237:
	s_cmp_eq_u32 s35, 11
	s_mov_b64 s[0:1], -1
	s_cbranch_scc0 .LBB14_239
; %bb.238:
	v_cndmask_b32_e64 v2, 0, 1, s[16:17]
	s_mov_b64 s[24:25], -1
	s_mov_b64 s[0:1], 0
	global_store_byte v[0:1], v2, off
.LBB14_239:
	s_mov_b64 s[28:29], 0
.LBB14_240:
	s_and_b64 vcc, exec, s[28:29]
	s_cbranch_vccz .LBB14_279
; %bb.241:
	s_and_b32 s28, 0xffff, s34
	s_cmp_lt_i32 s28, 5
	s_mov_b64 s[24:25], -1
	s_cbranch_scc1 .LBB14_262
; %bb.242:
	s_cmp_lt_i32 s28, 8
	s_cbranch_scc1 .LBB14_252
; %bb.243:
	s_cmp_lt_i32 s28, 9
	s_cbranch_scc1 .LBB14_249
; %bb.244:
	s_cmp_gt_i32 s28, 9
	s_cbranch_scc0 .LBB14_246
; %bb.245:
	v_cndmask_b32_e64 v2, 0, 1, s[16:17]
	v_cvt_f64_u32_e32 v[6:7], v2
	v_mov_b32_e32 v8, 0
	v_mov_b32_e32 v9, v8
	s_mov_b64 s[24:25], 0
	global_store_dwordx4 v[0:1], v[6:9], off
.LBB14_246:
	s_andn2_b64 vcc, exec, s[24:25]
	s_cbranch_vccnz .LBB14_248
; %bb.247:
	v_cndmask_b32_e64 v2, 0, 1.0, s[16:17]
	s_waitcnt vmcnt(0)
	v_mov_b32_e32 v3, 0
	global_store_dwordx2 v[0:1], v[2:3], off
.LBB14_248:
	s_mov_b64 s[24:25], 0
.LBB14_249:
	s_andn2_b64 vcc, exec, s[24:25]
	s_cbranch_vccnz .LBB14_251
; %bb.250:
	v_cndmask_b32_e64 v2, 0, 1.0, s[16:17]
	v_cvt_f16_f32_e32 v2, v2
	global_store_dword v[0:1], v2, off
.LBB14_251:
	s_mov_b64 s[24:25], 0
.LBB14_252:
	s_andn2_b64 vcc, exec, s[24:25]
	s_cbranch_vccnz .LBB14_261
; %bb.253:
	s_cmp_lt_i32 s28, 6
	s_mov_b64 s[24:25], -1
	s_cbranch_scc1 .LBB14_259
; %bb.254:
	s_cmp_gt_i32 s28, 6
	s_cbranch_scc0 .LBB14_256
; %bb.255:
	v_cndmask_b32_e64 v2, 0, 1, s[16:17]
	s_waitcnt vmcnt(0)
	v_cvt_f64_u32_e32 v[2:3], v2
	s_mov_b64 s[24:25], 0
	global_store_dwordx2 v[0:1], v[2:3], off
.LBB14_256:
	s_andn2_b64 vcc, exec, s[24:25]
	s_cbranch_vccnz .LBB14_258
; %bb.257:
	v_cndmask_b32_e64 v2, 0, 1.0, s[16:17]
	global_store_dword v[0:1], v2, off
.LBB14_258:
	s_mov_b64 s[24:25], 0
.LBB14_259:
	s_andn2_b64 vcc, exec, s[24:25]
	s_cbranch_vccnz .LBB14_261
; %bb.260:
	v_cndmask_b32_e64 v2, 0, 1.0, s[16:17]
	v_cvt_f16_f32_e32 v2, v2
	global_store_short v[0:1], v2, off
.LBB14_261:
	s_mov_b64 s[24:25], 0
.LBB14_262:
	s_andn2_b64 vcc, exec, s[24:25]
	s_cbranch_vccnz .LBB14_278
; %bb.263:
	s_cmp_lt_i32 s28, 2
	s_mov_b64 s[24:25], -1
	s_cbranch_scc1 .LBB14_273
; %bb.264:
	s_cmp_lt_i32 s28, 3
	s_cbranch_scc1 .LBB14_270
; %bb.265:
	s_cmp_gt_i32 s28, 3
	s_cbranch_scc0 .LBB14_267
; %bb.266:
	s_mov_b32 s24, 0
	v_cndmask_b32_e64 v2, 0, 1, s[16:17]
	s_waitcnt vmcnt(0)
	v_mov_b32_e32 v3, s24
	global_store_dwordx2 v[0:1], v[2:3], off
	s_mov_b64 s[24:25], 0
.LBB14_267:
	s_andn2_b64 vcc, exec, s[24:25]
	s_cbranch_vccnz .LBB14_269
; %bb.268:
	v_cndmask_b32_e64 v2, 0, 1, s[16:17]
	global_store_dword v[0:1], v2, off
.LBB14_269:
	s_mov_b64 s[24:25], 0
.LBB14_270:
	s_andn2_b64 vcc, exec, s[24:25]
	s_cbranch_vccnz .LBB14_272
; %bb.271:
	v_cndmask_b32_e64 v2, 0, 1, s[16:17]
	global_store_short v[0:1], v2, off
.LBB14_272:
	s_mov_b64 s[24:25], 0
.LBB14_273:
	s_andn2_b64 vcc, exec, s[24:25]
	s_cbranch_vccnz .LBB14_278
; %bb.274:
	s_mov_b64 s[24:25], -1
	s_cmp_gt_i32 s28, 0
	v_cndmask_b32_e64 v2, 0, 1, s[16:17]
	s_cbranch_scc0 .LBB14_276
; %bb.275:
	global_store_byte v[0:1], v2, off
	s_mov_b64 s[24:25], 0
.LBB14_276:
	s_andn2_b64 vcc, exec, s[24:25]
	s_cbranch_vccnz .LBB14_278
; %bb.277:
	global_store_byte v[0:1], v2, off
.LBB14_278:
	s_mov_b64 s[24:25], -1
.LBB14_279:
	s_andn2_b64 vcc, exec, s[24:25]
	s_cbranch_vccnz .LBB14_281
; %bb.280:
	v_add_u32_e32 v5, 0x80, v5
	s_mov_b64 s[24:25], -1
	s_branch .LBB14_390
.LBB14_281:
	s_mov_b64 s[24:25], 0
                                        ; implicit-def: $vgpr5
	s_branch .LBB14_390
.LBB14_282:
	s_mov_b64 s[18:19], -1
                                        ; implicit-def: $vgpr3
.LBB14_283:
	s_mov_b64 s[16:17], 0
.LBB14_284:
	s_and_b64 vcc, exec, s[16:17]
	s_cbranch_vccz .LBB14_288
; %bb.285:
	s_cmp_eq_u32 s25, 29
	s_cbranch_scc0 .LBB14_287
; %bb.286:
	global_load_dwordx2 v[3:4], v[1:2], off
	s_mov_b64 s[0:1], -1
	s_mov_b64 s[18:19], 0
	s_branch .LBB14_288
.LBB14_287:
	s_mov_b64 s[18:19], -1
                                        ; implicit-def: $vgpr3
.LBB14_288:
	s_mov_b64 s[16:17], 0
.LBB14_289:
	s_and_b64 vcc, exec, s[16:17]
	s_cbranch_vccz .LBB14_305
; %bb.290:
	s_cmp_lt_i32 s25, 27
	s_cbranch_scc1 .LBB14_293
; %bb.291:
	s_cmp_gt_i32 s25, 27
	s_cbranch_scc0 .LBB14_294
; %bb.292:
	global_load_dword v3, v[1:2], off
	s_mov_b64 s[0:1], 0
	s_branch .LBB14_295
.LBB14_293:
	s_mov_b64 s[0:1], -1
                                        ; implicit-def: $vgpr3
	s_branch .LBB14_298
.LBB14_294:
	s_mov_b64 s[0:1], -1
                                        ; implicit-def: $vgpr3
.LBB14_295:
	s_andn2_b64 vcc, exec, s[0:1]
	s_cbranch_vccnz .LBB14_297
; %bb.296:
	global_load_ushort v3, v[1:2], off
.LBB14_297:
	s_mov_b64 s[0:1], 0
.LBB14_298:
	s_andn2_b64 vcc, exec, s[0:1]
	s_cbranch_vccnz .LBB14_304
; %bb.299:
	global_load_ubyte v4, v[1:2], off
	s_movk_i32 s0, 0x7f
	s_mov_b64 s[16:17], 0
	s_waitcnt vmcnt(0)
	v_cmp_lt_i16_e32 vcc, s0, v4
	s_and_saveexec_b64 s[0:1], vcc
	s_xor_b64 s[0:1], exec, s[0:1]
	s_cbranch_execz .LBB14_316
; %bb.300:
	s_movk_i32 s16, 0x80
	v_cmp_ne_u16_e32 vcc, s16, v4
	s_and_b64 s[16:17], vcc, exec
	s_andn2_saveexec_b64 s[0:1], s[0:1]
	s_cbranch_execnz .LBB14_317
.LBB14_301:
	s_or_b64 exec, exec, s[0:1]
	v_mov_b32_e32 v3, 0
	s_and_saveexec_b64 s[0:1], s[16:17]
	s_cbranch_execz .LBB14_303
.LBB14_302:
	v_lshlrev_b32_e32 v3, 24, v4
	v_and_b32_e32 v4, 0xffff, v4
	v_and_b32_e32 v6, 7, v4
	v_ffbh_u32_e32 v8, v6
	v_min_u32_e32 v8, 32, v8
	v_subrev_u32_e32 v9, 28, v8
	v_bfe_u32 v7, v4, 3, 4
	v_lshlrev_b32_e32 v4, v9, v4
	v_sub_u32_e32 v8, 29, v8
	v_and_b32_e32 v4, 7, v4
	v_cmp_eq_u32_e32 vcc, 0, v7
	v_cndmask_b32_e32 v7, v7, v8, vcc
	v_cndmask_b32_e32 v4, v6, v4, vcc
	v_mov_b32_e32 v6, 0x3b800000
	v_lshlrev_b32_e32 v4, 20, v4
	v_and_b32_e32 v3, 0x80000000, v3
	v_lshl_add_u32 v6, v7, 23, v6
	v_or3_b32 v3, v3, v6, v4
	v_trunc_f32_e32 v3, v3
	s_mov_b32 s16, 0x2f800000
	v_mul_f32_e64 v4, |v3|, s16
	v_floor_f32_e32 v4, v4
	s_mov_b32 s16, 0xcf800000
	v_fma_f32 v4, v4, s16, |v3|
	v_cvt_u32_f32_e32 v4, v4
	v_ashrrev_i32_e32 v3, 31, v3
	v_xor_b32_e32 v4, v4, v3
	v_sub_u32_e32 v3, v4, v3
.LBB14_303:
	s_or_b64 exec, exec, s[0:1]
.LBB14_304:
	s_mov_b64 s[0:1], -1
.LBB14_305:
	s_mov_b64 s[16:17], 0
.LBB14_306:
	s_and_b64 vcc, exec, s[16:17]
	s_cbranch_vccz .LBB14_339
; %bb.307:
	s_cmp_gt_i32 s25, 22
	s_cbranch_scc0 .LBB14_315
; %bb.308:
	s_cmp_lt_i32 s25, 24
	s_cbranch_scc1 .LBB14_318
; %bb.309:
	s_cmp_gt_i32 s25, 24
	s_cbranch_scc0 .LBB14_319
; %bb.310:
	global_load_ubyte v4, v[1:2], off
	s_movk_i32 s0, 0x7f
	s_mov_b64 s[16:17], 0
	s_waitcnt vmcnt(0)
	v_cmp_lt_i16_e32 vcc, s0, v4
	s_and_saveexec_b64 s[0:1], vcc
	s_xor_b64 s[0:1], exec, s[0:1]
	s_cbranch_execz .LBB14_331
; %bb.311:
	s_movk_i32 s16, 0x80
	v_cmp_ne_u16_e32 vcc, s16, v4
	s_and_b64 s[16:17], vcc, exec
	s_andn2_saveexec_b64 s[0:1], s[0:1]
	s_cbranch_execnz .LBB14_332
.LBB14_312:
	s_or_b64 exec, exec, s[0:1]
	v_mov_b32_e32 v3, 0
	s_and_saveexec_b64 s[0:1], s[16:17]
	s_cbranch_execz .LBB14_314
.LBB14_313:
	v_lshlrev_b32_e32 v3, 24, v4
	v_and_b32_e32 v4, 0xffff, v4
	v_and_b32_e32 v6, 3, v4
	v_ffbh_u32_e32 v8, v6
	v_min_u32_e32 v8, 32, v8
	v_subrev_u32_e32 v9, 29, v8
	v_bfe_u32 v7, v4, 2, 5
	v_lshlrev_b32_e32 v4, v9, v4
	v_sub_u32_e32 v8, 30, v8
	v_and_b32_e32 v4, 3, v4
	v_cmp_eq_u32_e32 vcc, 0, v7
	v_cndmask_b32_e32 v7, v7, v8, vcc
	v_cndmask_b32_e32 v4, v6, v4, vcc
	v_mov_b32_e32 v6, 0x37800000
	v_lshlrev_b32_e32 v4, 21, v4
	v_and_b32_e32 v3, 0x80000000, v3
	v_lshl_add_u32 v6, v7, 23, v6
	v_or3_b32 v3, v3, v6, v4
	v_trunc_f32_e32 v3, v3
	s_mov_b32 s16, 0x2f800000
	v_mul_f32_e64 v4, |v3|, s16
	v_floor_f32_e32 v4, v4
	s_mov_b32 s16, 0xcf800000
	v_fma_f32 v4, v4, s16, |v3|
	v_cvt_u32_f32_e32 v4, v4
	v_ashrrev_i32_e32 v3, 31, v3
	v_xor_b32_e32 v4, v4, v3
	v_sub_u32_e32 v3, v4, v3
.LBB14_314:
	s_or_b64 exec, exec, s[0:1]
	s_mov_b64 s[0:1], 0
	s_branch .LBB14_320
.LBB14_315:
	s_mov_b64 s[16:17], -1
                                        ; implicit-def: $vgpr3
	s_branch .LBB14_326
.LBB14_316:
	s_andn2_saveexec_b64 s[0:1], s[0:1]
	s_cbranch_execz .LBB14_301
.LBB14_317:
	v_cmp_ne_u16_e32 vcc, 0, v4
	s_andn2_b64 s[16:17], s[16:17], exec
	s_and_b64 s[28:29], vcc, exec
	s_or_b64 s[16:17], s[16:17], s[28:29]
	s_or_b64 exec, exec, s[0:1]
	v_mov_b32_e32 v3, 0
	s_and_saveexec_b64 s[0:1], s[16:17]
	s_cbranch_execnz .LBB14_302
	s_branch .LBB14_303
.LBB14_318:
	s_mov_b64 s[0:1], -1
                                        ; implicit-def: $vgpr3
	s_branch .LBB14_323
.LBB14_319:
	s_mov_b64 s[0:1], -1
                                        ; implicit-def: $vgpr3
.LBB14_320:
	s_and_b64 vcc, exec, s[0:1]
	s_cbranch_vccz .LBB14_322
; %bb.321:
	global_load_ubyte v3, v[1:2], off
	s_mov_b32 s0, 0x7f800000
	s_brev_b32 s1, 1
	s_mov_b32 s16, 0x2f800000
	s_waitcnt vmcnt(0)
	v_lshlrev_b32_e32 v3, 24, v3
	v_and_b32_e32 v4, 0x7f000000, v3
	v_ffbh_u32_e32 v6, v4
	v_min_u32_e32 v6, 32, v6
	v_sub_u32_e64 v6, v6, 4 clamp
	v_lshlrev_b32_e32 v8, v6, v4
	v_lshlrev_b32_e32 v6, 23, v6
	v_lshrrev_b32_e32 v8, 4, v8
	v_add_u32_e32 v7, 0x1000000, v4
	v_sub_u32_e32 v6, v8, v6
	v_ashrrev_i32_e32 v7, 8, v7
	v_add_u32_e32 v6, 0x3c000000, v6
	v_and_or_b32 v6, v7, s0, v6
	v_cmp_ne_u32_e32 vcc, 0, v4
	v_cndmask_b32_e32 v4, 0, v6, vcc
	v_and_or_b32 v3, v3, s1, v4
	v_trunc_f32_e32 v3, v3
	v_mul_f32_e64 v4, |v3|, s16
	v_floor_f32_e32 v4, v4
	s_mov_b32 s0, 0xcf800000
	v_fma_f32 v4, v4, s0, |v3|
	v_cvt_u32_f32_e32 v4, v4
	v_ashrrev_i32_e32 v3, 31, v3
	v_xor_b32_e32 v4, v4, v3
	v_sub_u32_e32 v3, v4, v3
.LBB14_322:
	s_mov_b64 s[0:1], 0
.LBB14_323:
	s_andn2_b64 vcc, exec, s[0:1]
	s_cbranch_vccnz .LBB14_325
; %bb.324:
	global_load_ubyte v3, v[1:2], off
	s_movk_i32 s0, 0x7f00
	s_brev_b32 s1, 16
	s_brev_b32 s16, 1
	s_mov_b32 s17, 0x2f800000
	s_waitcnt vmcnt(0)
	v_lshlrev_b16_e32 v4, 8, v3
	v_lshlrev_b32_e32 v3, 25, v3
	v_lshrrev_b32_e32 v6, 4, v3
	v_and_or_b32 v7, v4, s0, 0.5
	v_or_b32_e32 v6, 0x70000000, v6
	v_add_f32_e32 v7, -0.5, v7
	v_mul_f32_e32 v6, 0x7800000, v6
	v_cmp_gt_u32_e32 vcc, s1, v3
	v_bfe_i32 v4, v4, 0, 16
	v_cndmask_b32_e32 v3, v6, v7, vcc
	v_and_or_b32 v3, v4, s16, v3
	v_trunc_f32_e32 v3, v3
	v_mul_f32_e64 v4, |v3|, s17
	v_floor_f32_e32 v4, v4
	s_mov_b32 s0, 0xcf800000
	v_fma_f32 v4, v4, s0, |v3|
	v_cvt_u32_f32_e32 v4, v4
	v_ashrrev_i32_e32 v3, 31, v3
	v_xor_b32_e32 v4, v4, v3
	v_sub_u32_e32 v3, v4, v3
.LBB14_325:
	s_mov_b64 s[16:17], 0
	s_mov_b64 s[0:1], -1
.LBB14_326:
	s_andn2_b64 vcc, exec, s[16:17]
	s_cbranch_vccnz .LBB14_339
; %bb.327:
	s_cmp_gt_i32 s25, 14
	s_cbranch_scc0 .LBB14_330
; %bb.328:
	s_cmp_eq_u32 s25, 15
	s_cbranch_scc0 .LBB14_333
; %bb.329:
	global_load_ushort v3, v[1:2], off
	s_mov_b32 s0, 0x2f800000
	s_mov_b32 s1, 0xcf800000
	s_mov_b64 s[18:19], 0
	s_waitcnt vmcnt(0)
	v_lshlrev_b32_e32 v3, 16, v3
	v_trunc_f32_e32 v3, v3
	v_mul_f32_e64 v4, |v3|, s0
	v_floor_f32_e32 v4, v4
	v_fma_f32 v4, v4, s1, |v3|
	v_cvt_u32_f32_e32 v4, v4
	v_ashrrev_i32_e32 v3, 31, v3
	s_mov_b64 s[0:1], -1
	v_xor_b32_e32 v4, v4, v3
	v_sub_u32_e32 v3, v4, v3
	s_branch .LBB14_334
.LBB14_330:
	s_mov_b64 s[16:17], -1
                                        ; implicit-def: $vgpr3
	s_branch .LBB14_335
.LBB14_331:
	s_andn2_saveexec_b64 s[0:1], s[0:1]
	s_cbranch_execz .LBB14_312
.LBB14_332:
	v_cmp_ne_u16_e32 vcc, 0, v4
	s_andn2_b64 s[16:17], s[16:17], exec
	s_and_b64 s[28:29], vcc, exec
	s_or_b64 s[16:17], s[16:17], s[28:29]
	s_or_b64 exec, exec, s[0:1]
	v_mov_b32_e32 v3, 0
	s_and_saveexec_b64 s[0:1], s[16:17]
	s_cbranch_execnz .LBB14_313
	s_branch .LBB14_314
.LBB14_333:
	s_mov_b64 s[18:19], -1
                                        ; implicit-def: $vgpr3
.LBB14_334:
	s_mov_b64 s[16:17], 0
.LBB14_335:
	s_and_b64 vcc, exec, s[16:17]
	s_cbranch_vccz .LBB14_339
; %bb.336:
	s_cmp_eq_u32 s25, 11
	s_cbranch_scc0 .LBB14_338
; %bb.337:
	global_load_ubyte v3, v[1:2], off
	s_mov_b64 s[0:1], -1
	s_mov_b64 s[18:19], 0
	s_waitcnt vmcnt(0)
	v_cmp_ne_u16_e32 vcc, 0, v3
	v_cndmask_b32_e64 v3, 0, 1, vcc
	s_branch .LBB14_339
.LBB14_338:
	s_mov_b64 s[18:19], -1
                                        ; implicit-def: $vgpr3
.LBB14_339:
	s_branch .LBB14_20
.LBB14_340:
	s_and_b32 s16, 0xffff, s24
	s_cmp_lt_i32 s16, 5
	s_cbranch_scc1 .LBB14_345
; %bb.341:
	s_cmp_lt_i32 s16, 8
	s_cbranch_scc1 .LBB14_346
; %bb.342:
	;; [unrolled: 3-line block ×3, first 2 shown]
	s_cmp_gt_i32 s16, 9
	s_cbranch_scc0 .LBB14_348
; %bb.344:
	global_load_dwordx2 v[3:4], v[1:2], off
	s_movk_i32 s0, 0xffe0
	s_waitcnt vmcnt(0)
	v_trunc_f64_e32 v[3:4], v[3:4]
	v_ldexp_f64 v[6:7], v[3:4], s0
	s_mov_b32 s0, 0
	s_mov_b32 s1, 0xc1f00000
	v_floor_f64_e32 v[6:7], v[6:7]
	v_fma_f64 v[3:4], v[6:7], s[0:1], v[3:4]
	s_mov_b64 s[0:1], 0
	v_cvt_u32_f64_e32 v3, v[3:4]
	s_branch .LBB14_349
.LBB14_345:
	s_mov_b64 s[0:1], -1
                                        ; implicit-def: $vgpr3
	s_branch .LBB14_367
.LBB14_346:
	s_mov_b64 s[0:1], -1
                                        ; implicit-def: $vgpr3
	s_branch .LBB14_355
.LBB14_347:
	s_mov_b64 s[0:1], -1
                                        ; implicit-def: $vgpr3
	s_branch .LBB14_352
.LBB14_348:
	s_mov_b64 s[0:1], -1
                                        ; implicit-def: $vgpr3
.LBB14_349:
	s_andn2_b64 vcc, exec, s[0:1]
	s_cbranch_vccnz .LBB14_351
; %bb.350:
	global_load_dword v3, v[1:2], off
	s_mov_b32 s0, 0x2f800000
	s_waitcnt vmcnt(0)
	v_trunc_f32_e32 v3, v3
	v_mul_f32_e64 v4, |v3|, s0
	v_floor_f32_e32 v4, v4
	s_mov_b32 s0, 0xcf800000
	v_fma_f32 v4, v4, s0, |v3|
	v_cvt_u32_f32_e32 v4, v4
	v_ashrrev_i32_e32 v3, 31, v3
	v_xor_b32_e32 v4, v4, v3
	v_sub_u32_e32 v3, v4, v3
.LBB14_351:
	s_mov_b64 s[0:1], 0
.LBB14_352:
	s_andn2_b64 vcc, exec, s[0:1]
	s_cbranch_vccnz .LBB14_354
; %bb.353:
	global_load_dword v3, v[1:2], off
	s_waitcnt vmcnt(0)
	v_cvt_f32_f16_e32 v3, v3
	v_cvt_i32_f32_e32 v3, v3
.LBB14_354:
	s_mov_b64 s[0:1], 0
.LBB14_355:
	s_andn2_b64 vcc, exec, s[0:1]
	s_cbranch_vccnz .LBB14_366
; %bb.356:
	s_cmp_lt_i32 s16, 6
	s_cbranch_scc1 .LBB14_359
; %bb.357:
	s_cmp_gt_i32 s16, 6
	s_cbranch_scc0 .LBB14_360
; %bb.358:
	global_load_dwordx2 v[3:4], v[1:2], off
	s_movk_i32 s0, 0xffe0
	s_waitcnt vmcnt(0)
	v_trunc_f64_e32 v[3:4], v[3:4]
	v_ldexp_f64 v[6:7], v[3:4], s0
	s_mov_b32 s0, 0
	s_mov_b32 s1, 0xc1f00000
	v_floor_f64_e32 v[6:7], v[6:7]
	v_fma_f64 v[3:4], v[6:7], s[0:1], v[3:4]
	s_mov_b64 s[0:1], 0
	v_cvt_u32_f64_e32 v3, v[3:4]
	s_branch .LBB14_361
.LBB14_359:
	s_mov_b64 s[0:1], -1
                                        ; implicit-def: $vgpr3
	s_branch .LBB14_364
.LBB14_360:
	s_mov_b64 s[0:1], -1
                                        ; implicit-def: $vgpr3
.LBB14_361:
	s_andn2_b64 vcc, exec, s[0:1]
	s_cbranch_vccnz .LBB14_363
; %bb.362:
	global_load_dword v3, v[1:2], off
	s_mov_b32 s0, 0x2f800000
	s_waitcnt vmcnt(0)
	v_trunc_f32_e32 v3, v3
	v_mul_f32_e64 v4, |v3|, s0
	v_floor_f32_e32 v4, v4
	s_mov_b32 s0, 0xcf800000
	v_fma_f32 v4, v4, s0, |v3|
	v_cvt_u32_f32_e32 v4, v4
	v_ashrrev_i32_e32 v3, 31, v3
	v_xor_b32_e32 v4, v4, v3
	v_sub_u32_e32 v3, v4, v3
.LBB14_363:
	s_mov_b64 s[0:1], 0
.LBB14_364:
	s_andn2_b64 vcc, exec, s[0:1]
	s_cbranch_vccnz .LBB14_366
; %bb.365:
	global_load_ushort v3, v[1:2], off
	s_waitcnt vmcnt(0)
	v_cvt_f32_f16_e32 v3, v3
	v_cvt_i32_f32_e32 v3, v3
.LBB14_366:
	s_mov_b64 s[0:1], 0
.LBB14_367:
	s_andn2_b64 vcc, exec, s[0:1]
	s_cbranch_vccnz .LBB14_387
; %bb.368:
	s_cmp_lt_i32 s16, 2
	s_cbranch_scc1 .LBB14_372
; %bb.369:
	s_cmp_lt_i32 s16, 3
	s_cbranch_scc1 .LBB14_373
; %bb.370:
	s_cmp_gt_i32 s16, 3
	s_cbranch_scc0 .LBB14_374
; %bb.371:
	global_load_dwordx2 v[3:4], v[1:2], off
	s_mov_b64 s[0:1], 0
	s_branch .LBB14_375
.LBB14_372:
	s_mov_b64 s[0:1], -1
                                        ; implicit-def: $vgpr3
	s_branch .LBB14_381
.LBB14_373:
	s_mov_b64 s[0:1], -1
                                        ; implicit-def: $vgpr3
	s_branch .LBB14_378
.LBB14_374:
	s_mov_b64 s[0:1], -1
                                        ; implicit-def: $vgpr3
.LBB14_375:
	s_andn2_b64 vcc, exec, s[0:1]
	s_cbranch_vccnz .LBB14_377
; %bb.376:
	global_load_dword v3, v[1:2], off
.LBB14_377:
	s_mov_b64 s[0:1], 0
.LBB14_378:
	s_andn2_b64 vcc, exec, s[0:1]
	s_cbranch_vccnz .LBB14_380
; %bb.379:
	global_load_ushort v3, v[1:2], off
.LBB14_380:
	s_mov_b64 s[0:1], 0
.LBB14_381:
	s_andn2_b64 vcc, exec, s[0:1]
	s_cbranch_vccnz .LBB14_387
; %bb.382:
	s_cmp_gt_i32 s16, 0
	s_cbranch_scc0 .LBB14_384
; %bb.383:
	global_load_ubyte v3, v[1:2], off
	s_mov_b64 s[0:1], 0
	s_branch .LBB14_385
.LBB14_384:
	s_mov_b64 s[0:1], -1
                                        ; implicit-def: $vgpr3
.LBB14_385:
	s_andn2_b64 vcc, exec, s[0:1]
	s_cbranch_vccnz .LBB14_387
; %bb.386:
	global_load_ubyte v3, v[1:2], off
.LBB14_387:
	s_branch .LBB14_21
.LBB14_388:
	s_mov_b64 s[0:1], 0
.LBB14_389:
                                        ; implicit-def: $vgpr5
	s_mov_b64 s[24:25], 0
.LBB14_390:
	s_and_b64 s[16:17], s[0:1], exec
	s_and_b64 s[18:19], s[18:19], exec
	;; [unrolled: 1-line block ×3, first 2 shown]
	s_orn2_b64 s[0:1], s[24:25], exec
.LBB14_391:
	s_or_b64 exec, exec, s[22:23]
	s_mov_b64 s[30:31], 0
	s_mov_b64 s[28:29], 0
                                        ; implicit-def: $sgpr56
                                        ; implicit-def: $vgpr2_vgpr3
                                        ; implicit-def: $vgpr0
	s_and_saveexec_b64 s[22:23], s[0:1]
	s_cbranch_execz .LBB14_400
; %bb.392:
	v_cmp_gt_i32_e32 vcc, s48, v5
	s_mov_b64 s[0:1], -1
	s_mov_b64 s[24:25], s[20:21]
	s_mov_b64 s[26:27], s[18:19]
	;; [unrolled: 1-line block ×3, first 2 shown]
	s_and_saveexec_b64 s[30:31], vcc
	s_cbranch_execz .LBB14_790
; %bb.393:
	s_waitcnt vmcnt(0)
	v_mul_lo_u32 v0, v5, s13
	v_mov_b32_e32 v1, s11
	s_and_b32 s28, s55, 0xff
	s_cmp_lt_i32 s28, 11
	v_ashrrev_i32_e32 v3, 31, v0
	v_add_co_u32_e32 v2, vcc, s10, v0
	v_addc_co_u32_e32 v3, vcc, v1, v3, vcc
	s_cbranch_scc1 .LBB14_403
; %bb.394:
	s_and_b32 s29, 0xffff, s28
	s_cmp_gt_i32 s29, 25
	s_cbranch_scc0 .LBB14_412
; %bb.395:
	s_cmp_gt_i32 s29, 28
	s_cbranch_scc0 .LBB14_414
; %bb.396:
	;; [unrolled: 3-line block ×4, first 2 shown]
	s_cmp_eq_u32 s29, 46
	s_mov_b64 s[26:27], 0
	s_cbranch_scc0 .LBB14_422
; %bb.399:
	global_load_dword v0, v[2:3], off
	s_mov_b32 s0, 0x2f800000
	s_mov_b32 s1, 0xcf800000
	s_mov_b64 s[24:25], 0
	s_waitcnt vmcnt(0)
	v_lshlrev_b32_e32 v0, 16, v0
	v_trunc_f32_e32 v0, v0
	v_mul_f32_e64 v1, |v0|, s0
	v_floor_f32_e32 v1, v1
	v_fma_f32 v1, v1, s1, |v0|
	v_cvt_u32_f32_e32 v1, v1
	v_ashrrev_i32_e32 v0, 31, v0
	s_mov_b64 s[0:1], -1
	v_xor_b32_e32 v1, v1, v0
	v_sub_u32_e32 v0, v1, v0
	s_branch .LBB14_423
.LBB14_400:
	s_or_b64 exec, exec, s[22:23]
	s_mov_b64 s[22:23], 0
	s_and_saveexec_b64 s[0:1], s[20:21]
	s_cbranch_execnz .LBB14_1270
.LBB14_401:
	s_or_b64 exec, exec, s[0:1]
	s_and_saveexec_b64 s[0:1], s[26:27]
	s_xor_b64 s[0:1], exec, s[0:1]
	s_cbranch_execz .LBB14_1271
.LBB14_402:
	s_waitcnt vmcnt(0)
	global_load_ubyte v0, v[2:3], off
	s_or_b64 s[28:29], s[28:29], exec
	s_waitcnt vmcnt(0)
	v_cmp_ne_u16_e32 vcc, 0, v0
	v_cndmask_b32_e64 v0, 0, 1, vcc
	s_or_b64 exec, exec, s[0:1]
	s_and_saveexec_b64 s[0:1], s[30:31]
	s_cbranch_execz .LBB14_1317
	s_branch .LBB14_1272
.LBB14_403:
	s_mov_b64 s[0:1], 0
                                        ; implicit-def: $vgpr0
	s_mov_b64 s[24:25], s[20:21]
	s_cbranch_execnz .LBB14_485
.LBB14_404:
	s_andn2_b64 vcc, exec, s[0:1]
	s_cbranch_vccnz .LBB14_533
.LBB14_405:
	s_waitcnt vmcnt(0)
	v_mul_lo_u32 v1, v5, s14
	v_mov_b32_e32 v2, s3
	s_and_b32 s34, s54, 0xff
	s_cmp_lt_i32 s34, 11
	v_ashrrev_i32_e32 v3, 31, v1
	v_add_co_u32_e32 v1, vcc, s2, v1
	v_addc_co_u32_e32 v2, vcc, v2, v3, vcc
	s_cbranch_scc1 .LBB14_413
; %bb.406:
	s_and_b32 s35, 0xffff, s34
	s_cmp_gt_i32 s35, 25
	s_cbranch_scc0 .LBB14_415
; %bb.407:
	s_cmp_gt_i32 s35, 28
	s_cbranch_scc0 .LBB14_417
; %bb.408:
	;; [unrolled: 3-line block ×4, first 2 shown]
	s_cmp_eq_u32 s35, 46
	s_mov_b64 s[28:29], 0
	s_cbranch_scc0 .LBB14_537
; %bb.411:
	global_load_dword v3, v[1:2], off
	s_mov_b32 s0, 0x2f800000
	s_mov_b32 s1, 0xcf800000
	s_mov_b64 s[26:27], 0
	s_waitcnt vmcnt(0)
	v_lshlrev_b32_e32 v3, 16, v3
	v_trunc_f32_e32 v3, v3
	v_mul_f32_e64 v4, |v3|, s0
	v_floor_f32_e32 v4, v4
	v_fma_f32 v4, v4, s1, |v3|
	v_cvt_u32_f32_e32 v4, v4
	v_ashrrev_i32_e32 v3, 31, v3
	s_mov_b64 s[0:1], -1
	v_xor_b32_e32 v4, v4, v3
	v_sub_u32_e32 v3, v4, v3
	s_branch .LBB14_538
.LBB14_412:
	s_mov_b64 s[26:27], -1
	s_mov_b64 s[0:1], 0
	s_mov_b64 s[24:25], s[20:21]
                                        ; implicit-def: $vgpr0
	s_branch .LBB14_451
.LBB14_413:
	s_mov_b64 s[28:29], -1
	s_mov_b64 s[0:1], 0
                                        ; implicit-def: $vgpr3
	s_mov_b64 s[26:27], s[18:19]
	s_branch .LBB14_599
.LBB14_414:
	s_mov_b64 s[26:27], -1
	s_mov_b64 s[0:1], 0
	s_mov_b64 s[24:25], s[20:21]
                                        ; implicit-def: $vgpr0
	s_branch .LBB14_434
.LBB14_415:
	s_mov_b64 s[28:29], -1
	s_mov_b64 s[0:1], 0
	s_mov_b64 s[26:27], s[18:19]
                                        ; implicit-def: $vgpr3
	s_branch .LBB14_565
.LBB14_416:
	s_mov_b64 s[26:27], -1
	s_mov_b64 s[0:1], 0
	s_mov_b64 s[24:25], s[20:21]
                                        ; implicit-def: $vgpr0
	s_branch .LBB14_429
.LBB14_417:
	s_mov_b64 s[28:29], -1
	s_mov_b64 s[0:1], 0
	s_mov_b64 s[26:27], s[18:19]
                                        ; implicit-def: $vgpr3
	s_branch .LBB14_548
.LBB14_418:
	s_mov_b64 s[26:27], -1
	s_mov_b64 s[0:1], 0
	s_mov_b64 s[24:25], s[20:21]
                                        ; implicit-def: $vgpr0
	s_branch .LBB14_423
.LBB14_419:
	s_mov_b64 s[28:29], -1
	s_mov_b64 s[0:1], 0
	s_mov_b64 s[26:27], s[18:19]
                                        ; implicit-def: $vgpr3
	s_branch .LBB14_543
.LBB14_420:
	s_andn2_saveexec_b64 s[30:31], s[30:31]
	s_cbranch_execz .LBB14_192
.LBB14_421:
	v_add_f32_e32 v2, 0x46000000, v3
	v_and_b32_e32 v2, 0xff, v2
	v_cmp_ne_u32_e32 vcc, 0, v2
	s_andn2_b64 s[28:29], s[28:29], exec
	s_and_b64 s[36:37], vcc, exec
	s_or_b64 s[28:29], s[28:29], s[36:37]
	s_or_b64 exec, exec, s[30:31]
	v_mov_b32_e32 v4, 0
	s_and_saveexec_b64 s[30:31], s[28:29]
	s_cbranch_execnz .LBB14_193
	s_branch .LBB14_194
.LBB14_422:
	s_mov_b64 s[24:25], -1
                                        ; implicit-def: $vgpr0
	s_mov_b64 s[0:1], 0
.LBB14_423:
	s_and_b64 vcc, exec, s[26:27]
	s_cbranch_vccz .LBB14_428
; %bb.424:
	s_cmp_eq_u32 s29, 44
	s_cbranch_scc0 .LBB14_427
; %bb.425:
	global_load_ubyte v0, v[2:3], off
	s_mov_b32 s0, 0x2f800000
	s_mov_b32 s1, 0xcf800000
	s_mov_b64 s[24:25], 0
	s_waitcnt vmcnt(0)
	v_lshlrev_b32_e32 v1, 23, v0
	v_trunc_f32_e32 v1, v1
	v_mul_f32_e64 v4, |v1|, s0
	v_floor_f32_e32 v4, v4
	v_fma_f32 v4, v4, s1, |v1|
	v_cvt_u32_f32_e32 v4, v4
	v_ashrrev_i32_e32 v1, 31, v1
	v_cmp_ne_u32_e32 vcc, 0, v0
	s_mov_b64 s[0:1], -1
	v_xor_b32_e32 v4, v4, v1
	v_sub_u32_e32 v1, v4, v1
	v_cndmask_b32_e32 v0, 0, v1, vcc
	s_branch .LBB14_428
.LBB14_426:
	s_mov_b64 s[28:29], -1
	s_mov_b64 s[0:1], 0
	s_mov_b64 s[26:27], s[18:19]
                                        ; implicit-def: $vgpr3
	s_branch .LBB14_538
.LBB14_427:
	s_mov_b64 s[24:25], -1
                                        ; implicit-def: $vgpr0
.LBB14_428:
	s_mov_b64 s[26:27], 0
.LBB14_429:
	s_and_b64 vcc, exec, s[26:27]
	s_cbranch_vccz .LBB14_433
; %bb.430:
	s_cmp_eq_u32 s29, 29
	s_cbranch_scc0 .LBB14_432
; %bb.431:
	global_load_dwordx2 v[0:1], v[2:3], off
	s_mov_b64 s[0:1], -1
	s_mov_b64 s[24:25], 0
	s_branch .LBB14_433
.LBB14_432:
	s_mov_b64 s[24:25], -1
                                        ; implicit-def: $vgpr0
.LBB14_433:
	s_mov_b64 s[26:27], 0
.LBB14_434:
	s_and_b64 vcc, exec, s[26:27]
	s_cbranch_vccz .LBB14_450
; %bb.435:
	s_cmp_lt_i32 s29, 27
	s_cbranch_scc1 .LBB14_438
; %bb.436:
	s_cmp_gt_i32 s29, 27
	s_cbranch_scc0 .LBB14_439
; %bb.437:
	global_load_dword v0, v[2:3], off
	s_mov_b64 s[0:1], 0
	s_branch .LBB14_440
.LBB14_438:
	s_mov_b64 s[0:1], -1
                                        ; implicit-def: $vgpr0
	s_branch .LBB14_443
.LBB14_439:
	s_mov_b64 s[0:1], -1
                                        ; implicit-def: $vgpr0
.LBB14_440:
	s_andn2_b64 vcc, exec, s[0:1]
	s_cbranch_vccnz .LBB14_442
; %bb.441:
	global_load_ushort v0, v[2:3], off
.LBB14_442:
	s_mov_b64 s[0:1], 0
.LBB14_443:
	s_andn2_b64 vcc, exec, s[0:1]
	s_cbranch_vccnz .LBB14_449
; %bb.444:
	global_load_ubyte v1, v[2:3], off
	s_movk_i32 s0, 0x7f
	s_mov_b64 s[26:27], 0
	s_waitcnt vmcnt(0)
	v_cmp_lt_i16_e32 vcc, s0, v1
	s_and_saveexec_b64 s[0:1], vcc
	s_xor_b64 s[0:1], exec, s[0:1]
	s_cbranch_execz .LBB14_461
; %bb.445:
	s_movk_i32 s26, 0x80
	v_cmp_ne_u16_e32 vcc, s26, v1
	s_and_b64 s[26:27], vcc, exec
	s_andn2_saveexec_b64 s[0:1], s[0:1]
	s_cbranch_execnz .LBB14_462
.LBB14_446:
	s_or_b64 exec, exec, s[0:1]
	v_mov_b32_e32 v0, 0
	s_and_saveexec_b64 s[0:1], s[26:27]
	s_cbranch_execz .LBB14_448
.LBB14_447:
	v_lshlrev_b32_e32 v0, 24, v1
	v_and_b32_e32 v1, 0xffff, v1
	v_and_b32_e32 v4, 7, v1
	v_ffbh_u32_e32 v7, v4
	v_min_u32_e32 v7, 32, v7
	v_subrev_u32_e32 v8, 28, v7
	v_bfe_u32 v6, v1, 3, 4
	v_lshlrev_b32_e32 v1, v8, v1
	v_sub_u32_e32 v7, 29, v7
	v_and_b32_e32 v1, 7, v1
	v_cmp_eq_u32_e32 vcc, 0, v6
	v_cndmask_b32_e32 v6, v6, v7, vcc
	v_cndmask_b32_e32 v1, v4, v1, vcc
	v_mov_b32_e32 v4, 0x3b800000
	v_lshlrev_b32_e32 v1, 20, v1
	v_and_b32_e32 v0, 0x80000000, v0
	v_lshl_add_u32 v4, v6, 23, v4
	v_or3_b32 v0, v0, v4, v1
	v_trunc_f32_e32 v0, v0
	s_mov_b32 s26, 0x2f800000
	v_mul_f32_e64 v1, |v0|, s26
	v_floor_f32_e32 v1, v1
	s_mov_b32 s26, 0xcf800000
	v_fma_f32 v1, v1, s26, |v0|
	v_cvt_u32_f32_e32 v1, v1
	v_ashrrev_i32_e32 v0, 31, v0
	v_xor_b32_e32 v1, v1, v0
	v_sub_u32_e32 v0, v1, v0
.LBB14_448:
	s_or_b64 exec, exec, s[0:1]
.LBB14_449:
	s_mov_b64 s[0:1], -1
.LBB14_450:
	s_mov_b64 s[26:27], 0
.LBB14_451:
	s_and_b64 vcc, exec, s[26:27]
	s_cbranch_vccz .LBB14_484
; %bb.452:
	s_cmp_gt_i32 s29, 22
	s_cbranch_scc0 .LBB14_460
; %bb.453:
	s_cmp_lt_i32 s29, 24
	s_cbranch_scc1 .LBB14_463
; %bb.454:
	s_cmp_gt_i32 s29, 24
	s_cbranch_scc0 .LBB14_464
; %bb.455:
	global_load_ubyte v1, v[2:3], off
	s_movk_i32 s0, 0x7f
	s_mov_b64 s[26:27], 0
	s_waitcnt vmcnt(0)
	v_cmp_lt_i16_e32 vcc, s0, v1
	s_and_saveexec_b64 s[0:1], vcc
	s_xor_b64 s[0:1], exec, s[0:1]
	s_cbranch_execz .LBB14_476
; %bb.456:
	s_movk_i32 s26, 0x80
	v_cmp_ne_u16_e32 vcc, s26, v1
	s_and_b64 s[26:27], vcc, exec
	s_andn2_saveexec_b64 s[0:1], s[0:1]
	s_cbranch_execnz .LBB14_477
.LBB14_457:
	s_or_b64 exec, exec, s[0:1]
	v_mov_b32_e32 v0, 0
	s_and_saveexec_b64 s[0:1], s[26:27]
	s_cbranch_execz .LBB14_459
.LBB14_458:
	v_lshlrev_b32_e32 v0, 24, v1
	v_and_b32_e32 v1, 0xffff, v1
	v_and_b32_e32 v4, 3, v1
	v_ffbh_u32_e32 v7, v4
	v_min_u32_e32 v7, 32, v7
	v_subrev_u32_e32 v8, 29, v7
	v_bfe_u32 v6, v1, 2, 5
	v_lshlrev_b32_e32 v1, v8, v1
	v_sub_u32_e32 v7, 30, v7
	v_and_b32_e32 v1, 3, v1
	v_cmp_eq_u32_e32 vcc, 0, v6
	v_cndmask_b32_e32 v6, v6, v7, vcc
	v_cndmask_b32_e32 v1, v4, v1, vcc
	v_mov_b32_e32 v4, 0x37800000
	v_lshlrev_b32_e32 v1, 21, v1
	v_and_b32_e32 v0, 0x80000000, v0
	v_lshl_add_u32 v4, v6, 23, v4
	v_or3_b32 v0, v0, v4, v1
	v_trunc_f32_e32 v0, v0
	s_mov_b32 s26, 0x2f800000
	v_mul_f32_e64 v1, |v0|, s26
	v_floor_f32_e32 v1, v1
	s_mov_b32 s26, 0xcf800000
	v_fma_f32 v1, v1, s26, |v0|
	v_cvt_u32_f32_e32 v1, v1
	v_ashrrev_i32_e32 v0, 31, v0
	v_xor_b32_e32 v1, v1, v0
	v_sub_u32_e32 v0, v1, v0
.LBB14_459:
	s_or_b64 exec, exec, s[0:1]
	s_mov_b64 s[0:1], 0
	s_branch .LBB14_465
.LBB14_460:
	s_mov_b64 s[26:27], -1
                                        ; implicit-def: $vgpr0
	s_branch .LBB14_471
.LBB14_461:
	s_andn2_saveexec_b64 s[0:1], s[0:1]
	s_cbranch_execz .LBB14_446
.LBB14_462:
	v_cmp_ne_u16_e32 vcc, 0, v1
	s_andn2_b64 s[26:27], s[26:27], exec
	s_and_b64 s[34:35], vcc, exec
	s_or_b64 s[26:27], s[26:27], s[34:35]
	s_or_b64 exec, exec, s[0:1]
	v_mov_b32_e32 v0, 0
	s_and_saveexec_b64 s[0:1], s[26:27]
	s_cbranch_execnz .LBB14_447
	s_branch .LBB14_448
.LBB14_463:
	s_mov_b64 s[0:1], -1
                                        ; implicit-def: $vgpr0
	s_branch .LBB14_468
.LBB14_464:
	s_mov_b64 s[0:1], -1
                                        ; implicit-def: $vgpr0
.LBB14_465:
	s_and_b64 vcc, exec, s[0:1]
	s_cbranch_vccz .LBB14_467
; %bb.466:
	global_load_ubyte v0, v[2:3], off
	s_mov_b32 s0, 0x7f800000
	s_brev_b32 s1, 1
	s_mov_b32 s26, 0x2f800000
	s_waitcnt vmcnt(0)
	v_lshlrev_b32_e32 v0, 24, v0
	v_and_b32_e32 v1, 0x7f000000, v0
	v_ffbh_u32_e32 v4, v1
	v_min_u32_e32 v4, 32, v4
	v_sub_u32_e64 v4, v4, 4 clamp
	v_lshlrev_b32_e32 v7, v4, v1
	v_lshlrev_b32_e32 v4, 23, v4
	v_lshrrev_b32_e32 v7, 4, v7
	v_add_u32_e32 v6, 0x1000000, v1
	v_sub_u32_e32 v4, v7, v4
	v_ashrrev_i32_e32 v6, 8, v6
	v_add_u32_e32 v4, 0x3c000000, v4
	v_and_or_b32 v4, v6, s0, v4
	v_cmp_ne_u32_e32 vcc, 0, v1
	v_cndmask_b32_e32 v1, 0, v4, vcc
	v_and_or_b32 v0, v0, s1, v1
	v_trunc_f32_e32 v0, v0
	v_mul_f32_e64 v1, |v0|, s26
	v_floor_f32_e32 v1, v1
	s_mov_b32 s0, 0xcf800000
	v_fma_f32 v1, v1, s0, |v0|
	v_cvt_u32_f32_e32 v1, v1
	v_ashrrev_i32_e32 v0, 31, v0
	v_xor_b32_e32 v1, v1, v0
	v_sub_u32_e32 v0, v1, v0
.LBB14_467:
	s_mov_b64 s[0:1], 0
.LBB14_468:
	s_andn2_b64 vcc, exec, s[0:1]
	s_cbranch_vccnz .LBB14_470
; %bb.469:
	global_load_ubyte v0, v[2:3], off
	s_movk_i32 s0, 0x7f00
	s_brev_b32 s1, 16
	s_brev_b32 s26, 1
	s_mov_b32 s27, 0x2f800000
	s_waitcnt vmcnt(0)
	v_lshlrev_b16_e32 v1, 8, v0
	v_lshlrev_b32_e32 v0, 25, v0
	v_lshrrev_b32_e32 v4, 4, v0
	v_and_or_b32 v6, v1, s0, 0.5
	v_or_b32_e32 v4, 0x70000000, v4
	v_add_f32_e32 v6, -0.5, v6
	v_mul_f32_e32 v4, 0x7800000, v4
	v_cmp_gt_u32_e32 vcc, s1, v0
	v_bfe_i32 v1, v1, 0, 16
	v_cndmask_b32_e32 v0, v4, v6, vcc
	v_and_or_b32 v0, v1, s26, v0
	v_trunc_f32_e32 v0, v0
	v_mul_f32_e64 v1, |v0|, s27
	v_floor_f32_e32 v1, v1
	s_mov_b32 s0, 0xcf800000
	v_fma_f32 v1, v1, s0, |v0|
	v_cvt_u32_f32_e32 v1, v1
	v_ashrrev_i32_e32 v0, 31, v0
	v_xor_b32_e32 v1, v1, v0
	v_sub_u32_e32 v0, v1, v0
.LBB14_470:
	s_mov_b64 s[26:27], 0
	s_mov_b64 s[0:1], -1
.LBB14_471:
	s_andn2_b64 vcc, exec, s[26:27]
	s_cbranch_vccnz .LBB14_484
; %bb.472:
	s_cmp_gt_i32 s29, 14
	s_cbranch_scc0 .LBB14_475
; %bb.473:
	s_cmp_eq_u32 s29, 15
	s_cbranch_scc0 .LBB14_478
; %bb.474:
	global_load_ushort v0, v[2:3], off
	s_mov_b32 s0, 0x2f800000
	s_mov_b32 s1, 0xcf800000
	s_mov_b64 s[24:25], 0
	s_waitcnt vmcnt(0)
	v_lshlrev_b32_e32 v0, 16, v0
	v_trunc_f32_e32 v0, v0
	v_mul_f32_e64 v1, |v0|, s0
	v_floor_f32_e32 v1, v1
	v_fma_f32 v1, v1, s1, |v0|
	v_cvt_u32_f32_e32 v1, v1
	v_ashrrev_i32_e32 v0, 31, v0
	s_mov_b64 s[0:1], -1
	v_xor_b32_e32 v1, v1, v0
	v_sub_u32_e32 v0, v1, v0
	s_branch .LBB14_479
.LBB14_475:
	s_mov_b64 s[26:27], -1
                                        ; implicit-def: $vgpr0
	s_branch .LBB14_480
.LBB14_476:
	s_andn2_saveexec_b64 s[0:1], s[0:1]
	s_cbranch_execz .LBB14_457
.LBB14_477:
	v_cmp_ne_u16_e32 vcc, 0, v1
	s_andn2_b64 s[26:27], s[26:27], exec
	s_and_b64 s[34:35], vcc, exec
	s_or_b64 s[26:27], s[26:27], s[34:35]
	s_or_b64 exec, exec, s[0:1]
	v_mov_b32_e32 v0, 0
	s_and_saveexec_b64 s[0:1], s[26:27]
	s_cbranch_execnz .LBB14_458
	s_branch .LBB14_459
.LBB14_478:
	s_mov_b64 s[24:25], -1
                                        ; implicit-def: $vgpr0
.LBB14_479:
	s_mov_b64 s[26:27], 0
.LBB14_480:
	s_and_b64 vcc, exec, s[26:27]
	s_cbranch_vccz .LBB14_484
; %bb.481:
	s_cmp_eq_u32 s29, 11
	s_cbranch_scc0 .LBB14_483
; %bb.482:
	global_load_ubyte v0, v[2:3], off
	s_mov_b64 s[0:1], -1
	s_mov_b64 s[24:25], 0
	s_waitcnt vmcnt(0)
	v_cmp_ne_u16_e32 vcc, 0, v0
	v_cndmask_b32_e64 v0, 0, 1, vcc
	s_branch .LBB14_484
.LBB14_483:
	s_mov_b64 s[24:25], -1
                                        ; implicit-def: $vgpr0
.LBB14_484:
	s_branch .LBB14_404
.LBB14_485:
	s_and_b32 s26, 0xffff, s28
	s_cmp_lt_i32 s26, 5
	s_cbranch_scc1 .LBB14_490
; %bb.486:
	s_cmp_lt_i32 s26, 8
	s_cbranch_scc1 .LBB14_491
; %bb.487:
	;; [unrolled: 3-line block ×3, first 2 shown]
	s_cmp_gt_i32 s26, 9
	s_cbranch_scc0 .LBB14_493
; %bb.489:
	global_load_dwordx2 v[0:1], v[2:3], off
	s_movk_i32 s0, 0xffe0
	s_waitcnt vmcnt(0)
	v_trunc_f64_e32 v[0:1], v[0:1]
	v_ldexp_f64 v[6:7], v[0:1], s0
	s_mov_b32 s0, 0
	s_mov_b32 s1, 0xc1f00000
	v_floor_f64_e32 v[6:7], v[6:7]
	v_fma_f64 v[0:1], v[6:7], s[0:1], v[0:1]
	s_mov_b64 s[0:1], 0
	v_cvt_u32_f64_e32 v0, v[0:1]
	s_branch .LBB14_494
.LBB14_490:
	s_mov_b64 s[0:1], -1
                                        ; implicit-def: $vgpr0
	s_branch .LBB14_512
.LBB14_491:
	s_mov_b64 s[0:1], -1
                                        ; implicit-def: $vgpr0
	s_branch .LBB14_500
.LBB14_492:
	s_mov_b64 s[0:1], -1
                                        ; implicit-def: $vgpr0
	s_branch .LBB14_497
.LBB14_493:
	s_mov_b64 s[0:1], -1
                                        ; implicit-def: $vgpr0
.LBB14_494:
	s_andn2_b64 vcc, exec, s[0:1]
	s_cbranch_vccnz .LBB14_496
; %bb.495:
	global_load_dword v0, v[2:3], off
	s_mov_b32 s0, 0x2f800000
	s_waitcnt vmcnt(0)
	v_trunc_f32_e32 v0, v0
	v_mul_f32_e64 v1, |v0|, s0
	v_floor_f32_e32 v1, v1
	s_mov_b32 s0, 0xcf800000
	v_fma_f32 v1, v1, s0, |v0|
	v_cvt_u32_f32_e32 v1, v1
	v_ashrrev_i32_e32 v0, 31, v0
	v_xor_b32_e32 v1, v1, v0
	v_sub_u32_e32 v0, v1, v0
.LBB14_496:
	s_mov_b64 s[0:1], 0
.LBB14_497:
	s_andn2_b64 vcc, exec, s[0:1]
	s_cbranch_vccnz .LBB14_499
; %bb.498:
	global_load_dword v0, v[2:3], off
	s_waitcnt vmcnt(0)
	v_cvt_f32_f16_e32 v0, v0
	v_cvt_i32_f32_e32 v0, v0
.LBB14_499:
	s_mov_b64 s[0:1], 0
.LBB14_500:
	s_andn2_b64 vcc, exec, s[0:1]
	s_cbranch_vccnz .LBB14_511
; %bb.501:
	s_cmp_lt_i32 s26, 6
	s_cbranch_scc1 .LBB14_504
; %bb.502:
	s_cmp_gt_i32 s26, 6
	s_cbranch_scc0 .LBB14_505
; %bb.503:
	global_load_dwordx2 v[0:1], v[2:3], off
	s_movk_i32 s0, 0xffe0
	s_waitcnt vmcnt(0)
	v_trunc_f64_e32 v[0:1], v[0:1]
	v_ldexp_f64 v[6:7], v[0:1], s0
	s_mov_b32 s0, 0
	s_mov_b32 s1, 0xc1f00000
	v_floor_f64_e32 v[6:7], v[6:7]
	v_fma_f64 v[0:1], v[6:7], s[0:1], v[0:1]
	s_mov_b64 s[0:1], 0
	v_cvt_u32_f64_e32 v0, v[0:1]
	s_branch .LBB14_506
.LBB14_504:
	s_mov_b64 s[0:1], -1
                                        ; implicit-def: $vgpr0
	s_branch .LBB14_509
.LBB14_505:
	s_mov_b64 s[0:1], -1
                                        ; implicit-def: $vgpr0
.LBB14_506:
	s_andn2_b64 vcc, exec, s[0:1]
	s_cbranch_vccnz .LBB14_508
; %bb.507:
	global_load_dword v0, v[2:3], off
	s_mov_b32 s0, 0x2f800000
	s_waitcnt vmcnt(0)
	v_trunc_f32_e32 v0, v0
	v_mul_f32_e64 v1, |v0|, s0
	v_floor_f32_e32 v1, v1
	s_mov_b32 s0, 0xcf800000
	v_fma_f32 v1, v1, s0, |v0|
	v_cvt_u32_f32_e32 v1, v1
	v_ashrrev_i32_e32 v0, 31, v0
	v_xor_b32_e32 v1, v1, v0
	v_sub_u32_e32 v0, v1, v0
.LBB14_508:
	s_mov_b64 s[0:1], 0
.LBB14_509:
	s_andn2_b64 vcc, exec, s[0:1]
	s_cbranch_vccnz .LBB14_511
; %bb.510:
	global_load_ushort v0, v[2:3], off
	s_waitcnt vmcnt(0)
	v_cvt_f32_f16_e32 v0, v0
	v_cvt_i32_f32_e32 v0, v0
.LBB14_511:
	s_mov_b64 s[0:1], 0
.LBB14_512:
	s_andn2_b64 vcc, exec, s[0:1]
	s_cbranch_vccnz .LBB14_532
; %bb.513:
	s_cmp_lt_i32 s26, 2
	s_cbranch_scc1 .LBB14_517
; %bb.514:
	s_cmp_lt_i32 s26, 3
	s_cbranch_scc1 .LBB14_518
; %bb.515:
	s_cmp_gt_i32 s26, 3
	s_cbranch_scc0 .LBB14_519
; %bb.516:
	global_load_dwordx2 v[0:1], v[2:3], off
	s_mov_b64 s[0:1], 0
	s_branch .LBB14_520
.LBB14_517:
	s_mov_b64 s[0:1], -1
                                        ; implicit-def: $vgpr0
	s_branch .LBB14_526
.LBB14_518:
	s_mov_b64 s[0:1], -1
                                        ; implicit-def: $vgpr0
	s_branch .LBB14_523
.LBB14_519:
	s_mov_b64 s[0:1], -1
                                        ; implicit-def: $vgpr0
.LBB14_520:
	s_andn2_b64 vcc, exec, s[0:1]
	s_cbranch_vccnz .LBB14_522
; %bb.521:
	global_load_dword v0, v[2:3], off
.LBB14_522:
	s_mov_b64 s[0:1], 0
.LBB14_523:
	s_andn2_b64 vcc, exec, s[0:1]
	s_cbranch_vccnz .LBB14_525
; %bb.524:
	global_load_ushort v0, v[2:3], off
.LBB14_525:
	s_mov_b64 s[0:1], 0
.LBB14_526:
	s_andn2_b64 vcc, exec, s[0:1]
	s_cbranch_vccnz .LBB14_532
; %bb.527:
	s_cmp_gt_i32 s26, 0
	s_cbranch_scc0 .LBB14_529
; %bb.528:
	global_load_ubyte v0, v[2:3], off
	s_mov_b64 s[0:1], 0
	s_branch .LBB14_530
.LBB14_529:
	s_mov_b64 s[0:1], -1
                                        ; implicit-def: $vgpr0
.LBB14_530:
	s_andn2_b64 vcc, exec, s[0:1]
	s_cbranch_vccnz .LBB14_532
; %bb.531:
	global_load_ubyte v0, v[2:3], off
.LBB14_532:
	s_branch .LBB14_405
.LBB14_533:
	s_mov_b64 s[34:35], 0
	s_mov_b64 s[0:1], s[16:17]
	;; [unrolled: 1-line block ×3, first 2 shown]
.LBB14_534:
                                        ; implicit-def: $vgpr5
	s_branch .LBB14_789
.LBB14_535:
	s_andn2_saveexec_b64 s[30:31], s[30:31]
	s_cbranch_execz .LBB14_205
.LBB14_536:
	v_add_f32_e32 v2, 0x42800000, v3
	v_and_b32_e32 v2, 0xff, v2
	v_cmp_ne_u32_e32 vcc, 0, v2
	s_andn2_b64 s[28:29], s[28:29], exec
	s_and_b64 s[36:37], vcc, exec
	s_or_b64 s[28:29], s[28:29], s[36:37]
	s_or_b64 exec, exec, s[30:31]
	v_mov_b32_e32 v4, 0
	s_and_saveexec_b64 s[30:31], s[28:29]
	s_cbranch_execnz .LBB14_206
	s_branch .LBB14_207
.LBB14_537:
	s_mov_b64 s[26:27], -1
                                        ; implicit-def: $vgpr3
	s_mov_b64 s[0:1], 0
.LBB14_538:
	s_and_b64 vcc, exec, s[28:29]
	s_cbranch_vccz .LBB14_542
; %bb.539:
	s_cmp_eq_u32 s35, 44
	s_cbranch_scc0 .LBB14_541
; %bb.540:
	global_load_ubyte v3, v[1:2], off
	s_mov_b32 s0, 0x2f800000
	s_mov_b32 s1, 0xcf800000
	s_mov_b64 s[26:27], 0
	s_waitcnt vmcnt(0)
	v_lshlrev_b32_e32 v4, 23, v3
	v_trunc_f32_e32 v4, v4
	v_mul_f32_e64 v6, |v4|, s0
	v_floor_f32_e32 v6, v6
	v_fma_f32 v6, v6, s1, |v4|
	v_cvt_u32_f32_e32 v6, v6
	v_ashrrev_i32_e32 v4, 31, v4
	v_cmp_ne_u32_e32 vcc, 0, v3
	s_mov_b64 s[0:1], -1
	v_xor_b32_e32 v6, v6, v4
	v_sub_u32_e32 v4, v6, v4
	v_cndmask_b32_e32 v3, 0, v4, vcc
	s_branch .LBB14_542
.LBB14_541:
	s_mov_b64 s[26:27], -1
                                        ; implicit-def: $vgpr3
.LBB14_542:
	s_mov_b64 s[28:29], 0
.LBB14_543:
	s_and_b64 vcc, exec, s[28:29]
	s_cbranch_vccz .LBB14_547
; %bb.544:
	s_cmp_eq_u32 s35, 29
	s_cbranch_scc0 .LBB14_546
; %bb.545:
	global_load_dwordx2 v[3:4], v[1:2], off
	s_mov_b64 s[0:1], -1
	s_mov_b64 s[26:27], 0
	s_branch .LBB14_547
.LBB14_546:
	s_mov_b64 s[26:27], -1
                                        ; implicit-def: $vgpr3
.LBB14_547:
	s_mov_b64 s[28:29], 0
.LBB14_548:
	s_and_b64 vcc, exec, s[28:29]
	s_cbranch_vccz .LBB14_564
; %bb.549:
	s_cmp_lt_i32 s35, 27
	s_cbranch_scc1 .LBB14_552
; %bb.550:
	s_cmp_gt_i32 s35, 27
	s_cbranch_scc0 .LBB14_553
; %bb.551:
	global_load_dword v3, v[1:2], off
	s_mov_b64 s[0:1], 0
	s_branch .LBB14_554
.LBB14_552:
	s_mov_b64 s[0:1], -1
                                        ; implicit-def: $vgpr3
	s_branch .LBB14_557
.LBB14_553:
	s_mov_b64 s[0:1], -1
                                        ; implicit-def: $vgpr3
.LBB14_554:
	s_andn2_b64 vcc, exec, s[0:1]
	s_cbranch_vccnz .LBB14_556
; %bb.555:
	global_load_ushort v3, v[1:2], off
.LBB14_556:
	s_mov_b64 s[0:1], 0
.LBB14_557:
	s_andn2_b64 vcc, exec, s[0:1]
	s_cbranch_vccnz .LBB14_563
; %bb.558:
	global_load_ubyte v4, v[1:2], off
	s_movk_i32 s0, 0x7f
	s_mov_b64 s[28:29], 0
	s_waitcnt vmcnt(0)
	v_cmp_lt_i16_e32 vcc, s0, v4
	s_and_saveexec_b64 s[0:1], vcc
	s_xor_b64 s[0:1], exec, s[0:1]
	s_cbranch_execz .LBB14_575
; %bb.559:
	s_movk_i32 s28, 0x80
	v_cmp_ne_u16_e32 vcc, s28, v4
	s_and_b64 s[28:29], vcc, exec
	s_andn2_saveexec_b64 s[0:1], s[0:1]
	s_cbranch_execnz .LBB14_576
.LBB14_560:
	s_or_b64 exec, exec, s[0:1]
	v_mov_b32_e32 v3, 0
	s_and_saveexec_b64 s[0:1], s[28:29]
	s_cbranch_execz .LBB14_562
.LBB14_561:
	v_lshlrev_b32_e32 v3, 24, v4
	v_and_b32_e32 v4, 0xffff, v4
	v_and_b32_e32 v6, 7, v4
	v_ffbh_u32_e32 v8, v6
	v_min_u32_e32 v8, 32, v8
	v_subrev_u32_e32 v9, 28, v8
	v_bfe_u32 v7, v4, 3, 4
	v_lshlrev_b32_e32 v4, v9, v4
	v_sub_u32_e32 v8, 29, v8
	v_and_b32_e32 v4, 7, v4
	v_cmp_eq_u32_e32 vcc, 0, v7
	v_cndmask_b32_e32 v7, v7, v8, vcc
	v_cndmask_b32_e32 v4, v6, v4, vcc
	v_mov_b32_e32 v6, 0x3b800000
	v_lshlrev_b32_e32 v4, 20, v4
	v_and_b32_e32 v3, 0x80000000, v3
	v_lshl_add_u32 v6, v7, 23, v6
	v_or3_b32 v3, v3, v6, v4
	v_trunc_f32_e32 v3, v3
	s_mov_b32 s28, 0x2f800000
	v_mul_f32_e64 v4, |v3|, s28
	v_floor_f32_e32 v4, v4
	s_mov_b32 s28, 0xcf800000
	v_fma_f32 v4, v4, s28, |v3|
	v_cvt_u32_f32_e32 v4, v4
	v_ashrrev_i32_e32 v3, 31, v3
	v_xor_b32_e32 v4, v4, v3
	v_sub_u32_e32 v3, v4, v3
.LBB14_562:
	s_or_b64 exec, exec, s[0:1]
.LBB14_563:
	s_mov_b64 s[0:1], -1
.LBB14_564:
	s_mov_b64 s[28:29], 0
.LBB14_565:
	s_and_b64 vcc, exec, s[28:29]
	s_cbranch_vccz .LBB14_598
; %bb.566:
	s_cmp_gt_i32 s35, 22
	s_cbranch_scc0 .LBB14_574
; %bb.567:
	s_cmp_lt_i32 s35, 24
	s_cbranch_scc1 .LBB14_577
; %bb.568:
	s_cmp_gt_i32 s35, 24
	s_cbranch_scc0 .LBB14_578
; %bb.569:
	global_load_ubyte v4, v[1:2], off
	s_movk_i32 s0, 0x7f
	s_mov_b64 s[28:29], 0
	s_waitcnt vmcnt(0)
	v_cmp_lt_i16_e32 vcc, s0, v4
	s_and_saveexec_b64 s[0:1], vcc
	s_xor_b64 s[0:1], exec, s[0:1]
	s_cbranch_execz .LBB14_590
; %bb.570:
	s_movk_i32 s28, 0x80
	v_cmp_ne_u16_e32 vcc, s28, v4
	s_and_b64 s[28:29], vcc, exec
	s_andn2_saveexec_b64 s[0:1], s[0:1]
	s_cbranch_execnz .LBB14_591
.LBB14_571:
	s_or_b64 exec, exec, s[0:1]
	v_mov_b32_e32 v3, 0
	s_and_saveexec_b64 s[0:1], s[28:29]
	s_cbranch_execz .LBB14_573
.LBB14_572:
	v_lshlrev_b32_e32 v3, 24, v4
	v_and_b32_e32 v4, 0xffff, v4
	v_and_b32_e32 v6, 3, v4
	v_ffbh_u32_e32 v8, v6
	v_min_u32_e32 v8, 32, v8
	v_subrev_u32_e32 v9, 29, v8
	v_bfe_u32 v7, v4, 2, 5
	v_lshlrev_b32_e32 v4, v9, v4
	v_sub_u32_e32 v8, 30, v8
	v_and_b32_e32 v4, 3, v4
	v_cmp_eq_u32_e32 vcc, 0, v7
	v_cndmask_b32_e32 v7, v7, v8, vcc
	v_cndmask_b32_e32 v4, v6, v4, vcc
	v_mov_b32_e32 v6, 0x37800000
	v_lshlrev_b32_e32 v4, 21, v4
	v_and_b32_e32 v3, 0x80000000, v3
	v_lshl_add_u32 v6, v7, 23, v6
	v_or3_b32 v3, v3, v6, v4
	v_trunc_f32_e32 v3, v3
	s_mov_b32 s28, 0x2f800000
	v_mul_f32_e64 v4, |v3|, s28
	v_floor_f32_e32 v4, v4
	s_mov_b32 s28, 0xcf800000
	v_fma_f32 v4, v4, s28, |v3|
	v_cvt_u32_f32_e32 v4, v4
	v_ashrrev_i32_e32 v3, 31, v3
	v_xor_b32_e32 v4, v4, v3
	v_sub_u32_e32 v3, v4, v3
.LBB14_573:
	s_or_b64 exec, exec, s[0:1]
	s_mov_b64 s[0:1], 0
	s_branch .LBB14_579
.LBB14_574:
	s_mov_b64 s[28:29], -1
                                        ; implicit-def: $vgpr3
	s_branch .LBB14_585
.LBB14_575:
	s_andn2_saveexec_b64 s[0:1], s[0:1]
	s_cbranch_execz .LBB14_560
.LBB14_576:
	v_cmp_ne_u16_e32 vcc, 0, v4
	s_andn2_b64 s[28:29], s[28:29], exec
	s_and_b64 s[36:37], vcc, exec
	s_or_b64 s[28:29], s[28:29], s[36:37]
	s_or_b64 exec, exec, s[0:1]
	v_mov_b32_e32 v3, 0
	s_and_saveexec_b64 s[0:1], s[28:29]
	s_cbranch_execnz .LBB14_561
	s_branch .LBB14_562
.LBB14_577:
	s_mov_b64 s[0:1], -1
                                        ; implicit-def: $vgpr3
	s_branch .LBB14_582
.LBB14_578:
	s_mov_b64 s[0:1], -1
                                        ; implicit-def: $vgpr3
.LBB14_579:
	s_and_b64 vcc, exec, s[0:1]
	s_cbranch_vccz .LBB14_581
; %bb.580:
	global_load_ubyte v3, v[1:2], off
	s_mov_b32 s0, 0x7f800000
	s_brev_b32 s1, 1
	s_mov_b32 s28, 0x2f800000
	s_waitcnt vmcnt(0)
	v_lshlrev_b32_e32 v3, 24, v3
	v_and_b32_e32 v4, 0x7f000000, v3
	v_ffbh_u32_e32 v6, v4
	v_min_u32_e32 v6, 32, v6
	v_sub_u32_e64 v6, v6, 4 clamp
	v_lshlrev_b32_e32 v8, v6, v4
	v_lshlrev_b32_e32 v6, 23, v6
	v_lshrrev_b32_e32 v8, 4, v8
	v_add_u32_e32 v7, 0x1000000, v4
	v_sub_u32_e32 v6, v8, v6
	v_ashrrev_i32_e32 v7, 8, v7
	v_add_u32_e32 v6, 0x3c000000, v6
	v_and_or_b32 v6, v7, s0, v6
	v_cmp_ne_u32_e32 vcc, 0, v4
	v_cndmask_b32_e32 v4, 0, v6, vcc
	v_and_or_b32 v3, v3, s1, v4
	v_trunc_f32_e32 v3, v3
	v_mul_f32_e64 v4, |v3|, s28
	v_floor_f32_e32 v4, v4
	s_mov_b32 s0, 0xcf800000
	v_fma_f32 v4, v4, s0, |v3|
	v_cvt_u32_f32_e32 v4, v4
	v_ashrrev_i32_e32 v3, 31, v3
	v_xor_b32_e32 v4, v4, v3
	v_sub_u32_e32 v3, v4, v3
.LBB14_581:
	s_mov_b64 s[0:1], 0
.LBB14_582:
	s_andn2_b64 vcc, exec, s[0:1]
	s_cbranch_vccnz .LBB14_584
; %bb.583:
	global_load_ubyte v3, v[1:2], off
	s_movk_i32 s0, 0x7f00
	s_brev_b32 s1, 16
	s_brev_b32 s28, 1
	s_mov_b32 s29, 0x2f800000
	s_waitcnt vmcnt(0)
	v_lshlrev_b16_e32 v4, 8, v3
	v_lshlrev_b32_e32 v3, 25, v3
	v_lshrrev_b32_e32 v6, 4, v3
	v_and_or_b32 v7, v4, s0, 0.5
	v_or_b32_e32 v6, 0x70000000, v6
	v_add_f32_e32 v7, -0.5, v7
	v_mul_f32_e32 v6, 0x7800000, v6
	v_cmp_gt_u32_e32 vcc, s1, v3
	v_bfe_i32 v4, v4, 0, 16
	v_cndmask_b32_e32 v3, v6, v7, vcc
	v_and_or_b32 v3, v4, s28, v3
	v_trunc_f32_e32 v3, v3
	v_mul_f32_e64 v4, |v3|, s29
	v_floor_f32_e32 v4, v4
	s_mov_b32 s0, 0xcf800000
	v_fma_f32 v4, v4, s0, |v3|
	v_cvt_u32_f32_e32 v4, v4
	v_ashrrev_i32_e32 v3, 31, v3
	v_xor_b32_e32 v4, v4, v3
	v_sub_u32_e32 v3, v4, v3
.LBB14_584:
	s_mov_b64 s[28:29], 0
	s_mov_b64 s[0:1], -1
.LBB14_585:
	s_andn2_b64 vcc, exec, s[28:29]
	s_cbranch_vccnz .LBB14_598
; %bb.586:
	s_cmp_gt_i32 s35, 14
	s_cbranch_scc0 .LBB14_589
; %bb.587:
	s_cmp_eq_u32 s35, 15
	s_cbranch_scc0 .LBB14_592
; %bb.588:
	global_load_ushort v3, v[1:2], off
	s_mov_b32 s0, 0x2f800000
	s_mov_b32 s1, 0xcf800000
	s_mov_b64 s[26:27], 0
	s_waitcnt vmcnt(0)
	v_lshlrev_b32_e32 v3, 16, v3
	v_trunc_f32_e32 v3, v3
	v_mul_f32_e64 v4, |v3|, s0
	v_floor_f32_e32 v4, v4
	v_fma_f32 v4, v4, s1, |v3|
	v_cvt_u32_f32_e32 v4, v4
	v_ashrrev_i32_e32 v3, 31, v3
	s_mov_b64 s[0:1], -1
	v_xor_b32_e32 v4, v4, v3
	v_sub_u32_e32 v3, v4, v3
	s_branch .LBB14_593
.LBB14_589:
	s_mov_b64 s[28:29], -1
                                        ; implicit-def: $vgpr3
	s_branch .LBB14_594
.LBB14_590:
	s_andn2_saveexec_b64 s[0:1], s[0:1]
	s_cbranch_execz .LBB14_571
.LBB14_591:
	v_cmp_ne_u16_e32 vcc, 0, v4
	s_andn2_b64 s[28:29], s[28:29], exec
	s_and_b64 s[36:37], vcc, exec
	s_or_b64 s[28:29], s[28:29], s[36:37]
	s_or_b64 exec, exec, s[0:1]
	v_mov_b32_e32 v3, 0
	s_and_saveexec_b64 s[0:1], s[28:29]
	s_cbranch_execnz .LBB14_572
	s_branch .LBB14_573
.LBB14_592:
	s_mov_b64 s[26:27], -1
                                        ; implicit-def: $vgpr3
.LBB14_593:
	s_mov_b64 s[28:29], 0
.LBB14_594:
	s_and_b64 vcc, exec, s[28:29]
	s_cbranch_vccz .LBB14_598
; %bb.595:
	s_cmp_eq_u32 s35, 11
	s_cbranch_scc0 .LBB14_597
; %bb.596:
	global_load_ubyte v3, v[1:2], off
	s_mov_b64 s[0:1], -1
	s_mov_b64 s[26:27], 0
	s_waitcnt vmcnt(0)
	v_cmp_ne_u16_e32 vcc, 0, v3
	v_cndmask_b32_e64 v3, 0, 1, vcc
	s_branch .LBB14_598
.LBB14_597:
	s_mov_b64 s[26:27], -1
                                        ; implicit-def: $vgpr3
.LBB14_598:
	s_mov_b64 s[28:29], 0
.LBB14_599:
	s_and_b64 vcc, exec, s[28:29]
	s_cbranch_vccz .LBB14_648
; %bb.600:
	s_and_b32 s28, 0xffff, s34
	s_cmp_lt_i32 s28, 5
	s_cbranch_scc1 .LBB14_605
; %bb.601:
	s_cmp_lt_i32 s28, 8
	s_cbranch_scc1 .LBB14_606
; %bb.602:
	;; [unrolled: 3-line block ×3, first 2 shown]
	s_cmp_gt_i32 s28, 9
	s_cbranch_scc0 .LBB14_608
; %bb.604:
	global_load_dwordx2 v[3:4], v[1:2], off
	s_movk_i32 s0, 0xffe0
	s_waitcnt vmcnt(0)
	v_trunc_f64_e32 v[3:4], v[3:4]
	v_ldexp_f64 v[6:7], v[3:4], s0
	s_mov_b32 s0, 0
	s_mov_b32 s1, 0xc1f00000
	v_floor_f64_e32 v[6:7], v[6:7]
	v_fma_f64 v[3:4], v[6:7], s[0:1], v[3:4]
	s_mov_b64 s[0:1], 0
	v_cvt_u32_f64_e32 v3, v[3:4]
	s_branch .LBB14_609
.LBB14_605:
	s_mov_b64 s[0:1], -1
                                        ; implicit-def: $vgpr3
	s_branch .LBB14_627
.LBB14_606:
	s_mov_b64 s[0:1], -1
                                        ; implicit-def: $vgpr3
	s_branch .LBB14_615
.LBB14_607:
	s_mov_b64 s[0:1], -1
                                        ; implicit-def: $vgpr3
	s_branch .LBB14_612
.LBB14_608:
	s_mov_b64 s[0:1], -1
                                        ; implicit-def: $vgpr3
.LBB14_609:
	s_andn2_b64 vcc, exec, s[0:1]
	s_cbranch_vccnz .LBB14_611
; %bb.610:
	global_load_dword v3, v[1:2], off
	s_mov_b32 s0, 0x2f800000
	s_waitcnt vmcnt(0)
	v_trunc_f32_e32 v3, v3
	v_mul_f32_e64 v4, |v3|, s0
	v_floor_f32_e32 v4, v4
	s_mov_b32 s0, 0xcf800000
	v_fma_f32 v4, v4, s0, |v3|
	v_cvt_u32_f32_e32 v4, v4
	v_ashrrev_i32_e32 v3, 31, v3
	v_xor_b32_e32 v4, v4, v3
	v_sub_u32_e32 v3, v4, v3
.LBB14_611:
	s_mov_b64 s[0:1], 0
.LBB14_612:
	s_andn2_b64 vcc, exec, s[0:1]
	s_cbranch_vccnz .LBB14_614
; %bb.613:
	global_load_dword v3, v[1:2], off
	s_waitcnt vmcnt(0)
	v_cvt_f32_f16_e32 v3, v3
	v_cvt_i32_f32_e32 v3, v3
.LBB14_614:
	s_mov_b64 s[0:1], 0
.LBB14_615:
	s_andn2_b64 vcc, exec, s[0:1]
	s_cbranch_vccnz .LBB14_626
; %bb.616:
	s_cmp_lt_i32 s28, 6
	s_cbranch_scc1 .LBB14_619
; %bb.617:
	s_cmp_gt_i32 s28, 6
	s_cbranch_scc0 .LBB14_620
; %bb.618:
	global_load_dwordx2 v[3:4], v[1:2], off
	s_movk_i32 s0, 0xffe0
	s_waitcnt vmcnt(0)
	v_trunc_f64_e32 v[3:4], v[3:4]
	v_ldexp_f64 v[6:7], v[3:4], s0
	s_mov_b32 s0, 0
	s_mov_b32 s1, 0xc1f00000
	v_floor_f64_e32 v[6:7], v[6:7]
	v_fma_f64 v[3:4], v[6:7], s[0:1], v[3:4]
	s_mov_b64 s[0:1], 0
	v_cvt_u32_f64_e32 v3, v[3:4]
	s_branch .LBB14_621
.LBB14_619:
	s_mov_b64 s[0:1], -1
                                        ; implicit-def: $vgpr3
	s_branch .LBB14_624
.LBB14_620:
	s_mov_b64 s[0:1], -1
                                        ; implicit-def: $vgpr3
.LBB14_621:
	s_andn2_b64 vcc, exec, s[0:1]
	s_cbranch_vccnz .LBB14_623
; %bb.622:
	global_load_dword v3, v[1:2], off
	s_mov_b32 s0, 0x2f800000
	s_waitcnt vmcnt(0)
	v_trunc_f32_e32 v3, v3
	v_mul_f32_e64 v4, |v3|, s0
	v_floor_f32_e32 v4, v4
	s_mov_b32 s0, 0xcf800000
	v_fma_f32 v4, v4, s0, |v3|
	v_cvt_u32_f32_e32 v4, v4
	v_ashrrev_i32_e32 v3, 31, v3
	v_xor_b32_e32 v4, v4, v3
	v_sub_u32_e32 v3, v4, v3
.LBB14_623:
	s_mov_b64 s[0:1], 0
.LBB14_624:
	s_andn2_b64 vcc, exec, s[0:1]
	s_cbranch_vccnz .LBB14_626
; %bb.625:
	global_load_ushort v3, v[1:2], off
	s_waitcnt vmcnt(0)
	v_cvt_f32_f16_e32 v3, v3
	v_cvt_i32_f32_e32 v3, v3
.LBB14_626:
	s_mov_b64 s[0:1], 0
.LBB14_627:
	s_andn2_b64 vcc, exec, s[0:1]
	s_cbranch_vccnz .LBB14_647
; %bb.628:
	s_cmp_lt_i32 s28, 2
	s_cbranch_scc1 .LBB14_632
; %bb.629:
	s_cmp_lt_i32 s28, 3
	s_cbranch_scc1 .LBB14_633
; %bb.630:
	s_cmp_gt_i32 s28, 3
	s_cbranch_scc0 .LBB14_634
; %bb.631:
	global_load_dwordx2 v[3:4], v[1:2], off
	s_mov_b64 s[0:1], 0
	s_branch .LBB14_635
.LBB14_632:
	s_mov_b64 s[0:1], -1
                                        ; implicit-def: $vgpr3
	s_branch .LBB14_641
.LBB14_633:
	s_mov_b64 s[0:1], -1
                                        ; implicit-def: $vgpr3
	s_branch .LBB14_638
.LBB14_634:
	s_mov_b64 s[0:1], -1
                                        ; implicit-def: $vgpr3
.LBB14_635:
	s_andn2_b64 vcc, exec, s[0:1]
	s_cbranch_vccnz .LBB14_637
; %bb.636:
	global_load_dword v3, v[1:2], off
.LBB14_637:
	s_mov_b64 s[0:1], 0
.LBB14_638:
	s_andn2_b64 vcc, exec, s[0:1]
	s_cbranch_vccnz .LBB14_640
; %bb.639:
	global_load_ushort v3, v[1:2], off
.LBB14_640:
	s_mov_b64 s[0:1], 0
.LBB14_641:
	s_andn2_b64 vcc, exec, s[0:1]
	s_cbranch_vccnz .LBB14_647
; %bb.642:
	s_cmp_gt_i32 s28, 0
	s_cbranch_scc0 .LBB14_644
; %bb.643:
	global_load_ubyte v3, v[1:2], off
	s_mov_b64 s[0:1], 0
	s_branch .LBB14_645
.LBB14_644:
	s_mov_b64 s[0:1], -1
                                        ; implicit-def: $vgpr3
.LBB14_645:
	s_andn2_b64 vcc, exec, s[0:1]
	s_cbranch_vccnz .LBB14_647
; %bb.646:
	global_load_ubyte v3, v[1:2], off
.LBB14_647:
	s_mov_b64 s[0:1], -1
.LBB14_648:
	s_andn2_b64 vcc, exec, s[0:1]
	s_cbranch_vccnz .LBB14_653
; %bb.649:
	s_cmp_lt_i32 s15, 1
	s_mov_b64 s[0:1], 0
	s_cbranch_scc1 .LBB14_654
; %bb.650:
	s_cmp_gt_i32 s15, 1
	s_cbranch_scc0 .LBB14_655
; %bb.651:
	s_cmp_eq_u32 s15, 2
	s_cbranch_scc0 .LBB14_656
; %bb.652:
	s_waitcnt vmcnt(0)
	v_cmp_le_u16_sdwa s[28:29], v0, v3 src0_sel:BYTE_0 src1_sel:BYTE_0
	s_mov_b64 s[34:35], 0
	s_branch .LBB14_657
.LBB14_653:
	s_mov_b64 s[34:35], 0
                                        ; implicit-def: $vgpr5
	s_mov_b64 s[0:1], s[16:17]
	s_branch .LBB14_789
.LBB14_654:
	s_mov_b64 s[36:37], -1
                                        ; implicit-def: $sgpr28_sgpr29
	s_mov_b64 s[34:35], 0
	s_branch .LBB14_661
.LBB14_655:
	s_mov_b64 s[36:37], -1
	s_mov_b64 s[34:35], 0
                                        ; implicit-def: $sgpr28_sgpr29
	s_branch .LBB14_658
.LBB14_656:
	s_mov_b64 s[34:35], -1
                                        ; implicit-def: $sgpr28_sgpr29
.LBB14_657:
	s_mov_b64 s[36:37], 0
.LBB14_658:
	s_and_b64 vcc, exec, s[36:37]
	s_cbranch_vccz .LBB14_660
; %bb.659:
	s_waitcnt vmcnt(0)
	v_cmp_gt_u16_sdwa s[36:37], v0, v3 src0_sel:BYTE_0 src1_sel:BYTE_0
	s_andn2_b64 s[28:29], s[28:29], exec
	s_and_b64 s[36:37], s[36:37], exec
	s_or_b64 s[28:29], s[28:29], s[36:37]
.LBB14_660:
	s_mov_b64 s[36:37], 0
.LBB14_661:
	s_and_b64 vcc, exec, s[36:37]
	s_cbranch_vccz .LBB14_672
; %bb.662:
	s_cmp_lg_u32 s15, 0
	s_mov_b64 s[0:1], -1
	s_cselect_b64 s[34:35], -1, 0
	s_andn2_b64 vcc, exec, s[34:35]
	s_cbranch_vccz .LBB14_673
.LBB14_663:
	s_andn2_b64 vcc, exec, s[0:1]
	s_cbranch_vccnz .LBB14_665
.LBB14_664:
	s_waitcnt vmcnt(0)
	v_cmp_ge_u16_sdwa s[0:1], v0, v3 src0_sel:BYTE_0 src1_sel:BYTE_0
	s_andn2_b64 s[28:29], s[28:29], exec
	s_and_b64 s[0:1], s[0:1], exec
	s_or_b64 s[28:29], s[28:29], s[0:1]
.LBB14_665:
	v_mul_lo_u32 v0, v5, s12
	v_mov_b32_e32 v1, s9
	s_and_b32 s40, s33, 0xff
	s_cmp_lt_i32 s40, 11
	v_ashrrev_i32_e32 v2, 31, v0
	v_add_co_u32_e32 v0, vcc, s8, v0
	v_addc_co_u32_e32 v1, vcc, v1, v2, vcc
	s_cbranch_scc1 .LBB14_674
; %bb.666:
	s_and_b32 s41, 0xffff, s40
	s_cmp_gt_i32 s41, 25
	s_cbranch_scc0 .LBB14_675
; %bb.667:
	s_cmp_gt_i32 s41, 28
	s_cbranch_scc0 .LBB14_676
; %bb.668:
	;; [unrolled: 3-line block ×4, first 2 shown]
	s_mov_b64 s[36:37], 0
	s_mov_b64 s[0:1], -1
	s_cmp_eq_u32 s41, 46
	s_mov_b64 s[34:35], 0
	s_cbranch_scc0 .LBB14_679
; %bb.671:
	v_cndmask_b32_e64 v2, 0, 1.0, s[28:29]
	s_waitcnt vmcnt(0)
	v_bfe_u32 v3, v2, 16, 1
	s_movk_i32 s0, 0x7fff
	v_add3_u32 v2, v2, v3, s0
	v_lshrrev_b32_e32 v2, 16, v2
	global_store_dword v[0:1], v2, off
	s_mov_b64 s[34:35], -1
	s_mov_b64 s[0:1], 0
	s_branch .LBB14_679
.LBB14_672:
	s_andn2_b64 vcc, exec, s[34:35]
	s_cbranch_vccnz .LBB14_663
.LBB14_673:
	s_waitcnt vmcnt(0)
	v_cmp_lt_u16_sdwa s[34:35], v0, v3 src0_sel:BYTE_0 src1_sel:BYTE_0
	s_andn2_b64 s[28:29], s[28:29], exec
	s_and_b64 s[34:35], s[34:35], exec
	s_or_b64 s[28:29], s[28:29], s[34:35]
	s_cbranch_execz .LBB14_664
	s_branch .LBB14_665
.LBB14_674:
	s_mov_b64 s[36:37], -1
	s_mov_b64 s[34:35], 0
	s_mov_b64 s[0:1], s[16:17]
	s_branch .LBB14_748
.LBB14_675:
	s_mov_b64 s[36:37], -1
	s_mov_b64 s[34:35], 0
	s_mov_b64 s[0:1], s[16:17]
	s_branch .LBB14_706
.LBB14_676:
	s_mov_b64 s[36:37], -1
	s_mov_b64 s[34:35], 0
	s_mov_b64 s[0:1], s[16:17]
	s_branch .LBB14_689
.LBB14_677:
	s_mov_b64 s[36:37], -1
	s_mov_b64 s[34:35], 0
	s_mov_b64 s[0:1], s[16:17]
	s_branch .LBB14_685
.LBB14_678:
	s_mov_b64 s[36:37], -1
	s_mov_b64 s[34:35], 0
	s_mov_b64 s[0:1], s[16:17]
.LBB14_679:
	s_and_b64 vcc, exec, s[36:37]
	s_cbranch_vccz .LBB14_684
; %bb.680:
	s_cmp_eq_u32 s41, 44
	s_mov_b64 s[0:1], -1
	s_cbranch_scc0 .LBB14_684
; %bb.681:
	s_waitcnt vmcnt(0)
	v_cndmask_b32_e64 v3, 0, 1.0, s[28:29]
	v_lshrrev_b32_e32 v2, 23, v3
	s_movk_i32 s0, 0xff
	v_cmp_ne_u32_e32 vcc, s0, v2
	v_mov_b32_e32 v4, 0xff
	s_and_saveexec_b64 s[34:35], vcc
; %bb.682:
	s_mov_b32 s0, 0x3fffff
	v_and_b32_e32 v4, 0x400000, v3
	v_and_or_b32 v3, v3, s0, v2
	v_cmp_ne_u32_e32 vcc, 0, v4
	v_cmp_ne_u32_e64 s[0:1], 0, v3
	s_and_b64 s[0:1], vcc, s[0:1]
	v_cndmask_b32_e64 v3, 0, 1, s[0:1]
	v_add_u32_e32 v4, v2, v3
; %bb.683:
	s_or_b64 exec, exec, s[34:35]
	s_mov_b64 s[34:35], -1
	s_mov_b64 s[0:1], 0
	global_store_byte v[0:1], v4, off
.LBB14_684:
	s_mov_b64 s[36:37], 0
.LBB14_685:
	s_and_b64 vcc, exec, s[36:37]
	s_cbranch_vccz .LBB14_688
; %bb.686:
	s_cmp_eq_u32 s41, 29
	s_mov_b64 s[0:1], -1
	s_cbranch_scc0 .LBB14_688
; %bb.687:
	s_mov_b32 s0, 0
	v_cndmask_b32_e64 v2, 0, 1, s[28:29]
	s_waitcnt vmcnt(0)
	v_mov_b32_e32 v3, s0
	global_store_dwordx2 v[0:1], v[2:3], off
	s_mov_b64 s[34:35], -1
	s_mov_b64 s[0:1], 0
.LBB14_688:
	s_mov_b64 s[36:37], 0
.LBB14_689:
	s_and_b64 vcc, exec, s[36:37]
	s_cbranch_vccz .LBB14_705
; %bb.690:
	s_cmp_lt_i32 s41, 27
	s_mov_b64 s[34:35], -1
	s_cbranch_scc1 .LBB14_696
; %bb.691:
	s_cmp_gt_i32 s41, 27
	s_cbranch_scc0 .LBB14_693
; %bb.692:
	v_cndmask_b32_e64 v2, 0, 1, s[28:29]
	s_mov_b64 s[34:35], 0
	global_store_dword v[0:1], v2, off
.LBB14_693:
	s_andn2_b64 vcc, exec, s[34:35]
	s_cbranch_vccnz .LBB14_695
; %bb.694:
	v_cndmask_b32_e64 v2, 0, 1, s[28:29]
	global_store_short v[0:1], v2, off
.LBB14_695:
	s_mov_b64 s[34:35], 0
.LBB14_696:
	s_andn2_b64 vcc, exec, s[34:35]
	s_cbranch_vccnz .LBB14_704
; %bb.697:
	s_waitcnt vmcnt(0)
	v_cndmask_b32_e64 v3, 0, 1.0, s[28:29]
	s_mov_b32 s34, 0x43800000
	v_cmp_gt_u32_e32 vcc, s34, v3
	v_mov_b32_e32 v4, 0x80
	s_and_saveexec_b64 s[34:35], vcc
	s_cbranch_execz .LBB14_703
; %bb.698:
	s_mov_b32 s36, 0x3bffffff
	v_cmp_lt_u32_e32 vcc, s36, v3
	s_mov_b64 s[36:37], 0
                                        ; implicit-def: $vgpr2
	s_and_saveexec_b64 s[38:39], vcc
	s_xor_b64 s[38:39], exec, s[38:39]
	s_cbranch_execz .LBB14_805
; %bb.699:
	v_bfe_u32 v2, v3, 20, 1
	s_mov_b32 s42, 0x487ffff
	v_add3_u32 v2, v3, v2, s42
	s_mov_b64 s[36:37], exec
	v_lshrrev_b32_e32 v2, 20, v2
                                        ; implicit-def: $vgpr3
	s_andn2_saveexec_b64 s[38:39], s[38:39]
	s_cbranch_execnz .LBB14_806
.LBB14_700:
	s_or_b64 exec, exec, s[38:39]
	v_mov_b32_e32 v4, 0
	s_and_saveexec_b64 s[38:39], s[36:37]
.LBB14_701:
	v_mov_b32_e32 v4, v2
.LBB14_702:
	s_or_b64 exec, exec, s[38:39]
.LBB14_703:
	s_or_b64 exec, exec, s[34:35]
	global_store_byte v[0:1], v4, off
.LBB14_704:
	s_mov_b64 s[34:35], -1
.LBB14_705:
	s_mov_b64 s[36:37], 0
.LBB14_706:
	s_and_b64 vcc, exec, s[36:37]
	s_cbranch_vccz .LBB14_747
; %bb.707:
	s_cmp_gt_i32 s41, 22
	s_mov_b64 s[36:37], -1
	s_cbranch_scc0 .LBB14_739
; %bb.708:
	s_cmp_lt_i32 s41, 24
	s_mov_b64 s[34:35], -1
	s_cbranch_scc1 .LBB14_728
; %bb.709:
	s_cmp_gt_i32 s41, 24
	s_cbranch_scc0 .LBB14_717
; %bb.710:
	s_waitcnt vmcnt(0)
	v_cndmask_b32_e64 v3, 0, 1.0, s[28:29]
	s_mov_b32 s34, 0x47800000
	v_cmp_gt_u32_e32 vcc, s34, v3
	v_mov_b32_e32 v4, 0x80
	s_and_saveexec_b64 s[34:35], vcc
	s_cbranch_execz .LBB14_716
; %bb.711:
	s_mov_b32 s36, 0x37ffffff
	v_cmp_lt_u32_e32 vcc, s36, v3
	s_mov_b64 s[36:37], 0
                                        ; implicit-def: $vgpr2
	s_and_saveexec_b64 s[38:39], vcc
	s_xor_b64 s[38:39], exec, s[38:39]
	s_cbranch_execz .LBB14_933
; %bb.712:
	v_bfe_u32 v2, v3, 21, 1
	s_mov_b32 s42, 0x88fffff
	v_add3_u32 v2, v3, v2, s42
	s_mov_b64 s[36:37], exec
	v_lshrrev_b32_e32 v2, 21, v2
                                        ; implicit-def: $vgpr3
	s_andn2_saveexec_b64 s[38:39], s[38:39]
	s_cbranch_execnz .LBB14_934
.LBB14_713:
	s_or_b64 exec, exec, s[38:39]
	v_mov_b32_e32 v4, 0
	s_and_saveexec_b64 s[38:39], s[36:37]
.LBB14_714:
	v_mov_b32_e32 v4, v2
.LBB14_715:
	s_or_b64 exec, exec, s[38:39]
.LBB14_716:
	s_or_b64 exec, exec, s[34:35]
	s_mov_b64 s[34:35], 0
	global_store_byte v[0:1], v4, off
.LBB14_717:
	s_and_b64 vcc, exec, s[34:35]
	s_cbranch_vccz .LBB14_727
; %bb.718:
	v_cndmask_b32_e64 v2, 0, 1.0, s[28:29]
	s_mov_b32 s34, 0x43f00000
	v_cmp_gt_u32_e32 vcc, s34, v2
                                        ; implicit-def: $vgpr3
	s_and_saveexec_b64 s[34:35], vcc
	s_xor_b64 s[34:35], exec, s[34:35]
	s_cbranch_execz .LBB14_724
; %bb.719:
	s_mov_b32 s36, 0x3c7fffff
	v_cmp_lt_u32_e32 vcc, s36, v2
                                        ; implicit-def: $vgpr3
	s_and_saveexec_b64 s[36:37], vcc
	s_xor_b64 s[36:37], exec, s[36:37]
	s_cbranch_execz .LBB14_721
; %bb.720:
	s_waitcnt vmcnt(0)
	v_bfe_u32 v3, v2, 20, 1
	s_mov_b32 s38, 0x407ffff
	v_add3_u32 v2, v2, v3, s38
	v_lshrrev_b32_e32 v3, 20, v2
	v_and_b32_e32 v2, 0xff00000, v2
	s_mov_b32 s38, 0x7f00000
	v_mov_b32_e32 v4, 0x7e
	v_cmp_ne_u32_e32 vcc, s38, v2
	v_cndmask_b32_e32 v3, v4, v3, vcc
                                        ; implicit-def: $vgpr2
.LBB14_721:
	s_andn2_saveexec_b64 s[36:37], s[36:37]
	s_cbranch_execz .LBB14_723
; %bb.722:
	s_waitcnt vmcnt(0)
	v_add_f32_e32 v3, 0x46800000, v2
.LBB14_723:
	s_or_b64 exec, exec, s[36:37]
                                        ; implicit-def: $vgpr2
.LBB14_724:
	s_andn2_saveexec_b64 s[34:35], s[34:35]
	s_cbranch_execz .LBB14_726
; %bb.725:
	s_mov_b32 s36, 0x7f800000
	s_waitcnt vmcnt(0)
	v_mov_b32_e32 v3, 0x7e
	v_mov_b32_e32 v4, 0x7f
	v_cmp_lt_u32_e32 vcc, s36, v2
	v_cndmask_b32_e32 v3, v3, v4, vcc
.LBB14_726:
	s_or_b64 exec, exec, s[34:35]
	s_waitcnt vmcnt(0)
	global_store_byte v[0:1], v3, off
.LBB14_727:
	s_mov_b64 s[34:35], 0
.LBB14_728:
	s_andn2_b64 vcc, exec, s[34:35]
	s_cbranch_vccnz .LBB14_738
; %bb.729:
	v_cndmask_b32_e64 v2, 0, 1.0, s[28:29]
	s_mov_b32 s34, 0x47800000
	v_cmp_gt_u32_e32 vcc, s34, v2
                                        ; implicit-def: $vgpr3
	s_and_saveexec_b64 s[34:35], vcc
	s_xor_b64 s[34:35], exec, s[34:35]
	s_cbranch_execz .LBB14_735
; %bb.730:
	s_mov_b32 s36, 0x387fffff
	v_cmp_lt_u32_e32 vcc, s36, v2
                                        ; implicit-def: $vgpr3
	s_and_saveexec_b64 s[36:37], vcc
	s_xor_b64 s[36:37], exec, s[36:37]
	s_cbranch_execz .LBB14_732
; %bb.731:
	s_waitcnt vmcnt(0)
	v_bfe_u32 v3, v2, 21, 1
	s_mov_b32 s38, 0x80fffff
	v_add3_u32 v2, v2, v3, s38
	v_lshrrev_b32_e32 v3, 21, v2
                                        ; implicit-def: $vgpr2
.LBB14_732:
	s_andn2_saveexec_b64 s[36:37], s[36:37]
	s_cbranch_execz .LBB14_734
; %bb.733:
	s_waitcnt vmcnt(0)
	v_add_f32_e32 v3, 0x43000000, v2
.LBB14_734:
	s_or_b64 exec, exec, s[36:37]
                                        ; implicit-def: $vgpr2
.LBB14_735:
	s_andn2_saveexec_b64 s[34:35], s[34:35]
	s_cbranch_execz .LBB14_737
; %bb.736:
	s_mov_b32 s36, 0x7f800000
	s_waitcnt vmcnt(0)
	v_mov_b32_e32 v3, 0x7c
	v_mov_b32_e32 v4, 0x7f
	v_cmp_lt_u32_e32 vcc, s36, v2
	v_cndmask_b32_e32 v3, v3, v4, vcc
.LBB14_737:
	s_or_b64 exec, exec, s[34:35]
	s_waitcnt vmcnt(0)
	global_store_byte v[0:1], v3, off
.LBB14_738:
	s_mov_b64 s[36:37], 0
	s_mov_b64 s[34:35], -1
.LBB14_739:
	s_andn2_b64 vcc, exec, s[36:37]
	s_cbranch_vccnz .LBB14_747
; %bb.740:
	s_cmp_gt_i32 s41, 14
	s_mov_b64 s[36:37], -1
	s_cbranch_scc0 .LBB14_744
; %bb.741:
	s_cmp_eq_u32 s41, 15
	s_mov_b64 s[0:1], -1
	s_cbranch_scc0 .LBB14_743
; %bb.742:
	v_cndmask_b32_e64 v2, 0, 1.0, s[28:29]
	s_waitcnt vmcnt(0)
	v_bfe_u32 v3, v2, 16, 1
	s_movk_i32 s0, 0x7fff
	v_add3_u32 v2, v2, v3, s0
	global_store_short_d16_hi v[0:1], v2, off
	s_mov_b64 s[34:35], -1
	s_mov_b64 s[0:1], 0
.LBB14_743:
	s_mov_b64 s[36:37], 0
.LBB14_744:
	s_and_b64 vcc, exec, s[36:37]
	s_cbranch_vccz .LBB14_747
; %bb.745:
	s_cmp_eq_u32 s41, 11
	s_mov_b64 s[0:1], -1
	s_cbranch_scc0 .LBB14_747
; %bb.746:
	v_cndmask_b32_e64 v2, 0, 1, s[28:29]
	s_mov_b64 s[34:35], -1
	s_mov_b64 s[0:1], 0
	global_store_byte v[0:1], v2, off
.LBB14_747:
	s_mov_b64 s[36:37], 0
.LBB14_748:
	s_and_b64 vcc, exec, s[36:37]
	s_cbranch_vccz .LBB14_787
; %bb.749:
	s_and_b32 s36, 0xffff, s40
	s_cmp_lt_i32 s36, 5
	s_mov_b64 s[34:35], -1
	s_cbranch_scc1 .LBB14_770
; %bb.750:
	s_cmp_lt_i32 s36, 8
	s_cbranch_scc1 .LBB14_760
; %bb.751:
	s_cmp_lt_i32 s36, 9
	s_cbranch_scc1 .LBB14_757
; %bb.752:
	s_cmp_gt_i32 s36, 9
	s_cbranch_scc0 .LBB14_754
; %bb.753:
	v_cndmask_b32_e64 v2, 0, 1, s[28:29]
	v_cvt_f64_u32_e32 v[6:7], v2
	v_mov_b32_e32 v8, 0
	v_mov_b32_e32 v9, v8
	s_mov_b64 s[34:35], 0
	global_store_dwordx4 v[0:1], v[6:9], off
.LBB14_754:
	s_andn2_b64 vcc, exec, s[34:35]
	s_cbranch_vccnz .LBB14_756
; %bb.755:
	v_cndmask_b32_e64 v2, 0, 1.0, s[28:29]
	s_waitcnt vmcnt(0)
	v_mov_b32_e32 v3, 0
	global_store_dwordx2 v[0:1], v[2:3], off
.LBB14_756:
	s_mov_b64 s[34:35], 0
.LBB14_757:
	s_andn2_b64 vcc, exec, s[34:35]
	s_cbranch_vccnz .LBB14_759
; %bb.758:
	v_cndmask_b32_e64 v2, 0, 1.0, s[28:29]
	v_cvt_f16_f32_e32 v2, v2
	global_store_dword v[0:1], v2, off
.LBB14_759:
	s_mov_b64 s[34:35], 0
.LBB14_760:
	s_andn2_b64 vcc, exec, s[34:35]
	s_cbranch_vccnz .LBB14_769
; %bb.761:
	s_cmp_lt_i32 s36, 6
	s_mov_b64 s[34:35], -1
	s_cbranch_scc1 .LBB14_767
; %bb.762:
	s_cmp_gt_i32 s36, 6
	s_cbranch_scc0 .LBB14_764
; %bb.763:
	v_cndmask_b32_e64 v2, 0, 1, s[28:29]
	s_waitcnt vmcnt(0)
	v_cvt_f64_u32_e32 v[2:3], v2
	s_mov_b64 s[34:35], 0
	global_store_dwordx2 v[0:1], v[2:3], off
.LBB14_764:
	s_andn2_b64 vcc, exec, s[34:35]
	s_cbranch_vccnz .LBB14_766
; %bb.765:
	v_cndmask_b32_e64 v2, 0, 1.0, s[28:29]
	global_store_dword v[0:1], v2, off
.LBB14_766:
	s_mov_b64 s[34:35], 0
.LBB14_767:
	s_andn2_b64 vcc, exec, s[34:35]
	s_cbranch_vccnz .LBB14_769
; %bb.768:
	v_cndmask_b32_e64 v2, 0, 1.0, s[28:29]
	v_cvt_f16_f32_e32 v2, v2
	global_store_short v[0:1], v2, off
.LBB14_769:
	s_mov_b64 s[34:35], 0
.LBB14_770:
	s_andn2_b64 vcc, exec, s[34:35]
	s_cbranch_vccnz .LBB14_786
; %bb.771:
	s_cmp_lt_i32 s36, 2
	s_mov_b64 s[34:35], -1
	s_cbranch_scc1 .LBB14_781
; %bb.772:
	s_cmp_lt_i32 s36, 3
	s_cbranch_scc1 .LBB14_778
; %bb.773:
	s_cmp_gt_i32 s36, 3
	s_cbranch_scc0 .LBB14_775
; %bb.774:
	s_mov_b32 s34, 0
	v_cndmask_b32_e64 v2, 0, 1, s[28:29]
	s_waitcnt vmcnt(0)
	v_mov_b32_e32 v3, s34
	s_mov_b64 s[34:35], 0
	global_store_dwordx2 v[0:1], v[2:3], off
.LBB14_775:
	s_andn2_b64 vcc, exec, s[34:35]
	s_cbranch_vccnz .LBB14_777
; %bb.776:
	v_cndmask_b32_e64 v2, 0, 1, s[28:29]
	global_store_dword v[0:1], v2, off
.LBB14_777:
	s_mov_b64 s[34:35], 0
.LBB14_778:
	s_andn2_b64 vcc, exec, s[34:35]
	s_cbranch_vccnz .LBB14_780
; %bb.779:
	v_cndmask_b32_e64 v2, 0, 1, s[28:29]
	global_store_short v[0:1], v2, off
.LBB14_780:
	s_mov_b64 s[34:35], 0
.LBB14_781:
	s_andn2_b64 vcc, exec, s[34:35]
	s_cbranch_vccnz .LBB14_786
; %bb.782:
	s_mov_b64 s[34:35], -1
	s_cmp_gt_i32 s36, 0
	v_cndmask_b32_e64 v2, 0, 1, s[28:29]
	s_cbranch_scc0 .LBB14_784
; %bb.783:
	s_mov_b64 s[34:35], 0
	global_store_byte v[0:1], v2, off
.LBB14_784:
	s_andn2_b64 vcc, exec, s[34:35]
	s_cbranch_vccnz .LBB14_786
; %bb.785:
	global_store_byte v[0:1], v2, off
.LBB14_786:
	s_mov_b64 s[34:35], -1
.LBB14_787:
	s_andn2_b64 vcc, exec, s[34:35]
	s_cbranch_vccnz .LBB14_800
; %bb.788:
	v_add_u32_e32 v5, 0x80, v5
	s_mov_b64 s[34:35], -1
.LBB14_789:
	s_andn2_b64 s[28:29], s[16:17], exec
	s_and_b64 s[0:1], s[0:1], exec
	s_or_b64 s[28:29], s[28:29], s[0:1]
	s_andn2_b64 s[0:1], s[18:19], exec
	s_and_b64 s[26:27], s[26:27], exec
	s_or_b64 s[26:27], s[0:1], s[26:27]
	;; [unrolled: 3-line block ×3, first 2 shown]
	s_orn2_b64 s[0:1], s[34:35], exec
.LBB14_790:
	s_or_b64 exec, exec, s[30:31]
	s_mov_b64 s[34:35], 0
	s_mov_b64 s[36:37], 0
	;; [unrolled: 1-line block ×3, first 2 shown]
                                        ; implicit-def: $sgpr56
                                        ; implicit-def: $vgpr2_vgpr3
                                        ; implicit-def: $vgpr0
	s_and_saveexec_b64 s[30:31], s[0:1]
	s_cbranch_execz .LBB14_1269
; %bb.791:
	v_cmp_gt_i32_e32 vcc, s48, v5
	s_mov_b64 s[46:47], -1
	s_mov_b64 s[0:1], s[24:25]
	s_mov_b64 s[38:39], s[26:27]
	;; [unrolled: 1-line block ×3, first 2 shown]
	s_and_saveexec_b64 s[34:35], vcc
	s_cbranch_execz .LBB14_1188
; %bb.792:
	s_waitcnt vmcnt(0)
	v_mul_lo_u32 v0, v5, s13
	v_mov_b32_e32 v1, s11
	s_and_b32 s40, s55, 0xff
	s_cmp_lt_i32 s40, 11
	v_ashrrev_i32_e32 v3, 31, v0
	v_add_co_u32_e32 v2, vcc, s10, v0
	v_addc_co_u32_e32 v3, vcc, v1, v3, vcc
	s_cbranch_scc1 .LBB14_799
; %bb.793:
	s_and_b32 s41, 0xffff, s40
	s_cmp_gt_i32 s41, 25
	s_cbranch_scc0 .LBB14_801
; %bb.794:
	s_cmp_gt_i32 s41, 28
	s_cbranch_scc0 .LBB14_802
; %bb.795:
	;; [unrolled: 3-line block ×4, first 2 shown]
	s_cmp_eq_u32 s41, 46
	s_mov_b64 s[38:39], 0
	s_cbranch_scc0 .LBB14_807
; %bb.798:
	global_load_dword v0, v[2:3], off
	s_mov_b32 s0, 0x2f800000
	s_mov_b32 s1, 0xcf800000
	s_waitcnt vmcnt(0)
	v_lshlrev_b32_e32 v0, 16, v0
	v_trunc_f32_e32 v0, v0
	v_mul_f32_e64 v1, |v0|, s0
	v_floor_f32_e32 v1, v1
	v_fma_f32 v1, v1, s1, |v0|
	v_cvt_u32_f32_e32 v1, v1
	v_ashrrev_i32_e32 v0, 31, v0
	s_mov_b64 s[0:1], -1
	v_xor_b32_e32 v1, v1, v0
	v_sub_u32_e32 v0, v1, v0
	s_branch .LBB14_808
.LBB14_799:
	s_mov_b64 s[38:39], -1
	s_mov_b64 s[0:1], 0
                                        ; implicit-def: $vgpr0
	s_mov_b64 s[36:37], s[24:25]
	s_branch .LBB14_869
.LBB14_800:
	s_mov_b64 s[34:35], 0
	s_branch .LBB14_534
.LBB14_801:
	s_mov_b64 s[38:39], -1
	s_mov_b64 s[0:1], 0
	s_mov_b64 s[36:37], s[24:25]
                                        ; implicit-def: $vgpr0
	s_branch .LBB14_835
.LBB14_802:
	s_mov_b64 s[38:39], -1
	s_mov_b64 s[0:1], 0
	s_mov_b64 s[36:37], s[24:25]
                                        ; implicit-def: $vgpr0
	s_branch .LBB14_818
.LBB14_803:
	s_mov_b64 s[38:39], -1
	s_mov_b64 s[0:1], 0
	s_mov_b64 s[36:37], s[24:25]
                                        ; implicit-def: $vgpr0
	s_branch .LBB14_813
.LBB14_804:
	s_mov_b64 s[38:39], -1
	s_mov_b64 s[0:1], 0
	s_mov_b64 s[36:37], s[24:25]
                                        ; implicit-def: $vgpr0
	s_branch .LBB14_808
.LBB14_805:
	s_andn2_saveexec_b64 s[38:39], s[38:39]
	s_cbranch_execz .LBB14_700
.LBB14_806:
	v_add_f32_e32 v2, 0x46000000, v3
	v_and_b32_e32 v2, 0xff, v2
	v_cmp_ne_u32_e32 vcc, 0, v2
	s_andn2_b64 s[36:37], s[36:37], exec
	s_and_b64 s[42:43], vcc, exec
	s_or_b64 s[36:37], s[36:37], s[42:43]
	s_or_b64 exec, exec, s[38:39]
	v_mov_b32_e32 v4, 0
	s_and_saveexec_b64 s[38:39], s[36:37]
	s_cbranch_execnz .LBB14_701
	s_branch .LBB14_702
.LBB14_807:
	s_mov_b64 s[36:37], -1
                                        ; implicit-def: $vgpr0
	s_mov_b64 s[0:1], 0
.LBB14_808:
	s_and_b64 vcc, exec, s[38:39]
	s_cbranch_vccz .LBB14_812
; %bb.809:
	s_cmp_eq_u32 s41, 44
	s_cbranch_scc0 .LBB14_811
; %bb.810:
	global_load_ubyte v0, v[2:3], off
	s_mov_b32 s0, 0x2f800000
	s_mov_b32 s1, 0xcf800000
	s_mov_b64 s[36:37], 0
	s_waitcnt vmcnt(0)
	v_lshlrev_b32_e32 v1, 23, v0
	v_trunc_f32_e32 v1, v1
	v_mul_f32_e64 v4, |v1|, s0
	v_floor_f32_e32 v4, v4
	v_fma_f32 v4, v4, s1, |v1|
	v_cvt_u32_f32_e32 v4, v4
	v_ashrrev_i32_e32 v1, 31, v1
	v_cmp_ne_u32_e32 vcc, 0, v0
	s_mov_b64 s[0:1], -1
	v_xor_b32_e32 v4, v4, v1
	v_sub_u32_e32 v1, v4, v1
	v_cndmask_b32_e32 v0, 0, v1, vcc
	s_branch .LBB14_812
.LBB14_811:
	s_mov_b64 s[36:37], -1
                                        ; implicit-def: $vgpr0
.LBB14_812:
	s_mov_b64 s[38:39], 0
.LBB14_813:
	s_and_b64 vcc, exec, s[38:39]
	s_cbranch_vccz .LBB14_817
; %bb.814:
	s_cmp_eq_u32 s41, 29
	s_cbranch_scc0 .LBB14_816
; %bb.815:
	global_load_dwordx2 v[0:1], v[2:3], off
	s_mov_b64 s[0:1], -1
	s_mov_b64 s[36:37], 0
	s_branch .LBB14_817
.LBB14_816:
	s_mov_b64 s[36:37], -1
                                        ; implicit-def: $vgpr0
.LBB14_817:
	s_mov_b64 s[38:39], 0
.LBB14_818:
	s_and_b64 vcc, exec, s[38:39]
	s_cbranch_vccz .LBB14_834
; %bb.819:
	s_cmp_lt_i32 s41, 27
	s_cbranch_scc1 .LBB14_822
; %bb.820:
	s_cmp_gt_i32 s41, 27
	s_cbranch_scc0 .LBB14_823
; %bb.821:
	global_load_dword v0, v[2:3], off
	s_mov_b64 s[0:1], 0
	s_branch .LBB14_824
.LBB14_822:
	s_mov_b64 s[0:1], -1
                                        ; implicit-def: $vgpr0
	s_branch .LBB14_827
.LBB14_823:
	s_mov_b64 s[0:1], -1
                                        ; implicit-def: $vgpr0
.LBB14_824:
	s_andn2_b64 vcc, exec, s[0:1]
	s_cbranch_vccnz .LBB14_826
; %bb.825:
	global_load_ushort v0, v[2:3], off
.LBB14_826:
	s_mov_b64 s[0:1], 0
.LBB14_827:
	s_andn2_b64 vcc, exec, s[0:1]
	s_cbranch_vccnz .LBB14_833
; %bb.828:
	global_load_ubyte v1, v[2:3], off
	s_movk_i32 s0, 0x7f
	s_mov_b64 s[38:39], 0
	s_waitcnt vmcnt(0)
	v_cmp_lt_i16_e32 vcc, s0, v1
	s_and_saveexec_b64 s[0:1], vcc
	s_xor_b64 s[0:1], exec, s[0:1]
	s_cbranch_execz .LBB14_845
; %bb.829:
	s_movk_i32 s38, 0x80
	v_cmp_ne_u16_e32 vcc, s38, v1
	s_and_b64 s[38:39], vcc, exec
	s_andn2_saveexec_b64 s[0:1], s[0:1]
	s_cbranch_execnz .LBB14_846
.LBB14_830:
	s_or_b64 exec, exec, s[0:1]
	v_mov_b32_e32 v0, 0
	s_and_saveexec_b64 s[0:1], s[38:39]
	s_cbranch_execz .LBB14_832
.LBB14_831:
	v_lshlrev_b32_e32 v0, 24, v1
	v_and_b32_e32 v1, 0xffff, v1
	v_and_b32_e32 v4, 7, v1
	v_ffbh_u32_e32 v7, v4
	v_min_u32_e32 v7, 32, v7
	v_subrev_u32_e32 v8, 28, v7
	v_bfe_u32 v6, v1, 3, 4
	v_lshlrev_b32_e32 v1, v8, v1
	v_sub_u32_e32 v7, 29, v7
	v_and_b32_e32 v1, 7, v1
	v_cmp_eq_u32_e32 vcc, 0, v6
	v_cndmask_b32_e32 v6, v6, v7, vcc
	v_cndmask_b32_e32 v1, v4, v1, vcc
	v_mov_b32_e32 v4, 0x3b800000
	v_lshlrev_b32_e32 v1, 20, v1
	v_and_b32_e32 v0, 0x80000000, v0
	v_lshl_add_u32 v4, v6, 23, v4
	v_or3_b32 v0, v0, v4, v1
	v_trunc_f32_e32 v0, v0
	s_mov_b32 s38, 0x2f800000
	v_mul_f32_e64 v1, |v0|, s38
	v_floor_f32_e32 v1, v1
	s_mov_b32 s38, 0xcf800000
	v_fma_f32 v1, v1, s38, |v0|
	v_cvt_u32_f32_e32 v1, v1
	v_ashrrev_i32_e32 v0, 31, v0
	v_xor_b32_e32 v1, v1, v0
	v_sub_u32_e32 v0, v1, v0
.LBB14_832:
	s_or_b64 exec, exec, s[0:1]
.LBB14_833:
	s_mov_b64 s[0:1], -1
.LBB14_834:
	s_mov_b64 s[38:39], 0
.LBB14_835:
	s_and_b64 vcc, exec, s[38:39]
	s_cbranch_vccz .LBB14_868
; %bb.836:
	s_cmp_gt_i32 s41, 22
	s_cbranch_scc0 .LBB14_844
; %bb.837:
	s_cmp_lt_i32 s41, 24
	s_cbranch_scc1 .LBB14_847
; %bb.838:
	s_cmp_gt_i32 s41, 24
	s_cbranch_scc0 .LBB14_848
; %bb.839:
	global_load_ubyte v1, v[2:3], off
	s_movk_i32 s0, 0x7f
	s_mov_b64 s[38:39], 0
	s_waitcnt vmcnt(0)
	v_cmp_lt_i16_e32 vcc, s0, v1
	s_and_saveexec_b64 s[0:1], vcc
	s_xor_b64 s[0:1], exec, s[0:1]
	s_cbranch_execz .LBB14_860
; %bb.840:
	s_movk_i32 s38, 0x80
	v_cmp_ne_u16_e32 vcc, s38, v1
	s_and_b64 s[38:39], vcc, exec
	s_andn2_saveexec_b64 s[0:1], s[0:1]
	s_cbranch_execnz .LBB14_861
.LBB14_841:
	s_or_b64 exec, exec, s[0:1]
	v_mov_b32_e32 v0, 0
	s_and_saveexec_b64 s[0:1], s[38:39]
	s_cbranch_execz .LBB14_843
.LBB14_842:
	v_lshlrev_b32_e32 v0, 24, v1
	v_and_b32_e32 v1, 0xffff, v1
	v_and_b32_e32 v4, 3, v1
	v_ffbh_u32_e32 v7, v4
	v_min_u32_e32 v7, 32, v7
	v_subrev_u32_e32 v8, 29, v7
	v_bfe_u32 v6, v1, 2, 5
	v_lshlrev_b32_e32 v1, v8, v1
	v_sub_u32_e32 v7, 30, v7
	v_and_b32_e32 v1, 3, v1
	v_cmp_eq_u32_e32 vcc, 0, v6
	v_cndmask_b32_e32 v6, v6, v7, vcc
	v_cndmask_b32_e32 v1, v4, v1, vcc
	v_mov_b32_e32 v4, 0x37800000
	v_lshlrev_b32_e32 v1, 21, v1
	v_and_b32_e32 v0, 0x80000000, v0
	v_lshl_add_u32 v4, v6, 23, v4
	v_or3_b32 v0, v0, v4, v1
	v_trunc_f32_e32 v0, v0
	s_mov_b32 s38, 0x2f800000
	v_mul_f32_e64 v1, |v0|, s38
	v_floor_f32_e32 v1, v1
	s_mov_b32 s38, 0xcf800000
	v_fma_f32 v1, v1, s38, |v0|
	v_cvt_u32_f32_e32 v1, v1
	v_ashrrev_i32_e32 v0, 31, v0
	v_xor_b32_e32 v1, v1, v0
	v_sub_u32_e32 v0, v1, v0
.LBB14_843:
	s_or_b64 exec, exec, s[0:1]
	s_mov_b64 s[0:1], 0
	s_branch .LBB14_849
.LBB14_844:
	s_mov_b64 s[38:39], -1
                                        ; implicit-def: $vgpr0
	s_branch .LBB14_855
.LBB14_845:
	s_andn2_saveexec_b64 s[0:1], s[0:1]
	s_cbranch_execz .LBB14_830
.LBB14_846:
	v_cmp_ne_u16_e32 vcc, 0, v1
	s_andn2_b64 s[38:39], s[38:39], exec
	s_and_b64 s[42:43], vcc, exec
	s_or_b64 s[38:39], s[38:39], s[42:43]
	s_or_b64 exec, exec, s[0:1]
	v_mov_b32_e32 v0, 0
	s_and_saveexec_b64 s[0:1], s[38:39]
	s_cbranch_execnz .LBB14_831
	s_branch .LBB14_832
.LBB14_847:
	s_mov_b64 s[0:1], -1
                                        ; implicit-def: $vgpr0
	s_branch .LBB14_852
.LBB14_848:
	s_mov_b64 s[0:1], -1
                                        ; implicit-def: $vgpr0
.LBB14_849:
	s_and_b64 vcc, exec, s[0:1]
	s_cbranch_vccz .LBB14_851
; %bb.850:
	global_load_ubyte v0, v[2:3], off
	s_mov_b32 s0, 0x7f800000
	s_brev_b32 s1, 1
	s_mov_b32 s38, 0x2f800000
	s_waitcnt vmcnt(0)
	v_lshlrev_b32_e32 v0, 24, v0
	v_and_b32_e32 v1, 0x7f000000, v0
	v_ffbh_u32_e32 v4, v1
	v_min_u32_e32 v4, 32, v4
	v_sub_u32_e64 v4, v4, 4 clamp
	v_lshlrev_b32_e32 v7, v4, v1
	v_lshlrev_b32_e32 v4, 23, v4
	v_lshrrev_b32_e32 v7, 4, v7
	v_add_u32_e32 v6, 0x1000000, v1
	v_sub_u32_e32 v4, v7, v4
	v_ashrrev_i32_e32 v6, 8, v6
	v_add_u32_e32 v4, 0x3c000000, v4
	v_and_or_b32 v4, v6, s0, v4
	v_cmp_ne_u32_e32 vcc, 0, v1
	v_cndmask_b32_e32 v1, 0, v4, vcc
	v_and_or_b32 v0, v0, s1, v1
	v_trunc_f32_e32 v0, v0
	v_mul_f32_e64 v1, |v0|, s38
	v_floor_f32_e32 v1, v1
	s_mov_b32 s0, 0xcf800000
	v_fma_f32 v1, v1, s0, |v0|
	v_cvt_u32_f32_e32 v1, v1
	v_ashrrev_i32_e32 v0, 31, v0
	v_xor_b32_e32 v1, v1, v0
	v_sub_u32_e32 v0, v1, v0
.LBB14_851:
	s_mov_b64 s[0:1], 0
.LBB14_852:
	s_andn2_b64 vcc, exec, s[0:1]
	s_cbranch_vccnz .LBB14_854
; %bb.853:
	global_load_ubyte v0, v[2:3], off
	s_movk_i32 s0, 0x7f00
	s_brev_b32 s1, 16
	s_brev_b32 s38, 1
	s_mov_b32 s39, 0x2f800000
	s_waitcnt vmcnt(0)
	v_lshlrev_b16_e32 v1, 8, v0
	v_lshlrev_b32_e32 v0, 25, v0
	v_lshrrev_b32_e32 v4, 4, v0
	v_and_or_b32 v6, v1, s0, 0.5
	v_or_b32_e32 v4, 0x70000000, v4
	v_add_f32_e32 v6, -0.5, v6
	v_mul_f32_e32 v4, 0x7800000, v4
	v_cmp_gt_u32_e32 vcc, s1, v0
	v_bfe_i32 v1, v1, 0, 16
	v_cndmask_b32_e32 v0, v4, v6, vcc
	v_and_or_b32 v0, v1, s38, v0
	v_trunc_f32_e32 v0, v0
	v_mul_f32_e64 v1, |v0|, s39
	v_floor_f32_e32 v1, v1
	s_mov_b32 s0, 0xcf800000
	v_fma_f32 v1, v1, s0, |v0|
	v_cvt_u32_f32_e32 v1, v1
	v_ashrrev_i32_e32 v0, 31, v0
	v_xor_b32_e32 v1, v1, v0
	v_sub_u32_e32 v0, v1, v0
.LBB14_854:
	s_mov_b64 s[38:39], 0
	s_mov_b64 s[0:1], -1
.LBB14_855:
	s_andn2_b64 vcc, exec, s[38:39]
	s_cbranch_vccnz .LBB14_868
; %bb.856:
	s_cmp_gt_i32 s41, 14
	s_cbranch_scc0 .LBB14_859
; %bb.857:
	s_cmp_eq_u32 s41, 15
	s_cbranch_scc0 .LBB14_862
; %bb.858:
	global_load_ushort v0, v[2:3], off
	s_mov_b32 s0, 0x2f800000
	s_mov_b32 s1, 0xcf800000
	s_mov_b64 s[36:37], 0
	s_waitcnt vmcnt(0)
	v_lshlrev_b32_e32 v0, 16, v0
	v_trunc_f32_e32 v0, v0
	v_mul_f32_e64 v1, |v0|, s0
	v_floor_f32_e32 v1, v1
	v_fma_f32 v1, v1, s1, |v0|
	v_cvt_u32_f32_e32 v1, v1
	v_ashrrev_i32_e32 v0, 31, v0
	s_mov_b64 s[0:1], -1
	v_xor_b32_e32 v1, v1, v0
	v_sub_u32_e32 v0, v1, v0
	s_branch .LBB14_863
.LBB14_859:
	s_mov_b64 s[38:39], -1
                                        ; implicit-def: $vgpr0
	s_branch .LBB14_864
.LBB14_860:
	s_andn2_saveexec_b64 s[0:1], s[0:1]
	s_cbranch_execz .LBB14_841
.LBB14_861:
	v_cmp_ne_u16_e32 vcc, 0, v1
	s_andn2_b64 s[38:39], s[38:39], exec
	s_and_b64 s[42:43], vcc, exec
	s_or_b64 s[38:39], s[38:39], s[42:43]
	s_or_b64 exec, exec, s[0:1]
	v_mov_b32_e32 v0, 0
	s_and_saveexec_b64 s[0:1], s[38:39]
	s_cbranch_execnz .LBB14_842
	s_branch .LBB14_843
.LBB14_862:
	s_mov_b64 s[36:37], -1
                                        ; implicit-def: $vgpr0
.LBB14_863:
	s_mov_b64 s[38:39], 0
.LBB14_864:
	s_and_b64 vcc, exec, s[38:39]
	s_cbranch_vccz .LBB14_868
; %bb.865:
	s_cmp_eq_u32 s41, 11
	s_cbranch_scc0 .LBB14_867
; %bb.866:
	global_load_ubyte v0, v[2:3], off
	s_mov_b64 s[0:1], -1
	s_mov_b64 s[36:37], 0
	s_waitcnt vmcnt(0)
	v_cmp_ne_u16_e32 vcc, 0, v0
	v_cndmask_b32_e64 v0, 0, 1, vcc
	s_branch .LBB14_868
.LBB14_867:
	s_mov_b64 s[36:37], -1
                                        ; implicit-def: $vgpr0
.LBB14_868:
	s_mov_b64 s[38:39], 0
.LBB14_869:
	s_and_b64 vcc, exec, s[38:39]
	s_cbranch_vccz .LBB14_918
; %bb.870:
	s_and_b32 s38, 0xffff, s40
	s_cmp_lt_i32 s38, 5
	s_cbranch_scc1 .LBB14_875
; %bb.871:
	s_cmp_lt_i32 s38, 8
	s_cbranch_scc1 .LBB14_876
; %bb.872:
	;; [unrolled: 3-line block ×3, first 2 shown]
	s_cmp_gt_i32 s38, 9
	s_cbranch_scc0 .LBB14_878
; %bb.874:
	global_load_dwordx2 v[0:1], v[2:3], off
	s_movk_i32 s0, 0xffe0
	s_waitcnt vmcnt(0)
	v_trunc_f64_e32 v[0:1], v[0:1]
	v_ldexp_f64 v[6:7], v[0:1], s0
	s_mov_b32 s0, 0
	s_mov_b32 s1, 0xc1f00000
	v_floor_f64_e32 v[6:7], v[6:7]
	v_fma_f64 v[0:1], v[6:7], s[0:1], v[0:1]
	s_mov_b64 s[0:1], 0
	v_cvt_u32_f64_e32 v0, v[0:1]
	s_branch .LBB14_879
.LBB14_875:
	s_mov_b64 s[0:1], -1
                                        ; implicit-def: $vgpr0
	s_branch .LBB14_897
.LBB14_876:
	s_mov_b64 s[0:1], -1
                                        ; implicit-def: $vgpr0
	s_branch .LBB14_885
.LBB14_877:
	s_mov_b64 s[0:1], -1
                                        ; implicit-def: $vgpr0
	s_branch .LBB14_882
.LBB14_878:
	s_mov_b64 s[0:1], -1
                                        ; implicit-def: $vgpr0
.LBB14_879:
	s_andn2_b64 vcc, exec, s[0:1]
	s_cbranch_vccnz .LBB14_881
; %bb.880:
	global_load_dword v0, v[2:3], off
	s_mov_b32 s0, 0x2f800000
	s_waitcnt vmcnt(0)
	v_trunc_f32_e32 v0, v0
	v_mul_f32_e64 v1, |v0|, s0
	v_floor_f32_e32 v1, v1
	s_mov_b32 s0, 0xcf800000
	v_fma_f32 v1, v1, s0, |v0|
	v_cvt_u32_f32_e32 v1, v1
	v_ashrrev_i32_e32 v0, 31, v0
	v_xor_b32_e32 v1, v1, v0
	v_sub_u32_e32 v0, v1, v0
.LBB14_881:
	s_mov_b64 s[0:1], 0
.LBB14_882:
	s_andn2_b64 vcc, exec, s[0:1]
	s_cbranch_vccnz .LBB14_884
; %bb.883:
	global_load_dword v0, v[2:3], off
	s_waitcnt vmcnt(0)
	v_cvt_f32_f16_e32 v0, v0
	v_cvt_i32_f32_e32 v0, v0
.LBB14_884:
	s_mov_b64 s[0:1], 0
.LBB14_885:
	s_andn2_b64 vcc, exec, s[0:1]
	s_cbranch_vccnz .LBB14_896
; %bb.886:
	s_cmp_lt_i32 s38, 6
	s_cbranch_scc1 .LBB14_889
; %bb.887:
	s_cmp_gt_i32 s38, 6
	s_cbranch_scc0 .LBB14_890
; %bb.888:
	global_load_dwordx2 v[0:1], v[2:3], off
	s_movk_i32 s0, 0xffe0
	s_waitcnt vmcnt(0)
	v_trunc_f64_e32 v[0:1], v[0:1]
	v_ldexp_f64 v[6:7], v[0:1], s0
	s_mov_b32 s0, 0
	s_mov_b32 s1, 0xc1f00000
	v_floor_f64_e32 v[6:7], v[6:7]
	v_fma_f64 v[0:1], v[6:7], s[0:1], v[0:1]
	s_mov_b64 s[0:1], 0
	v_cvt_u32_f64_e32 v0, v[0:1]
	s_branch .LBB14_891
.LBB14_889:
	s_mov_b64 s[0:1], -1
                                        ; implicit-def: $vgpr0
	s_branch .LBB14_894
.LBB14_890:
	s_mov_b64 s[0:1], -1
                                        ; implicit-def: $vgpr0
.LBB14_891:
	s_andn2_b64 vcc, exec, s[0:1]
	s_cbranch_vccnz .LBB14_893
; %bb.892:
	global_load_dword v0, v[2:3], off
	s_mov_b32 s0, 0x2f800000
	s_waitcnt vmcnt(0)
	v_trunc_f32_e32 v0, v0
	v_mul_f32_e64 v1, |v0|, s0
	v_floor_f32_e32 v1, v1
	s_mov_b32 s0, 0xcf800000
	v_fma_f32 v1, v1, s0, |v0|
	v_cvt_u32_f32_e32 v1, v1
	v_ashrrev_i32_e32 v0, 31, v0
	v_xor_b32_e32 v1, v1, v0
	v_sub_u32_e32 v0, v1, v0
.LBB14_893:
	s_mov_b64 s[0:1], 0
.LBB14_894:
	s_andn2_b64 vcc, exec, s[0:1]
	s_cbranch_vccnz .LBB14_896
; %bb.895:
	global_load_ushort v0, v[2:3], off
	s_waitcnt vmcnt(0)
	v_cvt_f32_f16_e32 v0, v0
	v_cvt_i32_f32_e32 v0, v0
.LBB14_896:
	s_mov_b64 s[0:1], 0
.LBB14_897:
	s_andn2_b64 vcc, exec, s[0:1]
	s_cbranch_vccnz .LBB14_917
; %bb.898:
	s_cmp_lt_i32 s38, 2
	s_cbranch_scc1 .LBB14_902
; %bb.899:
	s_cmp_lt_i32 s38, 3
	s_cbranch_scc1 .LBB14_903
; %bb.900:
	s_cmp_gt_i32 s38, 3
	s_cbranch_scc0 .LBB14_904
; %bb.901:
	global_load_dwordx2 v[0:1], v[2:3], off
	s_mov_b64 s[0:1], 0
	s_branch .LBB14_905
.LBB14_902:
	s_mov_b64 s[0:1], -1
                                        ; implicit-def: $vgpr0
	s_branch .LBB14_911
.LBB14_903:
	s_mov_b64 s[0:1], -1
                                        ; implicit-def: $vgpr0
	s_branch .LBB14_908
.LBB14_904:
	s_mov_b64 s[0:1], -1
                                        ; implicit-def: $vgpr0
.LBB14_905:
	s_andn2_b64 vcc, exec, s[0:1]
	s_cbranch_vccnz .LBB14_907
; %bb.906:
	global_load_dword v0, v[2:3], off
.LBB14_907:
	s_mov_b64 s[0:1], 0
.LBB14_908:
	s_andn2_b64 vcc, exec, s[0:1]
	s_cbranch_vccnz .LBB14_910
; %bb.909:
	global_load_ushort v0, v[2:3], off
.LBB14_910:
	s_mov_b64 s[0:1], 0
.LBB14_911:
	s_andn2_b64 vcc, exec, s[0:1]
	s_cbranch_vccnz .LBB14_917
; %bb.912:
	s_cmp_gt_i32 s38, 0
	s_cbranch_scc0 .LBB14_914
; %bb.913:
	global_load_ubyte v0, v[2:3], off
	s_mov_b64 s[0:1], 0
	s_branch .LBB14_915
.LBB14_914:
	s_mov_b64 s[0:1], -1
                                        ; implicit-def: $vgpr0
.LBB14_915:
	s_andn2_b64 vcc, exec, s[0:1]
	s_cbranch_vccnz .LBB14_917
; %bb.916:
	global_load_ubyte v0, v[2:3], off
.LBB14_917:
	s_mov_b64 s[0:1], -1
.LBB14_918:
	s_andn2_b64 vcc, exec, s[0:1]
	s_cbranch_vccnz .LBB14_926
; %bb.919:
	s_waitcnt vmcnt(0)
	v_mul_lo_u32 v1, v5, s14
	v_mov_b32_e32 v2, s3
	s_and_b32 s42, s54, 0xff
	s_cmp_lt_i32 s42, 11
	v_ashrrev_i32_e32 v3, 31, v1
	v_add_co_u32_e32 v1, vcc, s2, v1
	v_addc_co_u32_e32 v2, vcc, v2, v3, vcc
	s_cbranch_scc1 .LBB14_928
; %bb.920:
	s_and_b32 s43, 0xffff, s42
	s_cmp_gt_i32 s43, 25
	s_cbranch_scc0 .LBB14_929
; %bb.921:
	s_cmp_gt_i32 s43, 28
	s_cbranch_scc0 .LBB14_930
; %bb.922:
	;; [unrolled: 3-line block ×4, first 2 shown]
	s_cmp_eq_u32 s43, 46
	s_mov_b64 s[40:41], 0
	s_cbranch_scc0 .LBB14_935
; %bb.925:
	global_load_dword v3, v[1:2], off
	s_mov_b32 s0, 0x2f800000
	s_mov_b32 s1, 0xcf800000
	s_mov_b64 s[38:39], 0
	s_waitcnt vmcnt(0)
	v_lshlrev_b32_e32 v3, 16, v3
	v_trunc_f32_e32 v3, v3
	v_mul_f32_e64 v4, |v3|, s0
	v_floor_f32_e32 v4, v4
	v_fma_f32 v4, v4, s1, |v3|
	v_cvt_u32_f32_e32 v4, v4
	v_ashrrev_i32_e32 v3, 31, v3
	s_mov_b64 s[0:1], -1
	v_xor_b32_e32 v4, v4, v3
	v_sub_u32_e32 v3, v4, v3
	s_branch .LBB14_936
.LBB14_926:
	s_mov_b64 s[42:43], 0
	s_mov_b64 s[0:1], s[28:29]
	;; [unrolled: 1-line block ×3, first 2 shown]
.LBB14_927:
                                        ; implicit-def: $vgpr5
	s_branch .LBB14_1187
.LBB14_928:
	s_mov_b64 s[40:41], -1
	s_mov_b64 s[0:1], 0
                                        ; implicit-def: $vgpr3
	s_mov_b64 s[38:39], s[26:27]
	s_branch .LBB14_997
.LBB14_929:
	s_mov_b64 s[40:41], -1
	s_mov_b64 s[0:1], 0
	s_mov_b64 s[38:39], s[26:27]
                                        ; implicit-def: $vgpr3
	s_branch .LBB14_963
.LBB14_930:
	s_mov_b64 s[40:41], -1
	s_mov_b64 s[0:1], 0
	s_mov_b64 s[38:39], s[26:27]
                                        ; implicit-def: $vgpr3
	s_branch .LBB14_946
.LBB14_931:
	s_mov_b64 s[40:41], -1
	s_mov_b64 s[0:1], 0
	s_mov_b64 s[38:39], s[26:27]
                                        ; implicit-def: $vgpr3
	s_branch .LBB14_941
.LBB14_932:
	s_mov_b64 s[40:41], -1
	s_mov_b64 s[0:1], 0
	s_mov_b64 s[38:39], s[26:27]
                                        ; implicit-def: $vgpr3
	s_branch .LBB14_936
.LBB14_933:
	s_andn2_saveexec_b64 s[38:39], s[38:39]
	s_cbranch_execz .LBB14_713
.LBB14_934:
	v_add_f32_e32 v2, 0x42800000, v3
	v_and_b32_e32 v2, 0xff, v2
	v_cmp_ne_u32_e32 vcc, 0, v2
	s_andn2_b64 s[36:37], s[36:37], exec
	s_and_b64 s[42:43], vcc, exec
	s_or_b64 s[36:37], s[36:37], s[42:43]
	s_or_b64 exec, exec, s[38:39]
	v_mov_b32_e32 v4, 0
	s_and_saveexec_b64 s[38:39], s[36:37]
	s_cbranch_execnz .LBB14_714
	s_branch .LBB14_715
.LBB14_935:
	s_mov_b64 s[38:39], -1
                                        ; implicit-def: $vgpr3
	s_mov_b64 s[0:1], 0
.LBB14_936:
	s_and_b64 vcc, exec, s[40:41]
	s_cbranch_vccz .LBB14_940
; %bb.937:
	s_cmp_eq_u32 s43, 44
	s_cbranch_scc0 .LBB14_939
; %bb.938:
	global_load_ubyte v3, v[1:2], off
	s_mov_b32 s0, 0x2f800000
	s_mov_b32 s1, 0xcf800000
	s_mov_b64 s[38:39], 0
	s_waitcnt vmcnt(0)
	v_lshlrev_b32_e32 v4, 23, v3
	v_trunc_f32_e32 v4, v4
	v_mul_f32_e64 v6, |v4|, s0
	v_floor_f32_e32 v6, v6
	v_fma_f32 v6, v6, s1, |v4|
	v_cvt_u32_f32_e32 v6, v6
	v_ashrrev_i32_e32 v4, 31, v4
	v_cmp_ne_u32_e32 vcc, 0, v3
	s_mov_b64 s[0:1], -1
	v_xor_b32_e32 v6, v6, v4
	v_sub_u32_e32 v4, v6, v4
	v_cndmask_b32_e32 v3, 0, v4, vcc
	s_branch .LBB14_940
.LBB14_939:
	s_mov_b64 s[38:39], -1
                                        ; implicit-def: $vgpr3
.LBB14_940:
	s_mov_b64 s[40:41], 0
.LBB14_941:
	s_and_b64 vcc, exec, s[40:41]
	s_cbranch_vccz .LBB14_945
; %bb.942:
	s_cmp_eq_u32 s43, 29
	s_cbranch_scc0 .LBB14_944
; %bb.943:
	global_load_dwordx2 v[3:4], v[1:2], off
	s_mov_b64 s[0:1], -1
	s_mov_b64 s[38:39], 0
	s_branch .LBB14_945
.LBB14_944:
	s_mov_b64 s[38:39], -1
                                        ; implicit-def: $vgpr3
.LBB14_945:
	s_mov_b64 s[40:41], 0
.LBB14_946:
	s_and_b64 vcc, exec, s[40:41]
	s_cbranch_vccz .LBB14_962
; %bb.947:
	s_cmp_lt_i32 s43, 27
	s_cbranch_scc1 .LBB14_950
; %bb.948:
	s_cmp_gt_i32 s43, 27
	s_cbranch_scc0 .LBB14_951
; %bb.949:
	global_load_dword v3, v[1:2], off
	s_mov_b64 s[0:1], 0
	s_branch .LBB14_952
.LBB14_950:
	s_mov_b64 s[0:1], -1
                                        ; implicit-def: $vgpr3
	s_branch .LBB14_955
.LBB14_951:
	s_mov_b64 s[0:1], -1
                                        ; implicit-def: $vgpr3
.LBB14_952:
	s_andn2_b64 vcc, exec, s[0:1]
	s_cbranch_vccnz .LBB14_954
; %bb.953:
	global_load_ushort v3, v[1:2], off
.LBB14_954:
	s_mov_b64 s[0:1], 0
.LBB14_955:
	s_andn2_b64 vcc, exec, s[0:1]
	s_cbranch_vccnz .LBB14_961
; %bb.956:
	global_load_ubyte v4, v[1:2], off
	s_movk_i32 s0, 0x7f
	s_mov_b64 s[40:41], 0
	s_waitcnt vmcnt(0)
	v_cmp_lt_i16_e32 vcc, s0, v4
	s_and_saveexec_b64 s[0:1], vcc
	s_xor_b64 s[0:1], exec, s[0:1]
	s_cbranch_execz .LBB14_973
; %bb.957:
	s_movk_i32 s40, 0x80
	v_cmp_ne_u16_e32 vcc, s40, v4
	s_and_b64 s[40:41], vcc, exec
	s_andn2_saveexec_b64 s[0:1], s[0:1]
	s_cbranch_execnz .LBB14_974
.LBB14_958:
	s_or_b64 exec, exec, s[0:1]
	v_mov_b32_e32 v3, 0
	s_and_saveexec_b64 s[0:1], s[40:41]
	s_cbranch_execz .LBB14_960
.LBB14_959:
	v_lshlrev_b32_e32 v3, 24, v4
	v_and_b32_e32 v4, 0xffff, v4
	v_and_b32_e32 v6, 7, v4
	v_ffbh_u32_e32 v8, v6
	v_min_u32_e32 v8, 32, v8
	v_subrev_u32_e32 v9, 28, v8
	v_bfe_u32 v7, v4, 3, 4
	v_lshlrev_b32_e32 v4, v9, v4
	v_sub_u32_e32 v8, 29, v8
	v_and_b32_e32 v4, 7, v4
	v_cmp_eq_u32_e32 vcc, 0, v7
	v_cndmask_b32_e32 v7, v7, v8, vcc
	v_cndmask_b32_e32 v4, v6, v4, vcc
	v_mov_b32_e32 v6, 0x3b800000
	v_lshlrev_b32_e32 v4, 20, v4
	v_and_b32_e32 v3, 0x80000000, v3
	v_lshl_add_u32 v6, v7, 23, v6
	v_or3_b32 v3, v3, v6, v4
	v_trunc_f32_e32 v3, v3
	s_mov_b32 s40, 0x2f800000
	v_mul_f32_e64 v4, |v3|, s40
	v_floor_f32_e32 v4, v4
	s_mov_b32 s40, 0xcf800000
	v_fma_f32 v4, v4, s40, |v3|
	v_cvt_u32_f32_e32 v4, v4
	v_ashrrev_i32_e32 v3, 31, v3
	v_xor_b32_e32 v4, v4, v3
	v_sub_u32_e32 v3, v4, v3
.LBB14_960:
	s_or_b64 exec, exec, s[0:1]
.LBB14_961:
	s_mov_b64 s[0:1], -1
.LBB14_962:
	s_mov_b64 s[40:41], 0
.LBB14_963:
	s_and_b64 vcc, exec, s[40:41]
	s_cbranch_vccz .LBB14_996
; %bb.964:
	s_cmp_gt_i32 s43, 22
	s_cbranch_scc0 .LBB14_972
; %bb.965:
	s_cmp_lt_i32 s43, 24
	s_cbranch_scc1 .LBB14_975
; %bb.966:
	s_cmp_gt_i32 s43, 24
	s_cbranch_scc0 .LBB14_976
; %bb.967:
	global_load_ubyte v4, v[1:2], off
	s_movk_i32 s0, 0x7f
	s_mov_b64 s[40:41], 0
	s_waitcnt vmcnt(0)
	v_cmp_lt_i16_e32 vcc, s0, v4
	s_and_saveexec_b64 s[0:1], vcc
	s_xor_b64 s[0:1], exec, s[0:1]
	s_cbranch_execz .LBB14_988
; %bb.968:
	s_movk_i32 s40, 0x80
	v_cmp_ne_u16_e32 vcc, s40, v4
	s_and_b64 s[40:41], vcc, exec
	s_andn2_saveexec_b64 s[0:1], s[0:1]
	s_cbranch_execnz .LBB14_989
.LBB14_969:
	s_or_b64 exec, exec, s[0:1]
	v_mov_b32_e32 v3, 0
	s_and_saveexec_b64 s[0:1], s[40:41]
	s_cbranch_execz .LBB14_971
.LBB14_970:
	v_lshlrev_b32_e32 v3, 24, v4
	v_and_b32_e32 v4, 0xffff, v4
	v_and_b32_e32 v6, 3, v4
	v_ffbh_u32_e32 v8, v6
	v_min_u32_e32 v8, 32, v8
	v_subrev_u32_e32 v9, 29, v8
	v_bfe_u32 v7, v4, 2, 5
	v_lshlrev_b32_e32 v4, v9, v4
	v_sub_u32_e32 v8, 30, v8
	v_and_b32_e32 v4, 3, v4
	v_cmp_eq_u32_e32 vcc, 0, v7
	v_cndmask_b32_e32 v7, v7, v8, vcc
	v_cndmask_b32_e32 v4, v6, v4, vcc
	v_mov_b32_e32 v6, 0x37800000
	v_lshlrev_b32_e32 v4, 21, v4
	v_and_b32_e32 v3, 0x80000000, v3
	v_lshl_add_u32 v6, v7, 23, v6
	v_or3_b32 v3, v3, v6, v4
	v_trunc_f32_e32 v3, v3
	s_mov_b32 s40, 0x2f800000
	v_mul_f32_e64 v4, |v3|, s40
	v_floor_f32_e32 v4, v4
	s_mov_b32 s40, 0xcf800000
	v_fma_f32 v4, v4, s40, |v3|
	v_cvt_u32_f32_e32 v4, v4
	v_ashrrev_i32_e32 v3, 31, v3
	v_xor_b32_e32 v4, v4, v3
	v_sub_u32_e32 v3, v4, v3
.LBB14_971:
	s_or_b64 exec, exec, s[0:1]
	s_mov_b64 s[0:1], 0
	s_branch .LBB14_977
.LBB14_972:
	s_mov_b64 s[40:41], -1
                                        ; implicit-def: $vgpr3
	s_branch .LBB14_983
.LBB14_973:
	s_andn2_saveexec_b64 s[0:1], s[0:1]
	s_cbranch_execz .LBB14_958
.LBB14_974:
	v_cmp_ne_u16_e32 vcc, 0, v4
	s_andn2_b64 s[40:41], s[40:41], exec
	s_and_b64 s[44:45], vcc, exec
	s_or_b64 s[40:41], s[40:41], s[44:45]
	s_or_b64 exec, exec, s[0:1]
	v_mov_b32_e32 v3, 0
	s_and_saveexec_b64 s[0:1], s[40:41]
	s_cbranch_execnz .LBB14_959
	s_branch .LBB14_960
.LBB14_975:
	s_mov_b64 s[0:1], -1
                                        ; implicit-def: $vgpr3
	s_branch .LBB14_980
.LBB14_976:
	s_mov_b64 s[0:1], -1
                                        ; implicit-def: $vgpr3
.LBB14_977:
	s_and_b64 vcc, exec, s[0:1]
	s_cbranch_vccz .LBB14_979
; %bb.978:
	global_load_ubyte v3, v[1:2], off
	s_mov_b32 s0, 0x7f800000
	s_brev_b32 s1, 1
	s_mov_b32 s40, 0x2f800000
	s_waitcnt vmcnt(0)
	v_lshlrev_b32_e32 v3, 24, v3
	v_and_b32_e32 v4, 0x7f000000, v3
	v_ffbh_u32_e32 v6, v4
	v_min_u32_e32 v6, 32, v6
	v_sub_u32_e64 v6, v6, 4 clamp
	v_lshlrev_b32_e32 v8, v6, v4
	v_lshlrev_b32_e32 v6, 23, v6
	v_lshrrev_b32_e32 v8, 4, v8
	v_add_u32_e32 v7, 0x1000000, v4
	v_sub_u32_e32 v6, v8, v6
	v_ashrrev_i32_e32 v7, 8, v7
	v_add_u32_e32 v6, 0x3c000000, v6
	v_and_or_b32 v6, v7, s0, v6
	v_cmp_ne_u32_e32 vcc, 0, v4
	v_cndmask_b32_e32 v4, 0, v6, vcc
	v_and_or_b32 v3, v3, s1, v4
	v_trunc_f32_e32 v3, v3
	v_mul_f32_e64 v4, |v3|, s40
	v_floor_f32_e32 v4, v4
	s_mov_b32 s0, 0xcf800000
	v_fma_f32 v4, v4, s0, |v3|
	v_cvt_u32_f32_e32 v4, v4
	v_ashrrev_i32_e32 v3, 31, v3
	v_xor_b32_e32 v4, v4, v3
	v_sub_u32_e32 v3, v4, v3
.LBB14_979:
	s_mov_b64 s[0:1], 0
.LBB14_980:
	s_andn2_b64 vcc, exec, s[0:1]
	s_cbranch_vccnz .LBB14_982
; %bb.981:
	global_load_ubyte v3, v[1:2], off
	s_movk_i32 s0, 0x7f00
	s_brev_b32 s1, 16
	s_brev_b32 s40, 1
	s_mov_b32 s41, 0x2f800000
	s_waitcnt vmcnt(0)
	v_lshlrev_b16_e32 v4, 8, v3
	v_lshlrev_b32_e32 v3, 25, v3
	v_lshrrev_b32_e32 v6, 4, v3
	v_and_or_b32 v7, v4, s0, 0.5
	v_or_b32_e32 v6, 0x70000000, v6
	v_add_f32_e32 v7, -0.5, v7
	v_mul_f32_e32 v6, 0x7800000, v6
	v_cmp_gt_u32_e32 vcc, s1, v3
	v_bfe_i32 v4, v4, 0, 16
	v_cndmask_b32_e32 v3, v6, v7, vcc
	v_and_or_b32 v3, v4, s40, v3
	v_trunc_f32_e32 v3, v3
	v_mul_f32_e64 v4, |v3|, s41
	v_floor_f32_e32 v4, v4
	s_mov_b32 s0, 0xcf800000
	v_fma_f32 v4, v4, s0, |v3|
	v_cvt_u32_f32_e32 v4, v4
	v_ashrrev_i32_e32 v3, 31, v3
	v_xor_b32_e32 v4, v4, v3
	v_sub_u32_e32 v3, v4, v3
.LBB14_982:
	s_mov_b64 s[40:41], 0
	s_mov_b64 s[0:1], -1
.LBB14_983:
	s_andn2_b64 vcc, exec, s[40:41]
	s_cbranch_vccnz .LBB14_996
; %bb.984:
	s_cmp_gt_i32 s43, 14
	s_cbranch_scc0 .LBB14_987
; %bb.985:
	s_cmp_eq_u32 s43, 15
	s_cbranch_scc0 .LBB14_990
; %bb.986:
	global_load_ushort v3, v[1:2], off
	s_mov_b32 s0, 0x2f800000
	s_mov_b32 s1, 0xcf800000
	s_mov_b64 s[38:39], 0
	s_waitcnt vmcnt(0)
	v_lshlrev_b32_e32 v3, 16, v3
	v_trunc_f32_e32 v3, v3
	v_mul_f32_e64 v4, |v3|, s0
	v_floor_f32_e32 v4, v4
	v_fma_f32 v4, v4, s1, |v3|
	v_cvt_u32_f32_e32 v4, v4
	v_ashrrev_i32_e32 v3, 31, v3
	s_mov_b64 s[0:1], -1
	v_xor_b32_e32 v4, v4, v3
	v_sub_u32_e32 v3, v4, v3
	s_branch .LBB14_991
.LBB14_987:
	s_mov_b64 s[40:41], -1
                                        ; implicit-def: $vgpr3
	s_branch .LBB14_992
.LBB14_988:
	s_andn2_saveexec_b64 s[0:1], s[0:1]
	s_cbranch_execz .LBB14_969
.LBB14_989:
	v_cmp_ne_u16_e32 vcc, 0, v4
	s_andn2_b64 s[40:41], s[40:41], exec
	s_and_b64 s[44:45], vcc, exec
	s_or_b64 s[40:41], s[40:41], s[44:45]
	s_or_b64 exec, exec, s[0:1]
	v_mov_b32_e32 v3, 0
	s_and_saveexec_b64 s[0:1], s[40:41]
	s_cbranch_execnz .LBB14_970
	s_branch .LBB14_971
.LBB14_990:
	s_mov_b64 s[38:39], -1
                                        ; implicit-def: $vgpr3
.LBB14_991:
	s_mov_b64 s[40:41], 0
.LBB14_992:
	s_and_b64 vcc, exec, s[40:41]
	s_cbranch_vccz .LBB14_996
; %bb.993:
	s_cmp_eq_u32 s43, 11
	s_cbranch_scc0 .LBB14_995
; %bb.994:
	global_load_ubyte v3, v[1:2], off
	s_mov_b64 s[0:1], -1
	s_mov_b64 s[38:39], 0
	s_waitcnt vmcnt(0)
	v_cmp_ne_u16_e32 vcc, 0, v3
	v_cndmask_b32_e64 v3, 0, 1, vcc
	s_branch .LBB14_996
.LBB14_995:
	s_mov_b64 s[38:39], -1
                                        ; implicit-def: $vgpr3
.LBB14_996:
	s_mov_b64 s[40:41], 0
.LBB14_997:
	s_and_b64 vcc, exec, s[40:41]
	s_cbranch_vccz .LBB14_1046
; %bb.998:
	s_and_b32 s40, 0xffff, s42
	s_cmp_lt_i32 s40, 5
	s_cbranch_scc1 .LBB14_1003
; %bb.999:
	s_cmp_lt_i32 s40, 8
	s_cbranch_scc1 .LBB14_1004
; %bb.1000:
	;; [unrolled: 3-line block ×3, first 2 shown]
	s_cmp_gt_i32 s40, 9
	s_cbranch_scc0 .LBB14_1006
; %bb.1002:
	global_load_dwordx2 v[3:4], v[1:2], off
	s_movk_i32 s0, 0xffe0
	s_waitcnt vmcnt(0)
	v_trunc_f64_e32 v[3:4], v[3:4]
	v_ldexp_f64 v[6:7], v[3:4], s0
	s_mov_b32 s0, 0
	s_mov_b32 s1, 0xc1f00000
	v_floor_f64_e32 v[6:7], v[6:7]
	v_fma_f64 v[3:4], v[6:7], s[0:1], v[3:4]
	s_mov_b64 s[0:1], 0
	v_cvt_u32_f64_e32 v3, v[3:4]
	s_branch .LBB14_1007
.LBB14_1003:
	s_mov_b64 s[0:1], -1
                                        ; implicit-def: $vgpr3
	s_branch .LBB14_1025
.LBB14_1004:
	s_mov_b64 s[0:1], -1
                                        ; implicit-def: $vgpr3
	s_branch .LBB14_1013
.LBB14_1005:
	s_mov_b64 s[0:1], -1
                                        ; implicit-def: $vgpr3
	s_branch .LBB14_1010
.LBB14_1006:
	s_mov_b64 s[0:1], -1
                                        ; implicit-def: $vgpr3
.LBB14_1007:
	s_andn2_b64 vcc, exec, s[0:1]
	s_cbranch_vccnz .LBB14_1009
; %bb.1008:
	global_load_dword v3, v[1:2], off
	s_mov_b32 s0, 0x2f800000
	s_waitcnt vmcnt(0)
	v_trunc_f32_e32 v3, v3
	v_mul_f32_e64 v4, |v3|, s0
	v_floor_f32_e32 v4, v4
	s_mov_b32 s0, 0xcf800000
	v_fma_f32 v4, v4, s0, |v3|
	v_cvt_u32_f32_e32 v4, v4
	v_ashrrev_i32_e32 v3, 31, v3
	v_xor_b32_e32 v4, v4, v3
	v_sub_u32_e32 v3, v4, v3
.LBB14_1009:
	s_mov_b64 s[0:1], 0
.LBB14_1010:
	s_andn2_b64 vcc, exec, s[0:1]
	s_cbranch_vccnz .LBB14_1012
; %bb.1011:
	global_load_dword v3, v[1:2], off
	s_waitcnt vmcnt(0)
	v_cvt_f32_f16_e32 v3, v3
	v_cvt_i32_f32_e32 v3, v3
.LBB14_1012:
	s_mov_b64 s[0:1], 0
.LBB14_1013:
	s_andn2_b64 vcc, exec, s[0:1]
	s_cbranch_vccnz .LBB14_1024
; %bb.1014:
	s_cmp_lt_i32 s40, 6
	s_cbranch_scc1 .LBB14_1017
; %bb.1015:
	s_cmp_gt_i32 s40, 6
	s_cbranch_scc0 .LBB14_1018
; %bb.1016:
	global_load_dwordx2 v[3:4], v[1:2], off
	s_movk_i32 s0, 0xffe0
	s_waitcnt vmcnt(0)
	v_trunc_f64_e32 v[3:4], v[3:4]
	v_ldexp_f64 v[6:7], v[3:4], s0
	s_mov_b32 s0, 0
	s_mov_b32 s1, 0xc1f00000
	v_floor_f64_e32 v[6:7], v[6:7]
	v_fma_f64 v[3:4], v[6:7], s[0:1], v[3:4]
	s_mov_b64 s[0:1], 0
	v_cvt_u32_f64_e32 v3, v[3:4]
	s_branch .LBB14_1019
.LBB14_1017:
	s_mov_b64 s[0:1], -1
                                        ; implicit-def: $vgpr3
	s_branch .LBB14_1022
.LBB14_1018:
	s_mov_b64 s[0:1], -1
                                        ; implicit-def: $vgpr3
.LBB14_1019:
	s_andn2_b64 vcc, exec, s[0:1]
	s_cbranch_vccnz .LBB14_1021
; %bb.1020:
	global_load_dword v3, v[1:2], off
	s_mov_b32 s0, 0x2f800000
	s_waitcnt vmcnt(0)
	v_trunc_f32_e32 v3, v3
	v_mul_f32_e64 v4, |v3|, s0
	v_floor_f32_e32 v4, v4
	s_mov_b32 s0, 0xcf800000
	v_fma_f32 v4, v4, s0, |v3|
	v_cvt_u32_f32_e32 v4, v4
	v_ashrrev_i32_e32 v3, 31, v3
	v_xor_b32_e32 v4, v4, v3
	v_sub_u32_e32 v3, v4, v3
.LBB14_1021:
	s_mov_b64 s[0:1], 0
.LBB14_1022:
	s_andn2_b64 vcc, exec, s[0:1]
	s_cbranch_vccnz .LBB14_1024
; %bb.1023:
	global_load_ushort v3, v[1:2], off
	s_waitcnt vmcnt(0)
	v_cvt_f32_f16_e32 v3, v3
	v_cvt_i32_f32_e32 v3, v3
.LBB14_1024:
	s_mov_b64 s[0:1], 0
.LBB14_1025:
	s_andn2_b64 vcc, exec, s[0:1]
	s_cbranch_vccnz .LBB14_1045
; %bb.1026:
	s_cmp_lt_i32 s40, 2
	s_cbranch_scc1 .LBB14_1030
; %bb.1027:
	s_cmp_lt_i32 s40, 3
	s_cbranch_scc1 .LBB14_1031
; %bb.1028:
	s_cmp_gt_i32 s40, 3
	s_cbranch_scc0 .LBB14_1032
; %bb.1029:
	global_load_dwordx2 v[3:4], v[1:2], off
	s_mov_b64 s[0:1], 0
	s_branch .LBB14_1033
.LBB14_1030:
	s_mov_b64 s[0:1], -1
                                        ; implicit-def: $vgpr3
	s_branch .LBB14_1039
.LBB14_1031:
	s_mov_b64 s[0:1], -1
                                        ; implicit-def: $vgpr3
	s_branch .LBB14_1036
.LBB14_1032:
	s_mov_b64 s[0:1], -1
                                        ; implicit-def: $vgpr3
.LBB14_1033:
	s_andn2_b64 vcc, exec, s[0:1]
	s_cbranch_vccnz .LBB14_1035
; %bb.1034:
	global_load_dword v3, v[1:2], off
.LBB14_1035:
	s_mov_b64 s[0:1], 0
.LBB14_1036:
	s_andn2_b64 vcc, exec, s[0:1]
	s_cbranch_vccnz .LBB14_1038
; %bb.1037:
	global_load_ushort v3, v[1:2], off
.LBB14_1038:
	s_mov_b64 s[0:1], 0
.LBB14_1039:
	s_andn2_b64 vcc, exec, s[0:1]
	s_cbranch_vccnz .LBB14_1045
; %bb.1040:
	s_cmp_gt_i32 s40, 0
	s_cbranch_scc0 .LBB14_1042
; %bb.1041:
	global_load_ubyte v3, v[1:2], off
	s_mov_b64 s[0:1], 0
	s_branch .LBB14_1043
.LBB14_1042:
	s_mov_b64 s[0:1], -1
                                        ; implicit-def: $vgpr3
.LBB14_1043:
	s_andn2_b64 vcc, exec, s[0:1]
	s_cbranch_vccnz .LBB14_1045
; %bb.1044:
	global_load_ubyte v3, v[1:2], off
.LBB14_1045:
	s_mov_b64 s[0:1], -1
.LBB14_1046:
	s_andn2_b64 vcc, exec, s[0:1]
	s_cbranch_vccnz .LBB14_1051
; %bb.1047:
	s_cmp_lt_i32 s15, 1
	s_mov_b64 s[0:1], 0
	s_cbranch_scc1 .LBB14_1052
; %bb.1048:
	s_cmp_gt_i32 s15, 1
	s_cbranch_scc0 .LBB14_1053
; %bb.1049:
	s_cmp_eq_u32 s15, 2
	s_cbranch_scc0 .LBB14_1054
; %bb.1050:
	s_waitcnt vmcnt(0)
	v_cmp_le_u16_sdwa s[40:41], v0, v3 src0_sel:BYTE_0 src1_sel:BYTE_0
	s_mov_b64 s[42:43], 0
	s_branch .LBB14_1055
.LBB14_1051:
	s_mov_b64 s[42:43], 0
                                        ; implicit-def: $vgpr5
	s_mov_b64 s[0:1], s[28:29]
	s_branch .LBB14_1187
.LBB14_1052:
	s_mov_b64 s[44:45], -1
                                        ; implicit-def: $sgpr40_sgpr41
	s_mov_b64 s[42:43], 0
	s_branch .LBB14_1059
.LBB14_1053:
	s_mov_b64 s[44:45], -1
	s_mov_b64 s[42:43], 0
                                        ; implicit-def: $sgpr40_sgpr41
	s_branch .LBB14_1056
.LBB14_1054:
	s_mov_b64 s[42:43], -1
                                        ; implicit-def: $sgpr40_sgpr41
.LBB14_1055:
	s_mov_b64 s[44:45], 0
.LBB14_1056:
	s_and_b64 vcc, exec, s[44:45]
	s_cbranch_vccz .LBB14_1058
; %bb.1057:
	s_waitcnt vmcnt(0)
	v_cmp_gt_u16_sdwa s[44:45], v0, v3 src0_sel:BYTE_0 src1_sel:BYTE_0
	s_andn2_b64 s[40:41], s[40:41], exec
	s_and_b64 s[44:45], s[44:45], exec
	s_or_b64 s[40:41], s[40:41], s[44:45]
.LBB14_1058:
	s_mov_b64 s[44:45], 0
.LBB14_1059:
	s_and_b64 vcc, exec, s[44:45]
	s_cbranch_vccz .LBB14_1070
; %bb.1060:
	s_cmp_lg_u32 s15, 0
	s_mov_b64 s[0:1], -1
	s_cselect_b64 s[42:43], -1, 0
	s_andn2_b64 vcc, exec, s[42:43]
	s_cbranch_vccz .LBB14_1071
.LBB14_1061:
	s_andn2_b64 vcc, exec, s[0:1]
	s_cbranch_vccnz .LBB14_1063
.LBB14_1062:
	s_waitcnt vmcnt(0)
	v_cmp_ge_u16_sdwa s[0:1], v0, v3 src0_sel:BYTE_0 src1_sel:BYTE_0
	s_andn2_b64 s[40:41], s[40:41], exec
	s_and_b64 s[0:1], s[0:1], exec
	s_or_b64 s[40:41], s[40:41], s[0:1]
.LBB14_1063:
	v_mul_lo_u32 v0, v5, s12
	v_mov_b32_e32 v1, s9
	s_and_b32 s49, s33, 0xff
	s_cmp_lt_i32 s49, 11
	v_ashrrev_i32_e32 v2, 31, v0
	v_add_co_u32_e32 v0, vcc, s8, v0
	v_addc_co_u32_e32 v1, vcc, v1, v2, vcc
	s_cbranch_scc1 .LBB14_1072
; %bb.1064:
	s_and_b32 s50, 0xffff, s49
	s_cmp_gt_i32 s50, 25
	s_cbranch_scc0 .LBB14_1073
; %bb.1065:
	s_cmp_gt_i32 s50, 28
	s_cbranch_scc0 .LBB14_1074
; %bb.1066:
	;; [unrolled: 3-line block ×4, first 2 shown]
	s_mov_b64 s[44:45], 0
	s_mov_b64 s[0:1], -1
	s_cmp_eq_u32 s50, 46
	s_mov_b64 s[42:43], 0
	s_cbranch_scc0 .LBB14_1077
; %bb.1069:
	v_cndmask_b32_e64 v2, 0, 1.0, s[40:41]
	s_waitcnt vmcnt(0)
	v_bfe_u32 v3, v2, 16, 1
	s_movk_i32 s0, 0x7fff
	v_add3_u32 v2, v2, v3, s0
	v_lshrrev_b32_e32 v2, 16, v2
	global_store_dword v[0:1], v2, off
	s_mov_b64 s[42:43], -1
	s_mov_b64 s[0:1], 0
	s_branch .LBB14_1077
.LBB14_1070:
	s_andn2_b64 vcc, exec, s[42:43]
	s_cbranch_vccnz .LBB14_1061
.LBB14_1071:
	s_waitcnt vmcnt(0)
	v_cmp_lt_u16_sdwa s[42:43], v0, v3 src0_sel:BYTE_0 src1_sel:BYTE_0
	s_andn2_b64 s[40:41], s[40:41], exec
	s_and_b64 s[42:43], s[42:43], exec
	s_or_b64 s[40:41], s[40:41], s[42:43]
	s_cbranch_execz .LBB14_1062
	s_branch .LBB14_1063
.LBB14_1072:
	s_mov_b64 s[44:45], -1
	s_mov_b64 s[42:43], 0
	s_mov_b64 s[0:1], s[28:29]
	s_branch .LBB14_1146
.LBB14_1073:
	s_mov_b64 s[44:45], -1
	s_mov_b64 s[42:43], 0
	s_mov_b64 s[0:1], s[28:29]
	s_branch .LBB14_1104
.LBB14_1074:
	s_mov_b64 s[44:45], -1
	s_mov_b64 s[42:43], 0
	s_mov_b64 s[0:1], s[28:29]
	s_branch .LBB14_1087
.LBB14_1075:
	s_mov_b64 s[44:45], -1
	s_mov_b64 s[42:43], 0
	s_mov_b64 s[0:1], s[28:29]
	s_branch .LBB14_1083
.LBB14_1076:
	s_mov_b64 s[44:45], -1
	s_mov_b64 s[42:43], 0
	s_mov_b64 s[0:1], s[28:29]
.LBB14_1077:
	s_and_b64 vcc, exec, s[44:45]
	s_cbranch_vccz .LBB14_1082
; %bb.1078:
	s_cmp_eq_u32 s50, 44
	s_mov_b64 s[0:1], -1
	s_cbranch_scc0 .LBB14_1082
; %bb.1079:
	s_waitcnt vmcnt(0)
	v_cndmask_b32_e64 v3, 0, 1.0, s[40:41]
	v_lshrrev_b32_e32 v2, 23, v3
	s_movk_i32 s0, 0xff
	v_cmp_ne_u32_e32 vcc, s0, v2
	v_mov_b32_e32 v4, 0xff
	s_and_saveexec_b64 s[42:43], vcc
; %bb.1080:
	s_mov_b32 s0, 0x3fffff
	v_and_b32_e32 v4, 0x400000, v3
	v_and_or_b32 v3, v3, s0, v2
	v_cmp_ne_u32_e32 vcc, 0, v4
	v_cmp_ne_u32_e64 s[0:1], 0, v3
	s_and_b64 s[0:1], vcc, s[0:1]
	v_cndmask_b32_e64 v3, 0, 1, s[0:1]
	v_add_u32_e32 v4, v2, v3
; %bb.1081:
	s_or_b64 exec, exec, s[42:43]
	s_mov_b64 s[42:43], -1
	s_mov_b64 s[0:1], 0
	global_store_byte v[0:1], v4, off
.LBB14_1082:
	s_mov_b64 s[44:45], 0
.LBB14_1083:
	s_and_b64 vcc, exec, s[44:45]
	s_cbranch_vccz .LBB14_1086
; %bb.1084:
	s_cmp_eq_u32 s50, 29
	s_mov_b64 s[0:1], -1
	s_cbranch_scc0 .LBB14_1086
; %bb.1085:
	s_mov_b32 s0, 0
	v_cndmask_b32_e64 v2, 0, 1, s[40:41]
	s_waitcnt vmcnt(0)
	v_mov_b32_e32 v3, s0
	global_store_dwordx2 v[0:1], v[2:3], off
	s_mov_b64 s[42:43], -1
	s_mov_b64 s[0:1], 0
.LBB14_1086:
	s_mov_b64 s[44:45], 0
.LBB14_1087:
	s_and_b64 vcc, exec, s[44:45]
	s_cbranch_vccz .LBB14_1103
; %bb.1088:
	s_cmp_lt_i32 s50, 27
	s_mov_b64 s[42:43], -1
	s_cbranch_scc1 .LBB14_1094
; %bb.1089:
	s_cmp_gt_i32 s50, 27
	s_cbranch_scc0 .LBB14_1091
; %bb.1090:
	v_cndmask_b32_e64 v2, 0, 1, s[40:41]
	s_mov_b64 s[42:43], 0
	global_store_dword v[0:1], v2, off
.LBB14_1091:
	s_andn2_b64 vcc, exec, s[42:43]
	s_cbranch_vccnz .LBB14_1093
; %bb.1092:
	v_cndmask_b32_e64 v2, 0, 1, s[40:41]
	global_store_short v[0:1], v2, off
.LBB14_1093:
	s_mov_b64 s[42:43], 0
.LBB14_1094:
	s_andn2_b64 vcc, exec, s[42:43]
	s_cbranch_vccnz .LBB14_1102
; %bb.1095:
	s_waitcnt vmcnt(0)
	v_cndmask_b32_e64 v3, 0, 1.0, s[40:41]
	s_mov_b32 s42, 0x43800000
	v_cmp_gt_u32_e32 vcc, s42, v3
	v_mov_b32_e32 v4, 0x80
	s_and_saveexec_b64 s[42:43], vcc
	s_cbranch_execz .LBB14_1101
; %bb.1096:
	s_mov_b32 s44, 0x3bffffff
	v_cmp_lt_u32_e32 vcc, s44, v3
	s_mov_b64 s[44:45], 0
                                        ; implicit-def: $vgpr2
	s_and_saveexec_b64 s[46:47], vcc
	s_xor_b64 s[46:47], exec, s[46:47]
	s_cbranch_execz .LBB14_1203
; %bb.1097:
	v_bfe_u32 v2, v3, 20, 1
	s_mov_b32 s51, 0x487ffff
	v_add3_u32 v2, v3, v2, s51
	s_mov_b64 s[44:45], exec
	v_lshrrev_b32_e32 v2, 20, v2
                                        ; implicit-def: $vgpr3
	s_andn2_saveexec_b64 s[46:47], s[46:47]
	s_cbranch_execnz .LBB14_1204
.LBB14_1098:
	s_or_b64 exec, exec, s[46:47]
	v_mov_b32_e32 v4, 0
	s_and_saveexec_b64 s[46:47], s[44:45]
.LBB14_1099:
	v_mov_b32_e32 v4, v2
.LBB14_1100:
	s_or_b64 exec, exec, s[46:47]
.LBB14_1101:
	s_or_b64 exec, exec, s[42:43]
	global_store_byte v[0:1], v4, off
.LBB14_1102:
	s_mov_b64 s[42:43], -1
.LBB14_1103:
	s_mov_b64 s[44:45], 0
.LBB14_1104:
	s_and_b64 vcc, exec, s[44:45]
	s_cbranch_vccz .LBB14_1145
; %bb.1105:
	s_cmp_gt_i32 s50, 22
	s_mov_b64 s[44:45], -1
	s_cbranch_scc0 .LBB14_1137
; %bb.1106:
	s_cmp_lt_i32 s50, 24
	s_mov_b64 s[42:43], -1
	s_cbranch_scc1 .LBB14_1126
; %bb.1107:
	s_cmp_gt_i32 s50, 24
	s_cbranch_scc0 .LBB14_1115
; %bb.1108:
	s_waitcnt vmcnt(0)
	v_cndmask_b32_e64 v3, 0, 1.0, s[40:41]
	s_mov_b32 s42, 0x47800000
	v_cmp_gt_u32_e32 vcc, s42, v3
	v_mov_b32_e32 v4, 0x80
	s_and_saveexec_b64 s[42:43], vcc
	s_cbranch_execz .LBB14_1114
; %bb.1109:
	s_mov_b32 s44, 0x37ffffff
	v_cmp_lt_u32_e32 vcc, s44, v3
	s_mov_b64 s[44:45], 0
                                        ; implicit-def: $vgpr2
	s_and_saveexec_b64 s[46:47], vcc
	s_xor_b64 s[46:47], exec, s[46:47]
	s_cbranch_execz .LBB14_2246
; %bb.1110:
	v_bfe_u32 v2, v3, 21, 1
	s_mov_b32 s51, 0x88fffff
	v_add3_u32 v2, v3, v2, s51
	s_mov_b64 s[44:45], exec
	v_lshrrev_b32_e32 v2, 21, v2
                                        ; implicit-def: $vgpr3
	s_andn2_saveexec_b64 s[46:47], s[46:47]
	s_cbranch_execnz .LBB14_2247
.LBB14_1111:
	s_or_b64 exec, exec, s[46:47]
	v_mov_b32_e32 v4, 0
	s_and_saveexec_b64 s[46:47], s[44:45]
.LBB14_1112:
	v_mov_b32_e32 v4, v2
.LBB14_1113:
	s_or_b64 exec, exec, s[46:47]
.LBB14_1114:
	s_or_b64 exec, exec, s[42:43]
	s_mov_b64 s[42:43], 0
	global_store_byte v[0:1], v4, off
.LBB14_1115:
	s_and_b64 vcc, exec, s[42:43]
	s_cbranch_vccz .LBB14_1125
; %bb.1116:
	v_cndmask_b32_e64 v2, 0, 1.0, s[40:41]
	s_mov_b32 s42, 0x43f00000
	v_cmp_gt_u32_e32 vcc, s42, v2
                                        ; implicit-def: $vgpr3
	s_and_saveexec_b64 s[42:43], vcc
	s_xor_b64 s[42:43], exec, s[42:43]
	s_cbranch_execz .LBB14_1122
; %bb.1117:
	s_mov_b32 s44, 0x3c7fffff
	v_cmp_lt_u32_e32 vcc, s44, v2
                                        ; implicit-def: $vgpr3
	s_and_saveexec_b64 s[44:45], vcc
	s_xor_b64 s[44:45], exec, s[44:45]
	s_cbranch_execz .LBB14_1119
; %bb.1118:
	s_waitcnt vmcnt(0)
	v_bfe_u32 v3, v2, 20, 1
	s_mov_b32 s46, 0x407ffff
	v_add3_u32 v2, v2, v3, s46
	v_lshrrev_b32_e32 v3, 20, v2
	v_and_b32_e32 v2, 0xff00000, v2
	s_mov_b32 s46, 0x7f00000
	v_mov_b32_e32 v4, 0x7e
	v_cmp_ne_u32_e32 vcc, s46, v2
	v_cndmask_b32_e32 v3, v4, v3, vcc
                                        ; implicit-def: $vgpr2
.LBB14_1119:
	s_andn2_saveexec_b64 s[44:45], s[44:45]
	s_cbranch_execz .LBB14_1121
; %bb.1120:
	s_waitcnt vmcnt(0)
	v_add_f32_e32 v3, 0x46800000, v2
.LBB14_1121:
	s_or_b64 exec, exec, s[44:45]
                                        ; implicit-def: $vgpr2
.LBB14_1122:
	s_andn2_saveexec_b64 s[42:43], s[42:43]
	s_cbranch_execz .LBB14_1124
; %bb.1123:
	s_mov_b32 s44, 0x7f800000
	s_waitcnt vmcnt(0)
	v_mov_b32_e32 v3, 0x7e
	v_mov_b32_e32 v4, 0x7f
	v_cmp_lt_u32_e32 vcc, s44, v2
	v_cndmask_b32_e32 v3, v3, v4, vcc
.LBB14_1124:
	s_or_b64 exec, exec, s[42:43]
	s_waitcnt vmcnt(0)
	global_store_byte v[0:1], v3, off
.LBB14_1125:
	s_mov_b64 s[42:43], 0
.LBB14_1126:
	s_andn2_b64 vcc, exec, s[42:43]
	s_cbranch_vccnz .LBB14_1136
; %bb.1127:
	v_cndmask_b32_e64 v2, 0, 1.0, s[40:41]
	s_mov_b32 s42, 0x47800000
	v_cmp_gt_u32_e32 vcc, s42, v2
                                        ; implicit-def: $vgpr3
	s_and_saveexec_b64 s[42:43], vcc
	s_xor_b64 s[42:43], exec, s[42:43]
	s_cbranch_execz .LBB14_1133
; %bb.1128:
	s_mov_b32 s44, 0x387fffff
	v_cmp_lt_u32_e32 vcc, s44, v2
                                        ; implicit-def: $vgpr3
	s_and_saveexec_b64 s[44:45], vcc
	s_xor_b64 s[44:45], exec, s[44:45]
	s_cbranch_execz .LBB14_1130
; %bb.1129:
	s_waitcnt vmcnt(0)
	v_bfe_u32 v3, v2, 21, 1
	s_mov_b32 s46, 0x80fffff
	v_add3_u32 v2, v2, v3, s46
	v_lshrrev_b32_e32 v3, 21, v2
                                        ; implicit-def: $vgpr2
.LBB14_1130:
	s_andn2_saveexec_b64 s[44:45], s[44:45]
	s_cbranch_execz .LBB14_1132
; %bb.1131:
	s_waitcnt vmcnt(0)
	v_add_f32_e32 v3, 0x43000000, v2
.LBB14_1132:
	s_or_b64 exec, exec, s[44:45]
                                        ; implicit-def: $vgpr2
.LBB14_1133:
	s_andn2_saveexec_b64 s[42:43], s[42:43]
	s_cbranch_execz .LBB14_1135
; %bb.1134:
	s_mov_b32 s44, 0x7f800000
	s_waitcnt vmcnt(0)
	v_mov_b32_e32 v3, 0x7c
	v_mov_b32_e32 v4, 0x7f
	v_cmp_lt_u32_e32 vcc, s44, v2
	v_cndmask_b32_e32 v3, v3, v4, vcc
.LBB14_1135:
	s_or_b64 exec, exec, s[42:43]
	s_waitcnt vmcnt(0)
	global_store_byte v[0:1], v3, off
.LBB14_1136:
	s_mov_b64 s[44:45], 0
	s_mov_b64 s[42:43], -1
.LBB14_1137:
	s_andn2_b64 vcc, exec, s[44:45]
	s_cbranch_vccnz .LBB14_1145
; %bb.1138:
	s_cmp_gt_i32 s50, 14
	s_mov_b64 s[44:45], -1
	s_cbranch_scc0 .LBB14_1142
; %bb.1139:
	s_cmp_eq_u32 s50, 15
	s_mov_b64 s[0:1], -1
	s_cbranch_scc0 .LBB14_1141
; %bb.1140:
	v_cndmask_b32_e64 v2, 0, 1.0, s[40:41]
	s_waitcnt vmcnt(0)
	v_bfe_u32 v3, v2, 16, 1
	s_movk_i32 s0, 0x7fff
	v_add3_u32 v2, v2, v3, s0
	global_store_short_d16_hi v[0:1], v2, off
	s_mov_b64 s[42:43], -1
	s_mov_b64 s[0:1], 0
.LBB14_1141:
	s_mov_b64 s[44:45], 0
.LBB14_1142:
	s_and_b64 vcc, exec, s[44:45]
	s_cbranch_vccz .LBB14_1145
; %bb.1143:
	s_cmp_eq_u32 s50, 11
	s_mov_b64 s[0:1], -1
	s_cbranch_scc0 .LBB14_1145
; %bb.1144:
	v_cndmask_b32_e64 v2, 0, 1, s[40:41]
	s_mov_b64 s[42:43], -1
	s_mov_b64 s[0:1], 0
	global_store_byte v[0:1], v2, off
.LBB14_1145:
	s_mov_b64 s[44:45], 0
.LBB14_1146:
	s_and_b64 vcc, exec, s[44:45]
	s_cbranch_vccz .LBB14_1185
; %bb.1147:
	s_and_b32 s44, 0xffff, s49
	s_cmp_lt_i32 s44, 5
	s_mov_b64 s[42:43], -1
	s_cbranch_scc1 .LBB14_1168
; %bb.1148:
	s_cmp_lt_i32 s44, 8
	s_cbranch_scc1 .LBB14_1158
; %bb.1149:
	s_cmp_lt_i32 s44, 9
	s_cbranch_scc1 .LBB14_1155
; %bb.1150:
	s_cmp_gt_i32 s44, 9
	s_cbranch_scc0 .LBB14_1152
; %bb.1151:
	v_cndmask_b32_e64 v2, 0, 1, s[40:41]
	v_cvt_f64_u32_e32 v[6:7], v2
	v_mov_b32_e32 v8, 0
	v_mov_b32_e32 v9, v8
	s_mov_b64 s[42:43], 0
	global_store_dwordx4 v[0:1], v[6:9], off
.LBB14_1152:
	s_andn2_b64 vcc, exec, s[42:43]
	s_cbranch_vccnz .LBB14_1154
; %bb.1153:
	v_cndmask_b32_e64 v2, 0, 1.0, s[40:41]
	s_waitcnt vmcnt(0)
	v_mov_b32_e32 v3, 0
	global_store_dwordx2 v[0:1], v[2:3], off
.LBB14_1154:
	s_mov_b64 s[42:43], 0
.LBB14_1155:
	s_andn2_b64 vcc, exec, s[42:43]
	s_cbranch_vccnz .LBB14_1157
; %bb.1156:
	v_cndmask_b32_e64 v2, 0, 1.0, s[40:41]
	v_cvt_f16_f32_e32 v2, v2
	global_store_dword v[0:1], v2, off
.LBB14_1157:
	s_mov_b64 s[42:43], 0
.LBB14_1158:
	s_andn2_b64 vcc, exec, s[42:43]
	s_cbranch_vccnz .LBB14_1167
; %bb.1159:
	s_cmp_lt_i32 s44, 6
	s_mov_b64 s[42:43], -1
	s_cbranch_scc1 .LBB14_1165
; %bb.1160:
	s_cmp_gt_i32 s44, 6
	s_cbranch_scc0 .LBB14_1162
; %bb.1161:
	v_cndmask_b32_e64 v2, 0, 1, s[40:41]
	s_waitcnt vmcnt(0)
	v_cvt_f64_u32_e32 v[2:3], v2
	s_mov_b64 s[42:43], 0
	global_store_dwordx2 v[0:1], v[2:3], off
.LBB14_1162:
	s_andn2_b64 vcc, exec, s[42:43]
	s_cbranch_vccnz .LBB14_1164
; %bb.1163:
	v_cndmask_b32_e64 v2, 0, 1.0, s[40:41]
	global_store_dword v[0:1], v2, off
.LBB14_1164:
	s_mov_b64 s[42:43], 0
.LBB14_1165:
	s_andn2_b64 vcc, exec, s[42:43]
	s_cbranch_vccnz .LBB14_1167
; %bb.1166:
	v_cndmask_b32_e64 v2, 0, 1.0, s[40:41]
	v_cvt_f16_f32_e32 v2, v2
	global_store_short v[0:1], v2, off
.LBB14_1167:
	s_mov_b64 s[42:43], 0
.LBB14_1168:
	s_andn2_b64 vcc, exec, s[42:43]
	s_cbranch_vccnz .LBB14_1184
; %bb.1169:
	s_cmp_lt_i32 s44, 2
	s_mov_b64 s[42:43], -1
	s_cbranch_scc1 .LBB14_1179
; %bb.1170:
	s_cmp_lt_i32 s44, 3
	s_cbranch_scc1 .LBB14_1176
; %bb.1171:
	s_cmp_gt_i32 s44, 3
	s_cbranch_scc0 .LBB14_1173
; %bb.1172:
	s_mov_b32 s42, 0
	v_cndmask_b32_e64 v2, 0, 1, s[40:41]
	s_waitcnt vmcnt(0)
	v_mov_b32_e32 v3, s42
	s_mov_b64 s[42:43], 0
	global_store_dwordx2 v[0:1], v[2:3], off
.LBB14_1173:
	s_andn2_b64 vcc, exec, s[42:43]
	s_cbranch_vccnz .LBB14_1175
; %bb.1174:
	v_cndmask_b32_e64 v2, 0, 1, s[40:41]
	global_store_dword v[0:1], v2, off
.LBB14_1175:
	s_mov_b64 s[42:43], 0
.LBB14_1176:
	s_andn2_b64 vcc, exec, s[42:43]
	s_cbranch_vccnz .LBB14_1178
; %bb.1177:
	v_cndmask_b32_e64 v2, 0, 1, s[40:41]
	global_store_short v[0:1], v2, off
.LBB14_1178:
	s_mov_b64 s[42:43], 0
.LBB14_1179:
	s_andn2_b64 vcc, exec, s[42:43]
	s_cbranch_vccnz .LBB14_1184
; %bb.1180:
	s_mov_b64 s[42:43], -1
	s_cmp_gt_i32 s44, 0
	v_cndmask_b32_e64 v2, 0, 1, s[40:41]
	s_cbranch_scc0 .LBB14_1182
; %bb.1181:
	s_mov_b64 s[42:43], 0
	global_store_byte v[0:1], v2, off
.LBB14_1182:
	s_andn2_b64 vcc, exec, s[42:43]
	s_cbranch_vccnz .LBB14_1184
; %bb.1183:
	global_store_byte v[0:1], v2, off
.LBB14_1184:
	s_mov_b64 s[42:43], -1
.LBB14_1185:
	s_andn2_b64 vcc, exec, s[42:43]
	s_cbranch_vccnz .LBB14_1198
; %bb.1186:
	v_add_u32_e32 v5, 0x80, v5
	s_mov_b64 s[42:43], -1
.LBB14_1187:
	s_andn2_b64 s[40:41], s[28:29], exec
	s_and_b64 s[0:1], s[0:1], exec
	s_or_b64 s[40:41], s[40:41], s[0:1]
	s_andn2_b64 s[0:1], s[26:27], exec
	s_and_b64 s[38:39], s[38:39], exec
	s_or_b64 s[38:39], s[0:1], s[38:39]
	;; [unrolled: 3-line block ×3, first 2 shown]
	s_orn2_b64 s[46:47], s[42:43], exec
.LBB14_1188:
	s_or_b64 exec, exec, s[34:35]
	s_mov_b64 s[42:43], 0
	s_mov_b64 s[36:37], 0
	s_mov_b64 s[44:45], 0
                                        ; implicit-def: $sgpr56
                                        ; implicit-def: $vgpr2_vgpr3
                                        ; implicit-def: $vgpr0
	s_and_saveexec_b64 s[34:35], s[46:47]
	s_cbranch_execz .LBB14_1268
; %bb.1189:
	v_cmp_gt_i32_e32 vcc, s48, v5
	s_mov_b64 s[46:47], 0
	s_mov_b64 s[48:49], s[0:1]
	;; [unrolled: 1-line block ×4, first 2 shown]
                                        ; implicit-def: $sgpr56
                                        ; implicit-def: $vgpr2_vgpr3
                                        ; implicit-def: $vgpr0
	s_and_saveexec_b64 s[36:37], vcc
	s_cbranch_execz .LBB14_1267
; %bb.1190:
	s_waitcnt vmcnt(0)
	v_mul_lo_u32 v0, v5, s13
	v_mov_b32_e32 v1, s11
	s_and_b32 s56, s55, 0xff
	s_cmp_lt_i32 s56, 11
	v_ashrrev_i32_e32 v3, 31, v0
	v_add_co_u32_e32 v2, vcc, s10, v0
	v_addc_co_u32_e32 v3, vcc, v1, v3, vcc
	s_cbranch_scc1 .LBB14_1197
; %bb.1191:
	s_and_b32 s50, 0xffff, s56
	s_cmp_gt_i32 s50, 25
	s_cbranch_scc0 .LBB14_1199
; %bb.1192:
	s_cmp_gt_i32 s50, 28
	s_cbranch_scc0 .LBB14_1200
; %bb.1193:
	;; [unrolled: 3-line block ×4, first 2 shown]
	s_cmp_eq_u32 s50, 46
	s_mov_b64 s[48:49], 0
	s_cbranch_scc0 .LBB14_1205
; %bb.1196:
	global_load_dword v0, v[2:3], off
	s_mov_b32 s42, 0x2f800000
	s_mov_b32 s43, 0xcf800000
	s_mov_b64 s[46:47], -1
	s_waitcnt vmcnt(0)
	v_lshlrev_b32_e32 v0, 16, v0
	v_trunc_f32_e32 v0, v0
	v_mul_f32_e64 v1, |v0|, s42
	v_floor_f32_e32 v1, v1
	v_fma_f32 v1, v1, s43, |v0|
	v_cvt_u32_f32_e32 v1, v1
	v_ashrrev_i32_e32 v0, 31, v0
	s_mov_b64 s[42:43], 0
	v_xor_b32_e32 v1, v1, v0
	v_sub_u32_e32 v0, v1, v0
	s_branch .LBB14_1207
.LBB14_1197:
	s_mov_b64 s[48:49], -1
                                        ; implicit-def: $vgpr0
	s_mov_b64 s[42:43], s[0:1]
	s_branch .LBB14_1266
.LBB14_1198:
	s_mov_b64 s[42:43], 0
	s_branch .LBB14_927
.LBB14_1199:
	s_mov_b64 s[48:49], -1
	s_mov_b64 s[42:43], s[0:1]
                                        ; implicit-def: $vgpr0
	s_branch .LBB14_1234
.LBB14_1200:
	s_mov_b64 s[48:49], -1
	s_mov_b64 s[42:43], s[0:1]
                                        ; implicit-def: $vgpr0
	s_branch .LBB14_1217
.LBB14_1201:
	s_mov_b64 s[48:49], -1
	s_mov_b64 s[42:43], s[0:1]
                                        ; implicit-def: $vgpr0
	s_branch .LBB14_1212
.LBB14_1202:
	s_mov_b64 s[48:49], -1
	s_mov_b64 s[42:43], s[0:1]
	s_branch .LBB14_1206
.LBB14_1203:
	s_andn2_saveexec_b64 s[46:47], s[46:47]
	s_cbranch_execz .LBB14_1098
.LBB14_1204:
	v_add_f32_e32 v2, 0x46000000, v3
	v_and_b32_e32 v2, 0xff, v2
	v_cmp_ne_u32_e32 vcc, 0, v2
	s_andn2_b64 s[44:45], s[44:45], exec
	s_and_b64 s[52:53], vcc, exec
	s_or_b64 s[44:45], s[44:45], s[52:53]
	s_or_b64 exec, exec, s[46:47]
	v_mov_b32_e32 v4, 0
	s_and_saveexec_b64 s[46:47], s[44:45]
	s_cbranch_execnz .LBB14_1099
	s_branch .LBB14_1100
.LBB14_1205:
	s_mov_b64 s[42:43], -1
.LBB14_1206:
                                        ; implicit-def: $vgpr0
.LBB14_1207:
	s_and_b64 vcc, exec, s[48:49]
	s_cbranch_vccz .LBB14_1211
; %bb.1208:
	s_cmp_eq_u32 s50, 44
	s_cbranch_scc0 .LBB14_1210
; %bb.1209:
	global_load_ubyte v0, v[2:3], off
	s_mov_b32 s42, 0x2f800000
	s_mov_b32 s43, 0xcf800000
	s_mov_b64 s[46:47], -1
	s_waitcnt vmcnt(0)
	v_lshlrev_b32_e32 v1, 23, v0
	v_trunc_f32_e32 v1, v1
	v_mul_f32_e64 v4, |v1|, s42
	v_floor_f32_e32 v4, v4
	v_fma_f32 v4, v4, s43, |v1|
	v_cvt_u32_f32_e32 v4, v4
	v_ashrrev_i32_e32 v1, 31, v1
	v_cmp_ne_u32_e32 vcc, 0, v0
	s_mov_b64 s[42:43], 0
	v_xor_b32_e32 v4, v4, v1
	v_sub_u32_e32 v1, v4, v1
	v_cndmask_b32_e32 v0, 0, v1, vcc
	s_branch .LBB14_1211
.LBB14_1210:
	s_mov_b64 s[42:43], -1
                                        ; implicit-def: $vgpr0
.LBB14_1211:
	s_mov_b64 s[48:49], 0
.LBB14_1212:
	s_and_b64 vcc, exec, s[48:49]
	s_cbranch_vccz .LBB14_1216
; %bb.1213:
	s_cmp_eq_u32 s50, 29
	s_cbranch_scc0 .LBB14_1215
; %bb.1214:
	global_load_dwordx2 v[0:1], v[2:3], off
	s_mov_b64 s[42:43], 0
	s_mov_b64 s[46:47], -1
	s_branch .LBB14_1216
.LBB14_1215:
	s_mov_b64 s[42:43], -1
                                        ; implicit-def: $vgpr0
.LBB14_1216:
	s_mov_b64 s[48:49], 0
.LBB14_1217:
	s_and_b64 vcc, exec, s[48:49]
	s_cbranch_vccz .LBB14_1233
; %bb.1218:
	s_cmp_lt_i32 s50, 27
	s_cbranch_scc1 .LBB14_1221
; %bb.1219:
	s_cmp_gt_i32 s50, 27
	s_cbranch_scc0 .LBB14_1222
; %bb.1220:
	global_load_dword v0, v[2:3], off
	s_mov_b64 s[46:47], 0
	s_branch .LBB14_1223
.LBB14_1221:
	s_mov_b64 s[46:47], -1
                                        ; implicit-def: $vgpr0
	s_branch .LBB14_1226
.LBB14_1222:
	s_mov_b64 s[46:47], -1
                                        ; implicit-def: $vgpr0
.LBB14_1223:
	s_andn2_b64 vcc, exec, s[46:47]
	s_cbranch_vccnz .LBB14_1225
; %bb.1224:
	global_load_ushort v0, v[2:3], off
.LBB14_1225:
	s_mov_b64 s[46:47], 0
.LBB14_1226:
	s_andn2_b64 vcc, exec, s[46:47]
	s_cbranch_vccnz .LBB14_1232
; %bb.1227:
	global_load_ubyte v1, v[2:3], off
	s_movk_i32 s46, 0x7f
	s_mov_b64 s[48:49], 0
	s_waitcnt vmcnt(0)
	v_cmp_lt_i16_e32 vcc, s46, v1
	s_and_saveexec_b64 s[46:47], vcc
	s_xor_b64 s[46:47], exec, s[46:47]
	s_cbranch_execz .LBB14_1244
; %bb.1228:
	s_movk_i32 s48, 0x80
	v_cmp_ne_u16_e32 vcc, s48, v1
	s_and_b64 s[48:49], vcc, exec
	s_andn2_saveexec_b64 s[46:47], s[46:47]
	s_cbranch_execnz .LBB14_1245
.LBB14_1229:
	s_or_b64 exec, exec, s[46:47]
	v_mov_b32_e32 v0, 0
	s_and_saveexec_b64 s[46:47], s[48:49]
	s_cbranch_execz .LBB14_1231
.LBB14_1230:
	v_lshlrev_b32_e32 v0, 24, v1
	v_and_b32_e32 v1, 0xffff, v1
	v_and_b32_e32 v4, 7, v1
	v_ffbh_u32_e32 v7, v4
	v_min_u32_e32 v7, 32, v7
	v_subrev_u32_e32 v8, 28, v7
	v_bfe_u32 v6, v1, 3, 4
	v_lshlrev_b32_e32 v1, v8, v1
	v_sub_u32_e32 v7, 29, v7
	v_and_b32_e32 v1, 7, v1
	v_cmp_eq_u32_e32 vcc, 0, v6
	v_cndmask_b32_e32 v6, v6, v7, vcc
	v_cndmask_b32_e32 v1, v4, v1, vcc
	v_mov_b32_e32 v4, 0x3b800000
	v_lshlrev_b32_e32 v1, 20, v1
	v_and_b32_e32 v0, 0x80000000, v0
	v_lshl_add_u32 v4, v6, 23, v4
	v_or3_b32 v0, v0, v4, v1
	v_trunc_f32_e32 v0, v0
	s_mov_b32 s48, 0x2f800000
	v_mul_f32_e64 v1, |v0|, s48
	v_floor_f32_e32 v1, v1
	s_mov_b32 s48, 0xcf800000
	v_fma_f32 v1, v1, s48, |v0|
	v_cvt_u32_f32_e32 v1, v1
	v_ashrrev_i32_e32 v0, 31, v0
	v_xor_b32_e32 v1, v1, v0
	v_sub_u32_e32 v0, v1, v0
.LBB14_1231:
	s_or_b64 exec, exec, s[46:47]
.LBB14_1232:
	s_mov_b64 s[46:47], -1
.LBB14_1233:
	s_mov_b64 s[48:49], 0
.LBB14_1234:
	s_and_b64 vcc, exec, s[48:49]
	s_cbranch_vccz .LBB14_1265
; %bb.1235:
	s_cmp_gt_i32 s50, 22
	s_cbranch_scc0 .LBB14_1243
; %bb.1236:
	s_cmp_lt_i32 s50, 24
	s_cbranch_scc1 .LBB14_1246
; %bb.1237:
	s_cmp_gt_i32 s50, 24
	s_cbranch_scc0 .LBB14_1247
; %bb.1238:
	global_load_ubyte v1, v[2:3], off
	s_movk_i32 s44, 0x7f
	s_mov_b64 s[46:47], 0
	s_waitcnt vmcnt(0)
	v_cmp_lt_i16_e32 vcc, s44, v1
	s_and_saveexec_b64 s[44:45], vcc
	s_xor_b64 s[44:45], exec, s[44:45]
	s_cbranch_execz .LBB14_1259
; %bb.1239:
	s_movk_i32 s46, 0x80
	v_cmp_ne_u16_e32 vcc, s46, v1
	s_and_b64 s[46:47], vcc, exec
	s_andn2_saveexec_b64 s[44:45], s[44:45]
	s_cbranch_execnz .LBB14_1260
.LBB14_1240:
	s_or_b64 exec, exec, s[44:45]
	v_mov_b32_e32 v0, 0
	s_and_saveexec_b64 s[44:45], s[46:47]
	s_cbranch_execz .LBB14_1242
.LBB14_1241:
	v_lshlrev_b32_e32 v0, 24, v1
	v_and_b32_e32 v1, 0xffff, v1
	v_and_b32_e32 v4, 3, v1
	v_ffbh_u32_e32 v7, v4
	v_min_u32_e32 v7, 32, v7
	v_subrev_u32_e32 v8, 29, v7
	v_bfe_u32 v6, v1, 2, 5
	v_lshlrev_b32_e32 v1, v8, v1
	v_sub_u32_e32 v7, 30, v7
	v_and_b32_e32 v1, 3, v1
	v_cmp_eq_u32_e32 vcc, 0, v6
	v_cndmask_b32_e32 v6, v6, v7, vcc
	v_cndmask_b32_e32 v1, v4, v1, vcc
	v_mov_b32_e32 v4, 0x37800000
	v_lshlrev_b32_e32 v1, 21, v1
	v_and_b32_e32 v0, 0x80000000, v0
	v_lshl_add_u32 v4, v6, 23, v4
	v_or3_b32 v0, v0, v4, v1
	v_trunc_f32_e32 v0, v0
	s_mov_b32 s46, 0x2f800000
	v_mul_f32_e64 v1, |v0|, s46
	v_floor_f32_e32 v1, v1
	s_mov_b32 s46, 0xcf800000
	v_fma_f32 v1, v1, s46, |v0|
	v_cvt_u32_f32_e32 v1, v1
	v_ashrrev_i32_e32 v0, 31, v0
	v_xor_b32_e32 v1, v1, v0
	v_sub_u32_e32 v0, v1, v0
.LBB14_1242:
	s_or_b64 exec, exec, s[44:45]
	s_mov_b64 s[44:45], 0
	s_branch .LBB14_1248
.LBB14_1243:
	s_mov_b64 s[44:45], -1
                                        ; implicit-def: $vgpr0
	s_branch .LBB14_1254
.LBB14_1244:
	s_andn2_saveexec_b64 s[46:47], s[46:47]
	s_cbranch_execz .LBB14_1229
.LBB14_1245:
	v_cmp_ne_u16_e32 vcc, 0, v1
	s_andn2_b64 s[48:49], s[48:49], exec
	s_and_b64 s[52:53], vcc, exec
	s_or_b64 s[48:49], s[48:49], s[52:53]
	s_or_b64 exec, exec, s[46:47]
	v_mov_b32_e32 v0, 0
	s_and_saveexec_b64 s[46:47], s[48:49]
	s_cbranch_execnz .LBB14_1230
	s_branch .LBB14_1231
.LBB14_1246:
	s_mov_b64 s[44:45], -1
                                        ; implicit-def: $vgpr0
	s_branch .LBB14_1251
.LBB14_1247:
	s_mov_b64 s[44:45], -1
                                        ; implicit-def: $vgpr0
.LBB14_1248:
	s_and_b64 vcc, exec, s[44:45]
	s_cbranch_vccz .LBB14_1250
; %bb.1249:
	global_load_ubyte v0, v[2:3], off
	s_mov_b32 s44, 0x7f800000
	s_brev_b32 s45, 1
	s_mov_b32 s46, 0x2f800000
	s_waitcnt vmcnt(0)
	v_lshlrev_b32_e32 v0, 24, v0
	v_and_b32_e32 v1, 0x7f000000, v0
	v_ffbh_u32_e32 v4, v1
	v_min_u32_e32 v4, 32, v4
	v_sub_u32_e64 v4, v4, 4 clamp
	v_lshlrev_b32_e32 v7, v4, v1
	v_lshlrev_b32_e32 v4, 23, v4
	v_lshrrev_b32_e32 v7, 4, v7
	v_add_u32_e32 v6, 0x1000000, v1
	v_sub_u32_e32 v4, v7, v4
	v_ashrrev_i32_e32 v6, 8, v6
	v_add_u32_e32 v4, 0x3c000000, v4
	v_and_or_b32 v4, v6, s44, v4
	v_cmp_ne_u32_e32 vcc, 0, v1
	v_cndmask_b32_e32 v1, 0, v4, vcc
	v_and_or_b32 v0, v0, s45, v1
	v_trunc_f32_e32 v0, v0
	v_mul_f32_e64 v1, |v0|, s46
	v_floor_f32_e32 v1, v1
	s_mov_b32 s44, 0xcf800000
	v_fma_f32 v1, v1, s44, |v0|
	v_cvt_u32_f32_e32 v1, v1
	v_ashrrev_i32_e32 v0, 31, v0
	v_xor_b32_e32 v1, v1, v0
	v_sub_u32_e32 v0, v1, v0
.LBB14_1250:
	s_mov_b64 s[44:45], 0
.LBB14_1251:
	s_andn2_b64 vcc, exec, s[44:45]
	s_cbranch_vccnz .LBB14_1253
; %bb.1252:
	global_load_ubyte v0, v[2:3], off
	s_movk_i32 s44, 0x7f00
	s_brev_b32 s45, 16
	s_brev_b32 s46, 1
	s_mov_b32 s47, 0x2f800000
	s_waitcnt vmcnt(0)
	v_lshlrev_b16_e32 v1, 8, v0
	v_lshlrev_b32_e32 v0, 25, v0
	v_lshrrev_b32_e32 v4, 4, v0
	v_and_or_b32 v6, v1, s44, 0.5
	v_or_b32_e32 v4, 0x70000000, v4
	v_add_f32_e32 v6, -0.5, v6
	v_mul_f32_e32 v4, 0x7800000, v4
	v_cmp_gt_u32_e32 vcc, s45, v0
	v_bfe_i32 v1, v1, 0, 16
	v_cndmask_b32_e32 v0, v4, v6, vcc
	v_and_or_b32 v0, v1, s46, v0
	v_trunc_f32_e32 v0, v0
	v_mul_f32_e64 v1, |v0|, s47
	v_floor_f32_e32 v1, v1
	s_mov_b32 s44, 0xcf800000
	v_fma_f32 v1, v1, s44, |v0|
	v_cvt_u32_f32_e32 v1, v1
	v_ashrrev_i32_e32 v0, 31, v0
	v_xor_b32_e32 v1, v1, v0
	v_sub_u32_e32 v0, v1, v0
.LBB14_1253:
	s_mov_b64 s[44:45], 0
	s_mov_b64 s[46:47], -1
.LBB14_1254:
	s_andn2_b64 vcc, exec, s[44:45]
	s_mov_b64 s[44:45], 0
	s_cbranch_vccnz .LBB14_1265
; %bb.1255:
	s_cmp_gt_i32 s50, 14
	s_cbranch_scc0 .LBB14_1258
; %bb.1256:
	s_cmp_eq_u32 s50, 15
	s_cbranch_scc0 .LBB14_1261
; %bb.1257:
	global_load_ushort v0, v[2:3], off
	s_mov_b32 s42, 0x2f800000
	s_mov_b32 s43, 0xcf800000
	s_mov_b64 s[46:47], -1
	s_waitcnt vmcnt(0)
	v_lshlrev_b32_e32 v0, 16, v0
	v_trunc_f32_e32 v0, v0
	v_mul_f32_e64 v1, |v0|, s42
	v_floor_f32_e32 v1, v1
	v_fma_f32 v1, v1, s43, |v0|
	v_cvt_u32_f32_e32 v1, v1
	v_ashrrev_i32_e32 v0, 31, v0
	s_mov_b64 s[42:43], 0
	v_xor_b32_e32 v1, v1, v0
	v_sub_u32_e32 v0, v1, v0
	s_branch .LBB14_1262
.LBB14_1258:
	s_mov_b64 s[48:49], -1
                                        ; implicit-def: $vgpr0
	s_branch .LBB14_1263
.LBB14_1259:
	s_andn2_saveexec_b64 s[44:45], s[44:45]
	s_cbranch_execz .LBB14_1240
.LBB14_1260:
	v_cmp_ne_u16_e32 vcc, 0, v1
	s_andn2_b64 s[46:47], s[46:47], exec
	s_and_b64 s[48:49], vcc, exec
	s_or_b64 s[46:47], s[46:47], s[48:49]
	s_or_b64 exec, exec, s[44:45]
	v_mov_b32_e32 v0, 0
	s_and_saveexec_b64 s[44:45], s[46:47]
	s_cbranch_execnz .LBB14_1241
	s_branch .LBB14_1242
.LBB14_1261:
	s_mov_b64 s[42:43], -1
                                        ; implicit-def: $vgpr0
.LBB14_1262:
	s_mov_b64 s[48:49], 0
.LBB14_1263:
	s_and_b64 vcc, exec, s[48:49]
	s_cbranch_vccz .LBB14_1265
; %bb.1264:
	s_cmp_lg_u32 s50, 11
	s_cselect_b64 s[48:49], -1, 0
	s_andn2_b64 s[42:43], s[42:43], exec
	s_and_b64 s[48:49], s[48:49], exec
	s_mov_b64 s[44:45], -1
	s_or_b64 s[42:43], s[42:43], s[48:49]
.LBB14_1265:
	s_mov_b64 s[48:49], 0
.LBB14_1266:
	s_and_b64 s[52:53], s[46:47], exec
	s_and_b64 s[46:47], s[44:45], exec
	s_andn2_b64 s[44:45], s[0:1], exec
	s_and_b64 s[42:43], s[42:43], exec
	s_and_b64 s[50:51], s[48:49], exec
	s_or_b64 s[48:49], s[44:45], s[42:43]
.LBB14_1267:
	s_or_b64 exec, exec, s[36:37]
	s_and_b64 s[42:43], s[46:47], exec
	s_andn2_b64 s[0:1], s[0:1], exec
	s_and_b64 s[46:47], s[48:49], exec
	s_and_b64 s[44:45], s[52:53], exec
	;; [unrolled: 1-line block ×3, first 2 shown]
	s_or_b64 s[0:1], s[0:1], s[46:47]
.LBB14_1268:
	s_or_b64 exec, exec, s[34:35]
	s_andn2_b64 s[28:29], s[28:29], exec
	s_and_b64 s[34:35], s[40:41], exec
	s_or_b64 s[28:29], s[28:29], s[34:35]
	s_andn2_b64 s[26:27], s[26:27], exec
	s_and_b64 s[34:35], s[38:39], exec
	s_andn2_b64 s[24:25], s[24:25], exec
	s_and_b64 s[0:1], s[0:1], exec
	s_or_b64 s[26:27], s[26:27], s[34:35]
	s_and_b64 s[38:39], s[44:45], exec
	s_and_b64 s[36:37], s[36:37], exec
	;; [unrolled: 1-line block ×3, first 2 shown]
	s_or_b64 s[24:25], s[24:25], s[0:1]
.LBB14_1269:
	s_or_b64 exec, exec, s[30:31]
	s_andn2_b64 s[0:1], s[16:17], exec
	s_and_b64 s[16:17], s[28:29], exec
	s_or_b64 s[16:17], s[0:1], s[16:17]
	s_andn2_b64 s[0:1], s[18:19], exec
	s_and_b64 s[18:19], s[26:27], exec
	s_or_b64 s[18:19], s[0:1], s[18:19]
	s_andn2_b64 s[0:1], s[20:21], exec
	s_and_b64 s[20:21], s[24:25], exec
	s_and_b64 s[28:29], s[38:39], exec
	;; [unrolled: 1-line block ×4, first 2 shown]
	s_or_b64 s[20:21], s[0:1], s[20:21]
	s_or_b64 exec, exec, s[22:23]
	s_mov_b64 s[22:23], 0
	s_and_saveexec_b64 s[0:1], s[20:21]
	s_cbranch_execz .LBB14_401
.LBB14_1270:
	s_mov_b64 s[22:23], exec
	s_andn2_b64 s[26:27], s[26:27], exec
	s_trap 2
	s_or_b64 exec, exec, s[0:1]
	s_and_saveexec_b64 s[0:1], s[26:27]
	s_xor_b64 s[0:1], exec, s[0:1]
	s_cbranch_execnz .LBB14_402
.LBB14_1271:
	s_or_b64 exec, exec, s[0:1]
	s_and_saveexec_b64 s[0:1], s[30:31]
	s_cbranch_execz .LBB14_1317
.LBB14_1272:
	s_sext_i32_i16 s20, s56
	s_cmp_lt_i32 s20, 5
	s_cbranch_scc1 .LBB14_1277
; %bb.1273:
	s_cmp_lt_i32 s20, 8
	s_cbranch_scc1 .LBB14_1278
; %bb.1274:
	;; [unrolled: 3-line block ×3, first 2 shown]
	s_cmp_gt_i32 s20, 9
	s_cbranch_scc0 .LBB14_1280
; %bb.1276:
	s_waitcnt vmcnt(0)
	global_load_dwordx2 v[0:1], v[2:3], off
	s_movk_i32 s20, 0xffe0
	s_waitcnt vmcnt(0)
	v_trunc_f64_e32 v[0:1], v[0:1]
	v_ldexp_f64 v[6:7], v[0:1], s20
	s_mov_b32 s20, 0
	s_mov_b32 s21, 0xc1f00000
	v_floor_f64_e32 v[6:7], v[6:7]
	v_fma_f64 v[0:1], v[6:7], s[20:21], v[0:1]
	s_mov_b64 s[20:21], 0
	v_cvt_u32_f64_e32 v0, v[0:1]
	s_branch .LBB14_1281
.LBB14_1277:
                                        ; implicit-def: $vgpr0
	s_branch .LBB14_1298
.LBB14_1278:
                                        ; implicit-def: $vgpr0
	s_branch .LBB14_1287
.LBB14_1279:
	s_mov_b64 s[20:21], -1
                                        ; implicit-def: $vgpr0
	s_branch .LBB14_1284
.LBB14_1280:
	s_mov_b64 s[20:21], -1
                                        ; implicit-def: $vgpr0
.LBB14_1281:
	s_andn2_b64 vcc, exec, s[20:21]
	s_cbranch_vccnz .LBB14_1283
; %bb.1282:
	s_waitcnt vmcnt(0)
	global_load_dword v0, v[2:3], off
	s_mov_b32 s20, 0x2f800000
	s_waitcnt vmcnt(0)
	v_trunc_f32_e32 v0, v0
	v_mul_f32_e64 v1, |v0|, s20
	v_floor_f32_e32 v1, v1
	s_mov_b32 s20, 0xcf800000
	v_fma_f32 v1, v1, s20, |v0|
	v_cvt_u32_f32_e32 v1, v1
	v_ashrrev_i32_e32 v0, 31, v0
	v_xor_b32_e32 v1, v1, v0
	v_sub_u32_e32 v0, v1, v0
.LBB14_1283:
	s_mov_b64 s[20:21], 0
.LBB14_1284:
	s_andn2_b64 vcc, exec, s[20:21]
	s_cbranch_vccnz .LBB14_1286
; %bb.1285:
	s_waitcnt vmcnt(0)
	global_load_dword v0, v[2:3], off
	s_waitcnt vmcnt(0)
	v_cvt_f32_f16_e32 v0, v0
	v_cvt_i32_f32_e32 v0, v0
.LBB14_1286:
	s_cbranch_execnz .LBB14_1297
.LBB14_1287:
	s_sext_i32_i16 s20, s56
	s_cmp_lt_i32 s20, 6
	s_cbranch_scc1 .LBB14_1290
; %bb.1288:
	s_cmp_gt_i32 s20, 6
	s_cbranch_scc0 .LBB14_1291
; %bb.1289:
	s_waitcnt vmcnt(0)
	global_load_dwordx2 v[0:1], v[2:3], off
	s_movk_i32 s20, 0xffe0
	s_waitcnt vmcnt(0)
	v_trunc_f64_e32 v[0:1], v[0:1]
	v_ldexp_f64 v[6:7], v[0:1], s20
	s_mov_b32 s20, 0
	s_mov_b32 s21, 0xc1f00000
	v_floor_f64_e32 v[6:7], v[6:7]
	v_fma_f64 v[0:1], v[6:7], s[20:21], v[0:1]
	s_mov_b64 s[20:21], 0
	v_cvt_u32_f64_e32 v0, v[0:1]
	s_branch .LBB14_1292
.LBB14_1290:
	s_mov_b64 s[20:21], -1
                                        ; implicit-def: $vgpr0
	s_branch .LBB14_1295
.LBB14_1291:
	s_mov_b64 s[20:21], -1
                                        ; implicit-def: $vgpr0
.LBB14_1292:
	s_andn2_b64 vcc, exec, s[20:21]
	s_cbranch_vccnz .LBB14_1294
; %bb.1293:
	s_waitcnt vmcnt(0)
	global_load_dword v0, v[2:3], off
	s_mov_b32 s20, 0x2f800000
	s_waitcnt vmcnt(0)
	v_trunc_f32_e32 v0, v0
	v_mul_f32_e64 v1, |v0|, s20
	v_floor_f32_e32 v1, v1
	s_mov_b32 s20, 0xcf800000
	v_fma_f32 v1, v1, s20, |v0|
	v_cvt_u32_f32_e32 v1, v1
	v_ashrrev_i32_e32 v0, 31, v0
	v_xor_b32_e32 v1, v1, v0
	v_sub_u32_e32 v0, v1, v0
.LBB14_1294:
	s_mov_b64 s[20:21], 0
.LBB14_1295:
	s_andn2_b64 vcc, exec, s[20:21]
	s_cbranch_vccnz .LBB14_1297
; %bb.1296:
	s_waitcnt vmcnt(0)
	global_load_ushort v0, v[2:3], off
	s_waitcnt vmcnt(0)
	v_cvt_f32_f16_e32 v0, v0
	v_cvt_i32_f32_e32 v0, v0
.LBB14_1297:
	s_cbranch_execnz .LBB14_1316
.LBB14_1298:
	s_sext_i32_i16 s20, s56
	s_cmp_lt_i32 s20, 2
	s_cbranch_scc1 .LBB14_1302
; %bb.1299:
	s_cmp_lt_i32 s20, 3
	s_cbranch_scc1 .LBB14_1303
; %bb.1300:
	s_cmp_gt_i32 s20, 3
	s_cbranch_scc0 .LBB14_1304
; %bb.1301:
	s_waitcnt vmcnt(0)
	global_load_dwordx2 v[0:1], v[2:3], off
	s_mov_b64 s[20:21], 0
	s_branch .LBB14_1305
.LBB14_1302:
                                        ; implicit-def: $vgpr0
	s_branch .LBB14_1311
.LBB14_1303:
	s_mov_b64 s[20:21], -1
                                        ; implicit-def: $vgpr0
	s_branch .LBB14_1308
.LBB14_1304:
	s_mov_b64 s[20:21], -1
                                        ; implicit-def: $vgpr0
.LBB14_1305:
	s_andn2_b64 vcc, exec, s[20:21]
	s_cbranch_vccnz .LBB14_1307
; %bb.1306:
	s_waitcnt vmcnt(0)
	global_load_dword v0, v[2:3], off
.LBB14_1307:
	s_mov_b64 s[20:21], 0
.LBB14_1308:
	s_andn2_b64 vcc, exec, s[20:21]
	s_cbranch_vccnz .LBB14_1310
; %bb.1309:
	s_waitcnt vmcnt(0)
	global_load_ushort v0, v[2:3], off
.LBB14_1310:
	s_cbranch_execnz .LBB14_1316
.LBB14_1311:
	s_sext_i32_i16 s20, s56
	s_cmp_gt_i32 s20, 0
	s_cbranch_scc0 .LBB14_1313
; %bb.1312:
	s_waitcnt vmcnt(0)
	global_load_ubyte v0, v[2:3], off
	s_mov_b64 s[20:21], 0
	s_branch .LBB14_1314
.LBB14_1313:
	s_mov_b64 s[20:21], -1
                                        ; implicit-def: $vgpr0
.LBB14_1314:
	s_andn2_b64 vcc, exec, s[20:21]
	s_cbranch_vccnz .LBB14_1316
; %bb.1315:
	s_waitcnt vmcnt(0)
	global_load_ubyte v0, v[2:3], off
.LBB14_1316:
	s_or_b64 s[28:29], s[28:29], exec
.LBB14_1317:
	s_or_b64 exec, exec, s[0:1]
	s_mov_b64 s[26:27], 0
	s_mov_b64 s[30:31], 0
	;; [unrolled: 1-line block ×3, first 2 shown]
                                        ; implicit-def: $sgpr34
                                        ; implicit-def: $vgpr1_vgpr2
                                        ; implicit-def: $vgpr3
	s_and_saveexec_b64 s[0:1], s[28:29]
	s_cbranch_execz .LBB14_1325
; %bb.1318:
	s_waitcnt vmcnt(0)
	v_mul_lo_u32 v1, v5, s14
	v_mov_b32_e32 v2, s3
	s_and_b32 s34, s54, 0xff
	s_cmp_lt_i32 s34, 11
	v_ashrrev_i32_e32 v3, 31, v1
	v_add_co_u32_e32 v1, vcc, s2, v1
	v_addc_co_u32_e32 v2, vcc, v2, v3, vcc
	s_cbranch_scc1 .LBB14_1328
; %bb.1319:
	s_and_b32 s30, 0xffff, s34
	s_cmp_gt_i32 s30, 25
	s_cbranch_scc0 .LBB14_1329
; %bb.1320:
	s_cmp_gt_i32 s30, 28
	s_cbranch_scc0 .LBB14_1330
; %bb.1321:
	;; [unrolled: 3-line block ×4, first 2 shown]
	s_cmp_eq_u32 s30, 46
	s_mov_b64 s[28:29], 0
	s_cbranch_scc0 .LBB14_1333
; %bb.1324:
	global_load_dword v3, v[1:2], off
	s_mov_b32 s20, 0x2f800000
	s_mov_b32 s21, 0xcf800000
	s_mov_b64 s[24:25], -1
	s_waitcnt vmcnt(0)
	v_lshlrev_b32_e32 v3, 16, v3
	v_trunc_f32_e32 v3, v3
	v_mul_f32_e64 v4, |v3|, s20
	v_floor_f32_e32 v4, v4
	v_fma_f32 v4, v4, s21, |v3|
	v_cvt_u32_f32_e32 v4, v4
	v_ashrrev_i32_e32 v3, 31, v3
	s_mov_b64 s[20:21], 0
	v_xor_b32_e32 v4, v4, v3
	v_sub_u32_e32 v3, v4, v3
	s_branch .LBB14_1335
.LBB14_1325:
	s_or_b64 exec, exec, s[0:1]
	s_and_saveexec_b64 s[0:1], s[18:19]
	s_cbranch_execnz .LBB14_1394
.LBB14_1326:
	s_or_b64 exec, exec, s[0:1]
	s_and_saveexec_b64 s[0:1], s[26:27]
	s_xor_b64 s[0:1], exec, s[0:1]
	s_cbranch_execz .LBB14_1395
.LBB14_1327:
	s_waitcnt vmcnt(0)
	global_load_ubyte v3, v[1:2], off
	s_or_b64 s[24:25], s[24:25], exec
	s_waitcnt vmcnt(0)
	v_cmp_ne_u16_e32 vcc, 0, v3
	v_cndmask_b32_e64 v3, 0, 1, vcc
	s_or_b64 exec, exec, s[0:1]
	s_and_saveexec_b64 s[0:1], s[30:31]
	s_cbranch_execz .LBB14_1441
	s_branch .LBB14_1396
.LBB14_1328:
	s_mov_b64 s[28:29], -1
                                        ; implicit-def: $vgpr3
	s_mov_b64 s[20:21], s[18:19]
	s_branch .LBB14_1393
.LBB14_1329:
	s_mov_b64 s[20:21], s[18:19]
                                        ; implicit-def: $vgpr3
	s_cbranch_execnz .LBB14_1362
	s_branch .LBB14_1392
.LBB14_1330:
	s_mov_b64 s[28:29], -1
	s_mov_b64 s[20:21], s[18:19]
                                        ; implicit-def: $vgpr3
	s_branch .LBB14_1345
.LBB14_1331:
	s_mov_b64 s[28:29], -1
	s_mov_b64 s[20:21], s[18:19]
                                        ; implicit-def: $vgpr3
	s_branch .LBB14_1340
.LBB14_1332:
	s_mov_b64 s[28:29], -1
	s_mov_b64 s[20:21], s[18:19]
	s_branch .LBB14_1334
.LBB14_1333:
	s_mov_b64 s[20:21], -1
.LBB14_1334:
                                        ; implicit-def: $vgpr3
.LBB14_1335:
	s_and_b64 vcc, exec, s[28:29]
	s_cbranch_vccz .LBB14_1339
; %bb.1336:
	s_cmp_eq_u32 s30, 44
	s_cbranch_scc0 .LBB14_1338
; %bb.1337:
	global_load_ubyte v3, v[1:2], off
	s_mov_b32 s20, 0x2f800000
	s_mov_b32 s21, 0xcf800000
	s_mov_b64 s[24:25], -1
	s_waitcnt vmcnt(0)
	v_lshlrev_b32_e32 v4, 23, v3
	v_trunc_f32_e32 v4, v4
	v_mul_f32_e64 v6, |v4|, s20
	v_floor_f32_e32 v6, v6
	v_fma_f32 v6, v6, s21, |v4|
	v_cvt_u32_f32_e32 v6, v6
	v_ashrrev_i32_e32 v4, 31, v4
	v_cmp_ne_u32_e32 vcc, 0, v3
	s_mov_b64 s[20:21], 0
	v_xor_b32_e32 v6, v6, v4
	v_sub_u32_e32 v4, v6, v4
	v_cndmask_b32_e32 v3, 0, v4, vcc
	s_branch .LBB14_1339
.LBB14_1338:
	s_mov_b64 s[20:21], -1
                                        ; implicit-def: $vgpr3
.LBB14_1339:
	s_mov_b64 s[28:29], 0
.LBB14_1340:
	s_and_b64 vcc, exec, s[28:29]
	s_cbranch_vccz .LBB14_1344
; %bb.1341:
	s_cmp_eq_u32 s30, 29
	s_cbranch_scc0 .LBB14_1343
; %bb.1342:
	global_load_dwordx2 v[3:4], v[1:2], off
	s_mov_b64 s[20:21], 0
	s_mov_b64 s[24:25], -1
	s_branch .LBB14_1344
.LBB14_1343:
	s_mov_b64 s[20:21], -1
                                        ; implicit-def: $vgpr3
.LBB14_1344:
	s_mov_b64 s[28:29], 0
.LBB14_1345:
	s_and_b64 vcc, exec, s[28:29]
	s_cbranch_vccz .LBB14_1361
; %bb.1346:
	s_cmp_lt_i32 s30, 27
	s_cbranch_scc1 .LBB14_1349
; %bb.1347:
	s_cmp_gt_i32 s30, 27
	s_cbranch_scc0 .LBB14_1350
; %bb.1348:
	global_load_dword v3, v[1:2], off
	s_mov_b64 s[24:25], 0
	s_branch .LBB14_1351
.LBB14_1349:
	s_mov_b64 s[24:25], -1
                                        ; implicit-def: $vgpr3
	s_branch .LBB14_1354
.LBB14_1350:
	s_mov_b64 s[24:25], -1
                                        ; implicit-def: $vgpr3
.LBB14_1351:
	s_andn2_b64 vcc, exec, s[24:25]
	s_cbranch_vccnz .LBB14_1353
; %bb.1352:
	global_load_ushort v3, v[1:2], off
.LBB14_1353:
	s_mov_b64 s[24:25], 0
.LBB14_1354:
	s_andn2_b64 vcc, exec, s[24:25]
	s_cbranch_vccnz .LBB14_1360
; %bb.1355:
	global_load_ubyte v4, v[1:2], off
	s_movk_i32 s24, 0x7f
	s_mov_b64 s[28:29], 0
	s_waitcnt vmcnt(0)
	v_cmp_lt_i16_e32 vcc, s24, v4
	s_and_saveexec_b64 s[24:25], vcc
	s_xor_b64 s[24:25], exec, s[24:25]
	s_cbranch_execz .LBB14_1371
; %bb.1356:
	s_movk_i32 s28, 0x80
	v_cmp_ne_u16_e32 vcc, s28, v4
	s_and_b64 s[28:29], vcc, exec
	s_andn2_saveexec_b64 s[24:25], s[24:25]
	s_cbranch_execnz .LBB14_1372
.LBB14_1357:
	s_or_b64 exec, exec, s[24:25]
	v_mov_b32_e32 v3, 0
	s_and_saveexec_b64 s[24:25], s[28:29]
	s_cbranch_execz .LBB14_1359
.LBB14_1358:
	v_lshlrev_b32_e32 v3, 24, v4
	v_and_b32_e32 v4, 0xffff, v4
	v_and_b32_e32 v6, 7, v4
	v_ffbh_u32_e32 v8, v6
	v_min_u32_e32 v8, 32, v8
	v_subrev_u32_e32 v9, 28, v8
	v_bfe_u32 v7, v4, 3, 4
	v_lshlrev_b32_e32 v4, v9, v4
	v_sub_u32_e32 v8, 29, v8
	v_and_b32_e32 v4, 7, v4
	v_cmp_eq_u32_e32 vcc, 0, v7
	v_cndmask_b32_e32 v7, v7, v8, vcc
	v_cndmask_b32_e32 v4, v6, v4, vcc
	v_mov_b32_e32 v6, 0x3b800000
	v_lshlrev_b32_e32 v4, 20, v4
	v_and_b32_e32 v3, 0x80000000, v3
	v_lshl_add_u32 v6, v7, 23, v6
	v_or3_b32 v3, v3, v6, v4
	v_trunc_f32_e32 v3, v3
	s_mov_b32 s28, 0x2f800000
	v_mul_f32_e64 v4, |v3|, s28
	v_floor_f32_e32 v4, v4
	s_mov_b32 s28, 0xcf800000
	v_fma_f32 v4, v4, s28, |v3|
	v_cvt_u32_f32_e32 v4, v4
	v_ashrrev_i32_e32 v3, 31, v3
	v_xor_b32_e32 v4, v4, v3
	v_sub_u32_e32 v3, v4, v3
.LBB14_1359:
	s_or_b64 exec, exec, s[24:25]
.LBB14_1360:
	s_mov_b64 s[24:25], -1
.LBB14_1361:
	s_branch .LBB14_1392
.LBB14_1362:
	s_cmp_gt_i32 s30, 22
	s_cbranch_scc0 .LBB14_1370
; %bb.1363:
	s_cmp_lt_i32 s30, 24
	s_cbranch_scc1 .LBB14_1373
; %bb.1364:
	s_cmp_gt_i32 s30, 24
	s_cbranch_scc0 .LBB14_1374
; %bb.1365:
	global_load_ubyte v4, v[1:2], off
	s_movk_i32 s24, 0x7f
	s_waitcnt vmcnt(0)
	v_cmp_lt_i16_e32 vcc, s24, v4
	s_and_saveexec_b64 s[24:25], vcc
	s_xor_b64 s[24:25], exec, s[24:25]
	s_cbranch_execz .LBB14_1386
; %bb.1366:
	s_movk_i32 s26, 0x80
	v_cmp_ne_u16_e32 vcc, s26, v4
	s_and_b64 s[26:27], vcc, exec
	s_andn2_saveexec_b64 s[24:25], s[24:25]
	s_cbranch_execnz .LBB14_1387
.LBB14_1367:
	s_or_b64 exec, exec, s[24:25]
	v_mov_b32_e32 v3, 0
	s_and_saveexec_b64 s[24:25], s[26:27]
	s_cbranch_execz .LBB14_1369
.LBB14_1368:
	v_lshlrev_b32_e32 v3, 24, v4
	v_and_b32_e32 v4, 0xffff, v4
	v_and_b32_e32 v6, 3, v4
	v_ffbh_u32_e32 v8, v6
	v_min_u32_e32 v8, 32, v8
	v_subrev_u32_e32 v9, 29, v8
	v_bfe_u32 v7, v4, 2, 5
	v_lshlrev_b32_e32 v4, v9, v4
	v_sub_u32_e32 v8, 30, v8
	v_and_b32_e32 v4, 3, v4
	v_cmp_eq_u32_e32 vcc, 0, v7
	v_cndmask_b32_e32 v7, v7, v8, vcc
	v_cndmask_b32_e32 v4, v6, v4, vcc
	v_mov_b32_e32 v6, 0x37800000
	v_lshlrev_b32_e32 v4, 21, v4
	v_and_b32_e32 v3, 0x80000000, v3
	v_lshl_add_u32 v6, v7, 23, v6
	v_or3_b32 v3, v3, v6, v4
	v_trunc_f32_e32 v3, v3
	s_mov_b32 s26, 0x2f800000
	v_mul_f32_e64 v4, |v3|, s26
	v_floor_f32_e32 v4, v4
	s_mov_b32 s26, 0xcf800000
	v_fma_f32 v4, v4, s26, |v3|
	v_cvt_u32_f32_e32 v4, v4
	v_ashrrev_i32_e32 v3, 31, v3
	v_xor_b32_e32 v4, v4, v3
	v_sub_u32_e32 v3, v4, v3
.LBB14_1369:
	s_or_b64 exec, exec, s[24:25]
	s_mov_b64 s[24:25], 0
	s_branch .LBB14_1375
.LBB14_1370:
	s_mov_b64 s[26:27], -1
                                        ; implicit-def: $vgpr3
	s_branch .LBB14_1381
.LBB14_1371:
	s_andn2_saveexec_b64 s[24:25], s[24:25]
	s_cbranch_execz .LBB14_1357
.LBB14_1372:
	v_cmp_ne_u16_e32 vcc, 0, v4
	s_andn2_b64 s[28:29], s[28:29], exec
	s_and_b64 s[36:37], vcc, exec
	s_or_b64 s[28:29], s[28:29], s[36:37]
	s_or_b64 exec, exec, s[24:25]
	v_mov_b32_e32 v3, 0
	s_and_saveexec_b64 s[24:25], s[28:29]
	s_cbranch_execnz .LBB14_1358
	s_branch .LBB14_1359
.LBB14_1373:
	s_mov_b64 s[24:25], -1
                                        ; implicit-def: $vgpr3
	s_branch .LBB14_1378
.LBB14_1374:
	s_mov_b64 s[24:25], -1
                                        ; implicit-def: $vgpr3
.LBB14_1375:
	s_and_b64 vcc, exec, s[24:25]
	s_cbranch_vccz .LBB14_1377
; %bb.1376:
	global_load_ubyte v3, v[1:2], off
	s_mov_b32 s24, 0x7f800000
	s_brev_b32 s25, 1
	s_mov_b32 s26, 0x2f800000
	s_waitcnt vmcnt(0)
	v_lshlrev_b32_e32 v3, 24, v3
	v_and_b32_e32 v4, 0x7f000000, v3
	v_ffbh_u32_e32 v6, v4
	v_min_u32_e32 v6, 32, v6
	v_sub_u32_e64 v6, v6, 4 clamp
	v_lshlrev_b32_e32 v8, v6, v4
	v_lshlrev_b32_e32 v6, 23, v6
	v_lshrrev_b32_e32 v8, 4, v8
	v_add_u32_e32 v7, 0x1000000, v4
	v_sub_u32_e32 v6, v8, v6
	v_ashrrev_i32_e32 v7, 8, v7
	v_add_u32_e32 v6, 0x3c000000, v6
	v_and_or_b32 v6, v7, s24, v6
	v_cmp_ne_u32_e32 vcc, 0, v4
	v_cndmask_b32_e32 v4, 0, v6, vcc
	v_and_or_b32 v3, v3, s25, v4
	v_trunc_f32_e32 v3, v3
	v_mul_f32_e64 v4, |v3|, s26
	v_floor_f32_e32 v4, v4
	s_mov_b32 s24, 0xcf800000
	v_fma_f32 v4, v4, s24, |v3|
	v_cvt_u32_f32_e32 v4, v4
	v_ashrrev_i32_e32 v3, 31, v3
	v_xor_b32_e32 v4, v4, v3
	v_sub_u32_e32 v3, v4, v3
.LBB14_1377:
	s_mov_b64 s[24:25], 0
.LBB14_1378:
	s_andn2_b64 vcc, exec, s[24:25]
	s_cbranch_vccnz .LBB14_1380
; %bb.1379:
	global_load_ubyte v3, v[1:2], off
	s_movk_i32 s24, 0x7f00
	s_brev_b32 s25, 16
	s_brev_b32 s26, 1
	s_mov_b32 s27, 0x2f800000
	s_waitcnt vmcnt(0)
	v_lshlrev_b16_e32 v4, 8, v3
	v_lshlrev_b32_e32 v3, 25, v3
	v_lshrrev_b32_e32 v6, 4, v3
	v_and_or_b32 v7, v4, s24, 0.5
	v_or_b32_e32 v6, 0x70000000, v6
	v_add_f32_e32 v7, -0.5, v7
	v_mul_f32_e32 v6, 0x7800000, v6
	v_cmp_gt_u32_e32 vcc, s25, v3
	v_bfe_i32 v4, v4, 0, 16
	v_cndmask_b32_e32 v3, v6, v7, vcc
	v_and_or_b32 v3, v4, s26, v3
	v_trunc_f32_e32 v3, v3
	v_mul_f32_e64 v4, |v3|, s27
	v_floor_f32_e32 v4, v4
	s_mov_b32 s24, 0xcf800000
	v_fma_f32 v4, v4, s24, |v3|
	v_cvt_u32_f32_e32 v4, v4
	v_ashrrev_i32_e32 v3, 31, v3
	v_xor_b32_e32 v4, v4, v3
	v_sub_u32_e32 v3, v4, v3
.LBB14_1380:
	s_mov_b64 s[26:27], 0
	s_mov_b64 s[24:25], -1
.LBB14_1381:
	s_andn2_b64 vcc, exec, s[26:27]
	s_mov_b64 s[26:27], 0
	s_cbranch_vccnz .LBB14_1392
; %bb.1382:
	s_cmp_gt_i32 s30, 14
	s_cbranch_scc0 .LBB14_1385
; %bb.1383:
	s_cmp_eq_u32 s30, 15
	s_cbranch_scc0 .LBB14_1388
; %bb.1384:
	global_load_ushort v3, v[1:2], off
	s_mov_b32 s20, 0x2f800000
	s_mov_b32 s21, 0xcf800000
	s_mov_b64 s[24:25], -1
	s_waitcnt vmcnt(0)
	v_lshlrev_b32_e32 v3, 16, v3
	v_trunc_f32_e32 v3, v3
	v_mul_f32_e64 v4, |v3|, s20
	v_floor_f32_e32 v4, v4
	v_fma_f32 v4, v4, s21, |v3|
	v_cvt_u32_f32_e32 v4, v4
	v_ashrrev_i32_e32 v3, 31, v3
	s_mov_b64 s[20:21], 0
	v_xor_b32_e32 v4, v4, v3
	v_sub_u32_e32 v3, v4, v3
	s_branch .LBB14_1389
.LBB14_1385:
	s_mov_b64 s[28:29], -1
                                        ; implicit-def: $vgpr3
	s_branch .LBB14_1390
.LBB14_1386:
	s_andn2_saveexec_b64 s[24:25], s[24:25]
	s_cbranch_execz .LBB14_1367
.LBB14_1387:
	v_cmp_ne_u16_e32 vcc, 0, v4
	s_andn2_b64 s[26:27], s[26:27], exec
	s_and_b64 s[28:29], vcc, exec
	s_or_b64 s[26:27], s[26:27], s[28:29]
	s_or_b64 exec, exec, s[24:25]
	v_mov_b32_e32 v3, 0
	s_and_saveexec_b64 s[24:25], s[26:27]
	s_cbranch_execnz .LBB14_1368
	s_branch .LBB14_1369
.LBB14_1388:
	s_mov_b64 s[20:21], -1
                                        ; implicit-def: $vgpr3
.LBB14_1389:
	s_mov_b64 s[28:29], 0
.LBB14_1390:
	s_and_b64 vcc, exec, s[28:29]
	s_cbranch_vccz .LBB14_1392
; %bb.1391:
	s_cmp_lg_u32 s30, 11
	s_cselect_b64 s[28:29], -1, 0
	s_andn2_b64 s[20:21], s[20:21], exec
	s_and_b64 s[28:29], s[28:29], exec
	s_mov_b64 s[26:27], -1
	s_or_b64 s[20:21], s[20:21], s[28:29]
.LBB14_1392:
	s_mov_b64 s[28:29], 0
.LBB14_1393:
	s_andn2_b64 s[18:19], s[18:19], exec
	s_and_b64 s[20:21], s[20:21], exec
	s_and_b64 s[24:25], s[24:25], exec
	;; [unrolled: 1-line block ×4, first 2 shown]
	s_or_b64 s[18:19], s[18:19], s[20:21]
	s_or_b64 exec, exec, s[0:1]
	s_and_saveexec_b64 s[0:1], s[18:19]
	s_cbranch_execz .LBB14_1326
.LBB14_1394:
	s_or_b64 s[22:23], s[22:23], exec
	s_andn2_b64 s[26:27], s[26:27], exec
	s_trap 2
	s_or_b64 exec, exec, s[0:1]
	s_and_saveexec_b64 s[0:1], s[26:27]
	s_xor_b64 s[0:1], exec, s[0:1]
	s_cbranch_execnz .LBB14_1327
.LBB14_1395:
	s_or_b64 exec, exec, s[0:1]
	s_and_saveexec_b64 s[0:1], s[30:31]
	s_cbranch_execz .LBB14_1441
.LBB14_1396:
	s_sext_i32_i16 s18, s34
	s_cmp_lt_i32 s18, 5
	s_cbranch_scc1 .LBB14_1401
; %bb.1397:
	s_cmp_lt_i32 s18, 8
	s_cbranch_scc1 .LBB14_1402
; %bb.1398:
	;; [unrolled: 3-line block ×3, first 2 shown]
	s_cmp_gt_i32 s18, 9
	s_cbranch_scc0 .LBB14_1404
; %bb.1400:
	s_waitcnt vmcnt(0)
	global_load_dwordx2 v[3:4], v[1:2], off
	s_movk_i32 s18, 0xffe0
	s_waitcnt vmcnt(0)
	v_trunc_f64_e32 v[3:4], v[3:4]
	v_ldexp_f64 v[6:7], v[3:4], s18
	s_mov_b32 s18, 0
	s_mov_b32 s19, 0xc1f00000
	v_floor_f64_e32 v[6:7], v[6:7]
	v_fma_f64 v[3:4], v[6:7], s[18:19], v[3:4]
	s_mov_b64 s[18:19], 0
	v_cvt_u32_f64_e32 v3, v[3:4]
	s_branch .LBB14_1405
.LBB14_1401:
                                        ; implicit-def: $vgpr3
	s_branch .LBB14_1422
.LBB14_1402:
                                        ; implicit-def: $vgpr3
	s_branch .LBB14_1411
.LBB14_1403:
	s_mov_b64 s[18:19], -1
                                        ; implicit-def: $vgpr3
	s_branch .LBB14_1408
.LBB14_1404:
	s_mov_b64 s[18:19], -1
                                        ; implicit-def: $vgpr3
.LBB14_1405:
	s_andn2_b64 vcc, exec, s[18:19]
	s_cbranch_vccnz .LBB14_1407
; %bb.1406:
	s_waitcnt vmcnt(0)
	global_load_dword v3, v[1:2], off
	s_mov_b32 s18, 0x2f800000
	s_waitcnt vmcnt(0)
	v_trunc_f32_e32 v3, v3
	v_mul_f32_e64 v4, |v3|, s18
	v_floor_f32_e32 v4, v4
	s_mov_b32 s18, 0xcf800000
	v_fma_f32 v4, v4, s18, |v3|
	v_cvt_u32_f32_e32 v4, v4
	v_ashrrev_i32_e32 v3, 31, v3
	v_xor_b32_e32 v4, v4, v3
	v_sub_u32_e32 v3, v4, v3
.LBB14_1407:
	s_mov_b64 s[18:19], 0
.LBB14_1408:
	s_andn2_b64 vcc, exec, s[18:19]
	s_cbranch_vccnz .LBB14_1410
; %bb.1409:
	s_waitcnt vmcnt(0)
	global_load_dword v3, v[1:2], off
	s_waitcnt vmcnt(0)
	v_cvt_f32_f16_e32 v3, v3
	v_cvt_i32_f32_e32 v3, v3
.LBB14_1410:
	s_cbranch_execnz .LBB14_1421
.LBB14_1411:
	s_sext_i32_i16 s18, s34
	s_cmp_lt_i32 s18, 6
	s_cbranch_scc1 .LBB14_1414
; %bb.1412:
	s_cmp_gt_i32 s18, 6
	s_cbranch_scc0 .LBB14_1415
; %bb.1413:
	s_waitcnt vmcnt(0)
	global_load_dwordx2 v[3:4], v[1:2], off
	s_movk_i32 s18, 0xffe0
	s_waitcnt vmcnt(0)
	v_trunc_f64_e32 v[3:4], v[3:4]
	v_ldexp_f64 v[6:7], v[3:4], s18
	s_mov_b32 s18, 0
	s_mov_b32 s19, 0xc1f00000
	v_floor_f64_e32 v[6:7], v[6:7]
	v_fma_f64 v[3:4], v[6:7], s[18:19], v[3:4]
	s_mov_b64 s[18:19], 0
	v_cvt_u32_f64_e32 v3, v[3:4]
	s_branch .LBB14_1416
.LBB14_1414:
	s_mov_b64 s[18:19], -1
                                        ; implicit-def: $vgpr3
	s_branch .LBB14_1419
.LBB14_1415:
	s_mov_b64 s[18:19], -1
                                        ; implicit-def: $vgpr3
.LBB14_1416:
	s_andn2_b64 vcc, exec, s[18:19]
	s_cbranch_vccnz .LBB14_1418
; %bb.1417:
	s_waitcnt vmcnt(0)
	global_load_dword v3, v[1:2], off
	s_mov_b32 s18, 0x2f800000
	s_waitcnt vmcnt(0)
	v_trunc_f32_e32 v3, v3
	v_mul_f32_e64 v4, |v3|, s18
	v_floor_f32_e32 v4, v4
	s_mov_b32 s18, 0xcf800000
	v_fma_f32 v4, v4, s18, |v3|
	v_cvt_u32_f32_e32 v4, v4
	v_ashrrev_i32_e32 v3, 31, v3
	v_xor_b32_e32 v4, v4, v3
	v_sub_u32_e32 v3, v4, v3
.LBB14_1418:
	s_mov_b64 s[18:19], 0
.LBB14_1419:
	s_andn2_b64 vcc, exec, s[18:19]
	s_cbranch_vccnz .LBB14_1421
; %bb.1420:
	s_waitcnt vmcnt(0)
	global_load_ushort v3, v[1:2], off
	s_waitcnt vmcnt(0)
	v_cvt_f32_f16_e32 v3, v3
	v_cvt_i32_f32_e32 v3, v3
.LBB14_1421:
	s_cbranch_execnz .LBB14_1440
.LBB14_1422:
	s_sext_i32_i16 s18, s34
	s_cmp_lt_i32 s18, 2
	s_cbranch_scc1 .LBB14_1426
; %bb.1423:
	s_cmp_lt_i32 s18, 3
	s_cbranch_scc1 .LBB14_1427
; %bb.1424:
	s_cmp_gt_i32 s18, 3
	s_cbranch_scc0 .LBB14_1428
; %bb.1425:
	s_waitcnt vmcnt(0)
	global_load_dwordx2 v[3:4], v[1:2], off
	s_mov_b64 s[18:19], 0
	s_branch .LBB14_1429
.LBB14_1426:
                                        ; implicit-def: $vgpr3
	s_branch .LBB14_1435
.LBB14_1427:
	s_mov_b64 s[18:19], -1
                                        ; implicit-def: $vgpr3
	s_branch .LBB14_1432
.LBB14_1428:
	s_mov_b64 s[18:19], -1
                                        ; implicit-def: $vgpr3
.LBB14_1429:
	s_andn2_b64 vcc, exec, s[18:19]
	s_cbranch_vccnz .LBB14_1431
; %bb.1430:
	s_waitcnt vmcnt(0)
	global_load_dword v3, v[1:2], off
.LBB14_1431:
	s_mov_b64 s[18:19], 0
.LBB14_1432:
	s_andn2_b64 vcc, exec, s[18:19]
	s_cbranch_vccnz .LBB14_1434
; %bb.1433:
	s_waitcnt vmcnt(0)
	global_load_ushort v3, v[1:2], off
.LBB14_1434:
	s_cbranch_execnz .LBB14_1440
.LBB14_1435:
	s_sext_i32_i16 s18, s34
	s_cmp_gt_i32 s18, 0
	s_cbranch_scc0 .LBB14_1437
; %bb.1436:
	s_waitcnt vmcnt(0)
	global_load_ubyte v3, v[1:2], off
	s_mov_b64 s[18:19], 0
	s_branch .LBB14_1438
.LBB14_1437:
	s_mov_b64 s[18:19], -1
                                        ; implicit-def: $vgpr3
.LBB14_1438:
	s_andn2_b64 vcc, exec, s[18:19]
	s_cbranch_vccnz .LBB14_1440
; %bb.1439:
	s_waitcnt vmcnt(0)
	global_load_ubyte v3, v[1:2], off
.LBB14_1440:
	s_or_b64 s[24:25], s[24:25], exec
.LBB14_1441:
	s_or_b64 exec, exec, s[0:1]
	s_mov_b64 s[28:29], 0
	s_mov_b64 s[26:27], 0
                                        ; implicit-def: $sgpr18_sgpr19
                                        ; implicit-def: $sgpr34
                                        ; implicit-def: $vgpr1_vgpr2
	s_and_saveexec_b64 s[20:21], s[24:25]
	s_cbranch_execz .LBB14_1446
; %bb.1442:
	s_cmp_lt_i32 s15, 1
	s_mov_b64 s[0:1], 0
	s_cbranch_scc1 .LBB14_1449
; %bb.1443:
	s_cmp_gt_i32 s15, 1
	s_cbranch_scc0 .LBB14_1450
; %bb.1444:
	s_cmp_eq_u32 s15, 2
	s_cbranch_scc0 .LBB14_1451
; %bb.1445:
	s_waitcnt vmcnt(0)
	v_cmp_le_u16_sdwa s[18:19], v0, v3 src0_sel:BYTE_0 src1_sel:BYTE_0
	s_mov_b64 s[24:25], 0
	s_branch .LBB14_1453
.LBB14_1446:
	s_or_b64 exec, exec, s[20:21]
	s_and_saveexec_b64 s[0:1], s[16:17]
	s_cbranch_execnz .LBB14_1538
.LBB14_1447:
	s_or_b64 exec, exec, s[0:1]
	s_and_saveexec_b64 s[0:1], s[28:29]
	s_xor_b64 s[0:1], exec, s[0:1]
	s_cbranch_execz .LBB14_1539
.LBB14_1448:
	s_waitcnt vmcnt(0)
	v_cndmask_b32_e64 v0, 0, 1, s[18:19]
	global_store_byte v[1:2], v0, off
	s_or_b64 exec, exec, s[0:1]
	s_and_saveexec_b64 s[0:1], s[26:27]
	s_xor_b64 s[0:1], exec, s[0:1]
	s_cbranch_execz .LBB14_1577
	s_branch .LBB14_1540
.LBB14_1449:
                                        ; implicit-def: $sgpr18_sgpr19
	s_mov_b64 s[24:25], 0
	s_cbranch_execnz .LBB14_1456
	s_branch .LBB14_1457
.LBB14_1450:
	s_mov_b64 s[26:27], -1
	s_mov_b64 s[24:25], 0
	s_branch .LBB14_1452
.LBB14_1451:
	s_mov_b64 s[24:25], -1
.LBB14_1452:
                                        ; implicit-def: $sgpr18_sgpr19
.LBB14_1453:
	s_and_b64 vcc, exec, s[26:27]
	s_cbranch_vccz .LBB14_1455
; %bb.1454:
	s_waitcnt vmcnt(0)
	v_cmp_gt_u16_sdwa s[26:27], v0, v3 src0_sel:BYTE_0 src1_sel:BYTE_0
	s_andn2_b64 s[18:19], s[18:19], exec
	s_and_b64 s[26:27], s[26:27], exec
	s_or_b64 s[18:19], s[18:19], s[26:27]
.LBB14_1455:
	s_branch .LBB14_1457
.LBB14_1456:
	s_cmp_lg_u32 s15, 0
	s_mov_b64 s[0:1], -1
	s_cselect_b64 s[24:25], -1, 0
.LBB14_1457:
	s_andn2_b64 vcc, exec, s[24:25]
	s_cbranch_vccnz .LBB14_1459
; %bb.1458:
	s_waitcnt vmcnt(0)
	v_cmp_lt_u16_sdwa s[24:25], v0, v3 src0_sel:BYTE_0 src1_sel:BYTE_0
	s_andn2_b64 s[18:19], s[18:19], exec
	s_and_b64 s[24:25], s[24:25], exec
	s_or_b64 s[18:19], s[18:19], s[24:25]
	s_cbranch_execz .LBB14_1460
	s_branch .LBB14_1461
.LBB14_1459:
	s_andn2_b64 vcc, exec, s[0:1]
	s_cbranch_vccnz .LBB14_1461
.LBB14_1460:
	s_waitcnt vmcnt(0)
	v_cmp_ge_u16_sdwa s[0:1], v0, v3 src0_sel:BYTE_0 src1_sel:BYTE_0
	s_andn2_b64 s[18:19], s[18:19], exec
	s_and_b64 s[0:1], s[0:1], exec
	s_or_b64 s[18:19], s[18:19], s[0:1]
.LBB14_1461:
	s_waitcnt vmcnt(0)
	v_mul_lo_u32 v0, v5, s12
	v_mov_b32_e32 v2, s9
	s_and_b32 s34, s33, 0xff
	s_cmp_lt_i32 s34, 11
	v_ashrrev_i32_e32 v3, 31, v0
	v_add_co_u32_e32 v1, vcc, s8, v0
	v_addc_co_u32_e32 v2, vcc, v2, v3, vcc
	s_cbranch_scc1 .LBB14_1535
; %bb.1462:
	s_and_b32 s35, 0xffff, s34
	s_mov_b64 s[26:27], -1
	s_cmp_gt_i32 s35, 25
	s_mov_b64 s[0:1], s[16:17]
	s_cbranch_scc0 .LBB14_1495
; %bb.1463:
	s_mov_b64 s[24:25], -1
	s_cmp_gt_i32 s35, 28
	s_mov_b64 s[0:1], s[16:17]
	s_cbranch_scc0 .LBB14_1479
; %bb.1464:
	s_cmp_gt_i32 s35, 43
	s_mov_b64 s[0:1], s[16:17]
	s_cbranch_scc0 .LBB14_1475
; %bb.1465:
	;; [unrolled: 4-line block ×3, first 2 shown]
	s_cmp_eq_u32 s35, 46
	s_mov_b64 s[0:1], -1
	s_cbranch_scc0 .LBB14_1468
; %bb.1467:
	v_cndmask_b32_e64 v0, 0, 1.0, s[18:19]
	v_bfe_u32 v3, v0, 16, 1
	s_movk_i32 s0, 0x7fff
	v_add3_u32 v0, v0, v3, s0
	v_lshrrev_b32_e32 v0, 16, v0
	global_store_dword v[1:2], v0, off
	s_mov_b64 s[0:1], 0
.LBB14_1468:
	s_mov_b64 s[24:25], 0
.LBB14_1469:
	s_and_b64 vcc, exec, s[24:25]
	s_cbranch_vccz .LBB14_1474
; %bb.1470:
	s_cmp_eq_u32 s35, 44
	s_mov_b64 s[0:1], -1
	s_cbranch_scc0 .LBB14_1474
; %bb.1471:
	v_cndmask_b32_e64 v3, 0, 1.0, s[18:19]
	v_lshrrev_b32_e32 v0, 23, v3
	s_movk_i32 s0, 0xff
	v_cmp_ne_u32_e32 vcc, s0, v0
	v_mov_b32_e32 v4, 0xff
	s_and_saveexec_b64 s[24:25], vcc
; %bb.1472:
	s_mov_b32 s0, 0x3fffff
	v_and_b32_e32 v4, 0x400000, v3
	v_and_or_b32 v3, v3, s0, v0
	v_cmp_ne_u32_e32 vcc, 0, v4
	v_cmp_ne_u32_e64 s[0:1], 0, v3
	s_and_b64 s[0:1], vcc, s[0:1]
	v_cndmask_b32_e64 v3, 0, 1, s[0:1]
	v_add_u32_e32 v4, v0, v3
; %bb.1473:
	s_or_b64 exec, exec, s[24:25]
	s_mov_b64 s[0:1], 0
	global_store_byte v[1:2], v4, off
.LBB14_1474:
	s_mov_b64 s[24:25], 0
.LBB14_1475:
	s_and_b64 vcc, exec, s[24:25]
	s_cbranch_vccz .LBB14_1478
; %bb.1476:
	s_cmp_eq_u32 s35, 29
	s_mov_b64 s[0:1], -1
	s_cbranch_scc0 .LBB14_1478
; %bb.1477:
	s_mov_b32 s0, 0
	v_cndmask_b32_e64 v3, 0, 1, s[18:19]
	v_mov_b32_e32 v4, s0
	global_store_dwordx2 v[1:2], v[3:4], off
	s_mov_b64 s[0:1], 0
.LBB14_1478:
	s_mov_b64 s[24:25], 0
.LBB14_1479:
	s_and_b64 vcc, exec, s[24:25]
	s_cbranch_vccz .LBB14_1494
; %bb.1480:
	s_cmp_lt_i32 s35, 27
	s_mov_b64 s[24:25], -1
	s_cbranch_scc1 .LBB14_1486
; %bb.1481:
	s_cmp_gt_i32 s35, 27
	v_cndmask_b32_e64 v0, 0, 1, s[18:19]
	s_cbranch_scc0 .LBB14_1483
; %bb.1482:
	s_mov_b64 s[24:25], 0
	global_store_dword v[1:2], v0, off
.LBB14_1483:
	s_andn2_b64 vcc, exec, s[24:25]
	s_cbranch_vccnz .LBB14_1485
; %bb.1484:
	global_store_short v[1:2], v0, off
.LBB14_1485:
	s_mov_b64 s[24:25], 0
.LBB14_1486:
	s_andn2_b64 vcc, exec, s[24:25]
	s_cbranch_vccnz .LBB14_1494
; %bb.1487:
	v_cndmask_b32_e64 v3, 0, 1.0, s[18:19]
	s_mov_b32 s24, 0x43800000
	v_cmp_gt_u32_e32 vcc, s24, v3
	v_mov_b32_e32 v4, 0x80
	s_and_saveexec_b64 s[24:25], vcc
	s_cbranch_execz .LBB14_1493
; %bb.1488:
	s_mov_b32 s26, 0x3bffffff
	v_cmp_lt_u32_e32 vcc, s26, v3
	s_mov_b64 s[26:27], 0
                                        ; implicit-def: $vgpr0
	s_and_saveexec_b64 s[28:29], vcc
	s_xor_b64 s[28:29], exec, s[28:29]
	s_cbranch_execz .LBB14_1592
; %bb.1489:
	v_bfe_u32 v0, v3, 20, 1
	s_mov_b32 s30, 0x487ffff
	v_add3_u32 v0, v3, v0, s30
	s_mov_b64 s[26:27], exec
	v_lshrrev_b32_e32 v0, 20, v0
                                        ; implicit-def: $vgpr3
	s_andn2_saveexec_b64 s[28:29], s[28:29]
	s_cbranch_execnz .LBB14_1593
.LBB14_1490:
	s_or_b64 exec, exec, s[28:29]
	v_mov_b32_e32 v4, 0
	s_and_saveexec_b64 s[28:29], s[26:27]
.LBB14_1491:
	v_mov_b32_e32 v4, v0
.LBB14_1492:
	s_or_b64 exec, exec, s[28:29]
.LBB14_1493:
	s_or_b64 exec, exec, s[24:25]
	global_store_byte v[1:2], v4, off
.LBB14_1494:
	s_mov_b64 s[26:27], 0
.LBB14_1495:
	s_mov_b64 s[24:25], 0
	s_and_b64 vcc, exec, s[26:27]
	s_cbranch_vccz .LBB14_1536
; %bb.1496:
	s_cmp_gt_i32 s35, 22
	s_mov_b64 s[26:27], -1
	s_cbranch_scc0 .LBB14_1528
; %bb.1497:
	s_cmp_lt_i32 s35, 24
	s_cbranch_scc1 .LBB14_1517
; %bb.1498:
	s_cmp_gt_i32 s35, 24
	s_cbranch_scc0 .LBB14_1506
; %bb.1499:
	v_cndmask_b32_e64 v3, 0, 1.0, s[18:19]
	s_mov_b32 s26, 0x47800000
	v_cmp_gt_u32_e32 vcc, s26, v3
	v_mov_b32_e32 v4, 0x80
	s_and_saveexec_b64 s[26:27], vcc
	s_cbranch_execz .LBB14_1505
; %bb.1500:
	s_mov_b32 s28, 0x37ffffff
	v_cmp_lt_u32_e32 vcc, s28, v3
	s_mov_b64 s[28:29], 0
                                        ; implicit-def: $vgpr0
	s_and_saveexec_b64 s[30:31], vcc
	s_xor_b64 s[30:31], exec, s[30:31]
	s_cbranch_execz .LBB14_1712
; %bb.1501:
	v_bfe_u32 v0, v3, 21, 1
	s_mov_b32 s36, 0x88fffff
	v_add3_u32 v0, v3, v0, s36
	s_mov_b64 s[28:29], exec
	v_lshrrev_b32_e32 v0, 21, v0
                                        ; implicit-def: $vgpr3
	s_andn2_saveexec_b64 s[30:31], s[30:31]
	s_cbranch_execnz .LBB14_1713
.LBB14_1502:
	s_or_b64 exec, exec, s[30:31]
	v_mov_b32_e32 v4, 0
	s_and_saveexec_b64 s[30:31], s[28:29]
.LBB14_1503:
	v_mov_b32_e32 v4, v0
.LBB14_1504:
	s_or_b64 exec, exec, s[30:31]
.LBB14_1505:
	s_or_b64 exec, exec, s[26:27]
	s_mov_b64 s[26:27], 0
	global_store_byte v[1:2], v4, off
.LBB14_1506:
	s_and_b64 vcc, exec, s[26:27]
	s_cbranch_vccz .LBB14_1516
; %bb.1507:
	v_cndmask_b32_e64 v0, 0, 1.0, s[18:19]
	s_mov_b32 s26, 0x43f00000
	v_cmp_gt_u32_e32 vcc, s26, v0
                                        ; implicit-def: $vgpr3
	s_and_saveexec_b64 s[26:27], vcc
	s_xor_b64 s[26:27], exec, s[26:27]
	s_cbranch_execz .LBB14_1513
; %bb.1508:
	s_mov_b32 s28, 0x3c7fffff
	v_cmp_lt_u32_e32 vcc, s28, v0
                                        ; implicit-def: $vgpr3
	s_and_saveexec_b64 s[28:29], vcc
	s_xor_b64 s[28:29], exec, s[28:29]
; %bb.1509:
	v_bfe_u32 v3, v0, 20, 1
	s_mov_b32 s30, 0x407ffff
	v_add3_u32 v0, v0, v3, s30
	v_lshrrev_b32_e32 v3, 20, v0
	v_and_b32_e32 v0, 0xff00000, v0
	s_mov_b32 s30, 0x7f00000
	v_mov_b32_e32 v4, 0x7e
	v_cmp_ne_u32_e32 vcc, s30, v0
	v_cndmask_b32_e32 v3, v4, v3, vcc
                                        ; implicit-def: $vgpr0
; %bb.1510:
	s_andn2_saveexec_b64 s[28:29], s[28:29]
; %bb.1511:
	v_add_f32_e32 v3, 0x46800000, v0
; %bb.1512:
	s_or_b64 exec, exec, s[28:29]
                                        ; implicit-def: $vgpr0
.LBB14_1513:
	s_andn2_saveexec_b64 s[26:27], s[26:27]
; %bb.1514:
	s_mov_b32 s28, 0x7f800000
	v_mov_b32_e32 v3, 0x7e
	v_mov_b32_e32 v4, 0x7f
	v_cmp_lt_u32_e32 vcc, s28, v0
	v_cndmask_b32_e32 v3, v3, v4, vcc
; %bb.1515:
	s_or_b64 exec, exec, s[26:27]
	global_store_byte v[1:2], v3, off
.LBB14_1516:
	s_mov_b64 s[26:27], 0
.LBB14_1517:
	s_andn2_b64 vcc, exec, s[26:27]
	s_cbranch_vccnz .LBB14_1527
; %bb.1518:
	v_cndmask_b32_e64 v0, 0, 1.0, s[18:19]
	s_mov_b32 s26, 0x47800000
	v_cmp_gt_u32_e32 vcc, s26, v0
                                        ; implicit-def: $vgpr3
	s_and_saveexec_b64 s[26:27], vcc
	s_xor_b64 s[26:27], exec, s[26:27]
	s_cbranch_execz .LBB14_1524
; %bb.1519:
	s_mov_b32 s28, 0x387fffff
	v_cmp_lt_u32_e32 vcc, s28, v0
                                        ; implicit-def: $vgpr3
	s_and_saveexec_b64 s[28:29], vcc
	s_xor_b64 s[28:29], exec, s[28:29]
; %bb.1520:
	v_bfe_u32 v3, v0, 21, 1
	s_mov_b32 s30, 0x80fffff
	v_add3_u32 v0, v0, v3, s30
	v_lshrrev_b32_e32 v3, 21, v0
                                        ; implicit-def: $vgpr0
; %bb.1521:
	s_andn2_saveexec_b64 s[28:29], s[28:29]
; %bb.1522:
	v_add_f32_e32 v3, 0x43000000, v0
; %bb.1523:
	s_or_b64 exec, exec, s[28:29]
                                        ; implicit-def: $vgpr0
.LBB14_1524:
	s_andn2_saveexec_b64 s[26:27], s[26:27]
; %bb.1525:
	s_mov_b32 s28, 0x7f800000
	v_mov_b32_e32 v3, 0x7c
	v_mov_b32_e32 v4, 0x7f
	v_cmp_lt_u32_e32 vcc, s28, v0
	v_cndmask_b32_e32 v3, v3, v4, vcc
; %bb.1526:
	s_or_b64 exec, exec, s[26:27]
	global_store_byte v[1:2], v3, off
.LBB14_1527:
	s_mov_b64 s[26:27], 0
.LBB14_1528:
	s_andn2_b64 vcc, exec, s[26:27]
	s_mov_b64 s[28:29], 0
	s_cbranch_vccnz .LBB14_1537
; %bb.1529:
	s_cmp_gt_i32 s35, 14
	s_mov_b64 s[26:27], -1
	s_cbranch_scc0 .LBB14_1533
; %bb.1530:
	s_cmp_eq_u32 s35, 15
	s_mov_b64 s[0:1], -1
	s_cbranch_scc0 .LBB14_1532
; %bb.1531:
	v_cndmask_b32_e64 v0, 0, 1.0, s[18:19]
	v_bfe_u32 v3, v0, 16, 1
	s_movk_i32 s0, 0x7fff
	v_add3_u32 v0, v0, v3, s0
	global_store_short_d16_hi v[1:2], v0, off
	s_mov_b64 s[0:1], 0
.LBB14_1532:
	s_mov_b64 s[26:27], 0
.LBB14_1533:
	s_and_b64 vcc, exec, s[26:27]
	s_cbranch_vccz .LBB14_1537
; %bb.1534:
	s_cmp_lg_u32 s35, 11
	s_cselect_b64 s[26:27], -1, 0
	s_andn2_b64 s[0:1], s[0:1], exec
	s_and_b64 s[26:27], s[26:27], exec
	s_mov_b64 s[28:29], -1
	s_or_b64 s[0:1], s[0:1], s[26:27]
	s_branch .LBB14_1537
.LBB14_1535:
	s_mov_b64 s[24:25], -1
	s_mov_b64 s[0:1], s[16:17]
	s_branch .LBB14_1537
.LBB14_1536:
	s_mov_b64 s[28:29], 0
.LBB14_1537:
	s_andn2_b64 s[16:17], s[16:17], exec
	s_and_b64 s[0:1], s[0:1], exec
	s_and_b64 s[26:27], s[24:25], exec
	;; [unrolled: 1-line block ×3, first 2 shown]
	s_or_b64 s[16:17], s[16:17], s[0:1]
	s_or_b64 exec, exec, s[20:21]
	s_and_saveexec_b64 s[0:1], s[16:17]
	s_cbranch_execz .LBB14_1447
.LBB14_1538:
	s_or_b64 s[22:23], s[22:23], exec
	s_andn2_b64 s[28:29], s[28:29], exec
	s_trap 2
	s_or_b64 exec, exec, s[0:1]
	s_and_saveexec_b64 s[0:1], s[28:29]
	s_xor_b64 s[0:1], exec, s[0:1]
	s_cbranch_execnz .LBB14_1448
.LBB14_1539:
	s_or_b64 exec, exec, s[0:1]
	s_and_saveexec_b64 s[0:1], s[26:27]
	s_xor_b64 s[0:1], exec, s[0:1]
	s_cbranch_execz .LBB14_1577
.LBB14_1540:
	s_sext_i32_i16 s20, s34
	s_cmp_lt_i32 s20, 5
	s_mov_b64 s[16:17], -1
	s_cbranch_scc1 .LBB14_1561
; %bb.1541:
	s_cmp_lt_i32 s20, 8
	s_cbranch_scc1 .LBB14_1551
; %bb.1542:
	s_cmp_lt_i32 s20, 9
	s_cbranch_scc1 .LBB14_1548
; %bb.1543:
	s_cmp_gt_i32 s20, 9
	s_cbranch_scc0 .LBB14_1545
; %bb.1544:
	s_waitcnt vmcnt(0)
	v_cndmask_b32_e64 v0, 0, 1, s[18:19]
	v_cvt_f64_u32_e32 v[3:4], v0
	v_mov_b32_e32 v5, 0
	v_mov_b32_e32 v6, v5
	s_mov_b64 s[16:17], 0
	global_store_dwordx4 v[1:2], v[3:6], off
.LBB14_1545:
	s_andn2_b64 vcc, exec, s[16:17]
	s_cbranch_vccnz .LBB14_1547
; %bb.1546:
	s_waitcnt vmcnt(0)
	v_cndmask_b32_e64 v3, 0, 1.0, s[18:19]
	v_mov_b32_e32 v4, 0
	global_store_dwordx2 v[1:2], v[3:4], off
.LBB14_1547:
	s_mov_b64 s[16:17], 0
.LBB14_1548:
	s_andn2_b64 vcc, exec, s[16:17]
	s_cbranch_vccnz .LBB14_1550
; %bb.1549:
	s_waitcnt vmcnt(0)
	v_cndmask_b32_e64 v0, 0, 1.0, s[18:19]
	v_cvt_f16_f32_e32 v0, v0
	global_store_dword v[1:2], v0, off
.LBB14_1550:
	s_mov_b64 s[16:17], 0
.LBB14_1551:
	s_andn2_b64 vcc, exec, s[16:17]
	s_cbranch_vccnz .LBB14_1560
; %bb.1552:
	s_sext_i32_i16 s20, s34
	s_cmp_lt_i32 s20, 6
	s_mov_b64 s[16:17], -1
	s_cbranch_scc1 .LBB14_1558
; %bb.1553:
	s_cmp_gt_i32 s20, 6
	s_cbranch_scc0 .LBB14_1555
; %bb.1554:
	s_waitcnt vmcnt(0)
	v_cndmask_b32_e64 v0, 0, 1, s[18:19]
	v_cvt_f64_u32_e32 v[3:4], v0
	s_mov_b64 s[16:17], 0
	global_store_dwordx2 v[1:2], v[3:4], off
.LBB14_1555:
	s_andn2_b64 vcc, exec, s[16:17]
	s_cbranch_vccnz .LBB14_1557
; %bb.1556:
	s_waitcnt vmcnt(0)
	v_cndmask_b32_e64 v0, 0, 1.0, s[18:19]
	global_store_dword v[1:2], v0, off
.LBB14_1557:
	s_mov_b64 s[16:17], 0
.LBB14_1558:
	s_andn2_b64 vcc, exec, s[16:17]
	s_cbranch_vccnz .LBB14_1560
; %bb.1559:
	s_waitcnt vmcnt(0)
	v_cndmask_b32_e64 v0, 0, 1.0, s[18:19]
	v_cvt_f16_f32_e32 v0, v0
	global_store_short v[1:2], v0, off
.LBB14_1560:
	s_mov_b64 s[16:17], 0
.LBB14_1561:
	s_andn2_b64 vcc, exec, s[16:17]
	s_cbranch_vccnz .LBB14_1577
; %bb.1562:
	s_sext_i32_i16 s20, s34
	s_cmp_lt_i32 s20, 2
	s_mov_b64 s[16:17], -1
	s_cbranch_scc1 .LBB14_1572
; %bb.1563:
	s_cmp_lt_i32 s20, 3
	s_cbranch_scc1 .LBB14_1569
; %bb.1564:
	s_cmp_gt_i32 s20, 3
	s_cbranch_scc0 .LBB14_1566
; %bb.1565:
	s_mov_b32 s16, 0
	s_waitcnt vmcnt(0)
	v_cndmask_b32_e64 v3, 0, 1, s[18:19]
	v_mov_b32_e32 v4, s16
	s_mov_b64 s[16:17], 0
	global_store_dwordx2 v[1:2], v[3:4], off
.LBB14_1566:
	s_andn2_b64 vcc, exec, s[16:17]
	s_cbranch_vccnz .LBB14_1568
; %bb.1567:
	s_waitcnt vmcnt(0)
	v_cndmask_b32_e64 v0, 0, 1, s[18:19]
	global_store_dword v[1:2], v0, off
.LBB14_1568:
	s_mov_b64 s[16:17], 0
.LBB14_1569:
	s_andn2_b64 vcc, exec, s[16:17]
	s_cbranch_vccnz .LBB14_1571
; %bb.1570:
	s_waitcnt vmcnt(0)
	v_cndmask_b32_e64 v0, 0, 1, s[18:19]
	global_store_short v[1:2], v0, off
.LBB14_1571:
	s_mov_b64 s[16:17], 0
.LBB14_1572:
	s_andn2_b64 vcc, exec, s[16:17]
	s_cbranch_vccnz .LBB14_1577
; %bb.1573:
	s_sext_i32_i16 s20, s34
	s_mov_b64 s[16:17], -1
	s_cmp_gt_i32 s20, 0
	s_waitcnt vmcnt(0)
	v_cndmask_b32_e64 v0, 0, 1, s[18:19]
	s_cbranch_scc0 .LBB14_1575
; %bb.1574:
	s_mov_b64 s[16:17], 0
	global_store_byte v[1:2], v0, off
.LBB14_1575:
	s_andn2_b64 vcc, exec, s[16:17]
	s_cbranch_vccnz .LBB14_1577
; %bb.1576:
	global_store_byte v[1:2], v0, off
.LBB14_1577:
	s_or_b64 exec, exec, s[0:1]
	s_and_b64 s[16:17], s[22:23], exec
                                        ; implicit-def: $vgpr5
.LBB14_1578:
	s_or_saveexec_b64 s[6:7], s[6:7]
	s_mov_b64 s[0:1], 0
                                        ; implicit-def: $sgpr24_sgpr25
                                        ; implicit-def: $sgpr28
                                        ; implicit-def: $vgpr0_vgpr1
	s_xor_b64 exec, exec, s[6:7]
	s_cbranch_execz .LBB14_2637
; %bb.1579:
	v_mul_lo_u32 v6, s13, v5
	s_waitcnt vmcnt(0)
	v_mov_b32_e32 v0, s11
	s_and_b32 s28, s55, 0xff
	s_cmp_lt_i32 s28, 11
	v_ashrrev_i32_e32 v1, 31, v6
	v_add_co_u32_e32 v2, vcc, s10, v6
	v_addc_co_u32_e32 v3, vcc, v0, v1, vcc
	s_cbranch_scc1 .LBB14_1586
; %bb.1580:
	s_and_b32 s22, 0xffff, s28
	s_cmp_gt_i32 s22, 25
	s_cbranch_scc0 .LBB14_1588
; %bb.1581:
	s_cmp_gt_i32 s22, 28
	s_cbranch_scc0 .LBB14_1589
; %bb.1582:
	;; [unrolled: 3-line block ×4, first 2 shown]
	s_cmp_eq_u32 s22, 46
	s_mov_b64 s[18:19], 0
	s_cbranch_scc0 .LBB14_1594
; %bb.1585:
	global_load_dword v0, v[2:3], off
	s_mov_b32 s0, 0x2f800000
	s_mov_b32 s1, 0xcf800000
	s_mov_b64 s[20:21], -1
	s_waitcnt vmcnt(0)
	v_lshlrev_b32_e32 v0, 16, v0
	v_trunc_f32_e32 v0, v0
	v_mul_f32_e64 v1, |v0|, s0
	v_floor_f32_e32 v1, v1
	v_fma_f32 v1, v1, s1, |v0|
	v_cvt_u32_f32_e32 v1, v1
	v_ashrrev_i32_e32 v0, 31, v0
	s_mov_b64 s[0:1], 0
	v_xor_b32_e32 v1, v1, v0
	v_sub_u32_e32 v0, v1, v0
	s_branch .LBB14_1595
.LBB14_1586:
	s_mov_b64 s[20:21], 0
                                        ; implicit-def: $vgpr0
	s_mov_b64 s[18:19], s[16:17]
	s_cbranch_execnz .LBB14_1653
.LBB14_1587:
	s_andn2_b64 vcc, exec, s[20:21]
	s_cbranch_vccz .LBB14_1698
	s_branch .LBB14_2634
.LBB14_1588:
	s_mov_b64 s[20:21], 0
                                        ; implicit-def: $vgpr0
	s_cbranch_execnz .LBB14_1620
	s_branch .LBB14_1649
.LBB14_1589:
	s_mov_b64 s[20:21], 0
                                        ; implicit-def: $vgpr0
	s_cbranch_execz .LBB14_1619
	s_branch .LBB14_1604
.LBB14_1590:
	s_mov_b64 s[20:21], 0
                                        ; implicit-def: $vgpr0
	s_cbranch_execnz .LBB14_1600
	s_branch .LBB14_1603
.LBB14_1591:
	s_mov_b64 s[18:19], -1
	s_mov_b64 s[20:21], 0
                                        ; implicit-def: $vgpr0
	s_branch .LBB14_1595
.LBB14_1592:
	s_andn2_saveexec_b64 s[28:29], s[28:29]
	s_cbranch_execz .LBB14_1490
.LBB14_1593:
	v_add_f32_e32 v0, 0x46000000, v3
	v_and_b32_e32 v0, 0xff, v0
	v_cmp_ne_u32_e32 vcc, 0, v0
	s_andn2_b64 s[26:27], s[26:27], exec
	s_and_b64 s[30:31], vcc, exec
	s_or_b64 s[26:27], s[26:27], s[30:31]
	s_or_b64 exec, exec, s[28:29]
	v_mov_b32_e32 v4, 0
	s_and_saveexec_b64 s[28:29], s[26:27]
	s_cbranch_execnz .LBB14_1491
	s_branch .LBB14_1492
.LBB14_1594:
	s_mov_b64 s[0:1], -1
                                        ; implicit-def: $vgpr0
	s_mov_b64 s[20:21], 0
.LBB14_1595:
	s_and_b64 vcc, exec, s[18:19]
	s_cbranch_vccz .LBB14_1598
; %bb.1596:
	s_cmp_eq_u32 s22, 44
	s_cbranch_scc0 .LBB14_1599
; %bb.1597:
	global_load_ubyte v0, v[2:3], off
	s_mov_b32 s0, 0x2f800000
	s_mov_b32 s1, 0xcf800000
	s_mov_b64 s[20:21], -1
	s_waitcnt vmcnt(0)
	v_lshlrev_b32_e32 v1, 23, v0
	v_trunc_f32_e32 v1, v1
	v_mul_f32_e64 v4, |v1|, s0
	v_floor_f32_e32 v4, v4
	v_fma_f32 v4, v4, s1, |v1|
	v_cvt_u32_f32_e32 v4, v4
	v_ashrrev_i32_e32 v1, 31, v1
	v_cmp_ne_u32_e32 vcc, 0, v0
	s_mov_b64 s[0:1], 0
	v_xor_b32_e32 v4, v4, v1
	v_sub_u32_e32 v1, v4, v1
	v_cndmask_b32_e32 v0, 0, v1, vcc
.LBB14_1598:
	s_branch .LBB14_1603
.LBB14_1599:
	s_mov_b64 s[0:1], -1
                                        ; implicit-def: $vgpr0
	s_branch .LBB14_1603
.LBB14_1600:
	s_cmp_eq_u32 s22, 29
	s_cbranch_scc0 .LBB14_1602
; %bb.1601:
	global_load_dwordx2 v[0:1], v[2:3], off
	s_mov_b64 s[0:1], 0
	s_mov_b64 s[20:21], -1
	s_branch .LBB14_1603
.LBB14_1602:
	s_mov_b64 s[0:1], -1
                                        ; implicit-def: $vgpr0
.LBB14_1603:
	s_branch .LBB14_1619
.LBB14_1604:
	s_cmp_lt_i32 s22, 27
	s_cbranch_scc1 .LBB14_1607
; %bb.1605:
	s_cmp_gt_i32 s22, 27
	s_cbranch_scc0 .LBB14_1608
; %bb.1606:
	global_load_dword v0, v[2:3], off
	s_mov_b64 s[18:19], 0
	s_branch .LBB14_1609
.LBB14_1607:
	s_mov_b64 s[18:19], -1
                                        ; implicit-def: $vgpr0
	s_branch .LBB14_1612
.LBB14_1608:
	s_mov_b64 s[18:19], -1
                                        ; implicit-def: $vgpr0
.LBB14_1609:
	s_andn2_b64 vcc, exec, s[18:19]
	s_cbranch_vccnz .LBB14_1611
; %bb.1610:
	global_load_ushort v0, v[2:3], off
.LBB14_1611:
	s_mov_b64 s[18:19], 0
.LBB14_1612:
	s_andn2_b64 vcc, exec, s[18:19]
	s_cbranch_vccnz .LBB14_1618
; %bb.1613:
	global_load_ubyte v1, v[2:3], off
	s_movk_i32 s18, 0x7f
	s_mov_b64 s[20:21], 0
	s_waitcnt vmcnt(0)
	v_cmp_lt_i16_e32 vcc, s18, v1
	s_and_saveexec_b64 s[18:19], vcc
	s_xor_b64 s[18:19], exec, s[18:19]
	s_cbranch_execz .LBB14_1629
; %bb.1614:
	s_movk_i32 s20, 0x80
	v_cmp_ne_u16_e32 vcc, s20, v1
	s_and_b64 s[20:21], vcc, exec
	s_andn2_saveexec_b64 s[18:19], s[18:19]
	s_cbranch_execnz .LBB14_1630
.LBB14_1615:
	s_or_b64 exec, exec, s[18:19]
	v_mov_b32_e32 v0, 0
	s_and_saveexec_b64 s[18:19], s[20:21]
	s_cbranch_execz .LBB14_1617
.LBB14_1616:
	v_lshlrev_b32_e32 v0, 24, v1
	v_and_b32_e32 v1, 0xffff, v1
	v_and_b32_e32 v4, 7, v1
	v_ffbh_u32_e32 v8, v4
	v_min_u32_e32 v8, 32, v8
	v_subrev_u32_e32 v9, 28, v8
	v_bfe_u32 v7, v1, 3, 4
	v_lshlrev_b32_e32 v1, v9, v1
	v_sub_u32_e32 v8, 29, v8
	v_and_b32_e32 v1, 7, v1
	v_cmp_eq_u32_e32 vcc, 0, v7
	v_cndmask_b32_e32 v7, v7, v8, vcc
	v_cndmask_b32_e32 v1, v4, v1, vcc
	v_mov_b32_e32 v4, 0x3b800000
	v_lshlrev_b32_e32 v1, 20, v1
	v_and_b32_e32 v0, 0x80000000, v0
	v_lshl_add_u32 v4, v7, 23, v4
	v_or3_b32 v0, v0, v4, v1
	v_trunc_f32_e32 v0, v0
	s_mov_b32 s20, 0x2f800000
	v_mul_f32_e64 v1, |v0|, s20
	v_floor_f32_e32 v1, v1
	s_mov_b32 s20, 0xcf800000
	v_fma_f32 v1, v1, s20, |v0|
	v_cvt_u32_f32_e32 v1, v1
	v_ashrrev_i32_e32 v0, 31, v0
	v_xor_b32_e32 v1, v1, v0
	v_sub_u32_e32 v0, v1, v0
.LBB14_1617:
	s_or_b64 exec, exec, s[18:19]
.LBB14_1618:
	s_mov_b64 s[20:21], -1
.LBB14_1619:
	s_branch .LBB14_1649
.LBB14_1620:
	s_cmp_gt_i32 s22, 22
	s_cbranch_scc0 .LBB14_1628
; %bb.1621:
	s_cmp_lt_i32 s22, 24
	s_cbranch_scc1 .LBB14_1631
; %bb.1622:
	s_cmp_gt_i32 s22, 24
	s_cbranch_scc0 .LBB14_1632
; %bb.1623:
	global_load_ubyte v1, v[2:3], off
	s_movk_i32 s4, 0x7f
	s_mov_b64 s[18:19], 0
	s_waitcnt vmcnt(0)
	v_cmp_lt_i16_e32 vcc, s4, v1
	s_and_saveexec_b64 s[4:5], vcc
	s_xor_b64 s[4:5], exec, s[4:5]
	s_cbranch_execz .LBB14_1643
; %bb.1624:
	s_movk_i32 s18, 0x80
	v_cmp_ne_u16_e32 vcc, s18, v1
	s_and_b64 s[18:19], vcc, exec
	s_andn2_saveexec_b64 s[4:5], s[4:5]
	s_cbranch_execnz .LBB14_1644
.LBB14_1625:
	s_or_b64 exec, exec, s[4:5]
	v_mov_b32_e32 v0, 0
	s_and_saveexec_b64 s[4:5], s[18:19]
	s_cbranch_execz .LBB14_1627
.LBB14_1626:
	v_lshlrev_b32_e32 v0, 24, v1
	v_and_b32_e32 v1, 0xffff, v1
	v_and_b32_e32 v4, 3, v1
	v_ffbh_u32_e32 v8, v4
	v_min_u32_e32 v8, 32, v8
	v_subrev_u32_e32 v9, 29, v8
	v_bfe_u32 v7, v1, 2, 5
	v_lshlrev_b32_e32 v1, v9, v1
	v_sub_u32_e32 v8, 30, v8
	v_and_b32_e32 v1, 3, v1
	v_cmp_eq_u32_e32 vcc, 0, v7
	v_cndmask_b32_e32 v7, v7, v8, vcc
	v_cndmask_b32_e32 v1, v4, v1, vcc
	v_mov_b32_e32 v4, 0x37800000
	v_lshlrev_b32_e32 v1, 21, v1
	v_and_b32_e32 v0, 0x80000000, v0
	v_lshl_add_u32 v4, v7, 23, v4
	v_or3_b32 v0, v0, v4, v1
	v_trunc_f32_e32 v0, v0
	s_mov_b32 s18, 0x2f800000
	v_mul_f32_e64 v1, |v0|, s18
	v_floor_f32_e32 v1, v1
	s_mov_b32 s18, 0xcf800000
	v_fma_f32 v1, v1, s18, |v0|
	v_cvt_u32_f32_e32 v1, v1
	v_ashrrev_i32_e32 v0, 31, v0
	v_xor_b32_e32 v1, v1, v0
	v_sub_u32_e32 v0, v1, v0
.LBB14_1627:
	s_or_b64 exec, exec, s[4:5]
	s_mov_b64 s[4:5], 0
	s_branch .LBB14_1633
.LBB14_1628:
                                        ; implicit-def: $vgpr0
	s_mov_b64 s[4:5], 0
	s_branch .LBB14_1639
.LBB14_1629:
	s_andn2_saveexec_b64 s[18:19], s[18:19]
	s_cbranch_execz .LBB14_1615
.LBB14_1630:
	v_cmp_ne_u16_e32 vcc, 0, v1
	s_andn2_b64 s[20:21], s[20:21], exec
	s_and_b64 s[24:25], vcc, exec
	s_or_b64 s[20:21], s[20:21], s[24:25]
	s_or_b64 exec, exec, s[18:19]
	v_mov_b32_e32 v0, 0
	s_and_saveexec_b64 s[18:19], s[20:21]
	s_cbranch_execnz .LBB14_1616
	s_branch .LBB14_1617
.LBB14_1631:
	s_mov_b64 s[4:5], -1
                                        ; implicit-def: $vgpr0
	s_branch .LBB14_1636
.LBB14_1632:
	s_mov_b64 s[4:5], -1
                                        ; implicit-def: $vgpr0
.LBB14_1633:
	s_and_b64 vcc, exec, s[4:5]
	s_cbranch_vccz .LBB14_1635
; %bb.1634:
	global_load_ubyte v0, v[2:3], off
	s_mov_b32 s4, 0x7f800000
	s_brev_b32 s5, 1
	s_mov_b32 s18, 0x2f800000
	s_waitcnt vmcnt(0)
	v_lshlrev_b32_e32 v0, 24, v0
	v_and_b32_e32 v1, 0x7f000000, v0
	v_ffbh_u32_e32 v4, v1
	v_min_u32_e32 v4, 32, v4
	v_sub_u32_e64 v4, v4, 4 clamp
	v_lshlrev_b32_e32 v8, v4, v1
	v_lshlrev_b32_e32 v4, 23, v4
	v_lshrrev_b32_e32 v8, 4, v8
	v_add_u32_e32 v7, 0x1000000, v1
	v_sub_u32_e32 v4, v8, v4
	v_ashrrev_i32_e32 v7, 8, v7
	v_add_u32_e32 v4, 0x3c000000, v4
	v_and_or_b32 v4, v7, s4, v4
	v_cmp_ne_u32_e32 vcc, 0, v1
	v_cndmask_b32_e32 v1, 0, v4, vcc
	v_and_or_b32 v0, v0, s5, v1
	v_trunc_f32_e32 v0, v0
	v_mul_f32_e64 v1, |v0|, s18
	v_floor_f32_e32 v1, v1
	s_mov_b32 s4, 0xcf800000
	v_fma_f32 v1, v1, s4, |v0|
	v_cvt_u32_f32_e32 v1, v1
	v_ashrrev_i32_e32 v0, 31, v0
	v_xor_b32_e32 v1, v1, v0
	v_sub_u32_e32 v0, v1, v0
.LBB14_1635:
	s_mov_b64 s[4:5], 0
.LBB14_1636:
	s_andn2_b64 vcc, exec, s[4:5]
	s_cbranch_vccnz .LBB14_1638
; %bb.1637:
	global_load_ubyte v0, v[2:3], off
	s_movk_i32 s4, 0x7f00
	s_brev_b32 s5, 16
	s_brev_b32 s18, 1
	s_mov_b32 s19, 0x2f800000
	s_waitcnt vmcnt(0)
	v_lshlrev_b16_e32 v1, 8, v0
	v_lshlrev_b32_e32 v0, 25, v0
	v_lshrrev_b32_e32 v4, 4, v0
	v_and_or_b32 v7, v1, s4, 0.5
	v_or_b32_e32 v4, 0x70000000, v4
	v_add_f32_e32 v7, -0.5, v7
	v_mul_f32_e32 v4, 0x7800000, v4
	v_cmp_gt_u32_e32 vcc, s5, v0
	v_bfe_i32 v1, v1, 0, 16
	v_cndmask_b32_e32 v0, v4, v7, vcc
	v_and_or_b32 v0, v1, s18, v0
	v_trunc_f32_e32 v0, v0
	v_mul_f32_e64 v1, |v0|, s19
	v_floor_f32_e32 v1, v1
	s_mov_b32 s4, 0xcf800000
	v_fma_f32 v1, v1, s4, |v0|
	v_cvt_u32_f32_e32 v1, v1
	v_ashrrev_i32_e32 v0, 31, v0
	v_xor_b32_e32 v1, v1, v0
	v_sub_u32_e32 v0, v1, v0
.LBB14_1638:
	s_mov_b64 s[20:21], -1
	s_mov_b64 s[4:5], 0
	s_cbranch_execnz .LBB14_1649
.LBB14_1639:
	s_cmp_gt_i32 s22, 14
	s_cbranch_scc0 .LBB14_1642
; %bb.1640:
	s_cmp_eq_u32 s22, 15
	s_cbranch_scc0 .LBB14_1645
; %bb.1641:
	global_load_ushort v0, v[2:3], off
	s_mov_b32 s0, 0x2f800000
	s_mov_b32 s1, 0xcf800000
	s_mov_b64 s[20:21], -1
	s_waitcnt vmcnt(0)
	v_lshlrev_b32_e32 v0, 16, v0
	v_trunc_f32_e32 v0, v0
	v_mul_f32_e64 v1, |v0|, s0
	v_floor_f32_e32 v1, v1
	v_fma_f32 v1, v1, s1, |v0|
	v_cvt_u32_f32_e32 v1, v1
	v_ashrrev_i32_e32 v0, 31, v0
	s_mov_b64 s[0:1], 0
	v_xor_b32_e32 v1, v1, v0
	v_sub_u32_e32 v0, v1, v0
	s_branch .LBB14_1646
.LBB14_1642:
	s_mov_b64 s[18:19], -1
                                        ; implicit-def: $vgpr0
	s_branch .LBB14_1647
.LBB14_1643:
	s_andn2_saveexec_b64 s[4:5], s[4:5]
	s_cbranch_execz .LBB14_1625
.LBB14_1644:
	v_cmp_ne_u16_e32 vcc, 0, v1
	s_andn2_b64 s[18:19], s[18:19], exec
	s_and_b64 s[20:21], vcc, exec
	s_or_b64 s[18:19], s[18:19], s[20:21]
	s_or_b64 exec, exec, s[4:5]
	v_mov_b32_e32 v0, 0
	s_and_saveexec_b64 s[4:5], s[18:19]
	s_cbranch_execnz .LBB14_1626
	s_branch .LBB14_1627
.LBB14_1645:
	s_mov_b64 s[0:1], -1
                                        ; implicit-def: $vgpr0
.LBB14_1646:
	s_mov_b64 s[18:19], 0
.LBB14_1647:
	s_and_b64 vcc, exec, s[18:19]
	s_cbranch_vccz .LBB14_1649
; %bb.1648:
	s_cmp_lg_u32 s22, 11
	s_mov_b64 s[4:5], -1
	s_cselect_b64 s[0:1], -1, 0
.LBB14_1649:
	s_and_b64 vcc, exec, s[0:1]
	s_mov_b64 s[18:19], s[16:17]
	s_cbranch_vccnz .LBB14_1710
; %bb.1650:
	s_andn2_b64 vcc, exec, s[4:5]
	s_cbranch_vccnz .LBB14_1652
.LBB14_1651:
	global_load_ubyte v0, v[2:3], off
	s_mov_b64 s[20:21], -1
	s_waitcnt vmcnt(0)
	v_cmp_ne_u16_e32 vcc, 0, v0
	v_cndmask_b32_e64 v0, 0, 1, vcc
.LBB14_1652:
	s_branch .LBB14_1587
.LBB14_1653:
	s_and_b32 s4, 0xffff, s28
	s_cmp_lt_i32 s4, 5
	s_cbranch_scc1 .LBB14_1658
; %bb.1654:
	s_cmp_lt_i32 s4, 8
	s_cbranch_scc1 .LBB14_1659
; %bb.1655:
	;; [unrolled: 3-line block ×3, first 2 shown]
	s_cmp_gt_i32 s4, 9
	s_cbranch_scc0 .LBB14_1661
; %bb.1657:
	global_load_dwordx2 v[0:1], v[2:3], off
	s_movk_i32 s0, 0xffe0
	s_waitcnt vmcnt(0)
	v_trunc_f64_e32 v[0:1], v[0:1]
	v_ldexp_f64 v[7:8], v[0:1], s0
	s_mov_b32 s0, 0
	s_mov_b32 s1, 0xc1f00000
	v_floor_f64_e32 v[7:8], v[7:8]
	v_fma_f64 v[0:1], v[7:8], s[0:1], v[0:1]
	s_mov_b64 s[0:1], 0
	v_cvt_u32_f64_e32 v0, v[0:1]
	s_branch .LBB14_1662
.LBB14_1658:
                                        ; implicit-def: $vgpr0
	s_branch .LBB14_1679
.LBB14_1659:
                                        ; implicit-def: $vgpr0
	s_branch .LBB14_1668
.LBB14_1660:
	s_mov_b64 s[0:1], -1
                                        ; implicit-def: $vgpr0
	s_branch .LBB14_1665
.LBB14_1661:
	s_mov_b64 s[0:1], -1
                                        ; implicit-def: $vgpr0
.LBB14_1662:
	s_andn2_b64 vcc, exec, s[0:1]
	s_cbranch_vccnz .LBB14_1664
; %bb.1663:
	global_load_dword v0, v[2:3], off
	s_mov_b32 s0, 0x2f800000
	s_waitcnt vmcnt(0)
	v_trunc_f32_e32 v0, v0
	v_mul_f32_e64 v1, |v0|, s0
	v_floor_f32_e32 v1, v1
	s_mov_b32 s0, 0xcf800000
	v_fma_f32 v1, v1, s0, |v0|
	v_cvt_u32_f32_e32 v1, v1
	v_ashrrev_i32_e32 v0, 31, v0
	v_xor_b32_e32 v1, v1, v0
	v_sub_u32_e32 v0, v1, v0
.LBB14_1664:
	s_mov_b64 s[0:1], 0
.LBB14_1665:
	s_andn2_b64 vcc, exec, s[0:1]
	s_cbranch_vccnz .LBB14_1667
; %bb.1666:
	global_load_dword v0, v[2:3], off
	s_waitcnt vmcnt(0)
	v_cvt_f32_f16_e32 v0, v0
	v_cvt_i32_f32_e32 v0, v0
.LBB14_1667:
	s_cbranch_execnz .LBB14_1678
.LBB14_1668:
	s_cmp_lt_i32 s4, 6
	s_cbranch_scc1 .LBB14_1671
; %bb.1669:
	s_cmp_gt_i32 s4, 6
	s_cbranch_scc0 .LBB14_1672
; %bb.1670:
	global_load_dwordx2 v[0:1], v[2:3], off
	s_movk_i32 s0, 0xffe0
	s_waitcnt vmcnt(0)
	v_trunc_f64_e32 v[0:1], v[0:1]
	v_ldexp_f64 v[7:8], v[0:1], s0
	s_mov_b32 s0, 0
	s_mov_b32 s1, 0xc1f00000
	v_floor_f64_e32 v[7:8], v[7:8]
	v_fma_f64 v[0:1], v[7:8], s[0:1], v[0:1]
	s_mov_b64 s[0:1], 0
	v_cvt_u32_f64_e32 v0, v[0:1]
	s_branch .LBB14_1673
.LBB14_1671:
	s_mov_b64 s[0:1], -1
                                        ; implicit-def: $vgpr0
	s_branch .LBB14_1676
.LBB14_1672:
	s_mov_b64 s[0:1], -1
                                        ; implicit-def: $vgpr0
.LBB14_1673:
	s_andn2_b64 vcc, exec, s[0:1]
	s_cbranch_vccnz .LBB14_1675
; %bb.1674:
	global_load_dword v0, v[2:3], off
	s_mov_b32 s0, 0x2f800000
	s_waitcnt vmcnt(0)
	v_trunc_f32_e32 v0, v0
	v_mul_f32_e64 v1, |v0|, s0
	v_floor_f32_e32 v1, v1
	s_mov_b32 s0, 0xcf800000
	v_fma_f32 v1, v1, s0, |v0|
	v_cvt_u32_f32_e32 v1, v1
	v_ashrrev_i32_e32 v0, 31, v0
	v_xor_b32_e32 v1, v1, v0
	v_sub_u32_e32 v0, v1, v0
.LBB14_1675:
	s_mov_b64 s[0:1], 0
.LBB14_1676:
	s_andn2_b64 vcc, exec, s[0:1]
	s_cbranch_vccnz .LBB14_1678
; %bb.1677:
	global_load_ushort v0, v[2:3], off
	s_waitcnt vmcnt(0)
	v_cvt_f32_f16_e32 v0, v0
	v_cvt_i32_f32_e32 v0, v0
.LBB14_1678:
	s_cbranch_execnz .LBB14_1697
.LBB14_1679:
	s_cmp_lt_i32 s4, 2
	s_cbranch_scc1 .LBB14_1683
; %bb.1680:
	s_cmp_lt_i32 s4, 3
	s_cbranch_scc1 .LBB14_1684
; %bb.1681:
	s_cmp_gt_i32 s4, 3
	s_cbranch_scc0 .LBB14_1685
; %bb.1682:
	global_load_dwordx2 v[0:1], v[2:3], off
	s_mov_b64 s[0:1], 0
	s_branch .LBB14_1686
.LBB14_1683:
                                        ; implicit-def: $vgpr0
	s_branch .LBB14_1692
.LBB14_1684:
	s_mov_b64 s[0:1], -1
                                        ; implicit-def: $vgpr0
	s_branch .LBB14_1689
.LBB14_1685:
	s_mov_b64 s[0:1], -1
                                        ; implicit-def: $vgpr0
.LBB14_1686:
	s_andn2_b64 vcc, exec, s[0:1]
	s_cbranch_vccnz .LBB14_1688
; %bb.1687:
	global_load_dword v0, v[2:3], off
.LBB14_1688:
	s_mov_b64 s[0:1], 0
.LBB14_1689:
	s_andn2_b64 vcc, exec, s[0:1]
	s_cbranch_vccnz .LBB14_1691
; %bb.1690:
	global_load_ushort v0, v[2:3], off
.LBB14_1691:
	s_cbranch_execnz .LBB14_1697
.LBB14_1692:
	s_cmp_gt_i32 s4, 0
	s_cbranch_scc0 .LBB14_1694
; %bb.1693:
	global_load_ubyte v0, v[2:3], off
	s_mov_b64 s[0:1], 0
	s_branch .LBB14_1695
.LBB14_1694:
	s_mov_b64 s[0:1], -1
                                        ; implicit-def: $vgpr0
.LBB14_1695:
	s_andn2_b64 vcc, exec, s[0:1]
	s_cbranch_vccnz .LBB14_1697
; %bb.1696:
	global_load_ubyte v0, v[2:3], off
.LBB14_1697:
.LBB14_1698:
	v_mul_lo_u32 v7, s14, v5
	v_mov_b32_e32 v2, s3
	s_and_b32 s29, s54, 0xff
	s_cmp_lt_i32 s29, 11
	v_ashrrev_i32_e32 v3, 31, v7
	s_waitcnt vmcnt(0)
	v_add_co_u32_e32 v1, vcc, s2, v7
	v_addc_co_u32_e32 v2, vcc, v2, v3, vcc
	s_cbranch_scc1 .LBB14_1705
; %bb.1699:
	s_and_b32 s24, 0xffff, s29
	s_cmp_gt_i32 s24, 25
	s_mov_b64 s[4:5], 0
	s_cbranch_scc0 .LBB14_1707
; %bb.1700:
	s_cmp_gt_i32 s24, 28
	s_cbranch_scc0 .LBB14_1708
; %bb.1701:
	s_cmp_gt_i32 s24, 43
	;; [unrolled: 3-line block ×3, first 2 shown]
	s_cbranch_scc0 .LBB14_1711
; %bb.1703:
	s_cmp_eq_u32 s24, 46
	s_mov_b64 s[22:23], 0
	s_cbranch_scc0 .LBB14_1714
; %bb.1704:
	global_load_dword v3, v[1:2], off
	s_mov_b32 s0, 0x2f800000
	s_mov_b32 s1, 0xcf800000
	s_mov_b64 s[20:21], -1
	s_waitcnt vmcnt(0)
	v_lshlrev_b32_e32 v3, 16, v3
	v_trunc_f32_e32 v3, v3
	v_mul_f32_e64 v4, |v3|, s0
	v_floor_f32_e32 v4, v4
	v_fma_f32 v4, v4, s1, |v3|
	v_cvt_u32_f32_e32 v4, v4
	v_ashrrev_i32_e32 v3, 31, v3
	s_mov_b64 s[0:1], 0
	v_xor_b32_e32 v4, v4, v3
	v_sub_u32_e32 v3, v4, v3
	s_branch .LBB14_1715
.LBB14_1705:
	s_mov_b64 s[20:21], 0
                                        ; implicit-def: $vgpr3
	s_cbranch_execnz .LBB14_1776
.LBB14_1706:
	s_andn2_b64 vcc, exec, s[20:21]
	s_cbranch_vccnz .LBB14_2634
	s_branch .LBB14_1823
.LBB14_1707:
	s_mov_b64 s[20:21], 0
	s_mov_b64 s[0:1], 0
                                        ; implicit-def: $vgpr3
	s_cbranch_execnz .LBB14_1742
	s_branch .LBB14_1772
.LBB14_1708:
	s_mov_b64 s[22:23], -1
	s_mov_b64 s[20:21], 0
	s_mov_b64 s[0:1], 0
                                        ; implicit-def: $vgpr3
	s_branch .LBB14_1725
.LBB14_1709:
	s_mov_b64 s[22:23], -1
	s_mov_b64 s[20:21], 0
	s_mov_b64 s[0:1], 0
                                        ; implicit-def: $vgpr3
	s_branch .LBB14_1720
.LBB14_1710:
	s_or_b64 s[18:19], s[16:17], exec
	s_trap 2
	s_cbranch_execz .LBB14_1651
	s_branch .LBB14_1652
.LBB14_1711:
	s_mov_b64 s[22:23], -1
	s_mov_b64 s[20:21], 0
	s_mov_b64 s[0:1], 0
                                        ; implicit-def: $vgpr3
	s_branch .LBB14_1715
.LBB14_1712:
	s_andn2_saveexec_b64 s[30:31], s[30:31]
	s_cbranch_execz .LBB14_1502
.LBB14_1713:
	v_add_f32_e32 v0, 0x42800000, v3
	v_and_b32_e32 v0, 0xff, v0
	v_cmp_ne_u32_e32 vcc, 0, v0
	s_andn2_b64 s[28:29], s[28:29], exec
	s_and_b64 s[36:37], vcc, exec
	s_or_b64 s[28:29], s[28:29], s[36:37]
	s_or_b64 exec, exec, s[30:31]
	v_mov_b32_e32 v4, 0
	s_and_saveexec_b64 s[30:31], s[28:29]
	s_cbranch_execnz .LBB14_1503
	s_branch .LBB14_1504
.LBB14_1714:
	s_mov_b64 s[0:1], -1
                                        ; implicit-def: $vgpr3
	s_mov_b64 s[20:21], 0
.LBB14_1715:
	s_and_b64 vcc, exec, s[22:23]
	s_cbranch_vccz .LBB14_1719
; %bb.1716:
	s_cmp_eq_u32 s24, 44
	s_cbranch_scc0 .LBB14_1718
; %bb.1717:
	global_load_ubyte v3, v[1:2], off
	s_mov_b32 s0, 0x2f800000
	s_mov_b32 s1, 0xcf800000
	s_mov_b64 s[20:21], -1
	s_waitcnt vmcnt(0)
	v_lshlrev_b32_e32 v4, 23, v3
	v_trunc_f32_e32 v4, v4
	v_mul_f32_e64 v8, |v4|, s0
	v_floor_f32_e32 v8, v8
	v_fma_f32 v8, v8, s1, |v4|
	v_cvt_u32_f32_e32 v8, v8
	v_ashrrev_i32_e32 v4, 31, v4
	v_cmp_ne_u32_e32 vcc, 0, v3
	s_mov_b64 s[0:1], 0
	v_xor_b32_e32 v8, v8, v4
	v_sub_u32_e32 v4, v8, v4
	v_cndmask_b32_e32 v3, 0, v4, vcc
	s_branch .LBB14_1719
.LBB14_1718:
	s_mov_b64 s[0:1], -1
                                        ; implicit-def: $vgpr3
.LBB14_1719:
	s_mov_b64 s[22:23], 0
.LBB14_1720:
	s_and_b64 vcc, exec, s[22:23]
	s_cbranch_vccz .LBB14_1724
; %bb.1721:
	s_cmp_eq_u32 s24, 29
	s_cbranch_scc0 .LBB14_1723
; %bb.1722:
	global_load_dwordx2 v[3:4], v[1:2], off
	s_mov_b64 s[0:1], 0
	s_mov_b64 s[20:21], -1
	s_branch .LBB14_1724
.LBB14_1723:
	s_mov_b64 s[0:1], -1
                                        ; implicit-def: $vgpr3
.LBB14_1724:
	s_mov_b64 s[22:23], 0
.LBB14_1725:
	s_and_b64 vcc, exec, s[22:23]
	s_cbranch_vccz .LBB14_1741
; %bb.1726:
	s_cmp_lt_i32 s24, 27
	s_cbranch_scc1 .LBB14_1729
; %bb.1727:
	s_cmp_gt_i32 s24, 27
	s_cbranch_scc0 .LBB14_1730
; %bb.1728:
	global_load_dword v3, v[1:2], off
	s_mov_b64 s[20:21], 0
	s_branch .LBB14_1731
.LBB14_1729:
	s_mov_b64 s[20:21], -1
                                        ; implicit-def: $vgpr3
	s_branch .LBB14_1734
.LBB14_1730:
	s_mov_b64 s[20:21], -1
                                        ; implicit-def: $vgpr3
.LBB14_1731:
	s_andn2_b64 vcc, exec, s[20:21]
	s_cbranch_vccnz .LBB14_1733
; %bb.1732:
	global_load_ushort v3, v[1:2], off
.LBB14_1733:
	s_mov_b64 s[20:21], 0
.LBB14_1734:
	s_andn2_b64 vcc, exec, s[20:21]
	s_cbranch_vccnz .LBB14_1740
; %bb.1735:
	global_load_ubyte v4, v[1:2], off
	s_movk_i32 s20, 0x7f
	s_mov_b64 s[22:23], 0
	s_waitcnt vmcnt(0)
	v_cmp_lt_i16_e32 vcc, s20, v4
	s_and_saveexec_b64 s[20:21], vcc
	s_xor_b64 s[20:21], exec, s[20:21]
	s_cbranch_execz .LBB14_1751
; %bb.1736:
	s_movk_i32 s22, 0x80
	v_cmp_ne_u16_e32 vcc, s22, v4
	s_and_b64 s[22:23], vcc, exec
	s_andn2_saveexec_b64 s[20:21], s[20:21]
	s_cbranch_execnz .LBB14_1752
.LBB14_1737:
	s_or_b64 exec, exec, s[20:21]
	v_mov_b32_e32 v3, 0
	s_and_saveexec_b64 s[20:21], s[22:23]
	s_cbranch_execz .LBB14_1739
.LBB14_1738:
	v_lshlrev_b32_e32 v3, 24, v4
	v_and_b32_e32 v4, 0xffff, v4
	v_and_b32_e32 v8, 7, v4
	v_ffbh_u32_e32 v10, v8
	v_min_u32_e32 v10, 32, v10
	v_subrev_u32_e32 v11, 28, v10
	v_bfe_u32 v9, v4, 3, 4
	v_lshlrev_b32_e32 v4, v11, v4
	v_sub_u32_e32 v10, 29, v10
	v_and_b32_e32 v4, 7, v4
	v_cmp_eq_u32_e32 vcc, 0, v9
	v_cndmask_b32_e32 v9, v9, v10, vcc
	v_cndmask_b32_e32 v4, v8, v4, vcc
	v_mov_b32_e32 v8, 0x3b800000
	v_lshlrev_b32_e32 v4, 20, v4
	v_and_b32_e32 v3, 0x80000000, v3
	v_lshl_add_u32 v8, v9, 23, v8
	v_or3_b32 v3, v3, v8, v4
	v_trunc_f32_e32 v3, v3
	s_mov_b32 s22, 0x2f800000
	v_mul_f32_e64 v4, |v3|, s22
	v_floor_f32_e32 v4, v4
	s_mov_b32 s22, 0xcf800000
	v_fma_f32 v4, v4, s22, |v3|
	v_cvt_u32_f32_e32 v4, v4
	v_ashrrev_i32_e32 v3, 31, v3
	v_xor_b32_e32 v4, v4, v3
	v_sub_u32_e32 v3, v4, v3
.LBB14_1739:
	s_or_b64 exec, exec, s[20:21]
.LBB14_1740:
	s_mov_b64 s[20:21], -1
.LBB14_1741:
	s_branch .LBB14_1772
.LBB14_1742:
	s_cmp_gt_i32 s24, 22
	s_cbranch_scc0 .LBB14_1750
; %bb.1743:
	s_cmp_lt_i32 s24, 24
	s_cbranch_scc1 .LBB14_1753
; %bb.1744:
	s_cmp_gt_i32 s24, 24
	s_cbranch_scc0 .LBB14_1754
; %bb.1745:
	global_load_ubyte v4, v[1:2], off
	s_movk_i32 s4, 0x7f
	s_mov_b64 s[20:21], 0
	s_waitcnt vmcnt(0)
	v_cmp_lt_i16_e32 vcc, s4, v4
	s_and_saveexec_b64 s[4:5], vcc
	s_xor_b64 s[4:5], exec, s[4:5]
	s_cbranch_execz .LBB14_1766
; %bb.1746:
	s_movk_i32 s20, 0x80
	v_cmp_ne_u16_e32 vcc, s20, v4
	s_and_b64 s[20:21], vcc, exec
	s_andn2_saveexec_b64 s[4:5], s[4:5]
	s_cbranch_execnz .LBB14_1767
.LBB14_1747:
	s_or_b64 exec, exec, s[4:5]
	v_mov_b32_e32 v3, 0
	s_and_saveexec_b64 s[4:5], s[20:21]
	s_cbranch_execz .LBB14_1749
.LBB14_1748:
	v_lshlrev_b32_e32 v3, 24, v4
	v_and_b32_e32 v4, 0xffff, v4
	v_and_b32_e32 v8, 3, v4
	v_ffbh_u32_e32 v10, v8
	v_min_u32_e32 v10, 32, v10
	v_subrev_u32_e32 v11, 29, v10
	v_bfe_u32 v9, v4, 2, 5
	v_lshlrev_b32_e32 v4, v11, v4
	v_sub_u32_e32 v10, 30, v10
	v_and_b32_e32 v4, 3, v4
	v_cmp_eq_u32_e32 vcc, 0, v9
	v_cndmask_b32_e32 v9, v9, v10, vcc
	v_cndmask_b32_e32 v4, v8, v4, vcc
	v_mov_b32_e32 v8, 0x37800000
	v_lshlrev_b32_e32 v4, 21, v4
	v_and_b32_e32 v3, 0x80000000, v3
	v_lshl_add_u32 v8, v9, 23, v8
	v_or3_b32 v3, v3, v8, v4
	v_trunc_f32_e32 v3, v3
	s_mov_b32 s20, 0x2f800000
	v_mul_f32_e64 v4, |v3|, s20
	v_floor_f32_e32 v4, v4
	s_mov_b32 s20, 0xcf800000
	v_fma_f32 v4, v4, s20, |v3|
	v_cvt_u32_f32_e32 v4, v4
	v_ashrrev_i32_e32 v3, 31, v3
	v_xor_b32_e32 v4, v4, v3
	v_sub_u32_e32 v3, v4, v3
.LBB14_1749:
	s_or_b64 exec, exec, s[4:5]
	s_mov_b64 s[4:5], 0
	s_branch .LBB14_1755
.LBB14_1750:
	s_mov_b64 s[4:5], -1
                                        ; implicit-def: $vgpr3
	s_branch .LBB14_1761
.LBB14_1751:
	s_andn2_saveexec_b64 s[20:21], s[20:21]
	s_cbranch_execz .LBB14_1737
.LBB14_1752:
	v_cmp_ne_u16_e32 vcc, 0, v4
	s_andn2_b64 s[22:23], s[22:23], exec
	s_and_b64 s[26:27], vcc, exec
	s_or_b64 s[22:23], s[22:23], s[26:27]
	s_or_b64 exec, exec, s[20:21]
	v_mov_b32_e32 v3, 0
	s_and_saveexec_b64 s[20:21], s[22:23]
	s_cbranch_execnz .LBB14_1738
	s_branch .LBB14_1739
.LBB14_1753:
	s_mov_b64 s[4:5], -1
                                        ; implicit-def: $vgpr3
	s_branch .LBB14_1758
.LBB14_1754:
	s_mov_b64 s[4:5], -1
                                        ; implicit-def: $vgpr3
.LBB14_1755:
	s_and_b64 vcc, exec, s[4:5]
	s_cbranch_vccz .LBB14_1757
; %bb.1756:
	global_load_ubyte v3, v[1:2], off
	s_mov_b32 s4, 0x7f800000
	s_brev_b32 s5, 1
	s_mov_b32 s20, 0x2f800000
	s_waitcnt vmcnt(0)
	v_lshlrev_b32_e32 v3, 24, v3
	v_and_b32_e32 v4, 0x7f000000, v3
	v_ffbh_u32_e32 v8, v4
	v_min_u32_e32 v8, 32, v8
	v_sub_u32_e64 v8, v8, 4 clamp
	v_lshlrev_b32_e32 v10, v8, v4
	v_lshlrev_b32_e32 v8, 23, v8
	v_lshrrev_b32_e32 v10, 4, v10
	v_add_u32_e32 v9, 0x1000000, v4
	v_sub_u32_e32 v8, v10, v8
	v_ashrrev_i32_e32 v9, 8, v9
	v_add_u32_e32 v8, 0x3c000000, v8
	v_and_or_b32 v8, v9, s4, v8
	v_cmp_ne_u32_e32 vcc, 0, v4
	v_cndmask_b32_e32 v4, 0, v8, vcc
	v_and_or_b32 v3, v3, s5, v4
	v_trunc_f32_e32 v3, v3
	v_mul_f32_e64 v4, |v3|, s20
	v_floor_f32_e32 v4, v4
	s_mov_b32 s4, 0xcf800000
	v_fma_f32 v4, v4, s4, |v3|
	v_cvt_u32_f32_e32 v4, v4
	v_ashrrev_i32_e32 v3, 31, v3
	v_xor_b32_e32 v4, v4, v3
	v_sub_u32_e32 v3, v4, v3
.LBB14_1757:
	s_mov_b64 s[4:5], 0
.LBB14_1758:
	s_andn2_b64 vcc, exec, s[4:5]
	s_cbranch_vccnz .LBB14_1760
; %bb.1759:
	global_load_ubyte v3, v[1:2], off
	s_movk_i32 s4, 0x7f00
	s_brev_b32 s5, 16
	s_brev_b32 s20, 1
	s_mov_b32 s21, 0x2f800000
	s_waitcnt vmcnt(0)
	v_lshlrev_b16_e32 v4, 8, v3
	v_lshlrev_b32_e32 v3, 25, v3
	v_lshrrev_b32_e32 v8, 4, v3
	v_and_or_b32 v9, v4, s4, 0.5
	v_or_b32_e32 v8, 0x70000000, v8
	v_add_f32_e32 v9, -0.5, v9
	v_mul_f32_e32 v8, 0x7800000, v8
	v_cmp_gt_u32_e32 vcc, s5, v3
	v_bfe_i32 v4, v4, 0, 16
	v_cndmask_b32_e32 v3, v8, v9, vcc
	v_and_or_b32 v3, v4, s20, v3
	v_trunc_f32_e32 v3, v3
	v_mul_f32_e64 v4, |v3|, s21
	v_floor_f32_e32 v4, v4
	s_mov_b32 s4, 0xcf800000
	v_fma_f32 v4, v4, s4, |v3|
	v_cvt_u32_f32_e32 v4, v4
	v_ashrrev_i32_e32 v3, 31, v3
	v_xor_b32_e32 v4, v4, v3
	v_sub_u32_e32 v3, v4, v3
.LBB14_1760:
	s_mov_b64 s[4:5], 0
	s_mov_b64 s[20:21], -1
.LBB14_1761:
	s_andn2_b64 vcc, exec, s[4:5]
	s_mov_b64 s[4:5], 0
	s_cbranch_vccnz .LBB14_1772
; %bb.1762:
	s_cmp_gt_i32 s24, 14
	s_cbranch_scc0 .LBB14_1765
; %bb.1763:
	s_cmp_eq_u32 s24, 15
	s_cbranch_scc0 .LBB14_1768
; %bb.1764:
	global_load_ushort v3, v[1:2], off
	s_mov_b32 s0, 0x2f800000
	s_mov_b32 s1, 0xcf800000
	s_mov_b64 s[20:21], -1
	s_waitcnt vmcnt(0)
	v_lshlrev_b32_e32 v3, 16, v3
	v_trunc_f32_e32 v3, v3
	v_mul_f32_e64 v4, |v3|, s0
	v_floor_f32_e32 v4, v4
	v_fma_f32 v4, v4, s1, |v3|
	v_cvt_u32_f32_e32 v4, v4
	v_ashrrev_i32_e32 v3, 31, v3
	s_mov_b64 s[0:1], 0
	v_xor_b32_e32 v4, v4, v3
	v_sub_u32_e32 v3, v4, v3
	s_branch .LBB14_1769
.LBB14_1765:
	s_mov_b64 s[22:23], -1
                                        ; implicit-def: $vgpr3
	s_branch .LBB14_1770
.LBB14_1766:
	s_andn2_saveexec_b64 s[4:5], s[4:5]
	s_cbranch_execz .LBB14_1747
.LBB14_1767:
	v_cmp_ne_u16_e32 vcc, 0, v4
	s_andn2_b64 s[20:21], s[20:21], exec
	s_and_b64 s[22:23], vcc, exec
	s_or_b64 s[20:21], s[20:21], s[22:23]
	s_or_b64 exec, exec, s[4:5]
	v_mov_b32_e32 v3, 0
	s_and_saveexec_b64 s[4:5], s[20:21]
	s_cbranch_execnz .LBB14_1748
	s_branch .LBB14_1749
.LBB14_1768:
	s_mov_b64 s[0:1], -1
                                        ; implicit-def: $vgpr3
.LBB14_1769:
	s_mov_b64 s[22:23], 0
.LBB14_1770:
	s_and_b64 vcc, exec, s[22:23]
	s_cbranch_vccz .LBB14_1772
; %bb.1771:
	s_cmp_lg_u32 s24, 11
	s_mov_b64 s[4:5], -1
	s_cselect_b64 s[0:1], -1, 0
.LBB14_1772:
	s_and_b64 vcc, exec, s[0:1]
	s_cbranch_vccnz .LBB14_1851
; %bb.1773:
	s_andn2_b64 vcc, exec, s[4:5]
	s_cbranch_vccnz .LBB14_1775
.LBB14_1774:
	global_load_ubyte v3, v[1:2], off
	s_mov_b64 s[20:21], -1
	s_waitcnt vmcnt(0)
	v_cmp_ne_u16_e32 vcc, 0, v3
	v_cndmask_b32_e64 v3, 0, 1, vcc
.LBB14_1775:
	s_branch .LBB14_1706
.LBB14_1776:
	s_and_b32 s4, 0xffff, s29
	s_cmp_lt_i32 s4, 5
	s_cbranch_scc1 .LBB14_1781
; %bb.1777:
	s_cmp_lt_i32 s4, 8
	s_cbranch_scc1 .LBB14_1782
; %bb.1778:
	;; [unrolled: 3-line block ×3, first 2 shown]
	s_cmp_gt_i32 s4, 9
	s_cbranch_scc0 .LBB14_1784
; %bb.1780:
	global_load_dwordx2 v[3:4], v[1:2], off
	s_movk_i32 s0, 0xffe0
	s_waitcnt vmcnt(0)
	v_trunc_f64_e32 v[3:4], v[3:4]
	v_ldexp_f64 v[8:9], v[3:4], s0
	s_mov_b32 s0, 0
	s_mov_b32 s1, 0xc1f00000
	v_floor_f64_e32 v[8:9], v[8:9]
	v_fma_f64 v[3:4], v[8:9], s[0:1], v[3:4]
	s_mov_b64 s[0:1], 0
	v_cvt_u32_f64_e32 v3, v[3:4]
	s_branch .LBB14_1785
.LBB14_1781:
                                        ; implicit-def: $vgpr3
	s_branch .LBB14_1803
.LBB14_1782:
	s_mov_b64 s[0:1], -1
                                        ; implicit-def: $vgpr3
	s_branch .LBB14_1791
.LBB14_1783:
	s_mov_b64 s[0:1], -1
                                        ; implicit-def: $vgpr3
	s_branch .LBB14_1788
.LBB14_1784:
	s_mov_b64 s[0:1], -1
                                        ; implicit-def: $vgpr3
.LBB14_1785:
	s_andn2_b64 vcc, exec, s[0:1]
	s_cbranch_vccnz .LBB14_1787
; %bb.1786:
	global_load_dword v3, v[1:2], off
	s_mov_b32 s0, 0x2f800000
	s_waitcnt vmcnt(0)
	v_trunc_f32_e32 v3, v3
	v_mul_f32_e64 v4, |v3|, s0
	v_floor_f32_e32 v4, v4
	s_mov_b32 s0, 0xcf800000
	v_fma_f32 v4, v4, s0, |v3|
	v_cvt_u32_f32_e32 v4, v4
	v_ashrrev_i32_e32 v3, 31, v3
	v_xor_b32_e32 v4, v4, v3
	v_sub_u32_e32 v3, v4, v3
.LBB14_1787:
	s_mov_b64 s[0:1], 0
.LBB14_1788:
	s_andn2_b64 vcc, exec, s[0:1]
	s_cbranch_vccnz .LBB14_1790
; %bb.1789:
	global_load_dword v3, v[1:2], off
	s_waitcnt vmcnt(0)
	v_cvt_f32_f16_e32 v3, v3
	v_cvt_i32_f32_e32 v3, v3
.LBB14_1790:
	s_mov_b64 s[0:1], 0
.LBB14_1791:
	s_andn2_b64 vcc, exec, s[0:1]
	s_cbranch_vccnz .LBB14_1802
; %bb.1792:
	s_cmp_lt_i32 s4, 6
	s_cbranch_scc1 .LBB14_1795
; %bb.1793:
	s_cmp_gt_i32 s4, 6
	s_cbranch_scc0 .LBB14_1796
; %bb.1794:
	global_load_dwordx2 v[3:4], v[1:2], off
	s_movk_i32 s0, 0xffe0
	s_waitcnt vmcnt(0)
	v_trunc_f64_e32 v[3:4], v[3:4]
	v_ldexp_f64 v[8:9], v[3:4], s0
	s_mov_b32 s0, 0
	s_mov_b32 s1, 0xc1f00000
	v_floor_f64_e32 v[8:9], v[8:9]
	v_fma_f64 v[3:4], v[8:9], s[0:1], v[3:4]
	s_mov_b64 s[0:1], 0
	v_cvt_u32_f64_e32 v3, v[3:4]
	s_branch .LBB14_1797
.LBB14_1795:
	s_mov_b64 s[0:1], -1
                                        ; implicit-def: $vgpr3
	s_branch .LBB14_1800
.LBB14_1796:
	s_mov_b64 s[0:1], -1
                                        ; implicit-def: $vgpr3
.LBB14_1797:
	s_andn2_b64 vcc, exec, s[0:1]
	s_cbranch_vccnz .LBB14_1799
; %bb.1798:
	global_load_dword v3, v[1:2], off
	s_mov_b32 s0, 0x2f800000
	s_waitcnt vmcnt(0)
	v_trunc_f32_e32 v3, v3
	v_mul_f32_e64 v4, |v3|, s0
	v_floor_f32_e32 v4, v4
	s_mov_b32 s0, 0xcf800000
	v_fma_f32 v4, v4, s0, |v3|
	v_cvt_u32_f32_e32 v4, v4
	v_ashrrev_i32_e32 v3, 31, v3
	v_xor_b32_e32 v4, v4, v3
	v_sub_u32_e32 v3, v4, v3
.LBB14_1799:
	s_mov_b64 s[0:1], 0
.LBB14_1800:
	s_andn2_b64 vcc, exec, s[0:1]
	s_cbranch_vccnz .LBB14_1802
; %bb.1801:
	global_load_ushort v3, v[1:2], off
	s_waitcnt vmcnt(0)
	v_cvt_f32_f16_e32 v3, v3
	v_cvt_i32_f32_e32 v3, v3
.LBB14_1802:
	s_cbranch_execnz .LBB14_1822
.LBB14_1803:
	s_cmp_lt_i32 s4, 2
	s_cbranch_scc1 .LBB14_1807
; %bb.1804:
	s_cmp_lt_i32 s4, 3
	s_cbranch_scc1 .LBB14_1808
; %bb.1805:
	s_cmp_gt_i32 s4, 3
	s_cbranch_scc0 .LBB14_1809
; %bb.1806:
	global_load_dwordx2 v[3:4], v[1:2], off
	s_mov_b64 s[0:1], 0
	s_branch .LBB14_1810
.LBB14_1807:
	s_mov_b64 s[0:1], -1
                                        ; implicit-def: $vgpr3
	s_branch .LBB14_1816
.LBB14_1808:
	s_mov_b64 s[0:1], -1
                                        ; implicit-def: $vgpr3
	s_branch .LBB14_1813
.LBB14_1809:
	s_mov_b64 s[0:1], -1
                                        ; implicit-def: $vgpr3
.LBB14_1810:
	s_andn2_b64 vcc, exec, s[0:1]
	s_cbranch_vccnz .LBB14_1812
; %bb.1811:
	global_load_dword v3, v[1:2], off
.LBB14_1812:
	s_mov_b64 s[0:1], 0
.LBB14_1813:
	s_andn2_b64 vcc, exec, s[0:1]
	s_cbranch_vccnz .LBB14_1815
; %bb.1814:
	global_load_ushort v3, v[1:2], off
.LBB14_1815:
	s_mov_b64 s[0:1], 0
.LBB14_1816:
	s_andn2_b64 vcc, exec, s[0:1]
	s_cbranch_vccnz .LBB14_1822
; %bb.1817:
	s_cmp_gt_i32 s4, 0
	s_cbranch_scc0 .LBB14_1819
; %bb.1818:
	global_load_ubyte v3, v[1:2], off
	s_mov_b64 s[0:1], 0
	s_branch .LBB14_1820
.LBB14_1819:
	s_mov_b64 s[0:1], -1
                                        ; implicit-def: $vgpr3
.LBB14_1820:
	s_andn2_b64 vcc, exec, s[0:1]
	s_cbranch_vccnz .LBB14_1822
; %bb.1821:
	global_load_ubyte v3, v[1:2], off
.LBB14_1822:
.LBB14_1823:
	s_cmp_lt_i32 s15, 1
	s_mov_b64 s[0:1], 0
	s_cbranch_scc1 .LBB14_1827
; %bb.1824:
	s_cmp_gt_i32 s15, 1
	s_cbranch_scc0 .LBB14_1828
; %bb.1825:
	s_cmp_eq_u32 s15, 2
	s_cbranch_scc0 .LBB14_1829
; %bb.1826:
	s_waitcnt vmcnt(0)
	v_cmp_le_u16_sdwa s[4:5], v0, v3 src0_sel:BYTE_0 src1_sel:BYTE_0
	s_mov_b64 s[20:21], 0
	s_branch .LBB14_1830
.LBB14_1827:
                                        ; implicit-def: $sgpr4_sgpr5
	s_mov_b64 s[20:21], 0
	s_cbranch_execnz .LBB14_1834
	s_branch .LBB14_1835
.LBB14_1828:
	s_mov_b64 s[22:23], -1
	s_mov_b64 s[20:21], 0
                                        ; implicit-def: $sgpr4_sgpr5
	s_branch .LBB14_1831
.LBB14_1829:
	s_mov_b64 s[20:21], -1
                                        ; implicit-def: $sgpr4_sgpr5
.LBB14_1830:
	s_mov_b64 s[22:23], 0
.LBB14_1831:
	s_and_b64 vcc, exec, s[22:23]
	s_cbranch_vccz .LBB14_1833
; %bb.1832:
	s_waitcnt vmcnt(0)
	v_cmp_gt_u16_sdwa s[22:23], v0, v3 src0_sel:BYTE_0 src1_sel:BYTE_0
	s_andn2_b64 s[4:5], s[4:5], exec
	s_and_b64 s[22:23], s[22:23], exec
	s_or_b64 s[4:5], s[4:5], s[22:23]
.LBB14_1833:
	s_branch .LBB14_1835
.LBB14_1834:
	s_cmp_lg_u32 s15, 0
	s_mov_b64 s[0:1], -1
	s_cselect_b64 s[20:21], -1, 0
.LBB14_1835:
	s_andn2_b64 vcc, exec, s[20:21]
	s_cbranch_vccnz .LBB14_1837
; %bb.1836:
	s_waitcnt vmcnt(0)
	v_cmp_lt_u16_sdwa s[20:21], v0, v3 src0_sel:BYTE_0 src1_sel:BYTE_0
	s_andn2_b64 s[4:5], s[4:5], exec
	s_and_b64 s[20:21], s[20:21], exec
	s_or_b64 s[4:5], s[4:5], s[20:21]
	s_cbranch_execz .LBB14_1838
	s_branch .LBB14_1839
.LBB14_1837:
	s_andn2_b64 vcc, exec, s[0:1]
	s_cbranch_vccnz .LBB14_1839
.LBB14_1838:
	s_waitcnt vmcnt(0)
	v_cmp_ge_u16_sdwa s[0:1], v0, v3 src0_sel:BYTE_0 src1_sel:BYTE_0
	s_andn2_b64 s[4:5], s[4:5], exec
	s_and_b64 s[0:1], s[0:1], exec
	s_or_b64 s[4:5], s[4:5], s[0:1]
.LBB14_1839:
	s_lshl_b32 s13, s13, 7
	v_add_u32_e32 v6, s13, v6
	v_ashrrev_i32_e32 v0, 31, v6
	v_mov_b32_e32 v1, s11
	v_add_co_u32_e32 v2, vcc, s10, v6
	s_cmp_lt_i32 s28, 11
	s_waitcnt vmcnt(0)
	v_addc_co_u32_e32 v3, vcc, v1, v0, vcc
	s_cbranch_scc1 .LBB14_1846
; %bb.1840:
	s_and_b32 s26, 0xffff, s28
	s_cmp_gt_i32 s26, 25
	s_mov_b64 s[20:21], 0
	s_cbranch_scc0 .LBB14_1848
; %bb.1841:
	s_cmp_gt_i32 s26, 28
	s_cbranch_scc0 .LBB14_1849
; %bb.1842:
	s_cmp_gt_i32 s26, 43
	;; [unrolled: 3-line block ×3, first 2 shown]
	s_cbranch_scc0 .LBB14_1852
; %bb.1844:
	s_cmp_eq_u32 s26, 46
	s_mov_b64 s[24:25], 0
	s_cbranch_scc0 .LBB14_1853
; %bb.1845:
	global_load_dword v0, v[2:3], off
	s_mov_b32 s0, 0x2f800000
	s_mov_b32 s1, 0xcf800000
	s_mov_b64 s[22:23], -1
	s_waitcnt vmcnt(0)
	v_lshlrev_b32_e32 v0, 16, v0
	v_trunc_f32_e32 v0, v0
	v_mul_f32_e64 v1, |v0|, s0
	v_floor_f32_e32 v1, v1
	v_fma_f32 v1, v1, s1, |v0|
	v_cvt_u32_f32_e32 v1, v1
	v_ashrrev_i32_e32 v0, 31, v0
	s_mov_b64 s[0:1], 0
	v_xor_b32_e32 v1, v1, v0
	v_sub_u32_e32 v0, v1, v0
	s_branch .LBB14_1854
.LBB14_1846:
	s_mov_b64 s[22:23], 0
                                        ; implicit-def: $vgpr0
	s_cbranch_execnz .LBB14_1916
.LBB14_1847:
	s_andn2_b64 vcc, exec, s[22:23]
	s_cbranch_vccnz .LBB14_2634
	s_branch .LBB14_1964
.LBB14_1848:
	s_mov_b64 s[24:25], -1
	s_mov_b64 s[22:23], 0
	s_mov_b64 s[0:1], 0
                                        ; implicit-def: $vgpr0
	s_branch .LBB14_1881
.LBB14_1849:
	s_mov_b64 s[24:25], -1
	s_mov_b64 s[22:23], 0
	s_mov_b64 s[0:1], 0
                                        ; implicit-def: $vgpr0
	s_branch .LBB14_1864
.LBB14_1850:
	s_mov_b64 s[24:25], -1
	s_mov_b64 s[22:23], 0
	s_mov_b64 s[0:1], 0
                                        ; implicit-def: $vgpr0
	s_branch .LBB14_1859
.LBB14_1851:
	s_trap 2
	s_or_b64 s[18:19], s[18:19], exec
	s_cbranch_execz .LBB14_1774
	s_branch .LBB14_1775
.LBB14_1852:
	s_mov_b64 s[24:25], -1
	s_mov_b64 s[22:23], 0
	s_mov_b64 s[0:1], 0
                                        ; implicit-def: $vgpr0
	s_branch .LBB14_1854
.LBB14_1853:
	s_mov_b64 s[0:1], -1
                                        ; implicit-def: $vgpr0
	s_mov_b64 s[22:23], 0
.LBB14_1854:
	s_and_b64 vcc, exec, s[24:25]
	s_cbranch_vccz .LBB14_1858
; %bb.1855:
	s_cmp_eq_u32 s26, 44
	s_cbranch_scc0 .LBB14_1857
; %bb.1856:
	global_load_ubyte v0, v[2:3], off
	s_mov_b32 s0, 0x2f800000
	s_mov_b32 s1, 0xcf800000
	s_mov_b64 s[22:23], -1
	s_waitcnt vmcnt(0)
	v_lshlrev_b32_e32 v1, 23, v0
	v_trunc_f32_e32 v1, v1
	v_mul_f32_e64 v4, |v1|, s0
	v_floor_f32_e32 v4, v4
	v_fma_f32 v4, v4, s1, |v1|
	v_cvt_u32_f32_e32 v4, v4
	v_ashrrev_i32_e32 v1, 31, v1
	v_cmp_ne_u32_e32 vcc, 0, v0
	s_mov_b64 s[0:1], 0
	v_xor_b32_e32 v4, v4, v1
	v_sub_u32_e32 v1, v4, v1
	v_cndmask_b32_e32 v0, 0, v1, vcc
	s_branch .LBB14_1858
.LBB14_1857:
	s_mov_b64 s[0:1], -1
                                        ; implicit-def: $vgpr0
.LBB14_1858:
	s_mov_b64 s[24:25], 0
.LBB14_1859:
	s_and_b64 vcc, exec, s[24:25]
	s_cbranch_vccz .LBB14_1863
; %bb.1860:
	s_cmp_eq_u32 s26, 29
	s_cbranch_scc0 .LBB14_1862
; %bb.1861:
	global_load_dwordx2 v[0:1], v[2:3], off
	s_mov_b64 s[0:1], 0
	s_mov_b64 s[22:23], -1
	s_branch .LBB14_1863
.LBB14_1862:
	s_mov_b64 s[0:1], -1
                                        ; implicit-def: $vgpr0
.LBB14_1863:
	s_mov_b64 s[24:25], 0
.LBB14_1864:
	s_and_b64 vcc, exec, s[24:25]
	s_cbranch_vccz .LBB14_1880
; %bb.1865:
	s_cmp_lt_i32 s26, 27
	s_cbranch_scc1 .LBB14_1868
; %bb.1866:
	s_cmp_gt_i32 s26, 27
	s_cbranch_scc0 .LBB14_1869
; %bb.1867:
	global_load_dword v0, v[2:3], off
	s_mov_b64 s[22:23], 0
	s_branch .LBB14_1870
.LBB14_1868:
	s_mov_b64 s[22:23], -1
                                        ; implicit-def: $vgpr0
	s_branch .LBB14_1873
.LBB14_1869:
	s_mov_b64 s[22:23], -1
                                        ; implicit-def: $vgpr0
.LBB14_1870:
	s_andn2_b64 vcc, exec, s[22:23]
	s_cbranch_vccnz .LBB14_1872
; %bb.1871:
	global_load_ushort v0, v[2:3], off
.LBB14_1872:
	s_mov_b64 s[22:23], 0
.LBB14_1873:
	s_andn2_b64 vcc, exec, s[22:23]
	s_cbranch_vccnz .LBB14_1879
; %bb.1874:
	global_load_ubyte v1, v[2:3], off
	s_movk_i32 s22, 0x7f
	s_mov_b64 s[24:25], 0
	s_waitcnt vmcnt(0)
	v_cmp_lt_i16_e32 vcc, s22, v1
	s_and_saveexec_b64 s[22:23], vcc
	s_xor_b64 s[22:23], exec, s[22:23]
	s_cbranch_execz .LBB14_1891
; %bb.1875:
	s_movk_i32 s24, 0x80
	v_cmp_ne_u16_e32 vcc, s24, v1
	s_and_b64 s[24:25], vcc, exec
	s_andn2_saveexec_b64 s[22:23], s[22:23]
	s_cbranch_execnz .LBB14_1892
.LBB14_1876:
	s_or_b64 exec, exec, s[22:23]
	v_mov_b32_e32 v0, 0
	s_and_saveexec_b64 s[22:23], s[24:25]
	s_cbranch_execz .LBB14_1878
.LBB14_1877:
	v_lshlrev_b32_e32 v0, 24, v1
	v_and_b32_e32 v1, 0xffff, v1
	v_and_b32_e32 v4, 7, v1
	v_ffbh_u32_e32 v9, v4
	v_min_u32_e32 v9, 32, v9
	v_subrev_u32_e32 v10, 28, v9
	v_bfe_u32 v8, v1, 3, 4
	v_lshlrev_b32_e32 v1, v10, v1
	v_sub_u32_e32 v9, 29, v9
	v_and_b32_e32 v1, 7, v1
	v_cmp_eq_u32_e32 vcc, 0, v8
	v_cndmask_b32_e32 v8, v8, v9, vcc
	v_cndmask_b32_e32 v1, v4, v1, vcc
	v_mov_b32_e32 v4, 0x3b800000
	v_lshlrev_b32_e32 v1, 20, v1
	v_and_b32_e32 v0, 0x80000000, v0
	v_lshl_add_u32 v4, v8, 23, v4
	v_or3_b32 v0, v0, v4, v1
	v_trunc_f32_e32 v0, v0
	s_mov_b32 s24, 0x2f800000
	v_mul_f32_e64 v1, |v0|, s24
	v_floor_f32_e32 v1, v1
	s_mov_b32 s24, 0xcf800000
	v_fma_f32 v1, v1, s24, |v0|
	v_cvt_u32_f32_e32 v1, v1
	v_ashrrev_i32_e32 v0, 31, v0
	v_xor_b32_e32 v1, v1, v0
	v_sub_u32_e32 v0, v1, v0
.LBB14_1878:
	s_or_b64 exec, exec, s[22:23]
.LBB14_1879:
	s_mov_b64 s[22:23], -1
.LBB14_1880:
	s_mov_b64 s[24:25], 0
.LBB14_1881:
	s_and_b64 vcc, exec, s[24:25]
	s_cbranch_vccz .LBB14_1912
; %bb.1882:
	s_cmp_gt_i32 s26, 22
	s_cbranch_scc0 .LBB14_1890
; %bb.1883:
	s_cmp_lt_i32 s26, 24
	s_cbranch_scc1 .LBB14_1893
; %bb.1884:
	s_cmp_gt_i32 s26, 24
	s_cbranch_scc0 .LBB14_1894
; %bb.1885:
	global_load_ubyte v1, v[2:3], off
	s_movk_i32 s20, 0x7f
	s_mov_b64 s[22:23], 0
	s_waitcnt vmcnt(0)
	v_cmp_lt_i16_e32 vcc, s20, v1
	s_and_saveexec_b64 s[20:21], vcc
	s_xor_b64 s[20:21], exec, s[20:21]
	s_cbranch_execz .LBB14_1906
; %bb.1886:
	s_movk_i32 s22, 0x80
	v_cmp_ne_u16_e32 vcc, s22, v1
	s_and_b64 s[22:23], vcc, exec
	s_andn2_saveexec_b64 s[20:21], s[20:21]
	s_cbranch_execnz .LBB14_1907
.LBB14_1887:
	s_or_b64 exec, exec, s[20:21]
	v_mov_b32_e32 v0, 0
	s_and_saveexec_b64 s[20:21], s[22:23]
	s_cbranch_execz .LBB14_1889
.LBB14_1888:
	v_lshlrev_b32_e32 v0, 24, v1
	v_and_b32_e32 v1, 0xffff, v1
	v_and_b32_e32 v4, 3, v1
	v_ffbh_u32_e32 v9, v4
	v_min_u32_e32 v9, 32, v9
	v_subrev_u32_e32 v10, 29, v9
	v_bfe_u32 v8, v1, 2, 5
	v_lshlrev_b32_e32 v1, v10, v1
	v_sub_u32_e32 v9, 30, v9
	v_and_b32_e32 v1, 3, v1
	v_cmp_eq_u32_e32 vcc, 0, v8
	v_cndmask_b32_e32 v8, v8, v9, vcc
	v_cndmask_b32_e32 v1, v4, v1, vcc
	v_mov_b32_e32 v4, 0x37800000
	v_lshlrev_b32_e32 v1, 21, v1
	v_and_b32_e32 v0, 0x80000000, v0
	v_lshl_add_u32 v4, v8, 23, v4
	v_or3_b32 v0, v0, v4, v1
	v_trunc_f32_e32 v0, v0
	s_mov_b32 s22, 0x2f800000
	v_mul_f32_e64 v1, |v0|, s22
	v_floor_f32_e32 v1, v1
	s_mov_b32 s22, 0xcf800000
	v_fma_f32 v1, v1, s22, |v0|
	v_cvt_u32_f32_e32 v1, v1
	v_ashrrev_i32_e32 v0, 31, v0
	v_xor_b32_e32 v1, v1, v0
	v_sub_u32_e32 v0, v1, v0
.LBB14_1889:
	s_or_b64 exec, exec, s[20:21]
	s_mov_b64 s[20:21], 0
	s_branch .LBB14_1895
.LBB14_1890:
	s_mov_b64 s[20:21], -1
                                        ; implicit-def: $vgpr0
	s_branch .LBB14_1901
.LBB14_1891:
	s_andn2_saveexec_b64 s[22:23], s[22:23]
	s_cbranch_execz .LBB14_1876
.LBB14_1892:
	v_cmp_ne_u16_e32 vcc, 0, v1
	s_andn2_b64 s[24:25], s[24:25], exec
	s_and_b64 s[30:31], vcc, exec
	s_or_b64 s[24:25], s[24:25], s[30:31]
	s_or_b64 exec, exec, s[22:23]
	v_mov_b32_e32 v0, 0
	s_and_saveexec_b64 s[22:23], s[24:25]
	s_cbranch_execnz .LBB14_1877
	s_branch .LBB14_1878
.LBB14_1893:
	s_mov_b64 s[20:21], -1
                                        ; implicit-def: $vgpr0
	s_branch .LBB14_1898
.LBB14_1894:
	s_mov_b64 s[20:21], -1
                                        ; implicit-def: $vgpr0
.LBB14_1895:
	s_and_b64 vcc, exec, s[20:21]
	s_cbranch_vccz .LBB14_1897
; %bb.1896:
	global_load_ubyte v0, v[2:3], off
	s_mov_b32 s20, 0x7f800000
	s_brev_b32 s21, 1
	s_mov_b32 s22, 0x2f800000
	s_waitcnt vmcnt(0)
	v_lshlrev_b32_e32 v0, 24, v0
	v_and_b32_e32 v1, 0x7f000000, v0
	v_ffbh_u32_e32 v4, v1
	v_min_u32_e32 v4, 32, v4
	v_sub_u32_e64 v4, v4, 4 clamp
	v_lshlrev_b32_e32 v9, v4, v1
	v_lshlrev_b32_e32 v4, 23, v4
	v_lshrrev_b32_e32 v9, 4, v9
	v_add_u32_e32 v8, 0x1000000, v1
	v_sub_u32_e32 v4, v9, v4
	v_ashrrev_i32_e32 v8, 8, v8
	v_add_u32_e32 v4, 0x3c000000, v4
	v_and_or_b32 v4, v8, s20, v4
	v_cmp_ne_u32_e32 vcc, 0, v1
	v_cndmask_b32_e32 v1, 0, v4, vcc
	v_and_or_b32 v0, v0, s21, v1
	v_trunc_f32_e32 v0, v0
	v_mul_f32_e64 v1, |v0|, s22
	v_floor_f32_e32 v1, v1
	s_mov_b32 s20, 0xcf800000
	v_fma_f32 v1, v1, s20, |v0|
	v_cvt_u32_f32_e32 v1, v1
	v_ashrrev_i32_e32 v0, 31, v0
	v_xor_b32_e32 v1, v1, v0
	v_sub_u32_e32 v0, v1, v0
.LBB14_1897:
	s_mov_b64 s[20:21], 0
.LBB14_1898:
	s_andn2_b64 vcc, exec, s[20:21]
	s_cbranch_vccnz .LBB14_1900
; %bb.1899:
	global_load_ubyte v0, v[2:3], off
	s_movk_i32 s20, 0x7f00
	s_brev_b32 s21, 16
	s_brev_b32 s22, 1
	s_mov_b32 s23, 0x2f800000
	s_waitcnt vmcnt(0)
	v_lshlrev_b16_e32 v1, 8, v0
	v_lshlrev_b32_e32 v0, 25, v0
	v_lshrrev_b32_e32 v4, 4, v0
	v_and_or_b32 v8, v1, s20, 0.5
	v_or_b32_e32 v4, 0x70000000, v4
	v_add_f32_e32 v8, -0.5, v8
	v_mul_f32_e32 v4, 0x7800000, v4
	v_cmp_gt_u32_e32 vcc, s21, v0
	v_bfe_i32 v1, v1, 0, 16
	v_cndmask_b32_e32 v0, v4, v8, vcc
	v_and_or_b32 v0, v1, s22, v0
	v_trunc_f32_e32 v0, v0
	v_mul_f32_e64 v1, |v0|, s23
	v_floor_f32_e32 v1, v1
	s_mov_b32 s20, 0xcf800000
	v_fma_f32 v1, v1, s20, |v0|
	v_cvt_u32_f32_e32 v1, v1
	v_ashrrev_i32_e32 v0, 31, v0
	v_xor_b32_e32 v1, v1, v0
	v_sub_u32_e32 v0, v1, v0
.LBB14_1900:
	s_mov_b64 s[20:21], 0
	s_mov_b64 s[22:23], -1
.LBB14_1901:
	s_andn2_b64 vcc, exec, s[20:21]
	s_mov_b64 s[20:21], 0
	s_cbranch_vccnz .LBB14_1912
; %bb.1902:
	s_cmp_gt_i32 s26, 14
	s_cbranch_scc0 .LBB14_1905
; %bb.1903:
	s_cmp_eq_u32 s26, 15
	s_cbranch_scc0 .LBB14_1908
; %bb.1904:
	global_load_ushort v0, v[2:3], off
	s_mov_b32 s0, 0x2f800000
	s_mov_b32 s1, 0xcf800000
	s_mov_b64 s[22:23], -1
	s_waitcnt vmcnt(0)
	v_lshlrev_b32_e32 v0, 16, v0
	v_trunc_f32_e32 v0, v0
	v_mul_f32_e64 v1, |v0|, s0
	v_floor_f32_e32 v1, v1
	v_fma_f32 v1, v1, s1, |v0|
	v_cvt_u32_f32_e32 v1, v1
	v_ashrrev_i32_e32 v0, 31, v0
	s_mov_b64 s[0:1], 0
	v_xor_b32_e32 v1, v1, v0
	v_sub_u32_e32 v0, v1, v0
	s_branch .LBB14_1909
.LBB14_1905:
	s_mov_b64 s[24:25], -1
                                        ; implicit-def: $vgpr0
	s_branch .LBB14_1910
.LBB14_1906:
	s_andn2_saveexec_b64 s[20:21], s[20:21]
	s_cbranch_execz .LBB14_1887
.LBB14_1907:
	v_cmp_ne_u16_e32 vcc, 0, v1
	s_andn2_b64 s[22:23], s[22:23], exec
	s_and_b64 s[24:25], vcc, exec
	s_or_b64 s[22:23], s[22:23], s[24:25]
	s_or_b64 exec, exec, s[20:21]
	v_mov_b32_e32 v0, 0
	s_and_saveexec_b64 s[20:21], s[22:23]
	s_cbranch_execnz .LBB14_1888
	s_branch .LBB14_1889
.LBB14_1908:
	s_mov_b64 s[0:1], -1
                                        ; implicit-def: $vgpr0
.LBB14_1909:
	s_mov_b64 s[24:25], 0
.LBB14_1910:
	s_and_b64 vcc, exec, s[24:25]
	s_cbranch_vccz .LBB14_1912
; %bb.1911:
	s_cmp_lg_u32 s26, 11
	s_mov_b64 s[20:21], -1
	s_cselect_b64 s[0:1], -1, 0
.LBB14_1912:
	s_and_b64 vcc, exec, s[0:1]
	s_cbranch_vccnz .LBB14_1975
; %bb.1913:
	s_andn2_b64 vcc, exec, s[20:21]
	s_cbranch_vccnz .LBB14_1915
.LBB14_1914:
	global_load_ubyte v0, v[2:3], off
	s_mov_b64 s[22:23], -1
	s_waitcnt vmcnt(0)
	v_cmp_ne_u16_e32 vcc, 0, v0
	v_cndmask_b32_e64 v0, 0, 1, vcc
.LBB14_1915:
	s_branch .LBB14_1847
.LBB14_1916:
	s_and_b32 s20, 0xffff, s28
	s_cmp_lt_i32 s20, 5
	s_cbranch_scc1 .LBB14_1921
; %bb.1917:
	s_cmp_lt_i32 s20, 8
	s_cbranch_scc1 .LBB14_1922
; %bb.1918:
	;; [unrolled: 3-line block ×3, first 2 shown]
	s_cmp_gt_i32 s20, 9
	s_cbranch_scc0 .LBB14_1924
; %bb.1920:
	global_load_dwordx2 v[0:1], v[2:3], off
	s_movk_i32 s0, 0xffe0
	s_waitcnt vmcnt(0)
	v_trunc_f64_e32 v[0:1], v[0:1]
	v_ldexp_f64 v[8:9], v[0:1], s0
	s_mov_b32 s0, 0
	s_mov_b32 s1, 0xc1f00000
	v_floor_f64_e32 v[8:9], v[8:9]
	v_fma_f64 v[0:1], v[8:9], s[0:1], v[0:1]
	s_mov_b64 s[0:1], 0
	v_cvt_u32_f64_e32 v0, v[0:1]
	s_branch .LBB14_1925
.LBB14_1921:
	s_mov_b64 s[0:1], -1
                                        ; implicit-def: $vgpr0
	s_branch .LBB14_1943
.LBB14_1922:
	s_mov_b64 s[0:1], -1
                                        ; implicit-def: $vgpr0
	s_branch .LBB14_1931
.LBB14_1923:
	s_mov_b64 s[0:1], -1
                                        ; implicit-def: $vgpr0
	s_branch .LBB14_1928
.LBB14_1924:
	s_mov_b64 s[0:1], -1
                                        ; implicit-def: $vgpr0
.LBB14_1925:
	s_andn2_b64 vcc, exec, s[0:1]
	s_cbranch_vccnz .LBB14_1927
; %bb.1926:
	global_load_dword v0, v[2:3], off
	s_mov_b32 s0, 0x2f800000
	s_waitcnt vmcnt(0)
	v_trunc_f32_e32 v0, v0
	v_mul_f32_e64 v1, |v0|, s0
	v_floor_f32_e32 v1, v1
	s_mov_b32 s0, 0xcf800000
	v_fma_f32 v1, v1, s0, |v0|
	v_cvt_u32_f32_e32 v1, v1
	v_ashrrev_i32_e32 v0, 31, v0
	v_xor_b32_e32 v1, v1, v0
	v_sub_u32_e32 v0, v1, v0
.LBB14_1927:
	s_mov_b64 s[0:1], 0
.LBB14_1928:
	s_andn2_b64 vcc, exec, s[0:1]
	s_cbranch_vccnz .LBB14_1930
; %bb.1929:
	global_load_dword v0, v[2:3], off
	s_waitcnt vmcnt(0)
	v_cvt_f32_f16_e32 v0, v0
	v_cvt_i32_f32_e32 v0, v0
.LBB14_1930:
	s_mov_b64 s[0:1], 0
.LBB14_1931:
	s_andn2_b64 vcc, exec, s[0:1]
	s_cbranch_vccnz .LBB14_1942
; %bb.1932:
	s_cmp_lt_i32 s20, 6
	s_cbranch_scc1 .LBB14_1935
; %bb.1933:
	s_cmp_gt_i32 s20, 6
	s_cbranch_scc0 .LBB14_1936
; %bb.1934:
	global_load_dwordx2 v[0:1], v[2:3], off
	s_movk_i32 s0, 0xffe0
	s_waitcnt vmcnt(0)
	v_trunc_f64_e32 v[0:1], v[0:1]
	v_ldexp_f64 v[8:9], v[0:1], s0
	s_mov_b32 s0, 0
	s_mov_b32 s1, 0xc1f00000
	v_floor_f64_e32 v[8:9], v[8:9]
	v_fma_f64 v[0:1], v[8:9], s[0:1], v[0:1]
	s_mov_b64 s[0:1], 0
	v_cvt_u32_f64_e32 v0, v[0:1]
	s_branch .LBB14_1937
.LBB14_1935:
	s_mov_b64 s[0:1], -1
                                        ; implicit-def: $vgpr0
	s_branch .LBB14_1940
.LBB14_1936:
	s_mov_b64 s[0:1], -1
                                        ; implicit-def: $vgpr0
.LBB14_1937:
	s_andn2_b64 vcc, exec, s[0:1]
	s_cbranch_vccnz .LBB14_1939
; %bb.1938:
	global_load_dword v0, v[2:3], off
	s_mov_b32 s0, 0x2f800000
	s_waitcnt vmcnt(0)
	v_trunc_f32_e32 v0, v0
	v_mul_f32_e64 v1, |v0|, s0
	v_floor_f32_e32 v1, v1
	s_mov_b32 s0, 0xcf800000
	v_fma_f32 v1, v1, s0, |v0|
	v_cvt_u32_f32_e32 v1, v1
	v_ashrrev_i32_e32 v0, 31, v0
	v_xor_b32_e32 v1, v1, v0
	v_sub_u32_e32 v0, v1, v0
.LBB14_1939:
	s_mov_b64 s[0:1], 0
.LBB14_1940:
	s_andn2_b64 vcc, exec, s[0:1]
	s_cbranch_vccnz .LBB14_1942
; %bb.1941:
	global_load_ushort v0, v[2:3], off
	s_waitcnt vmcnt(0)
	v_cvt_f32_f16_e32 v0, v0
	v_cvt_i32_f32_e32 v0, v0
.LBB14_1942:
	s_mov_b64 s[0:1], 0
.LBB14_1943:
	s_andn2_b64 vcc, exec, s[0:1]
	s_cbranch_vccnz .LBB14_1963
; %bb.1944:
	s_cmp_lt_i32 s20, 2
	s_cbranch_scc1 .LBB14_1948
; %bb.1945:
	s_cmp_lt_i32 s20, 3
	s_cbranch_scc1 .LBB14_1949
; %bb.1946:
	s_cmp_gt_i32 s20, 3
	s_cbranch_scc0 .LBB14_1950
; %bb.1947:
	global_load_dwordx2 v[0:1], v[2:3], off
	s_mov_b64 s[0:1], 0
	s_branch .LBB14_1951
.LBB14_1948:
	s_mov_b64 s[0:1], -1
                                        ; implicit-def: $vgpr0
	s_branch .LBB14_1957
.LBB14_1949:
	s_mov_b64 s[0:1], -1
                                        ; implicit-def: $vgpr0
	s_branch .LBB14_1954
.LBB14_1950:
	s_mov_b64 s[0:1], -1
                                        ; implicit-def: $vgpr0
.LBB14_1951:
	s_andn2_b64 vcc, exec, s[0:1]
	s_cbranch_vccnz .LBB14_1953
; %bb.1952:
	global_load_dword v0, v[2:3], off
.LBB14_1953:
	s_mov_b64 s[0:1], 0
.LBB14_1954:
	s_andn2_b64 vcc, exec, s[0:1]
	s_cbranch_vccnz .LBB14_1956
; %bb.1955:
	global_load_ushort v0, v[2:3], off
.LBB14_1956:
	s_mov_b64 s[0:1], 0
.LBB14_1957:
	s_andn2_b64 vcc, exec, s[0:1]
	s_cbranch_vccnz .LBB14_1963
; %bb.1958:
	s_cmp_gt_i32 s20, 0
	s_cbranch_scc0 .LBB14_1960
; %bb.1959:
	global_load_ubyte v0, v[2:3], off
	s_mov_b64 s[0:1], 0
	s_branch .LBB14_1961
.LBB14_1960:
	s_mov_b64 s[0:1], -1
                                        ; implicit-def: $vgpr0
.LBB14_1961:
	s_andn2_b64 vcc, exec, s[0:1]
	s_cbranch_vccnz .LBB14_1963
; %bb.1962:
	global_load_ubyte v0, v[2:3], off
.LBB14_1963:
.LBB14_1964:
	s_lshl_b32 s14, s14, 7
	v_add_u32_e32 v7, s14, v7
	v_ashrrev_i32_e32 v2, 31, v7
	v_mov_b32_e32 v3, s3
	s_waitcnt vmcnt(0)
	v_add_co_u32_e32 v1, vcc, s2, v7
	s_cmp_lt_i32 s29, 11
	v_addc_co_u32_e32 v2, vcc, v3, v2, vcc
	s_cbranch_scc1 .LBB14_1971
; %bb.1965:
	s_and_b32 s26, 0xffff, s29
	s_cmp_gt_i32 s26, 25
	s_mov_b64 s[20:21], 0
	s_cbranch_scc0 .LBB14_1972
; %bb.1966:
	s_cmp_gt_i32 s26, 28
	s_cbranch_scc0 .LBB14_1973
; %bb.1967:
	s_cmp_gt_i32 s26, 43
	;; [unrolled: 3-line block ×3, first 2 shown]
	s_cbranch_scc0 .LBB14_1976
; %bb.1969:
	s_cmp_eq_u32 s26, 46
	s_mov_b64 s[24:25], 0
	s_cbranch_scc0 .LBB14_1977
; %bb.1970:
	global_load_dword v3, v[1:2], off
	s_mov_b32 s0, 0x2f800000
	s_mov_b32 s1, 0xcf800000
	s_mov_b64 s[22:23], -1
	s_waitcnt vmcnt(0)
	v_lshlrev_b32_e32 v3, 16, v3
	v_trunc_f32_e32 v3, v3
	v_mul_f32_e64 v4, |v3|, s0
	v_floor_f32_e32 v4, v4
	v_fma_f32 v4, v4, s1, |v3|
	v_cvt_u32_f32_e32 v4, v4
	v_ashrrev_i32_e32 v3, 31, v3
	s_mov_b64 s[0:1], 0
	v_xor_b32_e32 v4, v4, v3
	v_sub_u32_e32 v3, v4, v3
	s_branch .LBB14_1978
.LBB14_1971:
	s_mov_b64 s[0:1], -1
	s_mov_b64 s[22:23], 0
                                        ; implicit-def: $vgpr3
	s_branch .LBB14_2040
.LBB14_1972:
	s_mov_b64 s[24:25], -1
	s_mov_b64 s[22:23], 0
	s_mov_b64 s[0:1], 0
                                        ; implicit-def: $vgpr3
	s_branch .LBB14_2005
.LBB14_1973:
	s_mov_b64 s[24:25], -1
	s_mov_b64 s[22:23], 0
	s_mov_b64 s[0:1], 0
                                        ; implicit-def: $vgpr3
	s_branch .LBB14_1988
.LBB14_1974:
	s_mov_b64 s[24:25], -1
	s_mov_b64 s[22:23], 0
	s_mov_b64 s[0:1], 0
                                        ; implicit-def: $vgpr3
	s_branch .LBB14_1983
.LBB14_1975:
	s_trap 2
	s_or_b64 s[18:19], s[18:19], exec
	s_cbranch_execz .LBB14_1914
	s_branch .LBB14_1915
.LBB14_1976:
	s_mov_b64 s[24:25], -1
	s_mov_b64 s[22:23], 0
	s_mov_b64 s[0:1], 0
                                        ; implicit-def: $vgpr3
	s_branch .LBB14_1978
.LBB14_1977:
	s_mov_b64 s[0:1], -1
                                        ; implicit-def: $vgpr3
	s_mov_b64 s[22:23], 0
.LBB14_1978:
	s_and_b64 vcc, exec, s[24:25]
	s_cbranch_vccz .LBB14_1982
; %bb.1979:
	s_cmp_eq_u32 s26, 44
	s_cbranch_scc0 .LBB14_1981
; %bb.1980:
	global_load_ubyte v3, v[1:2], off
	s_mov_b32 s0, 0x2f800000
	s_mov_b32 s1, 0xcf800000
	s_mov_b64 s[22:23], -1
	s_waitcnt vmcnt(0)
	v_lshlrev_b32_e32 v4, 23, v3
	v_trunc_f32_e32 v4, v4
	v_mul_f32_e64 v8, |v4|, s0
	v_floor_f32_e32 v8, v8
	v_fma_f32 v8, v8, s1, |v4|
	v_cvt_u32_f32_e32 v8, v8
	v_ashrrev_i32_e32 v4, 31, v4
	v_cmp_ne_u32_e32 vcc, 0, v3
	s_mov_b64 s[0:1], 0
	v_xor_b32_e32 v8, v8, v4
	v_sub_u32_e32 v4, v8, v4
	v_cndmask_b32_e32 v3, 0, v4, vcc
	s_branch .LBB14_1982
.LBB14_1981:
	s_mov_b64 s[0:1], -1
                                        ; implicit-def: $vgpr3
.LBB14_1982:
	s_mov_b64 s[24:25], 0
.LBB14_1983:
	s_and_b64 vcc, exec, s[24:25]
	s_cbranch_vccz .LBB14_1987
; %bb.1984:
	s_cmp_eq_u32 s26, 29
	s_cbranch_scc0 .LBB14_1986
; %bb.1985:
	global_load_dwordx2 v[3:4], v[1:2], off
	s_mov_b64 s[0:1], 0
	s_mov_b64 s[22:23], -1
	s_branch .LBB14_1987
.LBB14_1986:
	s_mov_b64 s[0:1], -1
                                        ; implicit-def: $vgpr3
.LBB14_1987:
	s_mov_b64 s[24:25], 0
.LBB14_1988:
	s_and_b64 vcc, exec, s[24:25]
	s_cbranch_vccz .LBB14_2004
; %bb.1989:
	s_cmp_lt_i32 s26, 27
	s_cbranch_scc1 .LBB14_1992
; %bb.1990:
	s_cmp_gt_i32 s26, 27
	s_cbranch_scc0 .LBB14_1993
; %bb.1991:
	global_load_dword v3, v[1:2], off
	s_mov_b64 s[22:23], 0
	s_branch .LBB14_1994
.LBB14_1992:
	s_mov_b64 s[22:23], -1
                                        ; implicit-def: $vgpr3
	s_branch .LBB14_1997
.LBB14_1993:
	s_mov_b64 s[22:23], -1
                                        ; implicit-def: $vgpr3
.LBB14_1994:
	s_andn2_b64 vcc, exec, s[22:23]
	s_cbranch_vccnz .LBB14_1996
; %bb.1995:
	global_load_ushort v3, v[1:2], off
.LBB14_1996:
	s_mov_b64 s[22:23], 0
.LBB14_1997:
	s_andn2_b64 vcc, exec, s[22:23]
	s_cbranch_vccnz .LBB14_2003
; %bb.1998:
	global_load_ubyte v4, v[1:2], off
	s_movk_i32 s22, 0x7f
	s_mov_b64 s[24:25], 0
	s_waitcnt vmcnt(0)
	v_cmp_lt_i16_e32 vcc, s22, v4
	s_and_saveexec_b64 s[22:23], vcc
	s_xor_b64 s[22:23], exec, s[22:23]
	s_cbranch_execz .LBB14_2015
; %bb.1999:
	s_movk_i32 s24, 0x80
	v_cmp_ne_u16_e32 vcc, s24, v4
	s_and_b64 s[24:25], vcc, exec
	s_andn2_saveexec_b64 s[22:23], s[22:23]
	s_cbranch_execnz .LBB14_2016
.LBB14_2000:
	s_or_b64 exec, exec, s[22:23]
	v_mov_b32_e32 v3, 0
	s_and_saveexec_b64 s[22:23], s[24:25]
	s_cbranch_execz .LBB14_2002
.LBB14_2001:
	v_lshlrev_b32_e32 v3, 24, v4
	v_and_b32_e32 v4, 0xffff, v4
	v_and_b32_e32 v8, 7, v4
	v_ffbh_u32_e32 v10, v8
	v_min_u32_e32 v10, 32, v10
	v_subrev_u32_e32 v11, 28, v10
	v_bfe_u32 v9, v4, 3, 4
	v_lshlrev_b32_e32 v4, v11, v4
	v_sub_u32_e32 v10, 29, v10
	v_and_b32_e32 v4, 7, v4
	v_cmp_eq_u32_e32 vcc, 0, v9
	v_cndmask_b32_e32 v9, v9, v10, vcc
	v_cndmask_b32_e32 v4, v8, v4, vcc
	v_mov_b32_e32 v8, 0x3b800000
	v_lshlrev_b32_e32 v4, 20, v4
	v_and_b32_e32 v3, 0x80000000, v3
	v_lshl_add_u32 v8, v9, 23, v8
	v_or3_b32 v3, v3, v8, v4
	v_trunc_f32_e32 v3, v3
	s_mov_b32 s24, 0x2f800000
	v_mul_f32_e64 v4, |v3|, s24
	v_floor_f32_e32 v4, v4
	s_mov_b32 s24, 0xcf800000
	v_fma_f32 v4, v4, s24, |v3|
	v_cvt_u32_f32_e32 v4, v4
	v_ashrrev_i32_e32 v3, 31, v3
	v_xor_b32_e32 v4, v4, v3
	v_sub_u32_e32 v3, v4, v3
.LBB14_2002:
	s_or_b64 exec, exec, s[22:23]
.LBB14_2003:
	s_mov_b64 s[22:23], -1
.LBB14_2004:
	s_mov_b64 s[24:25], 0
.LBB14_2005:
	s_and_b64 vcc, exec, s[24:25]
	s_cbranch_vccz .LBB14_2036
; %bb.2006:
	s_cmp_gt_i32 s26, 22
	s_cbranch_scc0 .LBB14_2014
; %bb.2007:
	s_cmp_lt_i32 s26, 24
	s_cbranch_scc1 .LBB14_2017
; %bb.2008:
	s_cmp_gt_i32 s26, 24
	s_cbranch_scc0 .LBB14_2018
; %bb.2009:
	global_load_ubyte v4, v[1:2], off
	s_movk_i32 s20, 0x7f
	s_mov_b64 s[22:23], 0
	s_waitcnt vmcnt(0)
	v_cmp_lt_i16_e32 vcc, s20, v4
	s_and_saveexec_b64 s[20:21], vcc
	s_xor_b64 s[20:21], exec, s[20:21]
	s_cbranch_execz .LBB14_2030
; %bb.2010:
	s_movk_i32 s22, 0x80
	v_cmp_ne_u16_e32 vcc, s22, v4
	s_and_b64 s[22:23], vcc, exec
	s_andn2_saveexec_b64 s[20:21], s[20:21]
	s_cbranch_execnz .LBB14_2031
.LBB14_2011:
	s_or_b64 exec, exec, s[20:21]
	v_mov_b32_e32 v3, 0
	s_and_saveexec_b64 s[20:21], s[22:23]
	s_cbranch_execz .LBB14_2013
.LBB14_2012:
	v_lshlrev_b32_e32 v3, 24, v4
	v_and_b32_e32 v4, 0xffff, v4
	v_and_b32_e32 v8, 3, v4
	v_ffbh_u32_e32 v10, v8
	v_min_u32_e32 v10, 32, v10
	v_subrev_u32_e32 v11, 29, v10
	v_bfe_u32 v9, v4, 2, 5
	v_lshlrev_b32_e32 v4, v11, v4
	v_sub_u32_e32 v10, 30, v10
	v_and_b32_e32 v4, 3, v4
	v_cmp_eq_u32_e32 vcc, 0, v9
	v_cndmask_b32_e32 v9, v9, v10, vcc
	v_cndmask_b32_e32 v4, v8, v4, vcc
	v_mov_b32_e32 v8, 0x37800000
	v_lshlrev_b32_e32 v4, 21, v4
	v_and_b32_e32 v3, 0x80000000, v3
	v_lshl_add_u32 v8, v9, 23, v8
	v_or3_b32 v3, v3, v8, v4
	v_trunc_f32_e32 v3, v3
	s_mov_b32 s22, 0x2f800000
	v_mul_f32_e64 v4, |v3|, s22
	v_floor_f32_e32 v4, v4
	s_mov_b32 s22, 0xcf800000
	v_fma_f32 v4, v4, s22, |v3|
	v_cvt_u32_f32_e32 v4, v4
	v_ashrrev_i32_e32 v3, 31, v3
	v_xor_b32_e32 v4, v4, v3
	v_sub_u32_e32 v3, v4, v3
.LBB14_2013:
	s_or_b64 exec, exec, s[20:21]
	s_mov_b64 s[20:21], 0
	s_branch .LBB14_2019
.LBB14_2014:
	s_mov_b64 s[20:21], -1
                                        ; implicit-def: $vgpr3
	s_branch .LBB14_2025
.LBB14_2015:
	s_andn2_saveexec_b64 s[22:23], s[22:23]
	s_cbranch_execz .LBB14_2000
.LBB14_2016:
	v_cmp_ne_u16_e32 vcc, 0, v4
	s_andn2_b64 s[24:25], s[24:25], exec
	s_and_b64 s[30:31], vcc, exec
	s_or_b64 s[24:25], s[24:25], s[30:31]
	s_or_b64 exec, exec, s[22:23]
	v_mov_b32_e32 v3, 0
	s_and_saveexec_b64 s[22:23], s[24:25]
	s_cbranch_execnz .LBB14_2001
	s_branch .LBB14_2002
.LBB14_2017:
	s_mov_b64 s[20:21], -1
                                        ; implicit-def: $vgpr3
	s_branch .LBB14_2022
.LBB14_2018:
	s_mov_b64 s[20:21], -1
                                        ; implicit-def: $vgpr3
.LBB14_2019:
	s_and_b64 vcc, exec, s[20:21]
	s_cbranch_vccz .LBB14_2021
; %bb.2020:
	global_load_ubyte v3, v[1:2], off
	s_mov_b32 s20, 0x7f800000
	s_brev_b32 s21, 1
	s_mov_b32 s22, 0x2f800000
	s_waitcnt vmcnt(0)
	v_lshlrev_b32_e32 v3, 24, v3
	v_and_b32_e32 v4, 0x7f000000, v3
	v_ffbh_u32_e32 v8, v4
	v_min_u32_e32 v8, 32, v8
	v_sub_u32_e64 v8, v8, 4 clamp
	v_lshlrev_b32_e32 v10, v8, v4
	v_lshlrev_b32_e32 v8, 23, v8
	v_lshrrev_b32_e32 v10, 4, v10
	v_add_u32_e32 v9, 0x1000000, v4
	v_sub_u32_e32 v8, v10, v8
	v_ashrrev_i32_e32 v9, 8, v9
	v_add_u32_e32 v8, 0x3c000000, v8
	v_and_or_b32 v8, v9, s20, v8
	v_cmp_ne_u32_e32 vcc, 0, v4
	v_cndmask_b32_e32 v4, 0, v8, vcc
	v_and_or_b32 v3, v3, s21, v4
	v_trunc_f32_e32 v3, v3
	v_mul_f32_e64 v4, |v3|, s22
	v_floor_f32_e32 v4, v4
	s_mov_b32 s20, 0xcf800000
	v_fma_f32 v4, v4, s20, |v3|
	v_cvt_u32_f32_e32 v4, v4
	v_ashrrev_i32_e32 v3, 31, v3
	v_xor_b32_e32 v4, v4, v3
	v_sub_u32_e32 v3, v4, v3
.LBB14_2021:
	s_mov_b64 s[20:21], 0
.LBB14_2022:
	s_andn2_b64 vcc, exec, s[20:21]
	s_cbranch_vccnz .LBB14_2024
; %bb.2023:
	global_load_ubyte v3, v[1:2], off
	s_movk_i32 s20, 0x7f00
	s_brev_b32 s21, 16
	s_brev_b32 s22, 1
	s_mov_b32 s23, 0x2f800000
	s_waitcnt vmcnt(0)
	v_lshlrev_b16_e32 v4, 8, v3
	v_lshlrev_b32_e32 v3, 25, v3
	v_lshrrev_b32_e32 v8, 4, v3
	v_and_or_b32 v9, v4, s20, 0.5
	v_or_b32_e32 v8, 0x70000000, v8
	v_add_f32_e32 v9, -0.5, v9
	v_mul_f32_e32 v8, 0x7800000, v8
	v_cmp_gt_u32_e32 vcc, s21, v3
	v_bfe_i32 v4, v4, 0, 16
	v_cndmask_b32_e32 v3, v8, v9, vcc
	v_and_or_b32 v3, v4, s22, v3
	v_trunc_f32_e32 v3, v3
	v_mul_f32_e64 v4, |v3|, s23
	v_floor_f32_e32 v4, v4
	s_mov_b32 s20, 0xcf800000
	v_fma_f32 v4, v4, s20, |v3|
	v_cvt_u32_f32_e32 v4, v4
	v_ashrrev_i32_e32 v3, 31, v3
	v_xor_b32_e32 v4, v4, v3
	v_sub_u32_e32 v3, v4, v3
.LBB14_2024:
	s_mov_b64 s[20:21], 0
	s_mov_b64 s[22:23], -1
.LBB14_2025:
	s_andn2_b64 vcc, exec, s[20:21]
	s_mov_b64 s[20:21], 0
	s_cbranch_vccnz .LBB14_2036
; %bb.2026:
	s_cmp_gt_i32 s26, 14
	s_cbranch_scc0 .LBB14_2029
; %bb.2027:
	s_cmp_eq_u32 s26, 15
	s_cbranch_scc0 .LBB14_2032
; %bb.2028:
	global_load_ushort v3, v[1:2], off
	s_mov_b32 s0, 0x2f800000
	s_mov_b32 s1, 0xcf800000
	s_mov_b64 s[22:23], -1
	s_waitcnt vmcnt(0)
	v_lshlrev_b32_e32 v3, 16, v3
	v_trunc_f32_e32 v3, v3
	v_mul_f32_e64 v4, |v3|, s0
	v_floor_f32_e32 v4, v4
	v_fma_f32 v4, v4, s1, |v3|
	v_cvt_u32_f32_e32 v4, v4
	v_ashrrev_i32_e32 v3, 31, v3
	s_mov_b64 s[0:1], 0
	v_xor_b32_e32 v4, v4, v3
	v_sub_u32_e32 v3, v4, v3
	s_branch .LBB14_2033
.LBB14_2029:
	s_mov_b64 s[24:25], -1
                                        ; implicit-def: $vgpr3
	s_branch .LBB14_2034
.LBB14_2030:
	s_andn2_saveexec_b64 s[20:21], s[20:21]
	s_cbranch_execz .LBB14_2011
.LBB14_2031:
	v_cmp_ne_u16_e32 vcc, 0, v4
	s_andn2_b64 s[22:23], s[22:23], exec
	s_and_b64 s[24:25], vcc, exec
	s_or_b64 s[22:23], s[22:23], s[24:25]
	s_or_b64 exec, exec, s[20:21]
	v_mov_b32_e32 v3, 0
	s_and_saveexec_b64 s[20:21], s[22:23]
	s_cbranch_execnz .LBB14_2012
	s_branch .LBB14_2013
.LBB14_2032:
	s_mov_b64 s[0:1], -1
                                        ; implicit-def: $vgpr3
.LBB14_2033:
	s_mov_b64 s[24:25], 0
.LBB14_2034:
	s_and_b64 vcc, exec, s[24:25]
	s_cbranch_vccz .LBB14_2036
; %bb.2035:
	s_cmp_lg_u32 s26, 11
	s_mov_b64 s[20:21], -1
	s_cselect_b64 s[0:1], -1, 0
.LBB14_2036:
	s_and_b64 vcc, exec, s[0:1]
	s_cbranch_vccnz .LBB14_2118
; %bb.2037:
	s_andn2_b64 vcc, exec, s[20:21]
	s_cbranch_vccnz .LBB14_2039
.LBB14_2038:
	global_load_ubyte v3, v[1:2], off
	s_mov_b64 s[22:23], -1
	s_waitcnt vmcnt(0)
	v_cmp_ne_u16_e32 vcc, 0, v3
	v_cndmask_b32_e64 v3, 0, 1, vcc
.LBB14_2039:
	s_mov_b64 s[0:1], 0
.LBB14_2040:
	s_and_b64 vcc, exec, s[0:1]
	s_cbranch_vccz .LBB14_2089
; %bb.2041:
	s_and_b32 s20, 0xffff, s29
	s_cmp_lt_i32 s20, 5
	s_cbranch_scc1 .LBB14_2046
; %bb.2042:
	s_cmp_lt_i32 s20, 8
	s_cbranch_scc1 .LBB14_2047
; %bb.2043:
	;; [unrolled: 3-line block ×3, first 2 shown]
	s_cmp_gt_i32 s20, 9
	s_cbranch_scc0 .LBB14_2049
; %bb.2045:
	global_load_dwordx2 v[3:4], v[1:2], off
	s_movk_i32 s0, 0xffe0
	s_waitcnt vmcnt(0)
	v_trunc_f64_e32 v[3:4], v[3:4]
	v_ldexp_f64 v[8:9], v[3:4], s0
	s_mov_b32 s0, 0
	s_mov_b32 s1, 0xc1f00000
	v_floor_f64_e32 v[8:9], v[8:9]
	v_fma_f64 v[3:4], v[8:9], s[0:1], v[3:4]
	s_mov_b64 s[0:1], 0
	v_cvt_u32_f64_e32 v3, v[3:4]
	s_branch .LBB14_2050
.LBB14_2046:
	s_mov_b64 s[0:1], -1
                                        ; implicit-def: $vgpr3
	s_branch .LBB14_2068
.LBB14_2047:
	s_mov_b64 s[0:1], -1
                                        ; implicit-def: $vgpr3
	s_branch .LBB14_2056
.LBB14_2048:
	s_mov_b64 s[0:1], -1
                                        ; implicit-def: $vgpr3
	s_branch .LBB14_2053
.LBB14_2049:
	s_mov_b64 s[0:1], -1
                                        ; implicit-def: $vgpr3
.LBB14_2050:
	s_andn2_b64 vcc, exec, s[0:1]
	s_cbranch_vccnz .LBB14_2052
; %bb.2051:
	global_load_dword v3, v[1:2], off
	s_mov_b32 s0, 0x2f800000
	s_waitcnt vmcnt(0)
	v_trunc_f32_e32 v3, v3
	v_mul_f32_e64 v4, |v3|, s0
	v_floor_f32_e32 v4, v4
	s_mov_b32 s0, 0xcf800000
	v_fma_f32 v4, v4, s0, |v3|
	v_cvt_u32_f32_e32 v4, v4
	v_ashrrev_i32_e32 v3, 31, v3
	v_xor_b32_e32 v4, v4, v3
	v_sub_u32_e32 v3, v4, v3
.LBB14_2052:
	s_mov_b64 s[0:1], 0
.LBB14_2053:
	s_andn2_b64 vcc, exec, s[0:1]
	s_cbranch_vccnz .LBB14_2055
; %bb.2054:
	global_load_dword v3, v[1:2], off
	s_waitcnt vmcnt(0)
	v_cvt_f32_f16_e32 v3, v3
	v_cvt_i32_f32_e32 v3, v3
.LBB14_2055:
	s_mov_b64 s[0:1], 0
.LBB14_2056:
	s_andn2_b64 vcc, exec, s[0:1]
	s_cbranch_vccnz .LBB14_2067
; %bb.2057:
	s_cmp_lt_i32 s20, 6
	s_cbranch_scc1 .LBB14_2060
; %bb.2058:
	s_cmp_gt_i32 s20, 6
	s_cbranch_scc0 .LBB14_2061
; %bb.2059:
	global_load_dwordx2 v[3:4], v[1:2], off
	s_movk_i32 s0, 0xffe0
	s_waitcnt vmcnt(0)
	v_trunc_f64_e32 v[3:4], v[3:4]
	v_ldexp_f64 v[8:9], v[3:4], s0
	s_mov_b32 s0, 0
	s_mov_b32 s1, 0xc1f00000
	v_floor_f64_e32 v[8:9], v[8:9]
	v_fma_f64 v[3:4], v[8:9], s[0:1], v[3:4]
	s_mov_b64 s[0:1], 0
	v_cvt_u32_f64_e32 v3, v[3:4]
	s_branch .LBB14_2062
.LBB14_2060:
	s_mov_b64 s[0:1], -1
                                        ; implicit-def: $vgpr3
	s_branch .LBB14_2065
.LBB14_2061:
	s_mov_b64 s[0:1], -1
                                        ; implicit-def: $vgpr3
.LBB14_2062:
	s_andn2_b64 vcc, exec, s[0:1]
	s_cbranch_vccnz .LBB14_2064
; %bb.2063:
	global_load_dword v3, v[1:2], off
	s_mov_b32 s0, 0x2f800000
	s_waitcnt vmcnt(0)
	v_trunc_f32_e32 v3, v3
	v_mul_f32_e64 v4, |v3|, s0
	v_floor_f32_e32 v4, v4
	s_mov_b32 s0, 0xcf800000
	v_fma_f32 v4, v4, s0, |v3|
	v_cvt_u32_f32_e32 v4, v4
	v_ashrrev_i32_e32 v3, 31, v3
	v_xor_b32_e32 v4, v4, v3
	v_sub_u32_e32 v3, v4, v3
.LBB14_2064:
	s_mov_b64 s[0:1], 0
.LBB14_2065:
	s_andn2_b64 vcc, exec, s[0:1]
	s_cbranch_vccnz .LBB14_2067
; %bb.2066:
	global_load_ushort v3, v[1:2], off
	s_waitcnt vmcnt(0)
	v_cvt_f32_f16_e32 v3, v3
	v_cvt_i32_f32_e32 v3, v3
.LBB14_2067:
	s_mov_b64 s[0:1], 0
.LBB14_2068:
	s_andn2_b64 vcc, exec, s[0:1]
	s_cbranch_vccnz .LBB14_2088
; %bb.2069:
	s_cmp_lt_i32 s20, 2
	s_cbranch_scc1 .LBB14_2073
; %bb.2070:
	s_cmp_lt_i32 s20, 3
	s_cbranch_scc1 .LBB14_2074
; %bb.2071:
	s_cmp_gt_i32 s20, 3
	s_cbranch_scc0 .LBB14_2075
; %bb.2072:
	global_load_dwordx2 v[3:4], v[1:2], off
	s_mov_b64 s[0:1], 0
	s_branch .LBB14_2076
.LBB14_2073:
	s_mov_b64 s[0:1], -1
                                        ; implicit-def: $vgpr3
	s_branch .LBB14_2082
.LBB14_2074:
	s_mov_b64 s[0:1], -1
                                        ; implicit-def: $vgpr3
	s_branch .LBB14_2079
.LBB14_2075:
	s_mov_b64 s[0:1], -1
                                        ; implicit-def: $vgpr3
.LBB14_2076:
	s_andn2_b64 vcc, exec, s[0:1]
	s_cbranch_vccnz .LBB14_2078
; %bb.2077:
	global_load_dword v3, v[1:2], off
.LBB14_2078:
	s_mov_b64 s[0:1], 0
.LBB14_2079:
	s_andn2_b64 vcc, exec, s[0:1]
	s_cbranch_vccnz .LBB14_2081
; %bb.2080:
	global_load_ushort v3, v[1:2], off
.LBB14_2081:
	s_mov_b64 s[0:1], 0
.LBB14_2082:
	s_andn2_b64 vcc, exec, s[0:1]
	s_cbranch_vccnz .LBB14_2088
; %bb.2083:
	s_cmp_gt_i32 s20, 0
	s_cbranch_scc0 .LBB14_2085
; %bb.2084:
	global_load_ubyte v3, v[1:2], off
	s_mov_b64 s[0:1], 0
	s_branch .LBB14_2086
.LBB14_2085:
	s_mov_b64 s[0:1], -1
                                        ; implicit-def: $vgpr3
.LBB14_2086:
	s_andn2_b64 vcc, exec, s[0:1]
	s_cbranch_vccnz .LBB14_2088
; %bb.2087:
	global_load_ubyte v3, v[1:2], off
.LBB14_2088:
	s_mov_b64 s[22:23], -1
.LBB14_2089:
	s_andn2_b64 vcc, exec, s[22:23]
	s_cbranch_vccnz .LBB14_2634
; %bb.2090:
	s_cmp_lt_i32 s15, 1
	s_mov_b64 s[0:1], 0
	s_cbranch_scc1 .LBB14_2094
; %bb.2091:
	s_cmp_gt_i32 s15, 1
	s_cbranch_scc0 .LBB14_2095
; %bb.2092:
	s_cmp_eq_u32 s15, 2
	s_cbranch_scc0 .LBB14_2096
; %bb.2093:
	s_waitcnt vmcnt(0)
	v_cmp_le_u16_sdwa s[20:21], v0, v3 src0_sel:BYTE_0 src1_sel:BYTE_0
	s_mov_b64 s[22:23], 0
	s_branch .LBB14_2097
.LBB14_2094:
	s_mov_b64 s[24:25], -1
                                        ; implicit-def: $sgpr20_sgpr21
	s_mov_b64 s[22:23], 0
	s_branch .LBB14_2101
.LBB14_2095:
	s_mov_b64 s[24:25], -1
	s_mov_b64 s[22:23], 0
                                        ; implicit-def: $sgpr20_sgpr21
	s_branch .LBB14_2098
.LBB14_2096:
	s_mov_b64 s[22:23], -1
                                        ; implicit-def: $sgpr20_sgpr21
.LBB14_2097:
	s_mov_b64 s[24:25], 0
.LBB14_2098:
	s_and_b64 vcc, exec, s[24:25]
	s_cbranch_vccz .LBB14_2100
; %bb.2099:
	s_waitcnt vmcnt(0)
	v_cmp_gt_u16_sdwa s[24:25], v0, v3 src0_sel:BYTE_0 src1_sel:BYTE_0
	s_andn2_b64 s[20:21], s[20:21], exec
	s_and_b64 s[24:25], s[24:25], exec
	s_or_b64 s[20:21], s[20:21], s[24:25]
.LBB14_2100:
	s_mov_b64 s[24:25], 0
.LBB14_2101:
	s_and_b64 vcc, exec, s[24:25]
	s_cbranch_vccz .LBB14_2112
; %bb.2102:
	s_cmp_lg_u32 s15, 0
	s_mov_b64 s[0:1], -1
	s_cselect_b64 s[22:23], -1, 0
	s_andn2_b64 vcc, exec, s[22:23]
	s_cbranch_vccz .LBB14_2113
.LBB14_2103:
	s_andn2_b64 vcc, exec, s[0:1]
	s_cbranch_vccnz .LBB14_2105
.LBB14_2104:
	s_waitcnt vmcnt(0)
	v_cmp_ge_u16_sdwa s[0:1], v0, v3 src0_sel:BYTE_0 src1_sel:BYTE_0
	s_andn2_b64 s[20:21], s[20:21], exec
	s_and_b64 s[0:1], s[0:1], exec
	s_or_b64 s[20:21], s[20:21], s[0:1]
.LBB14_2105:
	v_add_u32_e32 v6, s13, v6
	v_ashrrev_i32_e32 v0, 31, v6
	v_mov_b32_e32 v1, s11
	v_add_co_u32_e32 v2, vcc, s10, v6
	s_cmp_lt_i32 s28, 11
	s_waitcnt vmcnt(0)
	v_addc_co_u32_e32 v3, vcc, v1, v0, vcc
	s_cbranch_scc1 .LBB14_2114
; %bb.2106:
	s_and_b32 s30, 0xffff, s28
	s_cmp_gt_i32 s30, 25
	s_mov_b64 s[22:23], 0
	s_cbranch_scc0 .LBB14_2115
; %bb.2107:
	s_cmp_gt_i32 s30, 28
	s_cbranch_scc0 .LBB14_2116
; %bb.2108:
	s_cmp_gt_i32 s30, 43
	;; [unrolled: 3-line block ×3, first 2 shown]
	s_cbranch_scc0 .LBB14_2119
; %bb.2110:
	s_cmp_eq_u32 s30, 46
	s_mov_b64 s[26:27], 0
	s_cbranch_scc0 .LBB14_2120
; %bb.2111:
	global_load_dword v0, v[2:3], off
	s_mov_b32 s0, 0x2f800000
	s_mov_b32 s1, 0xcf800000
	s_mov_b64 s[24:25], -1
	s_waitcnt vmcnt(0)
	v_lshlrev_b32_e32 v0, 16, v0
	v_trunc_f32_e32 v0, v0
	v_mul_f32_e64 v1, |v0|, s0
	v_floor_f32_e32 v1, v1
	v_fma_f32 v1, v1, s1, |v0|
	v_cvt_u32_f32_e32 v1, v1
	v_ashrrev_i32_e32 v0, 31, v0
	s_mov_b64 s[0:1], 0
	v_xor_b32_e32 v1, v1, v0
	v_sub_u32_e32 v0, v1, v0
	s_branch .LBB14_2121
.LBB14_2112:
	s_andn2_b64 vcc, exec, s[22:23]
	s_cbranch_vccnz .LBB14_2103
.LBB14_2113:
	s_waitcnt vmcnt(0)
	v_cmp_lt_u16_sdwa s[22:23], v0, v3 src0_sel:BYTE_0 src1_sel:BYTE_0
	s_andn2_b64 s[20:21], s[20:21], exec
	s_and_b64 s[22:23], s[22:23], exec
	s_or_b64 s[20:21], s[20:21], s[22:23]
	s_cbranch_execz .LBB14_2104
	s_branch .LBB14_2105
.LBB14_2114:
	s_mov_b64 s[0:1], -1
	s_mov_b64 s[24:25], 0
                                        ; implicit-def: $vgpr0
	s_branch .LBB14_2183
.LBB14_2115:
	s_mov_b64 s[26:27], -1
	s_mov_b64 s[24:25], 0
	s_mov_b64 s[0:1], 0
                                        ; implicit-def: $vgpr0
	s_branch .LBB14_2148
.LBB14_2116:
	s_mov_b64 s[26:27], -1
	s_mov_b64 s[24:25], 0
	s_mov_b64 s[0:1], 0
                                        ; implicit-def: $vgpr0
	s_branch .LBB14_2131
.LBB14_2117:
	s_mov_b64 s[26:27], -1
	s_mov_b64 s[24:25], 0
	s_mov_b64 s[0:1], 0
                                        ; implicit-def: $vgpr0
	s_branch .LBB14_2126
.LBB14_2118:
	s_trap 2
	s_or_b64 s[18:19], s[18:19], exec
	s_cbranch_execz .LBB14_2038
	s_branch .LBB14_2039
.LBB14_2119:
	s_mov_b64 s[26:27], -1
	s_mov_b64 s[24:25], 0
	s_mov_b64 s[0:1], 0
                                        ; implicit-def: $vgpr0
	s_branch .LBB14_2121
.LBB14_2120:
	s_mov_b64 s[0:1], -1
                                        ; implicit-def: $vgpr0
	s_mov_b64 s[24:25], 0
.LBB14_2121:
	s_and_b64 vcc, exec, s[26:27]
	s_cbranch_vccz .LBB14_2125
; %bb.2122:
	s_cmp_eq_u32 s30, 44
	s_cbranch_scc0 .LBB14_2124
; %bb.2123:
	global_load_ubyte v0, v[2:3], off
	s_mov_b32 s0, 0x2f800000
	s_mov_b32 s1, 0xcf800000
	s_mov_b64 s[24:25], -1
	s_waitcnt vmcnt(0)
	v_lshlrev_b32_e32 v1, 23, v0
	v_trunc_f32_e32 v1, v1
	v_mul_f32_e64 v4, |v1|, s0
	v_floor_f32_e32 v4, v4
	v_fma_f32 v4, v4, s1, |v1|
	v_cvt_u32_f32_e32 v4, v4
	v_ashrrev_i32_e32 v1, 31, v1
	v_cmp_ne_u32_e32 vcc, 0, v0
	s_mov_b64 s[0:1], 0
	v_xor_b32_e32 v4, v4, v1
	v_sub_u32_e32 v1, v4, v1
	v_cndmask_b32_e32 v0, 0, v1, vcc
	s_branch .LBB14_2125
.LBB14_2124:
	s_mov_b64 s[0:1], -1
                                        ; implicit-def: $vgpr0
.LBB14_2125:
	s_mov_b64 s[26:27], 0
.LBB14_2126:
	s_and_b64 vcc, exec, s[26:27]
	s_cbranch_vccz .LBB14_2130
; %bb.2127:
	s_cmp_eq_u32 s30, 29
	s_cbranch_scc0 .LBB14_2129
; %bb.2128:
	global_load_dwordx2 v[0:1], v[2:3], off
	s_mov_b64 s[0:1], 0
	s_mov_b64 s[24:25], -1
	s_branch .LBB14_2130
.LBB14_2129:
	s_mov_b64 s[0:1], -1
                                        ; implicit-def: $vgpr0
.LBB14_2130:
	s_mov_b64 s[26:27], 0
.LBB14_2131:
	s_and_b64 vcc, exec, s[26:27]
	s_cbranch_vccz .LBB14_2147
; %bb.2132:
	s_cmp_lt_i32 s30, 27
	s_cbranch_scc1 .LBB14_2135
; %bb.2133:
	s_cmp_gt_i32 s30, 27
	s_cbranch_scc0 .LBB14_2136
; %bb.2134:
	global_load_dword v0, v[2:3], off
	s_mov_b64 s[24:25], 0
	s_branch .LBB14_2137
.LBB14_2135:
	s_mov_b64 s[24:25], -1
                                        ; implicit-def: $vgpr0
	s_branch .LBB14_2140
.LBB14_2136:
	s_mov_b64 s[24:25], -1
                                        ; implicit-def: $vgpr0
.LBB14_2137:
	s_andn2_b64 vcc, exec, s[24:25]
	s_cbranch_vccnz .LBB14_2139
; %bb.2138:
	global_load_ushort v0, v[2:3], off
.LBB14_2139:
	s_mov_b64 s[24:25], 0
.LBB14_2140:
	s_andn2_b64 vcc, exec, s[24:25]
	s_cbranch_vccnz .LBB14_2146
; %bb.2141:
	global_load_ubyte v1, v[2:3], off
	s_movk_i32 s24, 0x7f
	s_mov_b64 s[26:27], 0
	s_waitcnt vmcnt(0)
	v_cmp_lt_i16_e32 vcc, s24, v1
	s_and_saveexec_b64 s[24:25], vcc
	s_xor_b64 s[24:25], exec, s[24:25]
	s_cbranch_execz .LBB14_2158
; %bb.2142:
	s_movk_i32 s26, 0x80
	v_cmp_ne_u16_e32 vcc, s26, v1
	s_and_b64 s[26:27], vcc, exec
	s_andn2_saveexec_b64 s[24:25], s[24:25]
	s_cbranch_execnz .LBB14_2159
.LBB14_2143:
	s_or_b64 exec, exec, s[24:25]
	v_mov_b32_e32 v0, 0
	s_and_saveexec_b64 s[24:25], s[26:27]
	s_cbranch_execz .LBB14_2145
.LBB14_2144:
	v_lshlrev_b32_e32 v0, 24, v1
	v_and_b32_e32 v1, 0xffff, v1
	v_and_b32_e32 v4, 7, v1
	v_ffbh_u32_e32 v9, v4
	v_min_u32_e32 v9, 32, v9
	v_subrev_u32_e32 v10, 28, v9
	v_bfe_u32 v8, v1, 3, 4
	v_lshlrev_b32_e32 v1, v10, v1
	v_sub_u32_e32 v9, 29, v9
	v_and_b32_e32 v1, 7, v1
	v_cmp_eq_u32_e32 vcc, 0, v8
	v_cndmask_b32_e32 v8, v8, v9, vcc
	v_cndmask_b32_e32 v1, v4, v1, vcc
	v_mov_b32_e32 v4, 0x3b800000
	v_lshlrev_b32_e32 v1, 20, v1
	v_and_b32_e32 v0, 0x80000000, v0
	v_lshl_add_u32 v4, v8, 23, v4
	v_or3_b32 v0, v0, v4, v1
	v_trunc_f32_e32 v0, v0
	s_mov_b32 s26, 0x2f800000
	v_mul_f32_e64 v1, |v0|, s26
	v_floor_f32_e32 v1, v1
	s_mov_b32 s26, 0xcf800000
	v_fma_f32 v1, v1, s26, |v0|
	v_cvt_u32_f32_e32 v1, v1
	v_ashrrev_i32_e32 v0, 31, v0
	v_xor_b32_e32 v1, v1, v0
	v_sub_u32_e32 v0, v1, v0
.LBB14_2145:
	s_or_b64 exec, exec, s[24:25]
.LBB14_2146:
	s_mov_b64 s[24:25], -1
.LBB14_2147:
	s_mov_b64 s[26:27], 0
.LBB14_2148:
	s_and_b64 vcc, exec, s[26:27]
	s_cbranch_vccz .LBB14_2179
; %bb.2149:
	s_cmp_gt_i32 s30, 22
	s_cbranch_scc0 .LBB14_2157
; %bb.2150:
	s_cmp_lt_i32 s30, 24
	s_cbranch_scc1 .LBB14_2160
; %bb.2151:
	s_cmp_gt_i32 s30, 24
	s_cbranch_scc0 .LBB14_2161
; %bb.2152:
	global_load_ubyte v1, v[2:3], off
	s_movk_i32 s22, 0x7f
	s_mov_b64 s[24:25], 0
	s_waitcnt vmcnt(0)
	v_cmp_lt_i16_e32 vcc, s22, v1
	s_and_saveexec_b64 s[22:23], vcc
	s_xor_b64 s[22:23], exec, s[22:23]
	s_cbranch_execz .LBB14_2173
; %bb.2153:
	s_movk_i32 s24, 0x80
	v_cmp_ne_u16_e32 vcc, s24, v1
	s_and_b64 s[24:25], vcc, exec
	s_andn2_saveexec_b64 s[22:23], s[22:23]
	s_cbranch_execnz .LBB14_2174
.LBB14_2154:
	s_or_b64 exec, exec, s[22:23]
	v_mov_b32_e32 v0, 0
	s_and_saveexec_b64 s[22:23], s[24:25]
	s_cbranch_execz .LBB14_2156
.LBB14_2155:
	v_lshlrev_b32_e32 v0, 24, v1
	v_and_b32_e32 v1, 0xffff, v1
	v_and_b32_e32 v4, 3, v1
	v_ffbh_u32_e32 v9, v4
	v_min_u32_e32 v9, 32, v9
	v_subrev_u32_e32 v10, 29, v9
	v_bfe_u32 v8, v1, 2, 5
	v_lshlrev_b32_e32 v1, v10, v1
	v_sub_u32_e32 v9, 30, v9
	v_and_b32_e32 v1, 3, v1
	v_cmp_eq_u32_e32 vcc, 0, v8
	v_cndmask_b32_e32 v8, v8, v9, vcc
	v_cndmask_b32_e32 v1, v4, v1, vcc
	v_mov_b32_e32 v4, 0x37800000
	v_lshlrev_b32_e32 v1, 21, v1
	v_and_b32_e32 v0, 0x80000000, v0
	v_lshl_add_u32 v4, v8, 23, v4
	v_or3_b32 v0, v0, v4, v1
	v_trunc_f32_e32 v0, v0
	s_mov_b32 s24, 0x2f800000
	v_mul_f32_e64 v1, |v0|, s24
	v_floor_f32_e32 v1, v1
	s_mov_b32 s24, 0xcf800000
	v_fma_f32 v1, v1, s24, |v0|
	v_cvt_u32_f32_e32 v1, v1
	v_ashrrev_i32_e32 v0, 31, v0
	v_xor_b32_e32 v1, v1, v0
	v_sub_u32_e32 v0, v1, v0
.LBB14_2156:
	s_or_b64 exec, exec, s[22:23]
	s_mov_b64 s[22:23], 0
	s_branch .LBB14_2162
.LBB14_2157:
	s_mov_b64 s[22:23], -1
                                        ; implicit-def: $vgpr0
	s_branch .LBB14_2168
.LBB14_2158:
	s_andn2_saveexec_b64 s[24:25], s[24:25]
	s_cbranch_execz .LBB14_2143
.LBB14_2159:
	v_cmp_ne_u16_e32 vcc, 0, v1
	s_andn2_b64 s[26:27], s[26:27], exec
	s_and_b64 s[34:35], vcc, exec
	s_or_b64 s[26:27], s[26:27], s[34:35]
	s_or_b64 exec, exec, s[24:25]
	v_mov_b32_e32 v0, 0
	s_and_saveexec_b64 s[24:25], s[26:27]
	s_cbranch_execnz .LBB14_2144
	s_branch .LBB14_2145
.LBB14_2160:
	s_mov_b64 s[22:23], -1
                                        ; implicit-def: $vgpr0
	s_branch .LBB14_2165
.LBB14_2161:
	s_mov_b64 s[22:23], -1
                                        ; implicit-def: $vgpr0
.LBB14_2162:
	s_and_b64 vcc, exec, s[22:23]
	s_cbranch_vccz .LBB14_2164
; %bb.2163:
	global_load_ubyte v0, v[2:3], off
	s_mov_b32 s22, 0x7f800000
	s_brev_b32 s23, 1
	s_mov_b32 s24, 0x2f800000
	s_waitcnt vmcnt(0)
	v_lshlrev_b32_e32 v0, 24, v0
	v_and_b32_e32 v1, 0x7f000000, v0
	v_ffbh_u32_e32 v4, v1
	v_min_u32_e32 v4, 32, v4
	v_sub_u32_e64 v4, v4, 4 clamp
	v_lshlrev_b32_e32 v9, v4, v1
	v_lshlrev_b32_e32 v4, 23, v4
	v_lshrrev_b32_e32 v9, 4, v9
	v_add_u32_e32 v8, 0x1000000, v1
	v_sub_u32_e32 v4, v9, v4
	v_ashrrev_i32_e32 v8, 8, v8
	v_add_u32_e32 v4, 0x3c000000, v4
	v_and_or_b32 v4, v8, s22, v4
	v_cmp_ne_u32_e32 vcc, 0, v1
	v_cndmask_b32_e32 v1, 0, v4, vcc
	v_and_or_b32 v0, v0, s23, v1
	v_trunc_f32_e32 v0, v0
	v_mul_f32_e64 v1, |v0|, s24
	v_floor_f32_e32 v1, v1
	s_mov_b32 s22, 0xcf800000
	v_fma_f32 v1, v1, s22, |v0|
	v_cvt_u32_f32_e32 v1, v1
	v_ashrrev_i32_e32 v0, 31, v0
	v_xor_b32_e32 v1, v1, v0
	v_sub_u32_e32 v0, v1, v0
.LBB14_2164:
	s_mov_b64 s[22:23], 0
.LBB14_2165:
	s_andn2_b64 vcc, exec, s[22:23]
	s_cbranch_vccnz .LBB14_2167
; %bb.2166:
	global_load_ubyte v0, v[2:3], off
	s_movk_i32 s22, 0x7f00
	s_brev_b32 s23, 16
	s_brev_b32 s24, 1
	s_mov_b32 s25, 0x2f800000
	s_waitcnt vmcnt(0)
	v_lshlrev_b16_e32 v1, 8, v0
	v_lshlrev_b32_e32 v0, 25, v0
	v_lshrrev_b32_e32 v4, 4, v0
	v_and_or_b32 v8, v1, s22, 0.5
	v_or_b32_e32 v4, 0x70000000, v4
	v_add_f32_e32 v8, -0.5, v8
	v_mul_f32_e32 v4, 0x7800000, v4
	v_cmp_gt_u32_e32 vcc, s23, v0
	v_bfe_i32 v1, v1, 0, 16
	v_cndmask_b32_e32 v0, v4, v8, vcc
	v_and_or_b32 v0, v1, s24, v0
	v_trunc_f32_e32 v0, v0
	v_mul_f32_e64 v1, |v0|, s25
	v_floor_f32_e32 v1, v1
	s_mov_b32 s22, 0xcf800000
	v_fma_f32 v1, v1, s22, |v0|
	v_cvt_u32_f32_e32 v1, v1
	v_ashrrev_i32_e32 v0, 31, v0
	v_xor_b32_e32 v1, v1, v0
	v_sub_u32_e32 v0, v1, v0
.LBB14_2167:
	s_mov_b64 s[22:23], 0
	s_mov_b64 s[24:25], -1
.LBB14_2168:
	s_andn2_b64 vcc, exec, s[22:23]
	s_mov_b64 s[22:23], 0
	s_cbranch_vccnz .LBB14_2179
; %bb.2169:
	s_cmp_gt_i32 s30, 14
	s_cbranch_scc0 .LBB14_2172
; %bb.2170:
	s_cmp_eq_u32 s30, 15
	s_cbranch_scc0 .LBB14_2175
; %bb.2171:
	global_load_ushort v0, v[2:3], off
	s_mov_b32 s0, 0x2f800000
	s_mov_b32 s1, 0xcf800000
	s_mov_b64 s[24:25], -1
	s_waitcnt vmcnt(0)
	v_lshlrev_b32_e32 v0, 16, v0
	v_trunc_f32_e32 v0, v0
	v_mul_f32_e64 v1, |v0|, s0
	v_floor_f32_e32 v1, v1
	v_fma_f32 v1, v1, s1, |v0|
	v_cvt_u32_f32_e32 v1, v1
	v_ashrrev_i32_e32 v0, 31, v0
	s_mov_b64 s[0:1], 0
	v_xor_b32_e32 v1, v1, v0
	v_sub_u32_e32 v0, v1, v0
	s_branch .LBB14_2176
.LBB14_2172:
	s_mov_b64 s[26:27], -1
                                        ; implicit-def: $vgpr0
	s_branch .LBB14_2177
.LBB14_2173:
	s_andn2_saveexec_b64 s[22:23], s[22:23]
	s_cbranch_execz .LBB14_2154
.LBB14_2174:
	v_cmp_ne_u16_e32 vcc, 0, v1
	s_andn2_b64 s[24:25], s[24:25], exec
	s_and_b64 s[26:27], vcc, exec
	s_or_b64 s[24:25], s[24:25], s[26:27]
	s_or_b64 exec, exec, s[22:23]
	v_mov_b32_e32 v0, 0
	s_and_saveexec_b64 s[22:23], s[24:25]
	s_cbranch_execnz .LBB14_2155
	s_branch .LBB14_2156
.LBB14_2175:
	s_mov_b64 s[0:1], -1
                                        ; implicit-def: $vgpr0
.LBB14_2176:
	s_mov_b64 s[26:27], 0
.LBB14_2177:
	s_and_b64 vcc, exec, s[26:27]
	s_cbranch_vccz .LBB14_2179
; %bb.2178:
	s_cmp_lg_u32 s30, 11
	s_mov_b64 s[22:23], -1
	s_cselect_b64 s[0:1], -1, 0
.LBB14_2179:
	s_and_b64 vcc, exec, s[0:1]
	s_cbranch_vccnz .LBB14_2244
; %bb.2180:
	s_andn2_b64 vcc, exec, s[22:23]
	s_cbranch_vccnz .LBB14_2182
.LBB14_2181:
	global_load_ubyte v0, v[2:3], off
	s_mov_b64 s[24:25], -1
	s_waitcnt vmcnt(0)
	v_cmp_ne_u16_e32 vcc, 0, v0
	v_cndmask_b32_e64 v0, 0, 1, vcc
.LBB14_2182:
	s_mov_b64 s[0:1], 0
.LBB14_2183:
	s_and_b64 vcc, exec, s[0:1]
	s_cbranch_vccz .LBB14_2232
; %bb.2184:
	s_and_b32 s22, 0xffff, s28
	s_cmp_lt_i32 s22, 5
	s_cbranch_scc1 .LBB14_2189
; %bb.2185:
	s_cmp_lt_i32 s22, 8
	s_cbranch_scc1 .LBB14_2190
; %bb.2186:
	;; [unrolled: 3-line block ×3, first 2 shown]
	s_cmp_gt_i32 s22, 9
	s_cbranch_scc0 .LBB14_2192
; %bb.2188:
	global_load_dwordx2 v[0:1], v[2:3], off
	s_movk_i32 s0, 0xffe0
	s_waitcnt vmcnt(0)
	v_trunc_f64_e32 v[0:1], v[0:1]
	v_ldexp_f64 v[8:9], v[0:1], s0
	s_mov_b32 s0, 0
	s_mov_b32 s1, 0xc1f00000
	v_floor_f64_e32 v[8:9], v[8:9]
	v_fma_f64 v[0:1], v[8:9], s[0:1], v[0:1]
	s_mov_b64 s[0:1], 0
	v_cvt_u32_f64_e32 v0, v[0:1]
	s_branch .LBB14_2193
.LBB14_2189:
	s_mov_b64 s[0:1], -1
                                        ; implicit-def: $vgpr0
	s_branch .LBB14_2211
.LBB14_2190:
	s_mov_b64 s[0:1], -1
                                        ; implicit-def: $vgpr0
	s_branch .LBB14_2199
.LBB14_2191:
	s_mov_b64 s[0:1], -1
                                        ; implicit-def: $vgpr0
	s_branch .LBB14_2196
.LBB14_2192:
	s_mov_b64 s[0:1], -1
                                        ; implicit-def: $vgpr0
.LBB14_2193:
	s_andn2_b64 vcc, exec, s[0:1]
	s_cbranch_vccnz .LBB14_2195
; %bb.2194:
	global_load_dword v0, v[2:3], off
	s_mov_b32 s0, 0x2f800000
	s_waitcnt vmcnt(0)
	v_trunc_f32_e32 v0, v0
	v_mul_f32_e64 v1, |v0|, s0
	v_floor_f32_e32 v1, v1
	s_mov_b32 s0, 0xcf800000
	v_fma_f32 v1, v1, s0, |v0|
	v_cvt_u32_f32_e32 v1, v1
	v_ashrrev_i32_e32 v0, 31, v0
	v_xor_b32_e32 v1, v1, v0
	v_sub_u32_e32 v0, v1, v0
.LBB14_2195:
	s_mov_b64 s[0:1], 0
.LBB14_2196:
	s_andn2_b64 vcc, exec, s[0:1]
	s_cbranch_vccnz .LBB14_2198
; %bb.2197:
	global_load_dword v0, v[2:3], off
	s_waitcnt vmcnt(0)
	v_cvt_f32_f16_e32 v0, v0
	v_cvt_i32_f32_e32 v0, v0
.LBB14_2198:
	s_mov_b64 s[0:1], 0
.LBB14_2199:
	s_andn2_b64 vcc, exec, s[0:1]
	s_cbranch_vccnz .LBB14_2210
; %bb.2200:
	s_cmp_lt_i32 s22, 6
	s_cbranch_scc1 .LBB14_2203
; %bb.2201:
	s_cmp_gt_i32 s22, 6
	s_cbranch_scc0 .LBB14_2204
; %bb.2202:
	global_load_dwordx2 v[0:1], v[2:3], off
	s_movk_i32 s0, 0xffe0
	s_waitcnt vmcnt(0)
	v_trunc_f64_e32 v[0:1], v[0:1]
	v_ldexp_f64 v[8:9], v[0:1], s0
	s_mov_b32 s0, 0
	s_mov_b32 s1, 0xc1f00000
	v_floor_f64_e32 v[8:9], v[8:9]
	v_fma_f64 v[0:1], v[8:9], s[0:1], v[0:1]
	s_mov_b64 s[0:1], 0
	v_cvt_u32_f64_e32 v0, v[0:1]
	s_branch .LBB14_2205
.LBB14_2203:
	s_mov_b64 s[0:1], -1
                                        ; implicit-def: $vgpr0
	s_branch .LBB14_2208
.LBB14_2204:
	s_mov_b64 s[0:1], -1
                                        ; implicit-def: $vgpr0
.LBB14_2205:
	s_andn2_b64 vcc, exec, s[0:1]
	s_cbranch_vccnz .LBB14_2207
; %bb.2206:
	global_load_dword v0, v[2:3], off
	s_mov_b32 s0, 0x2f800000
	s_waitcnt vmcnt(0)
	v_trunc_f32_e32 v0, v0
	v_mul_f32_e64 v1, |v0|, s0
	v_floor_f32_e32 v1, v1
	s_mov_b32 s0, 0xcf800000
	v_fma_f32 v1, v1, s0, |v0|
	v_cvt_u32_f32_e32 v1, v1
	v_ashrrev_i32_e32 v0, 31, v0
	v_xor_b32_e32 v1, v1, v0
	v_sub_u32_e32 v0, v1, v0
.LBB14_2207:
	s_mov_b64 s[0:1], 0
.LBB14_2208:
	s_andn2_b64 vcc, exec, s[0:1]
	s_cbranch_vccnz .LBB14_2210
; %bb.2209:
	global_load_ushort v0, v[2:3], off
	s_waitcnt vmcnt(0)
	v_cvt_f32_f16_e32 v0, v0
	v_cvt_i32_f32_e32 v0, v0
.LBB14_2210:
	s_mov_b64 s[0:1], 0
.LBB14_2211:
	s_andn2_b64 vcc, exec, s[0:1]
	s_cbranch_vccnz .LBB14_2231
; %bb.2212:
	s_cmp_lt_i32 s22, 2
	s_cbranch_scc1 .LBB14_2216
; %bb.2213:
	s_cmp_lt_i32 s22, 3
	s_cbranch_scc1 .LBB14_2217
; %bb.2214:
	s_cmp_gt_i32 s22, 3
	s_cbranch_scc0 .LBB14_2218
; %bb.2215:
	global_load_dwordx2 v[0:1], v[2:3], off
	s_mov_b64 s[0:1], 0
	s_branch .LBB14_2219
.LBB14_2216:
	s_mov_b64 s[0:1], -1
                                        ; implicit-def: $vgpr0
	s_branch .LBB14_2225
.LBB14_2217:
	s_mov_b64 s[0:1], -1
                                        ; implicit-def: $vgpr0
	s_branch .LBB14_2222
.LBB14_2218:
	s_mov_b64 s[0:1], -1
                                        ; implicit-def: $vgpr0
.LBB14_2219:
	s_andn2_b64 vcc, exec, s[0:1]
	s_cbranch_vccnz .LBB14_2221
; %bb.2220:
	global_load_dword v0, v[2:3], off
.LBB14_2221:
	s_mov_b64 s[0:1], 0
.LBB14_2222:
	s_andn2_b64 vcc, exec, s[0:1]
	s_cbranch_vccnz .LBB14_2224
; %bb.2223:
	global_load_ushort v0, v[2:3], off
.LBB14_2224:
	s_mov_b64 s[0:1], 0
.LBB14_2225:
	s_andn2_b64 vcc, exec, s[0:1]
	s_cbranch_vccnz .LBB14_2231
; %bb.2226:
	s_cmp_gt_i32 s22, 0
	s_cbranch_scc0 .LBB14_2228
; %bb.2227:
	global_load_ubyte v0, v[2:3], off
	s_mov_b64 s[0:1], 0
	s_branch .LBB14_2229
.LBB14_2228:
	s_mov_b64 s[0:1], -1
                                        ; implicit-def: $vgpr0
.LBB14_2229:
	s_andn2_b64 vcc, exec, s[0:1]
	s_cbranch_vccnz .LBB14_2231
; %bb.2230:
	global_load_ubyte v0, v[2:3], off
.LBB14_2231:
	s_mov_b64 s[24:25], -1
.LBB14_2232:
	s_andn2_b64 vcc, exec, s[24:25]
	s_cbranch_vccnz .LBB14_2634
; %bb.2233:
	v_add_u32_e32 v7, s14, v7
	v_ashrrev_i32_e32 v2, 31, v7
	v_mov_b32_e32 v3, s3
	s_waitcnt vmcnt(0)
	v_add_co_u32_e32 v1, vcc, s2, v7
	s_cmp_lt_i32 s29, 11
	v_addc_co_u32_e32 v2, vcc, v3, v2, vcc
	s_cbranch_scc1 .LBB14_2240
; %bb.2234:
	s_and_b32 s30, 0xffff, s29
	s_cmp_gt_i32 s30, 25
	s_mov_b64 s[22:23], 0
	s_cbranch_scc0 .LBB14_2241
; %bb.2235:
	s_cmp_gt_i32 s30, 28
	s_cbranch_scc0 .LBB14_2242
; %bb.2236:
	s_cmp_gt_i32 s30, 43
	;; [unrolled: 3-line block ×3, first 2 shown]
	s_cbranch_scc0 .LBB14_2245
; %bb.2238:
	s_cmp_eq_u32 s30, 46
	s_mov_b64 s[26:27], 0
	s_cbranch_scc0 .LBB14_2248
; %bb.2239:
	global_load_dword v3, v[1:2], off
	s_mov_b32 s0, 0x2f800000
	s_mov_b32 s1, 0xcf800000
	s_mov_b64 s[24:25], -1
	s_waitcnt vmcnt(0)
	v_lshlrev_b32_e32 v3, 16, v3
	v_trunc_f32_e32 v3, v3
	v_mul_f32_e64 v4, |v3|, s0
	v_floor_f32_e32 v4, v4
	v_fma_f32 v4, v4, s1, |v3|
	v_cvt_u32_f32_e32 v4, v4
	v_ashrrev_i32_e32 v3, 31, v3
	s_mov_b64 s[0:1], 0
	v_xor_b32_e32 v4, v4, v3
	v_sub_u32_e32 v3, v4, v3
	s_branch .LBB14_2249
.LBB14_2240:
	s_mov_b64 s[0:1], -1
	s_mov_b64 s[24:25], 0
                                        ; implicit-def: $vgpr3
	s_branch .LBB14_2311
.LBB14_2241:
	s_mov_b64 s[26:27], -1
	s_mov_b64 s[24:25], 0
	s_mov_b64 s[0:1], 0
                                        ; implicit-def: $vgpr3
	s_branch .LBB14_2276
.LBB14_2242:
	s_mov_b64 s[26:27], -1
	s_mov_b64 s[24:25], 0
	s_mov_b64 s[0:1], 0
                                        ; implicit-def: $vgpr3
	s_branch .LBB14_2259
.LBB14_2243:
	s_mov_b64 s[26:27], -1
	s_mov_b64 s[24:25], 0
	s_mov_b64 s[0:1], 0
                                        ; implicit-def: $vgpr3
	s_branch .LBB14_2254
.LBB14_2244:
	s_trap 2
	s_or_b64 s[18:19], s[18:19], exec
	s_cbranch_execz .LBB14_2181
	s_branch .LBB14_2182
.LBB14_2245:
	s_mov_b64 s[26:27], -1
	s_mov_b64 s[24:25], 0
	s_mov_b64 s[0:1], 0
                                        ; implicit-def: $vgpr3
	s_branch .LBB14_2249
.LBB14_2246:
	s_andn2_saveexec_b64 s[46:47], s[46:47]
	s_cbranch_execz .LBB14_1111
.LBB14_2247:
	v_add_f32_e32 v2, 0x42800000, v3
	v_and_b32_e32 v2, 0xff, v2
	v_cmp_ne_u32_e32 vcc, 0, v2
	s_andn2_b64 s[44:45], s[44:45], exec
	s_and_b64 s[52:53], vcc, exec
	s_or_b64 s[44:45], s[44:45], s[52:53]
	s_or_b64 exec, exec, s[46:47]
	v_mov_b32_e32 v4, 0
	s_and_saveexec_b64 s[46:47], s[44:45]
	s_cbranch_execnz .LBB14_1112
	s_branch .LBB14_1113
.LBB14_2248:
	s_mov_b64 s[0:1], -1
                                        ; implicit-def: $vgpr3
	s_mov_b64 s[24:25], 0
.LBB14_2249:
	s_and_b64 vcc, exec, s[26:27]
	s_cbranch_vccz .LBB14_2253
; %bb.2250:
	s_cmp_eq_u32 s30, 44
	s_cbranch_scc0 .LBB14_2252
; %bb.2251:
	global_load_ubyte v3, v[1:2], off
	s_mov_b32 s0, 0x2f800000
	s_mov_b32 s1, 0xcf800000
	s_mov_b64 s[24:25], -1
	s_waitcnt vmcnt(0)
	v_lshlrev_b32_e32 v4, 23, v3
	v_trunc_f32_e32 v4, v4
	v_mul_f32_e64 v8, |v4|, s0
	v_floor_f32_e32 v8, v8
	v_fma_f32 v8, v8, s1, |v4|
	v_cvt_u32_f32_e32 v8, v8
	v_ashrrev_i32_e32 v4, 31, v4
	v_cmp_ne_u32_e32 vcc, 0, v3
	s_mov_b64 s[0:1], 0
	v_xor_b32_e32 v8, v8, v4
	v_sub_u32_e32 v4, v8, v4
	v_cndmask_b32_e32 v3, 0, v4, vcc
	s_branch .LBB14_2253
.LBB14_2252:
	s_mov_b64 s[0:1], -1
                                        ; implicit-def: $vgpr3
.LBB14_2253:
	s_mov_b64 s[26:27], 0
.LBB14_2254:
	s_and_b64 vcc, exec, s[26:27]
	s_cbranch_vccz .LBB14_2258
; %bb.2255:
	s_cmp_eq_u32 s30, 29
	s_cbranch_scc0 .LBB14_2257
; %bb.2256:
	global_load_dwordx2 v[3:4], v[1:2], off
	s_mov_b64 s[0:1], 0
	s_mov_b64 s[24:25], -1
	s_branch .LBB14_2258
.LBB14_2257:
	s_mov_b64 s[0:1], -1
                                        ; implicit-def: $vgpr3
.LBB14_2258:
	s_mov_b64 s[26:27], 0
.LBB14_2259:
	s_and_b64 vcc, exec, s[26:27]
	s_cbranch_vccz .LBB14_2275
; %bb.2260:
	s_cmp_lt_i32 s30, 27
	s_cbranch_scc1 .LBB14_2263
; %bb.2261:
	s_cmp_gt_i32 s30, 27
	s_cbranch_scc0 .LBB14_2264
; %bb.2262:
	global_load_dword v3, v[1:2], off
	s_mov_b64 s[24:25], 0
	s_branch .LBB14_2265
.LBB14_2263:
	s_mov_b64 s[24:25], -1
                                        ; implicit-def: $vgpr3
	s_branch .LBB14_2268
.LBB14_2264:
	s_mov_b64 s[24:25], -1
                                        ; implicit-def: $vgpr3
.LBB14_2265:
	s_andn2_b64 vcc, exec, s[24:25]
	s_cbranch_vccnz .LBB14_2267
; %bb.2266:
	global_load_ushort v3, v[1:2], off
.LBB14_2267:
	s_mov_b64 s[24:25], 0
.LBB14_2268:
	s_andn2_b64 vcc, exec, s[24:25]
	s_cbranch_vccnz .LBB14_2274
; %bb.2269:
	global_load_ubyte v4, v[1:2], off
	s_movk_i32 s24, 0x7f
	s_mov_b64 s[26:27], 0
	s_waitcnt vmcnt(0)
	v_cmp_lt_i16_e32 vcc, s24, v4
	s_and_saveexec_b64 s[24:25], vcc
	s_xor_b64 s[24:25], exec, s[24:25]
	s_cbranch_execz .LBB14_2286
; %bb.2270:
	s_movk_i32 s26, 0x80
	v_cmp_ne_u16_e32 vcc, s26, v4
	s_and_b64 s[26:27], vcc, exec
	s_andn2_saveexec_b64 s[24:25], s[24:25]
	s_cbranch_execnz .LBB14_2287
.LBB14_2271:
	s_or_b64 exec, exec, s[24:25]
	v_mov_b32_e32 v3, 0
	s_and_saveexec_b64 s[24:25], s[26:27]
	s_cbranch_execz .LBB14_2273
.LBB14_2272:
	v_lshlrev_b32_e32 v3, 24, v4
	v_and_b32_e32 v4, 0xffff, v4
	v_and_b32_e32 v8, 7, v4
	v_ffbh_u32_e32 v10, v8
	v_min_u32_e32 v10, 32, v10
	v_subrev_u32_e32 v11, 28, v10
	v_bfe_u32 v9, v4, 3, 4
	v_lshlrev_b32_e32 v4, v11, v4
	v_sub_u32_e32 v10, 29, v10
	v_and_b32_e32 v4, 7, v4
	v_cmp_eq_u32_e32 vcc, 0, v9
	v_cndmask_b32_e32 v9, v9, v10, vcc
	v_cndmask_b32_e32 v4, v8, v4, vcc
	v_mov_b32_e32 v8, 0x3b800000
	v_lshlrev_b32_e32 v4, 20, v4
	v_and_b32_e32 v3, 0x80000000, v3
	v_lshl_add_u32 v8, v9, 23, v8
	v_or3_b32 v3, v3, v8, v4
	v_trunc_f32_e32 v3, v3
	s_mov_b32 s26, 0x2f800000
	v_mul_f32_e64 v4, |v3|, s26
	v_floor_f32_e32 v4, v4
	s_mov_b32 s26, 0xcf800000
	v_fma_f32 v4, v4, s26, |v3|
	v_cvt_u32_f32_e32 v4, v4
	v_ashrrev_i32_e32 v3, 31, v3
	v_xor_b32_e32 v4, v4, v3
	v_sub_u32_e32 v3, v4, v3
.LBB14_2273:
	s_or_b64 exec, exec, s[24:25]
.LBB14_2274:
	s_mov_b64 s[24:25], -1
.LBB14_2275:
	s_mov_b64 s[26:27], 0
.LBB14_2276:
	s_and_b64 vcc, exec, s[26:27]
	s_cbranch_vccz .LBB14_2307
; %bb.2277:
	s_cmp_gt_i32 s30, 22
	s_cbranch_scc0 .LBB14_2285
; %bb.2278:
	s_cmp_lt_i32 s30, 24
	s_cbranch_scc1 .LBB14_2288
; %bb.2279:
	s_cmp_gt_i32 s30, 24
	s_cbranch_scc0 .LBB14_2289
; %bb.2280:
	global_load_ubyte v4, v[1:2], off
	s_movk_i32 s22, 0x7f
	s_mov_b64 s[24:25], 0
	s_waitcnt vmcnt(0)
	v_cmp_lt_i16_e32 vcc, s22, v4
	s_and_saveexec_b64 s[22:23], vcc
	s_xor_b64 s[22:23], exec, s[22:23]
	s_cbranch_execz .LBB14_2301
; %bb.2281:
	s_movk_i32 s24, 0x80
	v_cmp_ne_u16_e32 vcc, s24, v4
	s_and_b64 s[24:25], vcc, exec
	s_andn2_saveexec_b64 s[22:23], s[22:23]
	s_cbranch_execnz .LBB14_2302
.LBB14_2282:
	s_or_b64 exec, exec, s[22:23]
	v_mov_b32_e32 v3, 0
	s_and_saveexec_b64 s[22:23], s[24:25]
	s_cbranch_execz .LBB14_2284
.LBB14_2283:
	v_lshlrev_b32_e32 v3, 24, v4
	v_and_b32_e32 v4, 0xffff, v4
	v_and_b32_e32 v8, 3, v4
	v_ffbh_u32_e32 v10, v8
	v_min_u32_e32 v10, 32, v10
	v_subrev_u32_e32 v11, 29, v10
	v_bfe_u32 v9, v4, 2, 5
	v_lshlrev_b32_e32 v4, v11, v4
	v_sub_u32_e32 v10, 30, v10
	v_and_b32_e32 v4, 3, v4
	v_cmp_eq_u32_e32 vcc, 0, v9
	v_cndmask_b32_e32 v9, v9, v10, vcc
	v_cndmask_b32_e32 v4, v8, v4, vcc
	v_mov_b32_e32 v8, 0x37800000
	v_lshlrev_b32_e32 v4, 21, v4
	v_and_b32_e32 v3, 0x80000000, v3
	v_lshl_add_u32 v8, v9, 23, v8
	v_or3_b32 v3, v3, v8, v4
	v_trunc_f32_e32 v3, v3
	s_mov_b32 s24, 0x2f800000
	v_mul_f32_e64 v4, |v3|, s24
	v_floor_f32_e32 v4, v4
	s_mov_b32 s24, 0xcf800000
	v_fma_f32 v4, v4, s24, |v3|
	v_cvt_u32_f32_e32 v4, v4
	v_ashrrev_i32_e32 v3, 31, v3
	v_xor_b32_e32 v4, v4, v3
	v_sub_u32_e32 v3, v4, v3
.LBB14_2284:
	s_or_b64 exec, exec, s[22:23]
	s_mov_b64 s[22:23], 0
	s_branch .LBB14_2290
.LBB14_2285:
	s_mov_b64 s[22:23], -1
                                        ; implicit-def: $vgpr3
	s_branch .LBB14_2296
.LBB14_2286:
	s_andn2_saveexec_b64 s[24:25], s[24:25]
	s_cbranch_execz .LBB14_2271
.LBB14_2287:
	v_cmp_ne_u16_e32 vcc, 0, v4
	s_andn2_b64 s[26:27], s[26:27], exec
	s_and_b64 s[34:35], vcc, exec
	s_or_b64 s[26:27], s[26:27], s[34:35]
	s_or_b64 exec, exec, s[24:25]
	v_mov_b32_e32 v3, 0
	s_and_saveexec_b64 s[24:25], s[26:27]
	s_cbranch_execnz .LBB14_2272
	s_branch .LBB14_2273
.LBB14_2288:
	s_mov_b64 s[22:23], -1
                                        ; implicit-def: $vgpr3
	s_branch .LBB14_2293
.LBB14_2289:
	s_mov_b64 s[22:23], -1
                                        ; implicit-def: $vgpr3
.LBB14_2290:
	s_and_b64 vcc, exec, s[22:23]
	s_cbranch_vccz .LBB14_2292
; %bb.2291:
	global_load_ubyte v3, v[1:2], off
	s_mov_b32 s22, 0x7f800000
	s_brev_b32 s23, 1
	s_mov_b32 s24, 0x2f800000
	s_waitcnt vmcnt(0)
	v_lshlrev_b32_e32 v3, 24, v3
	v_and_b32_e32 v4, 0x7f000000, v3
	v_ffbh_u32_e32 v8, v4
	v_min_u32_e32 v8, 32, v8
	v_sub_u32_e64 v8, v8, 4 clamp
	v_lshlrev_b32_e32 v10, v8, v4
	v_lshlrev_b32_e32 v8, 23, v8
	v_lshrrev_b32_e32 v10, 4, v10
	v_add_u32_e32 v9, 0x1000000, v4
	v_sub_u32_e32 v8, v10, v8
	v_ashrrev_i32_e32 v9, 8, v9
	v_add_u32_e32 v8, 0x3c000000, v8
	v_and_or_b32 v8, v9, s22, v8
	v_cmp_ne_u32_e32 vcc, 0, v4
	v_cndmask_b32_e32 v4, 0, v8, vcc
	v_and_or_b32 v3, v3, s23, v4
	v_trunc_f32_e32 v3, v3
	v_mul_f32_e64 v4, |v3|, s24
	v_floor_f32_e32 v4, v4
	s_mov_b32 s22, 0xcf800000
	v_fma_f32 v4, v4, s22, |v3|
	v_cvt_u32_f32_e32 v4, v4
	v_ashrrev_i32_e32 v3, 31, v3
	v_xor_b32_e32 v4, v4, v3
	v_sub_u32_e32 v3, v4, v3
.LBB14_2292:
	s_mov_b64 s[22:23], 0
.LBB14_2293:
	s_andn2_b64 vcc, exec, s[22:23]
	s_cbranch_vccnz .LBB14_2295
; %bb.2294:
	global_load_ubyte v3, v[1:2], off
	s_movk_i32 s22, 0x7f00
	s_brev_b32 s23, 16
	s_brev_b32 s24, 1
	s_mov_b32 s25, 0x2f800000
	s_waitcnt vmcnt(0)
	v_lshlrev_b16_e32 v4, 8, v3
	v_lshlrev_b32_e32 v3, 25, v3
	v_lshrrev_b32_e32 v8, 4, v3
	v_and_or_b32 v9, v4, s22, 0.5
	v_or_b32_e32 v8, 0x70000000, v8
	v_add_f32_e32 v9, -0.5, v9
	v_mul_f32_e32 v8, 0x7800000, v8
	v_cmp_gt_u32_e32 vcc, s23, v3
	v_bfe_i32 v4, v4, 0, 16
	v_cndmask_b32_e32 v3, v8, v9, vcc
	v_and_or_b32 v3, v4, s24, v3
	v_trunc_f32_e32 v3, v3
	v_mul_f32_e64 v4, |v3|, s25
	v_floor_f32_e32 v4, v4
	s_mov_b32 s22, 0xcf800000
	v_fma_f32 v4, v4, s22, |v3|
	v_cvt_u32_f32_e32 v4, v4
	v_ashrrev_i32_e32 v3, 31, v3
	v_xor_b32_e32 v4, v4, v3
	v_sub_u32_e32 v3, v4, v3
.LBB14_2295:
	s_mov_b64 s[22:23], 0
	s_mov_b64 s[24:25], -1
.LBB14_2296:
	s_andn2_b64 vcc, exec, s[22:23]
	s_mov_b64 s[22:23], 0
	s_cbranch_vccnz .LBB14_2307
; %bb.2297:
	s_cmp_gt_i32 s30, 14
	s_cbranch_scc0 .LBB14_2300
; %bb.2298:
	s_cmp_eq_u32 s30, 15
	s_cbranch_scc0 .LBB14_2303
; %bb.2299:
	global_load_ushort v3, v[1:2], off
	s_mov_b32 s0, 0x2f800000
	s_mov_b32 s1, 0xcf800000
	s_mov_b64 s[24:25], -1
	s_waitcnt vmcnt(0)
	v_lshlrev_b32_e32 v3, 16, v3
	v_trunc_f32_e32 v3, v3
	v_mul_f32_e64 v4, |v3|, s0
	v_floor_f32_e32 v4, v4
	v_fma_f32 v4, v4, s1, |v3|
	v_cvt_u32_f32_e32 v4, v4
	v_ashrrev_i32_e32 v3, 31, v3
	s_mov_b64 s[0:1], 0
	v_xor_b32_e32 v4, v4, v3
	v_sub_u32_e32 v3, v4, v3
	s_branch .LBB14_2304
.LBB14_2300:
	s_mov_b64 s[26:27], -1
                                        ; implicit-def: $vgpr3
	s_branch .LBB14_2305
.LBB14_2301:
	s_andn2_saveexec_b64 s[22:23], s[22:23]
	s_cbranch_execz .LBB14_2282
.LBB14_2302:
	v_cmp_ne_u16_e32 vcc, 0, v4
	s_andn2_b64 s[24:25], s[24:25], exec
	s_and_b64 s[26:27], vcc, exec
	s_or_b64 s[24:25], s[24:25], s[26:27]
	s_or_b64 exec, exec, s[22:23]
	v_mov_b32_e32 v3, 0
	s_and_saveexec_b64 s[22:23], s[24:25]
	s_cbranch_execnz .LBB14_2283
	s_branch .LBB14_2284
.LBB14_2303:
	s_mov_b64 s[0:1], -1
                                        ; implicit-def: $vgpr3
.LBB14_2304:
	s_mov_b64 s[26:27], 0
.LBB14_2305:
	s_and_b64 vcc, exec, s[26:27]
	s_cbranch_vccz .LBB14_2307
; %bb.2306:
	s_cmp_lg_u32 s30, 11
	s_mov_b64 s[22:23], -1
	s_cselect_b64 s[0:1], -1, 0
.LBB14_2307:
	s_and_b64 vcc, exec, s[0:1]
	s_cbranch_vccnz .LBB14_2389
; %bb.2308:
	s_andn2_b64 vcc, exec, s[22:23]
	s_cbranch_vccnz .LBB14_2310
.LBB14_2309:
	global_load_ubyte v3, v[1:2], off
	s_mov_b64 s[24:25], -1
	s_waitcnt vmcnt(0)
	v_cmp_ne_u16_e32 vcc, 0, v3
	v_cndmask_b32_e64 v3, 0, 1, vcc
.LBB14_2310:
	s_mov_b64 s[0:1], 0
.LBB14_2311:
	s_and_b64 vcc, exec, s[0:1]
	s_cbranch_vccz .LBB14_2360
; %bb.2312:
	s_and_b32 s22, 0xffff, s29
	s_cmp_lt_i32 s22, 5
	s_cbranch_scc1 .LBB14_2317
; %bb.2313:
	s_cmp_lt_i32 s22, 8
	s_cbranch_scc1 .LBB14_2318
; %bb.2314:
	s_cmp_lt_i32 s22, 9
	s_cbranch_scc1 .LBB14_2319
; %bb.2315:
	s_cmp_gt_i32 s22, 9
	s_cbranch_scc0 .LBB14_2320
; %bb.2316:
	global_load_dwordx2 v[3:4], v[1:2], off
	s_movk_i32 s0, 0xffe0
	s_waitcnt vmcnt(0)
	v_trunc_f64_e32 v[3:4], v[3:4]
	v_ldexp_f64 v[8:9], v[3:4], s0
	s_mov_b32 s0, 0
	s_mov_b32 s1, 0xc1f00000
	v_floor_f64_e32 v[8:9], v[8:9]
	v_fma_f64 v[3:4], v[8:9], s[0:1], v[3:4]
	s_mov_b64 s[0:1], 0
	v_cvt_u32_f64_e32 v3, v[3:4]
	s_branch .LBB14_2321
.LBB14_2317:
	s_mov_b64 s[0:1], -1
                                        ; implicit-def: $vgpr3
	s_branch .LBB14_2339
.LBB14_2318:
	s_mov_b64 s[0:1], -1
                                        ; implicit-def: $vgpr3
	s_branch .LBB14_2327
.LBB14_2319:
	s_mov_b64 s[0:1], -1
                                        ; implicit-def: $vgpr3
	s_branch .LBB14_2324
.LBB14_2320:
	s_mov_b64 s[0:1], -1
                                        ; implicit-def: $vgpr3
.LBB14_2321:
	s_andn2_b64 vcc, exec, s[0:1]
	s_cbranch_vccnz .LBB14_2323
; %bb.2322:
	global_load_dword v3, v[1:2], off
	s_mov_b32 s0, 0x2f800000
	s_waitcnt vmcnt(0)
	v_trunc_f32_e32 v3, v3
	v_mul_f32_e64 v4, |v3|, s0
	v_floor_f32_e32 v4, v4
	s_mov_b32 s0, 0xcf800000
	v_fma_f32 v4, v4, s0, |v3|
	v_cvt_u32_f32_e32 v4, v4
	v_ashrrev_i32_e32 v3, 31, v3
	v_xor_b32_e32 v4, v4, v3
	v_sub_u32_e32 v3, v4, v3
.LBB14_2323:
	s_mov_b64 s[0:1], 0
.LBB14_2324:
	s_andn2_b64 vcc, exec, s[0:1]
	s_cbranch_vccnz .LBB14_2326
; %bb.2325:
	global_load_dword v3, v[1:2], off
	s_waitcnt vmcnt(0)
	v_cvt_f32_f16_e32 v3, v3
	v_cvt_i32_f32_e32 v3, v3
.LBB14_2326:
	s_mov_b64 s[0:1], 0
.LBB14_2327:
	s_andn2_b64 vcc, exec, s[0:1]
	s_cbranch_vccnz .LBB14_2338
; %bb.2328:
	s_cmp_lt_i32 s22, 6
	s_cbranch_scc1 .LBB14_2331
; %bb.2329:
	s_cmp_gt_i32 s22, 6
	s_cbranch_scc0 .LBB14_2332
; %bb.2330:
	global_load_dwordx2 v[3:4], v[1:2], off
	s_movk_i32 s0, 0xffe0
	s_waitcnt vmcnt(0)
	v_trunc_f64_e32 v[3:4], v[3:4]
	v_ldexp_f64 v[8:9], v[3:4], s0
	s_mov_b32 s0, 0
	s_mov_b32 s1, 0xc1f00000
	v_floor_f64_e32 v[8:9], v[8:9]
	v_fma_f64 v[3:4], v[8:9], s[0:1], v[3:4]
	s_mov_b64 s[0:1], 0
	v_cvt_u32_f64_e32 v3, v[3:4]
	s_branch .LBB14_2333
.LBB14_2331:
	s_mov_b64 s[0:1], -1
                                        ; implicit-def: $vgpr3
	s_branch .LBB14_2336
.LBB14_2332:
	s_mov_b64 s[0:1], -1
                                        ; implicit-def: $vgpr3
.LBB14_2333:
	s_andn2_b64 vcc, exec, s[0:1]
	s_cbranch_vccnz .LBB14_2335
; %bb.2334:
	global_load_dword v3, v[1:2], off
	s_mov_b32 s0, 0x2f800000
	s_waitcnt vmcnt(0)
	v_trunc_f32_e32 v3, v3
	v_mul_f32_e64 v4, |v3|, s0
	v_floor_f32_e32 v4, v4
	s_mov_b32 s0, 0xcf800000
	v_fma_f32 v4, v4, s0, |v3|
	v_cvt_u32_f32_e32 v4, v4
	v_ashrrev_i32_e32 v3, 31, v3
	v_xor_b32_e32 v4, v4, v3
	v_sub_u32_e32 v3, v4, v3
.LBB14_2335:
	s_mov_b64 s[0:1], 0
.LBB14_2336:
	s_andn2_b64 vcc, exec, s[0:1]
	s_cbranch_vccnz .LBB14_2338
; %bb.2337:
	global_load_ushort v3, v[1:2], off
	s_waitcnt vmcnt(0)
	v_cvt_f32_f16_e32 v3, v3
	v_cvt_i32_f32_e32 v3, v3
.LBB14_2338:
	s_mov_b64 s[0:1], 0
.LBB14_2339:
	s_andn2_b64 vcc, exec, s[0:1]
	s_cbranch_vccnz .LBB14_2359
; %bb.2340:
	s_cmp_lt_i32 s22, 2
	s_cbranch_scc1 .LBB14_2344
; %bb.2341:
	s_cmp_lt_i32 s22, 3
	s_cbranch_scc1 .LBB14_2345
; %bb.2342:
	s_cmp_gt_i32 s22, 3
	s_cbranch_scc0 .LBB14_2346
; %bb.2343:
	global_load_dwordx2 v[3:4], v[1:2], off
	s_mov_b64 s[0:1], 0
	s_branch .LBB14_2347
.LBB14_2344:
	s_mov_b64 s[0:1], -1
                                        ; implicit-def: $vgpr3
	s_branch .LBB14_2353
.LBB14_2345:
	s_mov_b64 s[0:1], -1
                                        ; implicit-def: $vgpr3
	s_branch .LBB14_2350
.LBB14_2346:
	s_mov_b64 s[0:1], -1
                                        ; implicit-def: $vgpr3
.LBB14_2347:
	s_andn2_b64 vcc, exec, s[0:1]
	s_cbranch_vccnz .LBB14_2349
; %bb.2348:
	global_load_dword v3, v[1:2], off
.LBB14_2349:
	s_mov_b64 s[0:1], 0
.LBB14_2350:
	s_andn2_b64 vcc, exec, s[0:1]
	s_cbranch_vccnz .LBB14_2352
; %bb.2351:
	global_load_ushort v3, v[1:2], off
.LBB14_2352:
	s_mov_b64 s[0:1], 0
.LBB14_2353:
	s_andn2_b64 vcc, exec, s[0:1]
	s_cbranch_vccnz .LBB14_2359
; %bb.2354:
	s_cmp_gt_i32 s22, 0
	s_cbranch_scc0 .LBB14_2356
; %bb.2355:
	global_load_ubyte v3, v[1:2], off
	s_mov_b64 s[0:1], 0
	s_branch .LBB14_2357
.LBB14_2356:
	s_mov_b64 s[0:1], -1
                                        ; implicit-def: $vgpr3
.LBB14_2357:
	s_andn2_b64 vcc, exec, s[0:1]
	s_cbranch_vccnz .LBB14_2359
; %bb.2358:
	global_load_ubyte v3, v[1:2], off
.LBB14_2359:
	s_mov_b64 s[24:25], -1
.LBB14_2360:
	s_andn2_b64 vcc, exec, s[24:25]
	s_cbranch_vccnz .LBB14_2634
; %bb.2361:
	s_cmp_lt_i32 s15, 1
	s_mov_b64 s[0:1], 0
	s_cbranch_scc1 .LBB14_2365
; %bb.2362:
	s_cmp_gt_i32 s15, 1
	s_cbranch_scc0 .LBB14_2366
; %bb.2363:
	s_cmp_eq_u32 s15, 2
	s_cbranch_scc0 .LBB14_2367
; %bb.2364:
	s_waitcnt vmcnt(0)
	v_cmp_le_u16_sdwa s[22:23], v0, v3 src0_sel:BYTE_0 src1_sel:BYTE_0
	s_mov_b64 s[24:25], 0
	s_branch .LBB14_2368
.LBB14_2365:
	s_mov_b64 s[26:27], -1
                                        ; implicit-def: $sgpr22_sgpr23
	s_mov_b64 s[24:25], 0
	s_branch .LBB14_2372
.LBB14_2366:
	s_mov_b64 s[26:27], -1
	s_mov_b64 s[24:25], 0
                                        ; implicit-def: $sgpr22_sgpr23
	s_branch .LBB14_2369
.LBB14_2367:
	s_mov_b64 s[24:25], -1
                                        ; implicit-def: $sgpr22_sgpr23
.LBB14_2368:
	s_mov_b64 s[26:27], 0
.LBB14_2369:
	s_and_b64 vcc, exec, s[26:27]
	s_cbranch_vccz .LBB14_2371
; %bb.2370:
	s_waitcnt vmcnt(0)
	v_cmp_gt_u16_sdwa s[26:27], v0, v3 src0_sel:BYTE_0 src1_sel:BYTE_0
	s_andn2_b64 s[22:23], s[22:23], exec
	s_and_b64 s[26:27], s[26:27], exec
	s_or_b64 s[22:23], s[22:23], s[26:27]
.LBB14_2371:
	s_mov_b64 s[26:27], 0
.LBB14_2372:
	s_and_b64 vcc, exec, s[26:27]
	s_cbranch_vccz .LBB14_2383
; %bb.2373:
	s_cmp_lg_u32 s15, 0
	s_mov_b64 s[0:1], -1
	s_cselect_b64 s[24:25], -1, 0
	s_andn2_b64 vcc, exec, s[24:25]
	s_cbranch_vccz .LBB14_2384
.LBB14_2374:
	s_andn2_b64 vcc, exec, s[0:1]
	s_cbranch_vccnz .LBB14_2376
.LBB14_2375:
	s_waitcnt vmcnt(0)
	v_cmp_ge_u16_sdwa s[0:1], v0, v3 src0_sel:BYTE_0 src1_sel:BYTE_0
	s_andn2_b64 s[22:23], s[22:23], exec
	s_and_b64 s[0:1], s[0:1], exec
	s_or_b64 s[22:23], s[22:23], s[0:1]
.LBB14_2376:
	v_add_u32_e32 v0, s13, v6
	v_ashrrev_i32_e32 v1, 31, v0
	s_waitcnt vmcnt(0)
	v_mov_b32_e32 v3, s11
	v_add_co_u32_e32 v2, vcc, s10, v0
	s_cmp_lt_i32 s28, 11
	v_addc_co_u32_e32 v3, vcc, v3, v1, vcc
	s_cbranch_scc1 .LBB14_2385
; %bb.2377:
	s_and_b32 s13, 0xffff, s28
	s_cmp_gt_i32 s13, 25
	s_mov_b64 s[10:11], 0
	s_cbranch_scc0 .LBB14_2386
; %bb.2378:
	s_cmp_gt_i32 s13, 28
	s_cbranch_scc0 .LBB14_2387
; %bb.2379:
	s_cmp_gt_i32 s13, 43
	;; [unrolled: 3-line block ×3, first 2 shown]
	s_cbranch_scc0 .LBB14_2390
; %bb.2381:
	s_cmp_eq_u32 s13, 46
	s_mov_b64 s[26:27], 0
	s_cbranch_scc0 .LBB14_2391
; %bb.2382:
	global_load_dword v0, v[2:3], off
	s_mov_b32 s0, 0x2f800000
	s_mov_b32 s1, 0xcf800000
	s_mov_b64 s[24:25], -1
	s_waitcnt vmcnt(0)
	v_lshlrev_b32_e32 v0, 16, v0
	v_trunc_f32_e32 v0, v0
	v_mul_f32_e64 v1, |v0|, s0
	v_floor_f32_e32 v1, v1
	v_fma_f32 v1, v1, s1, |v0|
	v_cvt_u32_f32_e32 v1, v1
	v_ashrrev_i32_e32 v0, 31, v0
	s_mov_b64 s[0:1], 0
	v_xor_b32_e32 v1, v1, v0
	v_sub_u32_e32 v0, v1, v0
	s_branch .LBB14_2392
.LBB14_2383:
	s_andn2_b64 vcc, exec, s[24:25]
	s_cbranch_vccnz .LBB14_2374
.LBB14_2384:
	s_waitcnt vmcnt(0)
	v_cmp_lt_u16_sdwa s[24:25], v0, v3 src0_sel:BYTE_0 src1_sel:BYTE_0
	s_andn2_b64 s[22:23], s[22:23], exec
	s_and_b64 s[24:25], s[24:25], exec
	s_or_b64 s[22:23], s[22:23], s[24:25]
	s_cbranch_execz .LBB14_2375
	s_branch .LBB14_2376
.LBB14_2385:
	s_mov_b64 s[0:1], -1
	s_mov_b64 s[24:25], 0
                                        ; implicit-def: $vgpr0
	s_branch .LBB14_2454
.LBB14_2386:
	s_mov_b64 s[26:27], -1
	s_mov_b64 s[24:25], 0
	s_mov_b64 s[0:1], 0
                                        ; implicit-def: $vgpr0
	s_branch .LBB14_2419
.LBB14_2387:
	s_mov_b64 s[26:27], -1
	s_mov_b64 s[24:25], 0
	s_mov_b64 s[0:1], 0
                                        ; implicit-def: $vgpr0
	s_branch .LBB14_2402
.LBB14_2388:
	s_mov_b64 s[26:27], -1
	s_mov_b64 s[24:25], 0
	s_mov_b64 s[0:1], 0
                                        ; implicit-def: $vgpr0
	s_branch .LBB14_2397
.LBB14_2389:
	s_trap 2
	s_or_b64 s[18:19], s[18:19], exec
	s_cbranch_execz .LBB14_2309
	s_branch .LBB14_2310
.LBB14_2390:
	s_mov_b64 s[26:27], -1
	s_mov_b64 s[24:25], 0
	s_mov_b64 s[0:1], 0
                                        ; implicit-def: $vgpr0
	s_branch .LBB14_2392
.LBB14_2391:
	s_mov_b64 s[0:1], -1
                                        ; implicit-def: $vgpr0
	s_mov_b64 s[24:25], 0
.LBB14_2392:
	s_and_b64 vcc, exec, s[26:27]
	s_cbranch_vccz .LBB14_2396
; %bb.2393:
	s_cmp_eq_u32 s13, 44
	s_cbranch_scc0 .LBB14_2395
; %bb.2394:
	global_load_ubyte v0, v[2:3], off
	s_mov_b32 s0, 0x2f800000
	s_mov_b32 s1, 0xcf800000
	s_mov_b64 s[24:25], -1
	s_waitcnt vmcnt(0)
	v_lshlrev_b32_e32 v1, 23, v0
	v_trunc_f32_e32 v1, v1
	v_mul_f32_e64 v4, |v1|, s0
	v_floor_f32_e32 v4, v4
	v_fma_f32 v4, v4, s1, |v1|
	v_cvt_u32_f32_e32 v4, v4
	v_ashrrev_i32_e32 v1, 31, v1
	v_cmp_ne_u32_e32 vcc, 0, v0
	s_mov_b64 s[0:1], 0
	v_xor_b32_e32 v4, v4, v1
	v_sub_u32_e32 v1, v4, v1
	v_cndmask_b32_e32 v0, 0, v1, vcc
	s_branch .LBB14_2396
.LBB14_2395:
	s_mov_b64 s[0:1], -1
                                        ; implicit-def: $vgpr0
.LBB14_2396:
	s_mov_b64 s[26:27], 0
.LBB14_2397:
	s_and_b64 vcc, exec, s[26:27]
	s_cbranch_vccz .LBB14_2401
; %bb.2398:
	s_cmp_eq_u32 s13, 29
	s_cbranch_scc0 .LBB14_2400
; %bb.2399:
	global_load_dwordx2 v[0:1], v[2:3], off
	s_mov_b64 s[0:1], 0
	s_mov_b64 s[24:25], -1
	s_branch .LBB14_2401
.LBB14_2400:
	s_mov_b64 s[0:1], -1
                                        ; implicit-def: $vgpr0
.LBB14_2401:
	s_mov_b64 s[26:27], 0
.LBB14_2402:
	s_and_b64 vcc, exec, s[26:27]
	s_cbranch_vccz .LBB14_2418
; %bb.2403:
	s_cmp_lt_i32 s13, 27
	s_cbranch_scc1 .LBB14_2406
; %bb.2404:
	s_cmp_gt_i32 s13, 27
	s_cbranch_scc0 .LBB14_2407
; %bb.2405:
	global_load_dword v0, v[2:3], off
	s_mov_b64 s[24:25], 0
	s_branch .LBB14_2408
.LBB14_2406:
	s_mov_b64 s[24:25], -1
                                        ; implicit-def: $vgpr0
	s_branch .LBB14_2411
.LBB14_2407:
	s_mov_b64 s[24:25], -1
                                        ; implicit-def: $vgpr0
.LBB14_2408:
	s_andn2_b64 vcc, exec, s[24:25]
	s_cbranch_vccnz .LBB14_2410
; %bb.2409:
	global_load_ushort v0, v[2:3], off
.LBB14_2410:
	s_mov_b64 s[24:25], 0
.LBB14_2411:
	s_andn2_b64 vcc, exec, s[24:25]
	s_cbranch_vccnz .LBB14_2417
; %bb.2412:
	global_load_ubyte v1, v[2:3], off
	s_movk_i32 s24, 0x7f
	s_mov_b64 s[26:27], 0
	s_waitcnt vmcnt(0)
	v_cmp_lt_i16_e32 vcc, s24, v1
	s_and_saveexec_b64 s[24:25], vcc
	s_xor_b64 s[24:25], exec, s[24:25]
	s_cbranch_execz .LBB14_2429
; %bb.2413:
	s_movk_i32 s26, 0x80
	v_cmp_ne_u16_e32 vcc, s26, v1
	s_and_b64 s[26:27], vcc, exec
	s_andn2_saveexec_b64 s[24:25], s[24:25]
	s_cbranch_execnz .LBB14_2430
.LBB14_2414:
	s_or_b64 exec, exec, s[24:25]
	v_mov_b32_e32 v0, 0
	s_and_saveexec_b64 s[24:25], s[26:27]
	s_cbranch_execz .LBB14_2416
.LBB14_2415:
	v_lshlrev_b32_e32 v0, 24, v1
	v_and_b32_e32 v1, 0xffff, v1
	v_and_b32_e32 v4, 7, v1
	v_ffbh_u32_e32 v8, v4
	v_min_u32_e32 v8, 32, v8
	v_subrev_u32_e32 v9, 28, v8
	v_bfe_u32 v6, v1, 3, 4
	v_lshlrev_b32_e32 v1, v9, v1
	v_sub_u32_e32 v8, 29, v8
	v_and_b32_e32 v1, 7, v1
	v_cmp_eq_u32_e32 vcc, 0, v6
	v_cndmask_b32_e32 v6, v6, v8, vcc
	v_cndmask_b32_e32 v1, v4, v1, vcc
	v_mov_b32_e32 v4, 0x3b800000
	v_lshlrev_b32_e32 v1, 20, v1
	v_and_b32_e32 v0, 0x80000000, v0
	v_lshl_add_u32 v4, v6, 23, v4
	v_or3_b32 v0, v0, v4, v1
	v_trunc_f32_e32 v0, v0
	s_mov_b32 s26, 0x2f800000
	v_mul_f32_e64 v1, |v0|, s26
	v_floor_f32_e32 v1, v1
	s_mov_b32 s26, 0xcf800000
	v_fma_f32 v1, v1, s26, |v0|
	v_cvt_u32_f32_e32 v1, v1
	v_ashrrev_i32_e32 v0, 31, v0
	v_xor_b32_e32 v1, v1, v0
	v_sub_u32_e32 v0, v1, v0
.LBB14_2416:
	s_or_b64 exec, exec, s[24:25]
.LBB14_2417:
	s_mov_b64 s[24:25], -1
.LBB14_2418:
	s_mov_b64 s[26:27], 0
.LBB14_2419:
	s_and_b64 vcc, exec, s[26:27]
	s_cbranch_vccz .LBB14_2450
; %bb.2420:
	s_cmp_gt_i32 s13, 22
	s_cbranch_scc0 .LBB14_2428
; %bb.2421:
	s_cmp_lt_i32 s13, 24
	s_cbranch_scc1 .LBB14_2431
; %bb.2422:
	s_cmp_gt_i32 s13, 24
	s_cbranch_scc0 .LBB14_2432
; %bb.2423:
	global_load_ubyte v1, v[2:3], off
	s_movk_i32 s10, 0x7f
	s_mov_b64 s[24:25], 0
	s_waitcnt vmcnt(0)
	v_cmp_lt_i16_e32 vcc, s10, v1
	s_and_saveexec_b64 s[10:11], vcc
	s_xor_b64 s[10:11], exec, s[10:11]
	s_cbranch_execz .LBB14_2444
; %bb.2424:
	s_movk_i32 s24, 0x80
	v_cmp_ne_u16_e32 vcc, s24, v1
	s_and_b64 s[24:25], vcc, exec
	s_andn2_saveexec_b64 s[10:11], s[10:11]
	s_cbranch_execnz .LBB14_2445
.LBB14_2425:
	s_or_b64 exec, exec, s[10:11]
	v_mov_b32_e32 v0, 0
	s_and_saveexec_b64 s[10:11], s[24:25]
	s_cbranch_execz .LBB14_2427
.LBB14_2426:
	v_lshlrev_b32_e32 v0, 24, v1
	v_and_b32_e32 v1, 0xffff, v1
	v_and_b32_e32 v4, 3, v1
	v_ffbh_u32_e32 v8, v4
	v_min_u32_e32 v8, 32, v8
	v_subrev_u32_e32 v9, 29, v8
	v_bfe_u32 v6, v1, 2, 5
	v_lshlrev_b32_e32 v1, v9, v1
	v_sub_u32_e32 v8, 30, v8
	v_and_b32_e32 v1, 3, v1
	v_cmp_eq_u32_e32 vcc, 0, v6
	v_cndmask_b32_e32 v6, v6, v8, vcc
	v_cndmask_b32_e32 v1, v4, v1, vcc
	v_mov_b32_e32 v4, 0x37800000
	v_lshlrev_b32_e32 v1, 21, v1
	v_and_b32_e32 v0, 0x80000000, v0
	v_lshl_add_u32 v4, v6, 23, v4
	v_or3_b32 v0, v0, v4, v1
	v_trunc_f32_e32 v0, v0
	s_mov_b32 s24, 0x2f800000
	v_mul_f32_e64 v1, |v0|, s24
	v_floor_f32_e32 v1, v1
	s_mov_b32 s24, 0xcf800000
	v_fma_f32 v1, v1, s24, |v0|
	v_cvt_u32_f32_e32 v1, v1
	v_ashrrev_i32_e32 v0, 31, v0
	v_xor_b32_e32 v1, v1, v0
	v_sub_u32_e32 v0, v1, v0
.LBB14_2427:
	s_or_b64 exec, exec, s[10:11]
	s_mov_b64 s[10:11], 0
	s_branch .LBB14_2433
.LBB14_2428:
	s_mov_b64 s[10:11], -1
                                        ; implicit-def: $vgpr0
	s_branch .LBB14_2439
.LBB14_2429:
	s_andn2_saveexec_b64 s[24:25], s[24:25]
	s_cbranch_execz .LBB14_2414
.LBB14_2430:
	v_cmp_ne_u16_e32 vcc, 0, v1
	s_andn2_b64 s[26:27], s[26:27], exec
	s_and_b64 s[30:31], vcc, exec
	s_or_b64 s[26:27], s[26:27], s[30:31]
	s_or_b64 exec, exec, s[24:25]
	v_mov_b32_e32 v0, 0
	s_and_saveexec_b64 s[24:25], s[26:27]
	s_cbranch_execnz .LBB14_2415
	s_branch .LBB14_2416
.LBB14_2431:
	s_mov_b64 s[10:11], -1
                                        ; implicit-def: $vgpr0
	s_branch .LBB14_2436
.LBB14_2432:
	s_mov_b64 s[10:11], -1
                                        ; implicit-def: $vgpr0
.LBB14_2433:
	s_and_b64 vcc, exec, s[10:11]
	s_cbranch_vccz .LBB14_2435
; %bb.2434:
	global_load_ubyte v0, v[2:3], off
	s_mov_b32 s10, 0x7f800000
	s_brev_b32 s11, 1
	s_mov_b32 s24, 0x2f800000
	s_waitcnt vmcnt(0)
	v_lshlrev_b32_e32 v0, 24, v0
	v_and_b32_e32 v1, 0x7f000000, v0
	v_ffbh_u32_e32 v4, v1
	v_min_u32_e32 v4, 32, v4
	v_sub_u32_e64 v4, v4, 4 clamp
	v_lshlrev_b32_e32 v8, v4, v1
	v_lshlrev_b32_e32 v4, 23, v4
	v_lshrrev_b32_e32 v8, 4, v8
	v_add_u32_e32 v6, 0x1000000, v1
	v_sub_u32_e32 v4, v8, v4
	v_ashrrev_i32_e32 v6, 8, v6
	v_add_u32_e32 v4, 0x3c000000, v4
	v_and_or_b32 v4, v6, s10, v4
	v_cmp_ne_u32_e32 vcc, 0, v1
	v_cndmask_b32_e32 v1, 0, v4, vcc
	v_and_or_b32 v0, v0, s11, v1
	v_trunc_f32_e32 v0, v0
	v_mul_f32_e64 v1, |v0|, s24
	v_floor_f32_e32 v1, v1
	s_mov_b32 s10, 0xcf800000
	v_fma_f32 v1, v1, s10, |v0|
	v_cvt_u32_f32_e32 v1, v1
	v_ashrrev_i32_e32 v0, 31, v0
	v_xor_b32_e32 v1, v1, v0
	v_sub_u32_e32 v0, v1, v0
.LBB14_2435:
	s_mov_b64 s[10:11], 0
.LBB14_2436:
	s_andn2_b64 vcc, exec, s[10:11]
	s_cbranch_vccnz .LBB14_2438
; %bb.2437:
	global_load_ubyte v0, v[2:3], off
	s_movk_i32 s10, 0x7f00
	s_brev_b32 s11, 16
	s_brev_b32 s24, 1
	s_mov_b32 s25, 0x2f800000
	s_waitcnt vmcnt(0)
	v_lshlrev_b16_e32 v1, 8, v0
	v_lshlrev_b32_e32 v0, 25, v0
	v_lshrrev_b32_e32 v4, 4, v0
	v_and_or_b32 v6, v1, s10, 0.5
	v_or_b32_e32 v4, 0x70000000, v4
	v_add_f32_e32 v6, -0.5, v6
	v_mul_f32_e32 v4, 0x7800000, v4
	v_cmp_gt_u32_e32 vcc, s11, v0
	v_bfe_i32 v1, v1, 0, 16
	v_cndmask_b32_e32 v0, v4, v6, vcc
	v_and_or_b32 v0, v1, s24, v0
	v_trunc_f32_e32 v0, v0
	v_mul_f32_e64 v1, |v0|, s25
	v_floor_f32_e32 v1, v1
	s_mov_b32 s10, 0xcf800000
	v_fma_f32 v1, v1, s10, |v0|
	v_cvt_u32_f32_e32 v1, v1
	v_ashrrev_i32_e32 v0, 31, v0
	v_xor_b32_e32 v1, v1, v0
	v_sub_u32_e32 v0, v1, v0
.LBB14_2438:
	s_mov_b64 s[10:11], 0
	s_mov_b64 s[24:25], -1
.LBB14_2439:
	s_andn2_b64 vcc, exec, s[10:11]
	s_mov_b64 s[10:11], 0
	s_cbranch_vccnz .LBB14_2450
; %bb.2440:
	s_cmp_gt_i32 s13, 14
	s_cbranch_scc0 .LBB14_2443
; %bb.2441:
	s_cmp_eq_u32 s13, 15
	s_cbranch_scc0 .LBB14_2446
; %bb.2442:
	global_load_ushort v0, v[2:3], off
	s_mov_b32 s0, 0x2f800000
	s_mov_b32 s1, 0xcf800000
	s_mov_b64 s[24:25], -1
	s_waitcnt vmcnt(0)
	v_lshlrev_b32_e32 v0, 16, v0
	v_trunc_f32_e32 v0, v0
	v_mul_f32_e64 v1, |v0|, s0
	v_floor_f32_e32 v1, v1
	v_fma_f32 v1, v1, s1, |v0|
	v_cvt_u32_f32_e32 v1, v1
	v_ashrrev_i32_e32 v0, 31, v0
	s_mov_b64 s[0:1], 0
	v_xor_b32_e32 v1, v1, v0
	v_sub_u32_e32 v0, v1, v0
	s_branch .LBB14_2447
.LBB14_2443:
	s_mov_b64 s[26:27], -1
                                        ; implicit-def: $vgpr0
	s_branch .LBB14_2448
.LBB14_2444:
	s_andn2_saveexec_b64 s[10:11], s[10:11]
	s_cbranch_execz .LBB14_2425
.LBB14_2445:
	v_cmp_ne_u16_e32 vcc, 0, v1
	s_andn2_b64 s[24:25], s[24:25], exec
	s_and_b64 s[26:27], vcc, exec
	s_or_b64 s[24:25], s[24:25], s[26:27]
	s_or_b64 exec, exec, s[10:11]
	v_mov_b32_e32 v0, 0
	s_and_saveexec_b64 s[10:11], s[24:25]
	s_cbranch_execnz .LBB14_2426
	s_branch .LBB14_2427
.LBB14_2446:
	s_mov_b64 s[0:1], -1
                                        ; implicit-def: $vgpr0
.LBB14_2447:
	s_mov_b64 s[26:27], 0
.LBB14_2448:
	s_and_b64 vcc, exec, s[26:27]
	s_cbranch_vccz .LBB14_2450
; %bb.2449:
	s_cmp_lg_u32 s13, 11
	s_mov_b64 s[10:11], -1
	s_cselect_b64 s[0:1], -1, 0
.LBB14_2450:
	s_and_b64 vcc, exec, s[0:1]
	s_cbranch_vccnz .LBB14_2515
; %bb.2451:
	s_andn2_b64 vcc, exec, s[10:11]
	s_cbranch_vccnz .LBB14_2453
.LBB14_2452:
	global_load_ubyte v0, v[2:3], off
	s_mov_b64 s[24:25], -1
	s_waitcnt vmcnt(0)
	v_cmp_ne_u16_e32 vcc, 0, v0
	v_cndmask_b32_e64 v0, 0, 1, vcc
.LBB14_2453:
	s_mov_b64 s[0:1], 0
.LBB14_2454:
	s_and_b64 vcc, exec, s[0:1]
	s_cbranch_vccz .LBB14_2503
; %bb.2455:
	s_and_b32 s10, 0xffff, s28
	s_cmp_lt_i32 s10, 5
	s_cbranch_scc1 .LBB14_2460
; %bb.2456:
	s_cmp_lt_i32 s10, 8
	s_cbranch_scc1 .LBB14_2461
; %bb.2457:
	;; [unrolled: 3-line block ×3, first 2 shown]
	s_cmp_gt_i32 s10, 9
	s_cbranch_scc0 .LBB14_2463
; %bb.2459:
	global_load_dwordx2 v[0:1], v[2:3], off
	s_movk_i32 s0, 0xffe0
	s_waitcnt vmcnt(0)
	v_trunc_f64_e32 v[0:1], v[0:1]
	v_ldexp_f64 v[8:9], v[0:1], s0
	s_mov_b32 s0, 0
	s_mov_b32 s1, 0xc1f00000
	v_floor_f64_e32 v[8:9], v[8:9]
	v_fma_f64 v[0:1], v[8:9], s[0:1], v[0:1]
	s_mov_b64 s[0:1], 0
	v_cvt_u32_f64_e32 v0, v[0:1]
	s_branch .LBB14_2464
.LBB14_2460:
	s_mov_b64 s[0:1], -1
                                        ; implicit-def: $vgpr0
	s_branch .LBB14_2482
.LBB14_2461:
	s_mov_b64 s[0:1], -1
                                        ; implicit-def: $vgpr0
	s_branch .LBB14_2470
.LBB14_2462:
	s_mov_b64 s[0:1], -1
                                        ; implicit-def: $vgpr0
	s_branch .LBB14_2467
.LBB14_2463:
	s_mov_b64 s[0:1], -1
                                        ; implicit-def: $vgpr0
.LBB14_2464:
	s_andn2_b64 vcc, exec, s[0:1]
	s_cbranch_vccnz .LBB14_2466
; %bb.2465:
	global_load_dword v0, v[2:3], off
	s_mov_b32 s0, 0x2f800000
	s_waitcnt vmcnt(0)
	v_trunc_f32_e32 v0, v0
	v_mul_f32_e64 v1, |v0|, s0
	v_floor_f32_e32 v1, v1
	s_mov_b32 s0, 0xcf800000
	v_fma_f32 v1, v1, s0, |v0|
	v_cvt_u32_f32_e32 v1, v1
	v_ashrrev_i32_e32 v0, 31, v0
	v_xor_b32_e32 v1, v1, v0
	v_sub_u32_e32 v0, v1, v0
.LBB14_2466:
	s_mov_b64 s[0:1], 0
.LBB14_2467:
	s_andn2_b64 vcc, exec, s[0:1]
	s_cbranch_vccnz .LBB14_2469
; %bb.2468:
	global_load_dword v0, v[2:3], off
	s_waitcnt vmcnt(0)
	v_cvt_f32_f16_e32 v0, v0
	v_cvt_i32_f32_e32 v0, v0
.LBB14_2469:
	s_mov_b64 s[0:1], 0
.LBB14_2470:
	s_andn2_b64 vcc, exec, s[0:1]
	s_cbranch_vccnz .LBB14_2481
; %bb.2471:
	s_cmp_lt_i32 s10, 6
	s_cbranch_scc1 .LBB14_2474
; %bb.2472:
	s_cmp_gt_i32 s10, 6
	s_cbranch_scc0 .LBB14_2475
; %bb.2473:
	global_load_dwordx2 v[0:1], v[2:3], off
	s_movk_i32 s0, 0xffe0
	s_waitcnt vmcnt(0)
	v_trunc_f64_e32 v[0:1], v[0:1]
	v_ldexp_f64 v[8:9], v[0:1], s0
	s_mov_b32 s0, 0
	s_mov_b32 s1, 0xc1f00000
	v_floor_f64_e32 v[8:9], v[8:9]
	v_fma_f64 v[0:1], v[8:9], s[0:1], v[0:1]
	s_mov_b64 s[0:1], 0
	v_cvt_u32_f64_e32 v0, v[0:1]
	s_branch .LBB14_2476
.LBB14_2474:
	s_mov_b64 s[0:1], -1
                                        ; implicit-def: $vgpr0
	s_branch .LBB14_2479
.LBB14_2475:
	s_mov_b64 s[0:1], -1
                                        ; implicit-def: $vgpr0
.LBB14_2476:
	s_andn2_b64 vcc, exec, s[0:1]
	s_cbranch_vccnz .LBB14_2478
; %bb.2477:
	global_load_dword v0, v[2:3], off
	s_mov_b32 s0, 0x2f800000
	s_waitcnt vmcnt(0)
	v_trunc_f32_e32 v0, v0
	v_mul_f32_e64 v1, |v0|, s0
	v_floor_f32_e32 v1, v1
	s_mov_b32 s0, 0xcf800000
	v_fma_f32 v1, v1, s0, |v0|
	v_cvt_u32_f32_e32 v1, v1
	v_ashrrev_i32_e32 v0, 31, v0
	v_xor_b32_e32 v1, v1, v0
	v_sub_u32_e32 v0, v1, v0
.LBB14_2478:
	s_mov_b64 s[0:1], 0
.LBB14_2479:
	s_andn2_b64 vcc, exec, s[0:1]
	s_cbranch_vccnz .LBB14_2481
; %bb.2480:
	global_load_ushort v0, v[2:3], off
	s_waitcnt vmcnt(0)
	v_cvt_f32_f16_e32 v0, v0
	v_cvt_i32_f32_e32 v0, v0
.LBB14_2481:
	s_mov_b64 s[0:1], 0
.LBB14_2482:
	s_andn2_b64 vcc, exec, s[0:1]
	s_cbranch_vccnz .LBB14_2502
; %bb.2483:
	s_cmp_lt_i32 s10, 2
	s_cbranch_scc1 .LBB14_2487
; %bb.2484:
	s_cmp_lt_i32 s10, 3
	s_cbranch_scc1 .LBB14_2488
; %bb.2485:
	s_cmp_gt_i32 s10, 3
	s_cbranch_scc0 .LBB14_2489
; %bb.2486:
	global_load_dwordx2 v[0:1], v[2:3], off
	s_mov_b64 s[0:1], 0
	s_branch .LBB14_2490
.LBB14_2487:
	s_mov_b64 s[0:1], -1
                                        ; implicit-def: $vgpr0
	s_branch .LBB14_2496
.LBB14_2488:
	s_mov_b64 s[0:1], -1
                                        ; implicit-def: $vgpr0
	s_branch .LBB14_2493
.LBB14_2489:
	s_mov_b64 s[0:1], -1
                                        ; implicit-def: $vgpr0
.LBB14_2490:
	s_andn2_b64 vcc, exec, s[0:1]
	s_cbranch_vccnz .LBB14_2492
; %bb.2491:
	global_load_dword v0, v[2:3], off
.LBB14_2492:
	s_mov_b64 s[0:1], 0
.LBB14_2493:
	s_andn2_b64 vcc, exec, s[0:1]
	s_cbranch_vccnz .LBB14_2495
; %bb.2494:
	global_load_ushort v0, v[2:3], off
.LBB14_2495:
	s_mov_b64 s[0:1], 0
.LBB14_2496:
	s_andn2_b64 vcc, exec, s[0:1]
	s_cbranch_vccnz .LBB14_2502
; %bb.2497:
	s_cmp_gt_i32 s10, 0
	s_cbranch_scc0 .LBB14_2499
; %bb.2498:
	global_load_ubyte v0, v[2:3], off
	s_mov_b64 s[0:1], 0
	s_branch .LBB14_2500
.LBB14_2499:
	s_mov_b64 s[0:1], -1
                                        ; implicit-def: $vgpr0
.LBB14_2500:
	s_andn2_b64 vcc, exec, s[0:1]
	s_cbranch_vccnz .LBB14_2502
; %bb.2501:
	global_load_ubyte v0, v[2:3], off
.LBB14_2502:
	s_mov_b64 s[24:25], -1
.LBB14_2503:
	s_andn2_b64 vcc, exec, s[24:25]
	s_cbranch_vccnz .LBB14_2634
; %bb.2504:
	s_waitcnt vmcnt(0)
	v_add_u32_e32 v1, s14, v7
	v_ashrrev_i32_e32 v2, 31, v1
	v_mov_b32_e32 v3, s3
	v_add_co_u32_e32 v1, vcc, s2, v1
	s_cmp_lt_i32 s29, 11
	v_addc_co_u32_e32 v2, vcc, v3, v2, vcc
	s_cbranch_scc1 .LBB14_2511
; %bb.2505:
	s_and_b32 s13, 0xffff, s29
	s_cmp_gt_i32 s13, 25
	s_mov_b64 s[2:3], 0
	s_cbranch_scc0 .LBB14_2512
; %bb.2506:
	s_cmp_gt_i32 s13, 28
	s_cbranch_scc0 .LBB14_2513
; %bb.2507:
	s_cmp_gt_i32 s13, 43
	;; [unrolled: 3-line block ×3, first 2 shown]
	s_cbranch_scc0 .LBB14_2516
; %bb.2509:
	s_cmp_eq_u32 s13, 46
	s_mov_b64 s[24:25], 0
	s_cbranch_scc0 .LBB14_2517
; %bb.2510:
	global_load_dword v3, v[1:2], off
	s_mov_b32 s0, 0x2f800000
	s_mov_b32 s1, 0xcf800000
	s_mov_b64 s[10:11], -1
	s_waitcnt vmcnt(0)
	v_lshlrev_b32_e32 v3, 16, v3
	v_trunc_f32_e32 v3, v3
	v_mul_f32_e64 v4, |v3|, s0
	v_floor_f32_e32 v4, v4
	v_fma_f32 v4, v4, s1, |v3|
	v_cvt_u32_f32_e32 v4, v4
	v_ashrrev_i32_e32 v3, 31, v3
	s_mov_b64 s[0:1], 0
	v_xor_b32_e32 v4, v4, v3
	v_sub_u32_e32 v3, v4, v3
	s_branch .LBB14_2518
.LBB14_2511:
	s_mov_b64 s[0:1], -1
	s_mov_b64 s[10:11], 0
                                        ; implicit-def: $vgpr3
	s_branch .LBB14_2580
.LBB14_2512:
	s_mov_b64 s[24:25], -1
	s_mov_b64 s[10:11], 0
	s_mov_b64 s[0:1], 0
                                        ; implicit-def: $vgpr3
	s_branch .LBB14_2545
.LBB14_2513:
	s_mov_b64 s[24:25], -1
	s_mov_b64 s[10:11], 0
	s_mov_b64 s[0:1], 0
                                        ; implicit-def: $vgpr3
	s_branch .LBB14_2528
.LBB14_2514:
	s_mov_b64 s[24:25], -1
	s_mov_b64 s[10:11], 0
	s_mov_b64 s[0:1], 0
                                        ; implicit-def: $vgpr3
	s_branch .LBB14_2523
.LBB14_2515:
	s_trap 2
	s_or_b64 s[18:19], s[18:19], exec
	s_cbranch_execz .LBB14_2452
	s_branch .LBB14_2453
.LBB14_2516:
	s_mov_b64 s[24:25], -1
	s_mov_b64 s[10:11], 0
	s_mov_b64 s[0:1], 0
                                        ; implicit-def: $vgpr3
	s_branch .LBB14_2518
.LBB14_2517:
	s_mov_b64 s[0:1], -1
                                        ; implicit-def: $vgpr3
	s_mov_b64 s[10:11], 0
.LBB14_2518:
	s_and_b64 vcc, exec, s[24:25]
	s_cbranch_vccz .LBB14_2522
; %bb.2519:
	s_cmp_eq_u32 s13, 44
	s_cbranch_scc0 .LBB14_2521
; %bb.2520:
	global_load_ubyte v3, v[1:2], off
	s_mov_b32 s0, 0x2f800000
	s_mov_b32 s1, 0xcf800000
	s_mov_b64 s[10:11], -1
	s_waitcnt vmcnt(0)
	v_lshlrev_b32_e32 v4, 23, v3
	v_trunc_f32_e32 v4, v4
	v_mul_f32_e64 v6, |v4|, s0
	v_floor_f32_e32 v6, v6
	v_fma_f32 v6, v6, s1, |v4|
	v_cvt_u32_f32_e32 v6, v6
	v_ashrrev_i32_e32 v4, 31, v4
	v_cmp_ne_u32_e32 vcc, 0, v3
	s_mov_b64 s[0:1], 0
	v_xor_b32_e32 v6, v6, v4
	v_sub_u32_e32 v4, v6, v4
	v_cndmask_b32_e32 v3, 0, v4, vcc
	s_branch .LBB14_2522
.LBB14_2521:
	s_mov_b64 s[0:1], -1
                                        ; implicit-def: $vgpr3
.LBB14_2522:
	s_mov_b64 s[24:25], 0
.LBB14_2523:
	s_and_b64 vcc, exec, s[24:25]
	s_cbranch_vccz .LBB14_2527
; %bb.2524:
	s_cmp_eq_u32 s13, 29
	s_cbranch_scc0 .LBB14_2526
; %bb.2525:
	global_load_dwordx2 v[3:4], v[1:2], off
	s_mov_b64 s[0:1], 0
	s_mov_b64 s[10:11], -1
	s_branch .LBB14_2527
.LBB14_2526:
	s_mov_b64 s[0:1], -1
                                        ; implicit-def: $vgpr3
.LBB14_2527:
	s_mov_b64 s[24:25], 0
.LBB14_2528:
	s_and_b64 vcc, exec, s[24:25]
	s_cbranch_vccz .LBB14_2544
; %bb.2529:
	s_cmp_lt_i32 s13, 27
	s_cbranch_scc1 .LBB14_2532
; %bb.2530:
	s_cmp_gt_i32 s13, 27
	s_cbranch_scc0 .LBB14_2533
; %bb.2531:
	global_load_dword v3, v[1:2], off
	s_mov_b64 s[10:11], 0
	s_branch .LBB14_2534
.LBB14_2532:
	s_mov_b64 s[10:11], -1
                                        ; implicit-def: $vgpr3
	s_branch .LBB14_2537
.LBB14_2533:
	s_mov_b64 s[10:11], -1
                                        ; implicit-def: $vgpr3
.LBB14_2534:
	s_andn2_b64 vcc, exec, s[10:11]
	s_cbranch_vccnz .LBB14_2536
; %bb.2535:
	global_load_ushort v3, v[1:2], off
.LBB14_2536:
	s_mov_b64 s[10:11], 0
.LBB14_2537:
	s_andn2_b64 vcc, exec, s[10:11]
	s_cbranch_vccnz .LBB14_2543
; %bb.2538:
	global_load_ubyte v4, v[1:2], off
	s_movk_i32 s10, 0x7f
	s_mov_b64 s[24:25], 0
	s_waitcnt vmcnt(0)
	v_cmp_lt_i16_e32 vcc, s10, v4
	s_and_saveexec_b64 s[10:11], vcc
	s_xor_b64 s[10:11], exec, s[10:11]
	s_cbranch_execz .LBB14_2555
; %bb.2539:
	s_movk_i32 s14, 0x80
	v_cmp_ne_u16_e32 vcc, s14, v4
	s_and_b64 s[24:25], vcc, exec
	s_andn2_saveexec_b64 s[10:11], s[10:11]
	s_cbranch_execnz .LBB14_2556
.LBB14_2540:
	s_or_b64 exec, exec, s[10:11]
	v_mov_b32_e32 v3, 0
	s_and_saveexec_b64 s[10:11], s[24:25]
	s_cbranch_execz .LBB14_2542
.LBB14_2541:
	v_lshlrev_b32_e32 v3, 24, v4
	v_and_b32_e32 v4, 0xffff, v4
	v_and_b32_e32 v6, 7, v4
	v_ffbh_u32_e32 v8, v6
	v_min_u32_e32 v8, 32, v8
	v_subrev_u32_e32 v9, 28, v8
	v_bfe_u32 v7, v4, 3, 4
	v_lshlrev_b32_e32 v4, v9, v4
	v_sub_u32_e32 v8, 29, v8
	v_and_b32_e32 v4, 7, v4
	v_cmp_eq_u32_e32 vcc, 0, v7
	v_cndmask_b32_e32 v7, v7, v8, vcc
	v_cndmask_b32_e32 v4, v6, v4, vcc
	v_mov_b32_e32 v6, 0x3b800000
	v_lshlrev_b32_e32 v4, 20, v4
	v_and_b32_e32 v3, 0x80000000, v3
	v_lshl_add_u32 v6, v7, 23, v6
	v_or3_b32 v3, v3, v6, v4
	v_trunc_f32_e32 v3, v3
	s_mov_b32 s14, 0x2f800000
	v_mul_f32_e64 v4, |v3|, s14
	v_floor_f32_e32 v4, v4
	s_mov_b32 s14, 0xcf800000
	v_fma_f32 v4, v4, s14, |v3|
	v_cvt_u32_f32_e32 v4, v4
	v_ashrrev_i32_e32 v3, 31, v3
	v_xor_b32_e32 v4, v4, v3
	v_sub_u32_e32 v3, v4, v3
.LBB14_2542:
	s_or_b64 exec, exec, s[10:11]
.LBB14_2543:
	s_mov_b64 s[10:11], -1
.LBB14_2544:
	s_mov_b64 s[24:25], 0
.LBB14_2545:
	s_and_b64 vcc, exec, s[24:25]
	s_cbranch_vccz .LBB14_2576
; %bb.2546:
	s_cmp_gt_i32 s13, 22
	s_cbranch_scc0 .LBB14_2554
; %bb.2547:
	s_cmp_lt_i32 s13, 24
	s_cbranch_scc1 .LBB14_2557
; %bb.2548:
	s_cmp_gt_i32 s13, 24
	s_cbranch_scc0 .LBB14_2558
; %bb.2549:
	global_load_ubyte v4, v[1:2], off
	s_movk_i32 s2, 0x7f
	s_mov_b64 s[10:11], 0
	s_waitcnt vmcnt(0)
	v_cmp_lt_i16_e32 vcc, s2, v4
	s_and_saveexec_b64 s[2:3], vcc
	s_xor_b64 s[2:3], exec, s[2:3]
	s_cbranch_execz .LBB14_2570
; %bb.2550:
	s_movk_i32 s10, 0x80
	v_cmp_ne_u16_e32 vcc, s10, v4
	s_and_b64 s[10:11], vcc, exec
	s_andn2_saveexec_b64 s[2:3], s[2:3]
	s_cbranch_execnz .LBB14_2571
.LBB14_2551:
	s_or_b64 exec, exec, s[2:3]
	v_mov_b32_e32 v3, 0
	s_and_saveexec_b64 s[2:3], s[10:11]
	s_cbranch_execz .LBB14_2553
.LBB14_2552:
	v_lshlrev_b32_e32 v3, 24, v4
	v_and_b32_e32 v4, 0xffff, v4
	v_and_b32_e32 v6, 3, v4
	v_ffbh_u32_e32 v8, v6
	v_min_u32_e32 v8, 32, v8
	v_subrev_u32_e32 v9, 29, v8
	v_bfe_u32 v7, v4, 2, 5
	v_lshlrev_b32_e32 v4, v9, v4
	v_sub_u32_e32 v8, 30, v8
	v_and_b32_e32 v4, 3, v4
	v_cmp_eq_u32_e32 vcc, 0, v7
	v_cndmask_b32_e32 v7, v7, v8, vcc
	v_cndmask_b32_e32 v4, v6, v4, vcc
	v_mov_b32_e32 v6, 0x37800000
	v_lshlrev_b32_e32 v4, 21, v4
	v_and_b32_e32 v3, 0x80000000, v3
	v_lshl_add_u32 v6, v7, 23, v6
	v_or3_b32 v3, v3, v6, v4
	v_trunc_f32_e32 v3, v3
	s_mov_b32 s10, 0x2f800000
	v_mul_f32_e64 v4, |v3|, s10
	v_floor_f32_e32 v4, v4
	s_mov_b32 s10, 0xcf800000
	v_fma_f32 v4, v4, s10, |v3|
	v_cvt_u32_f32_e32 v4, v4
	v_ashrrev_i32_e32 v3, 31, v3
	v_xor_b32_e32 v4, v4, v3
	v_sub_u32_e32 v3, v4, v3
.LBB14_2553:
	s_or_b64 exec, exec, s[2:3]
	s_mov_b64 s[2:3], 0
	s_branch .LBB14_2559
.LBB14_2554:
	s_mov_b64 s[2:3], -1
                                        ; implicit-def: $vgpr3
	s_branch .LBB14_2565
.LBB14_2555:
	s_andn2_saveexec_b64 s[10:11], s[10:11]
	s_cbranch_execz .LBB14_2540
.LBB14_2556:
	v_cmp_ne_u16_e32 vcc, 0, v4
	s_andn2_b64 s[24:25], s[24:25], exec
	s_and_b64 s[26:27], vcc, exec
	s_or_b64 s[24:25], s[24:25], s[26:27]
	s_or_b64 exec, exec, s[10:11]
	v_mov_b32_e32 v3, 0
	s_and_saveexec_b64 s[10:11], s[24:25]
	s_cbranch_execnz .LBB14_2541
	s_branch .LBB14_2542
.LBB14_2557:
	s_mov_b64 s[2:3], -1
                                        ; implicit-def: $vgpr3
	s_branch .LBB14_2562
.LBB14_2558:
	s_mov_b64 s[2:3], -1
                                        ; implicit-def: $vgpr3
.LBB14_2559:
	s_and_b64 vcc, exec, s[2:3]
	s_cbranch_vccz .LBB14_2561
; %bb.2560:
	global_load_ubyte v3, v[1:2], off
	s_mov_b32 s2, 0x7f800000
	s_brev_b32 s3, 1
	s_mov_b32 s10, 0x2f800000
	s_waitcnt vmcnt(0)
	v_lshlrev_b32_e32 v3, 24, v3
	v_and_b32_e32 v4, 0x7f000000, v3
	v_ffbh_u32_e32 v6, v4
	v_min_u32_e32 v6, 32, v6
	v_sub_u32_e64 v6, v6, 4 clamp
	v_lshlrev_b32_e32 v8, v6, v4
	v_lshlrev_b32_e32 v6, 23, v6
	v_lshrrev_b32_e32 v8, 4, v8
	v_add_u32_e32 v7, 0x1000000, v4
	v_sub_u32_e32 v6, v8, v6
	v_ashrrev_i32_e32 v7, 8, v7
	v_add_u32_e32 v6, 0x3c000000, v6
	v_and_or_b32 v6, v7, s2, v6
	v_cmp_ne_u32_e32 vcc, 0, v4
	v_cndmask_b32_e32 v4, 0, v6, vcc
	v_and_or_b32 v3, v3, s3, v4
	v_trunc_f32_e32 v3, v3
	v_mul_f32_e64 v4, |v3|, s10
	v_floor_f32_e32 v4, v4
	s_mov_b32 s2, 0xcf800000
	v_fma_f32 v4, v4, s2, |v3|
	v_cvt_u32_f32_e32 v4, v4
	v_ashrrev_i32_e32 v3, 31, v3
	v_xor_b32_e32 v4, v4, v3
	v_sub_u32_e32 v3, v4, v3
.LBB14_2561:
	s_mov_b64 s[2:3], 0
.LBB14_2562:
	s_andn2_b64 vcc, exec, s[2:3]
	s_cbranch_vccnz .LBB14_2564
; %bb.2563:
	global_load_ubyte v3, v[1:2], off
	s_movk_i32 s2, 0x7f00
	s_brev_b32 s3, 16
	s_brev_b32 s10, 1
	s_mov_b32 s11, 0x2f800000
	s_waitcnt vmcnt(0)
	v_lshlrev_b16_e32 v4, 8, v3
	v_lshlrev_b32_e32 v3, 25, v3
	v_lshrrev_b32_e32 v6, 4, v3
	v_and_or_b32 v7, v4, s2, 0.5
	v_or_b32_e32 v6, 0x70000000, v6
	v_add_f32_e32 v7, -0.5, v7
	v_mul_f32_e32 v6, 0x7800000, v6
	v_cmp_gt_u32_e32 vcc, s3, v3
	v_bfe_i32 v4, v4, 0, 16
	v_cndmask_b32_e32 v3, v6, v7, vcc
	v_and_or_b32 v3, v4, s10, v3
	v_trunc_f32_e32 v3, v3
	v_mul_f32_e64 v4, |v3|, s11
	v_floor_f32_e32 v4, v4
	s_mov_b32 s2, 0xcf800000
	v_fma_f32 v4, v4, s2, |v3|
	v_cvt_u32_f32_e32 v4, v4
	v_ashrrev_i32_e32 v3, 31, v3
	v_xor_b32_e32 v4, v4, v3
	v_sub_u32_e32 v3, v4, v3
.LBB14_2564:
	s_mov_b64 s[2:3], 0
	s_mov_b64 s[10:11], -1
.LBB14_2565:
	s_andn2_b64 vcc, exec, s[2:3]
	s_mov_b64 s[2:3], 0
	s_cbranch_vccnz .LBB14_2576
; %bb.2566:
	s_cmp_gt_i32 s13, 14
	s_cbranch_scc0 .LBB14_2569
; %bb.2567:
	s_cmp_eq_u32 s13, 15
	s_cbranch_scc0 .LBB14_2572
; %bb.2568:
	global_load_ushort v3, v[1:2], off
	s_mov_b32 s0, 0x2f800000
	s_mov_b32 s1, 0xcf800000
	s_mov_b64 s[10:11], -1
	s_waitcnt vmcnt(0)
	v_lshlrev_b32_e32 v3, 16, v3
	v_trunc_f32_e32 v3, v3
	v_mul_f32_e64 v4, |v3|, s0
	v_floor_f32_e32 v4, v4
	v_fma_f32 v4, v4, s1, |v3|
	v_cvt_u32_f32_e32 v4, v4
	v_ashrrev_i32_e32 v3, 31, v3
	s_mov_b64 s[0:1], 0
	v_xor_b32_e32 v4, v4, v3
	v_sub_u32_e32 v3, v4, v3
	s_branch .LBB14_2573
.LBB14_2569:
	s_mov_b64 s[24:25], -1
                                        ; implicit-def: $vgpr3
	s_branch .LBB14_2574
.LBB14_2570:
	s_andn2_saveexec_b64 s[2:3], s[2:3]
	s_cbranch_execz .LBB14_2551
.LBB14_2571:
	v_cmp_ne_u16_e32 vcc, 0, v4
	s_andn2_b64 s[10:11], s[10:11], exec
	s_and_b64 s[24:25], vcc, exec
	s_or_b64 s[10:11], s[10:11], s[24:25]
	s_or_b64 exec, exec, s[2:3]
	v_mov_b32_e32 v3, 0
	s_and_saveexec_b64 s[2:3], s[10:11]
	s_cbranch_execnz .LBB14_2552
	s_branch .LBB14_2553
.LBB14_2572:
	s_mov_b64 s[0:1], -1
                                        ; implicit-def: $vgpr3
.LBB14_2573:
	s_mov_b64 s[24:25], 0
.LBB14_2574:
	s_and_b64 vcc, exec, s[24:25]
	s_cbranch_vccz .LBB14_2576
; %bb.2575:
	s_cmp_lg_u32 s13, 11
	s_mov_b64 s[2:3], -1
	s_cselect_b64 s[0:1], -1, 0
.LBB14_2576:
	s_and_b64 vcc, exec, s[0:1]
	s_cbranch_vccnz .LBB14_3128
; %bb.2577:
	s_andn2_b64 vcc, exec, s[2:3]
	s_cbranch_vccnz .LBB14_2579
.LBB14_2578:
	global_load_ubyte v3, v[1:2], off
	s_mov_b64 s[10:11], -1
	s_waitcnt vmcnt(0)
	v_cmp_ne_u16_e32 vcc, 0, v3
	v_cndmask_b32_e64 v3, 0, 1, vcc
.LBB14_2579:
	s_mov_b64 s[0:1], 0
.LBB14_2580:
	s_and_b64 vcc, exec, s[0:1]
	s_cbranch_vccz .LBB14_2629
; %bb.2581:
	s_and_b32 s2, 0xffff, s29
	s_cmp_lt_i32 s2, 5
	s_cbranch_scc1 .LBB14_2586
; %bb.2582:
	s_cmp_lt_i32 s2, 8
	s_cbranch_scc1 .LBB14_2587
; %bb.2583:
	;; [unrolled: 3-line block ×3, first 2 shown]
	s_cmp_gt_i32 s2, 9
	s_cbranch_scc0 .LBB14_2589
; %bb.2585:
	global_load_dwordx2 v[3:4], v[1:2], off
	s_movk_i32 s0, 0xffe0
	s_waitcnt vmcnt(0)
	v_trunc_f64_e32 v[3:4], v[3:4]
	v_ldexp_f64 v[6:7], v[3:4], s0
	s_mov_b32 s0, 0
	s_mov_b32 s1, 0xc1f00000
	v_floor_f64_e32 v[6:7], v[6:7]
	v_fma_f64 v[3:4], v[6:7], s[0:1], v[3:4]
	s_mov_b64 s[0:1], 0
	v_cvt_u32_f64_e32 v3, v[3:4]
	s_branch .LBB14_2590
.LBB14_2586:
	s_mov_b64 s[0:1], -1
                                        ; implicit-def: $vgpr3
	s_branch .LBB14_2608
.LBB14_2587:
	s_mov_b64 s[0:1], -1
                                        ; implicit-def: $vgpr3
	s_branch .LBB14_2596
.LBB14_2588:
	s_mov_b64 s[0:1], -1
                                        ; implicit-def: $vgpr3
	s_branch .LBB14_2593
.LBB14_2589:
	s_mov_b64 s[0:1], -1
                                        ; implicit-def: $vgpr3
.LBB14_2590:
	s_andn2_b64 vcc, exec, s[0:1]
	s_cbranch_vccnz .LBB14_2592
; %bb.2591:
	global_load_dword v3, v[1:2], off
	s_mov_b32 s0, 0x2f800000
	s_waitcnt vmcnt(0)
	v_trunc_f32_e32 v3, v3
	v_mul_f32_e64 v4, |v3|, s0
	v_floor_f32_e32 v4, v4
	s_mov_b32 s0, 0xcf800000
	v_fma_f32 v4, v4, s0, |v3|
	v_cvt_u32_f32_e32 v4, v4
	v_ashrrev_i32_e32 v3, 31, v3
	v_xor_b32_e32 v4, v4, v3
	v_sub_u32_e32 v3, v4, v3
.LBB14_2592:
	s_mov_b64 s[0:1], 0
.LBB14_2593:
	s_andn2_b64 vcc, exec, s[0:1]
	s_cbranch_vccnz .LBB14_2595
; %bb.2594:
	global_load_dword v3, v[1:2], off
	s_waitcnt vmcnt(0)
	v_cvt_f32_f16_e32 v3, v3
	v_cvt_i32_f32_e32 v3, v3
.LBB14_2595:
	s_mov_b64 s[0:1], 0
.LBB14_2596:
	s_andn2_b64 vcc, exec, s[0:1]
	s_cbranch_vccnz .LBB14_2607
; %bb.2597:
	s_cmp_lt_i32 s2, 6
	s_cbranch_scc1 .LBB14_2600
; %bb.2598:
	s_cmp_gt_i32 s2, 6
	s_cbranch_scc0 .LBB14_2601
; %bb.2599:
	global_load_dwordx2 v[3:4], v[1:2], off
	s_movk_i32 s0, 0xffe0
	s_waitcnt vmcnt(0)
	v_trunc_f64_e32 v[3:4], v[3:4]
	v_ldexp_f64 v[6:7], v[3:4], s0
	s_mov_b32 s0, 0
	s_mov_b32 s1, 0xc1f00000
	v_floor_f64_e32 v[6:7], v[6:7]
	v_fma_f64 v[3:4], v[6:7], s[0:1], v[3:4]
	s_mov_b64 s[0:1], 0
	v_cvt_u32_f64_e32 v3, v[3:4]
	s_branch .LBB14_2602
.LBB14_2600:
	s_mov_b64 s[0:1], -1
                                        ; implicit-def: $vgpr3
	s_branch .LBB14_2605
.LBB14_2601:
	s_mov_b64 s[0:1], -1
                                        ; implicit-def: $vgpr3
.LBB14_2602:
	s_andn2_b64 vcc, exec, s[0:1]
	s_cbranch_vccnz .LBB14_2604
; %bb.2603:
	global_load_dword v3, v[1:2], off
	s_mov_b32 s0, 0x2f800000
	s_waitcnt vmcnt(0)
	v_trunc_f32_e32 v3, v3
	v_mul_f32_e64 v4, |v3|, s0
	v_floor_f32_e32 v4, v4
	s_mov_b32 s0, 0xcf800000
	v_fma_f32 v4, v4, s0, |v3|
	v_cvt_u32_f32_e32 v4, v4
	v_ashrrev_i32_e32 v3, 31, v3
	v_xor_b32_e32 v4, v4, v3
	v_sub_u32_e32 v3, v4, v3
.LBB14_2604:
	s_mov_b64 s[0:1], 0
.LBB14_2605:
	s_andn2_b64 vcc, exec, s[0:1]
	s_cbranch_vccnz .LBB14_2607
; %bb.2606:
	global_load_ushort v3, v[1:2], off
	s_waitcnt vmcnt(0)
	v_cvt_f32_f16_e32 v3, v3
	v_cvt_i32_f32_e32 v3, v3
.LBB14_2607:
	s_mov_b64 s[0:1], 0
.LBB14_2608:
	s_andn2_b64 vcc, exec, s[0:1]
	s_cbranch_vccnz .LBB14_2628
; %bb.2609:
	s_cmp_lt_i32 s2, 2
	s_cbranch_scc1 .LBB14_2613
; %bb.2610:
	s_cmp_lt_i32 s2, 3
	s_cbranch_scc1 .LBB14_2614
; %bb.2611:
	s_cmp_gt_i32 s2, 3
	s_cbranch_scc0 .LBB14_2615
; %bb.2612:
	global_load_dwordx2 v[3:4], v[1:2], off
	s_mov_b64 s[0:1], 0
	s_branch .LBB14_2616
.LBB14_2613:
	s_mov_b64 s[0:1], -1
                                        ; implicit-def: $vgpr3
	s_branch .LBB14_2622
.LBB14_2614:
	s_mov_b64 s[0:1], -1
                                        ; implicit-def: $vgpr3
	s_branch .LBB14_2619
.LBB14_2615:
	s_mov_b64 s[0:1], -1
                                        ; implicit-def: $vgpr3
.LBB14_2616:
	s_andn2_b64 vcc, exec, s[0:1]
	s_cbranch_vccnz .LBB14_2618
; %bb.2617:
	global_load_dword v3, v[1:2], off
.LBB14_2618:
	s_mov_b64 s[0:1], 0
.LBB14_2619:
	s_andn2_b64 vcc, exec, s[0:1]
	s_cbranch_vccnz .LBB14_2621
; %bb.2620:
	global_load_ushort v3, v[1:2], off
.LBB14_2621:
	s_mov_b64 s[0:1], 0
.LBB14_2622:
	s_andn2_b64 vcc, exec, s[0:1]
	s_cbranch_vccnz .LBB14_2628
; %bb.2623:
	s_cmp_gt_i32 s2, 0
	s_cbranch_scc0 .LBB14_2625
; %bb.2624:
	global_load_ubyte v3, v[1:2], off
	s_mov_b64 s[0:1], 0
	s_branch .LBB14_2626
.LBB14_2625:
	s_mov_b64 s[0:1], -1
                                        ; implicit-def: $vgpr3
.LBB14_2626:
	s_andn2_b64 vcc, exec, s[0:1]
	s_cbranch_vccnz .LBB14_2628
; %bb.2627:
	global_load_ubyte v3, v[1:2], off
.LBB14_2628:
	s_mov_b64 s[10:11], -1
.LBB14_2629:
	s_andn2_b64 vcc, exec, s[10:11]
	s_cbranch_vccnz .LBB14_2634
; %bb.2630:
	s_cmp_lt_i32 s15, 1
	s_mov_b64 s[0:1], 0
	s_cbranch_scc1 .LBB14_2680
; %bb.2631:
	s_cmp_gt_i32 s15, 1
	s_cbranch_scc0 .LBB14_2681
; %bb.2632:
	s_cmp_eq_u32 s15, 2
	s_cbranch_scc0 .LBB14_2682
; %bb.2633:
	s_waitcnt vmcnt(0)
	v_cmp_le_u16_sdwa s[24:25], v0, v3 src0_sel:BYTE_0 src1_sel:BYTE_0
	s_mov_b64 s[2:3], 0
	s_branch .LBB14_2683
.LBB14_2634:
	s_mov_b64 s[0:1], 0
                                        ; implicit-def: $sgpr24_sgpr25
.LBB14_2635:
	s_mov_b64 s[2:3], 0
                                        ; implicit-def: $sgpr28
                                        ; implicit-def: $vgpr0_vgpr1
.LBB14_2636:
	s_and_b64 s[4:5], s[2:3], exec
	s_andn2_b64 s[2:3], s[16:17], exec
	s_and_b64 s[8:9], s[18:19], exec
	s_and_b64 s[0:1], s[0:1], exec
	s_or_b64 s[16:17], s[2:3], s[8:9]
.LBB14_2637:
	s_or_b64 exec, exec, s[6:7]
	s_and_saveexec_b64 s[2:3], s[16:17]
	s_cbranch_execz .LBB14_2640
; %bb.2638:
	; divergent unreachable
	s_or_b64 exec, exec, s[2:3]
	s_and_saveexec_b64 s[2:3], s[4:5]
	s_xor_b64 s[2:3], exec, s[2:3]
	s_cbranch_execnz .LBB14_2641
.LBB14_2639:
	s_or_b64 exec, exec, s[2:3]
	s_and_saveexec_b64 s[2:3], s[0:1]
	s_cbranch_execnz .LBB14_2642
	s_branch .LBB14_2679
.LBB14_2640:
	s_or_b64 exec, exec, s[2:3]
	s_and_saveexec_b64 s[2:3], s[4:5]
	s_xor_b64 s[2:3], exec, s[2:3]
	s_cbranch_execz .LBB14_2639
.LBB14_2641:
	v_cndmask_b32_e64 v2, 0, 1, s[24:25]
	s_waitcnt vmcnt(0)
	global_store_byte v[0:1], v2, off
	s_or_b64 exec, exec, s[2:3]
	s_and_saveexec_b64 s[2:3], s[0:1]
	s_cbranch_execz .LBB14_2679
.LBB14_2642:
	s_sext_i32_i16 s2, s28
	s_cmp_lt_i32 s2, 5
	s_mov_b64 s[0:1], -1
	s_cbranch_scc1 .LBB14_2663
; %bb.2643:
	s_cmp_lt_i32 s2, 8
	s_cbranch_scc1 .LBB14_2653
; %bb.2644:
	s_cmp_lt_i32 s2, 9
	s_cbranch_scc1 .LBB14_2650
; %bb.2645:
	s_cmp_gt_i32 s2, 9
	s_cbranch_scc0 .LBB14_2647
; %bb.2646:
	v_cndmask_b32_e64 v2, 0, 1, s[24:25]
	s_waitcnt vmcnt(0)
	v_cvt_f64_u32_e32 v[2:3], v2
	v_mov_b32_e32 v4, 0
	v_mov_b32_e32 v5, v4
	s_mov_b64 s[0:1], 0
	global_store_dwordx4 v[0:1], v[2:5], off
.LBB14_2647:
	s_andn2_b64 vcc, exec, s[0:1]
	s_cbranch_vccnz .LBB14_2649
; %bb.2648:
	v_cndmask_b32_e64 v2, 0, 1.0, s[24:25]
	s_waitcnt vmcnt(0)
	v_mov_b32_e32 v3, 0
	global_store_dwordx2 v[0:1], v[2:3], off
.LBB14_2649:
	s_mov_b64 s[0:1], 0
.LBB14_2650:
	s_andn2_b64 vcc, exec, s[0:1]
	s_cbranch_vccnz .LBB14_2652
; %bb.2651:
	v_cndmask_b32_e64 v2, 0, 1.0, s[24:25]
	v_cvt_f16_f32_e32 v2, v2
	s_waitcnt vmcnt(0)
	global_store_dword v[0:1], v2, off
.LBB14_2652:
	s_mov_b64 s[0:1], 0
.LBB14_2653:
	s_andn2_b64 vcc, exec, s[0:1]
	s_cbranch_vccnz .LBB14_2662
; %bb.2654:
	s_sext_i32_i16 s2, s28
	s_cmp_lt_i32 s2, 6
	s_mov_b64 s[0:1], -1
	s_cbranch_scc1 .LBB14_2660
; %bb.2655:
	s_cmp_gt_i32 s2, 6
	s_cbranch_scc0 .LBB14_2657
; %bb.2656:
	v_cndmask_b32_e64 v2, 0, 1, s[24:25]
	s_waitcnt vmcnt(0)
	v_cvt_f64_u32_e32 v[2:3], v2
	s_mov_b64 s[0:1], 0
	global_store_dwordx2 v[0:1], v[2:3], off
.LBB14_2657:
	s_andn2_b64 vcc, exec, s[0:1]
	s_cbranch_vccnz .LBB14_2659
; %bb.2658:
	v_cndmask_b32_e64 v2, 0, 1.0, s[24:25]
	s_waitcnt vmcnt(0)
	global_store_dword v[0:1], v2, off
.LBB14_2659:
	s_mov_b64 s[0:1], 0
.LBB14_2660:
	s_andn2_b64 vcc, exec, s[0:1]
	s_cbranch_vccnz .LBB14_2662
; %bb.2661:
	v_cndmask_b32_e64 v2, 0, 1.0, s[24:25]
	v_cvt_f16_f32_e32 v2, v2
	s_waitcnt vmcnt(0)
	global_store_short v[0:1], v2, off
.LBB14_2662:
	s_mov_b64 s[0:1], 0
.LBB14_2663:
	s_andn2_b64 vcc, exec, s[0:1]
	s_cbranch_vccnz .LBB14_2679
; %bb.2664:
	s_sext_i32_i16 s2, s28
	s_cmp_lt_i32 s2, 2
	s_mov_b64 s[0:1], -1
	s_cbranch_scc1 .LBB14_2674
; %bb.2665:
	s_cmp_lt_i32 s2, 3
	s_cbranch_scc1 .LBB14_2671
; %bb.2666:
	s_cmp_gt_i32 s2, 3
	s_cbranch_scc0 .LBB14_2668
; %bb.2667:
	s_mov_b32 s0, 0
	v_cndmask_b32_e64 v2, 0, 1, s[24:25]
	s_waitcnt vmcnt(0)
	v_mov_b32_e32 v3, s0
	global_store_dwordx2 v[0:1], v[2:3], off
	s_mov_b64 s[0:1], 0
.LBB14_2668:
	s_andn2_b64 vcc, exec, s[0:1]
	s_cbranch_vccnz .LBB14_2670
; %bb.2669:
	v_cndmask_b32_e64 v2, 0, 1, s[24:25]
	s_waitcnt vmcnt(0)
	global_store_dword v[0:1], v2, off
.LBB14_2670:
	s_mov_b64 s[0:1], 0
.LBB14_2671:
	s_andn2_b64 vcc, exec, s[0:1]
	s_cbranch_vccnz .LBB14_2673
; %bb.2672:
	v_cndmask_b32_e64 v2, 0, 1, s[24:25]
	s_waitcnt vmcnt(0)
	global_store_short v[0:1], v2, off
.LBB14_2673:
	s_mov_b64 s[0:1], 0
.LBB14_2674:
	s_andn2_b64 vcc, exec, s[0:1]
	s_cbranch_vccnz .LBB14_2679
; %bb.2675:
	s_sext_i32_i16 s2, s28
	s_mov_b64 s[0:1], -1
	s_cmp_gt_i32 s2, 0
	v_cndmask_b32_e64 v2, 0, 1, s[24:25]
	s_cbranch_scc0 .LBB14_2677
; %bb.2676:
	s_waitcnt vmcnt(0)
	global_store_byte v[0:1], v2, off
	s_mov_b64 s[0:1], 0
.LBB14_2677:
	s_andn2_b64 vcc, exec, s[0:1]
	s_cbranch_vccnz .LBB14_2679
; %bb.2678:
	s_waitcnt vmcnt(0)
	global_store_byte v[0:1], v2, off
	s_endpgm
.LBB14_2679:
	s_endpgm
.LBB14_2680:
	s_mov_b64 s[10:11], -1
                                        ; implicit-def: $sgpr24_sgpr25
	s_mov_b64 s[2:3], 0
	s_branch .LBB14_2687
.LBB14_2681:
	s_mov_b64 s[10:11], -1
	s_mov_b64 s[2:3], 0
                                        ; implicit-def: $sgpr24_sgpr25
	s_branch .LBB14_2684
.LBB14_2682:
	s_mov_b64 s[2:3], -1
                                        ; implicit-def: $sgpr24_sgpr25
.LBB14_2683:
	s_mov_b64 s[10:11], 0
.LBB14_2684:
	s_and_b64 vcc, exec, s[10:11]
	s_cbranch_vccz .LBB14_2686
; %bb.2685:
	s_waitcnt vmcnt(0)
	v_cmp_gt_u16_sdwa s[10:11], v0, v3 src0_sel:BYTE_0 src1_sel:BYTE_0
	s_andn2_b64 s[24:25], s[24:25], exec
	s_and_b64 s[10:11], s[10:11], exec
	s_or_b64 s[24:25], s[24:25], s[10:11]
.LBB14_2686:
	s_mov_b64 s[10:11], 0
.LBB14_2687:
	s_and_b64 vcc, exec, s[10:11]
	s_cbranch_vccz .LBB14_2769
; %bb.2688:
	s_cmp_lg_u32 s15, 0
	s_mov_b64 s[0:1], -1
	s_cselect_b64 s[2:3], -1, 0
	s_andn2_b64 vcc, exec, s[2:3]
	s_cbranch_vccz .LBB14_2770
.LBB14_2689:
	s_andn2_b64 vcc, exec, s[0:1]
	s_cbranch_vccnz .LBB14_2691
.LBB14_2690:
	s_waitcnt vmcnt(0)
	v_cmp_ge_u16_sdwa s[0:1], v0, v3 src0_sel:BYTE_0 src1_sel:BYTE_0
	s_andn2_b64 s[2:3], s[24:25], exec
	s_and_b64 s[0:1], s[0:1], exec
	s_or_b64 s[24:25], s[2:3], s[0:1]
.LBB14_2691:
	v_mul_lo_u32 v2, s12, v5
	v_mov_b32_e32 v1, s9
	s_and_b32 s28, s33, 0xff
	s_cmp_lt_i32 s28, 11
	s_waitcnt vmcnt(0)
	v_ashrrev_i32_e32 v3, 31, v2
	v_add_co_u32_e32 v0, vcc, s8, v2
	v_addc_co_u32_e32 v1, vcc, v1, v3, vcc
	s_cbranch_scc1 .LBB14_2771
; %bb.2692:
	s_and_b32 s13, 0xffff, s28
	s_mov_b64 s[14:15], -1
	s_mov_b64 s[2:3], 0
	s_cmp_gt_i32 s13, 25
	s_mov_b64 s[10:11], 0
	s_mov_b64 s[0:1], 0
	s_cbranch_scc0 .LBB14_2725
; %bb.2693:
	s_cmp_gt_i32 s13, 28
	s_cbranch_scc0 .LBB14_2708
; %bb.2694:
	s_cmp_gt_i32 s13, 43
	;; [unrolled: 3-line block ×3, first 2 shown]
	s_cbranch_scc0 .LBB14_2698
; %bb.2696:
	s_mov_b64 s[0:1], -1
	s_mov_b64 s[14:15], 0
	s_cmp_eq_u32 s13, 46
	s_cbranch_scc0 .LBB14_2698
; %bb.2697:
	v_cndmask_b32_e64 v3, 0, 1.0, s[4:5]
	v_bfe_u32 v4, v3, 16, 1
	s_movk_i32 s0, 0x7fff
	v_add3_u32 v3, v3, v4, s0
	v_lshrrev_b32_e32 v3, 16, v3
	global_store_dword v[0:1], v3, off
	s_mov_b64 s[0:1], 0
	s_mov_b64 s[10:11], -1
.LBB14_2698:
	s_and_b64 vcc, exec, s[14:15]
	s_cbranch_vccz .LBB14_2703
; %bb.2699:
	s_cmp_eq_u32 s13, 44
	s_mov_b64 s[0:1], -1
	s_cbranch_scc0 .LBB14_2703
; %bb.2700:
	v_cndmask_b32_e64 v4, 0, 1.0, s[4:5]
	v_lshrrev_b32_e32 v3, 23, v4
	s_movk_i32 s0, 0xff
	v_cmp_ne_u32_e32 vcc, s0, v3
	v_mov_b32_e32 v5, 0xff
	s_and_saveexec_b64 s[10:11], vcc
; %bb.2701:
	s_mov_b32 s0, 0x3fffff
	v_and_b32_e32 v5, 0x400000, v4
	v_and_or_b32 v4, v4, s0, v3
	v_cmp_ne_u32_e32 vcc, 0, v5
	v_cmp_ne_u32_e64 s[0:1], 0, v4
	s_and_b64 s[0:1], vcc, s[0:1]
	v_cndmask_b32_e64 v4, 0, 1, s[0:1]
	v_add_u32_e32 v5, v3, v4
; %bb.2702:
	s_or_b64 exec, exec, s[10:11]
	s_mov_b64 s[0:1], 0
	s_mov_b64 s[10:11], -1
	global_store_byte v[0:1], v5, off
.LBB14_2703:
	s_mov_b64 s[14:15], 0
.LBB14_2704:
	s_and_b64 vcc, exec, s[14:15]
	s_cbranch_vccz .LBB14_2707
; %bb.2705:
	s_cmp_eq_u32 s13, 29
	s_mov_b64 s[0:1], -1
	s_cbranch_scc0 .LBB14_2707
; %bb.2706:
	s_mov_b32 s0, 0
	v_cndmask_b32_e64 v3, 0, 1, s[4:5]
	v_mov_b32_e32 v4, s0
	global_store_dwordx2 v[0:1], v[3:4], off
	s_mov_b64 s[0:1], 0
	s_mov_b64 s[10:11], -1
.LBB14_2707:
	s_mov_b64 s[14:15], 0
.LBB14_2708:
	s_and_b64 vcc, exec, s[14:15]
	s_cbranch_vccz .LBB14_2724
; %bb.2709:
	s_cmp_lt_i32 s13, 27
	s_mov_b64 s[10:11], -1
	s_cbranch_scc1 .LBB14_2715
; %bb.2710:
	s_cmp_gt_i32 s13, 27
	s_cbranch_scc0 .LBB14_2712
; %bb.2711:
	v_cndmask_b32_e64 v3, 0, 1, s[4:5]
	s_mov_b64 s[10:11], 0
	global_store_dword v[0:1], v3, off
.LBB14_2712:
	s_andn2_b64 vcc, exec, s[10:11]
	s_cbranch_vccnz .LBB14_2714
; %bb.2713:
	v_cndmask_b32_e64 v3, 0, 1, s[4:5]
	global_store_short v[0:1], v3, off
.LBB14_2714:
	s_mov_b64 s[10:11], 0
.LBB14_2715:
	s_andn2_b64 vcc, exec, s[10:11]
	s_cbranch_vccnz .LBB14_2723
; %bb.2716:
	v_cndmask_b32_e64 v4, 0, 1.0, s[4:5]
	s_mov_b32 s10, 0x43800000
	v_cmp_gt_u32_e32 vcc, s10, v4
	v_mov_b32_e32 v5, 0x80
	s_and_saveexec_b64 s[10:11], vcc
	s_cbranch_execz .LBB14_2722
; %bb.2717:
	s_mov_b32 s14, 0x3bffffff
	v_cmp_lt_u32_e32 vcc, s14, v4
	s_mov_b64 s[14:15], 0
                                        ; implicit-def: $vgpr3
	s_and_saveexec_b64 s[26:27], vcc
	s_xor_b64 s[26:27], exec, s[26:27]
	s_cbranch_execz .LBB14_3129
; %bb.2718:
	v_bfe_u32 v3, v4, 20, 1
	s_mov_b32 s29, 0x487ffff
	v_add3_u32 v3, v4, v3, s29
	s_mov_b64 s[14:15], exec
	v_lshrrev_b32_e32 v3, 20, v3
                                        ; implicit-def: $vgpr4
	s_andn2_saveexec_b64 s[26:27], s[26:27]
	s_cbranch_execnz .LBB14_3130
.LBB14_2719:
	s_or_b64 exec, exec, s[26:27]
	v_mov_b32_e32 v5, 0
	s_and_saveexec_b64 s[26:27], s[14:15]
.LBB14_2720:
	v_mov_b32_e32 v5, v3
.LBB14_2721:
	s_or_b64 exec, exec, s[26:27]
.LBB14_2722:
	s_or_b64 exec, exec, s[10:11]
	global_store_byte v[0:1], v5, off
.LBB14_2723:
	s_mov_b64 s[10:11], -1
.LBB14_2724:
	s_mov_b64 s[14:15], 0
.LBB14_2725:
	s_and_b64 vcc, exec, s[14:15]
	s_cbranch_vccz .LBB14_2765
; %bb.2726:
	s_cmp_gt_i32 s13, 22
	s_mov_b64 s[2:3], -1
	s_cbranch_scc0 .LBB14_2758
; %bb.2727:
	s_cmp_lt_i32 s13, 24
	s_cbranch_scc1 .LBB14_2747
; %bb.2728:
	s_cmp_gt_i32 s13, 24
	s_cbranch_scc0 .LBB14_2736
; %bb.2729:
	v_cndmask_b32_e64 v4, 0, 1.0, s[4:5]
	s_mov_b32 s2, 0x47800000
	v_cmp_gt_u32_e32 vcc, s2, v4
	v_mov_b32_e32 v5, 0x80
	s_and_saveexec_b64 s[2:3], vcc
	s_cbranch_execz .LBB14_2735
; %bb.2730:
	s_mov_b32 s10, 0x37ffffff
	v_cmp_lt_u32_e32 vcc, s10, v4
	s_mov_b64 s[10:11], 0
                                        ; implicit-def: $vgpr3
	s_and_saveexec_b64 s[14:15], vcc
	s_xor_b64 s[14:15], exec, s[14:15]
	s_cbranch_execz .LBB14_3132
; %bb.2731:
	v_bfe_u32 v3, v4, 21, 1
	s_mov_b32 s26, 0x88fffff
	v_add3_u32 v3, v4, v3, s26
	s_mov_b64 s[10:11], exec
	v_lshrrev_b32_e32 v3, 21, v3
                                        ; implicit-def: $vgpr4
	s_andn2_saveexec_b64 s[14:15], s[14:15]
	s_cbranch_execnz .LBB14_3133
.LBB14_2732:
	s_or_b64 exec, exec, s[14:15]
	v_mov_b32_e32 v5, 0
	s_and_saveexec_b64 s[14:15], s[10:11]
.LBB14_2733:
	v_mov_b32_e32 v5, v3
.LBB14_2734:
	s_or_b64 exec, exec, s[14:15]
.LBB14_2735:
	s_or_b64 exec, exec, s[2:3]
	s_mov_b64 s[2:3], 0
	global_store_byte v[0:1], v5, off
.LBB14_2736:
	s_and_b64 vcc, exec, s[2:3]
	s_cbranch_vccz .LBB14_2746
; %bb.2737:
	v_cndmask_b32_e64 v3, 0, 1.0, s[4:5]
	s_mov_b32 s2, 0x43f00000
	v_cmp_gt_u32_e32 vcc, s2, v3
                                        ; implicit-def: $vgpr4
	s_and_saveexec_b64 s[2:3], vcc
	s_xor_b64 s[2:3], exec, s[2:3]
	s_cbranch_execz .LBB14_2743
; %bb.2738:
	s_mov_b32 s10, 0x3c7fffff
	v_cmp_lt_u32_e32 vcc, s10, v3
                                        ; implicit-def: $vgpr4
	s_and_saveexec_b64 s[10:11], vcc
	s_xor_b64 s[10:11], exec, s[10:11]
; %bb.2739:
	v_bfe_u32 v4, v3, 20, 1
	s_mov_b32 s14, 0x407ffff
	v_add3_u32 v3, v3, v4, s14
	v_lshrrev_b32_e32 v4, 20, v3
	v_and_b32_e32 v3, 0xff00000, v3
	s_mov_b32 s14, 0x7f00000
	v_mov_b32_e32 v5, 0x7e
	v_cmp_ne_u32_e32 vcc, s14, v3
	v_cndmask_b32_e32 v4, v5, v4, vcc
                                        ; implicit-def: $vgpr3
; %bb.2740:
	s_andn2_saveexec_b64 s[10:11], s[10:11]
; %bb.2741:
	v_add_f32_e32 v4, 0x46800000, v3
; %bb.2742:
	s_or_b64 exec, exec, s[10:11]
                                        ; implicit-def: $vgpr3
.LBB14_2743:
	s_andn2_saveexec_b64 s[2:3], s[2:3]
; %bb.2744:
	s_mov_b32 s10, 0x7f800000
	v_mov_b32_e32 v4, 0x7e
	v_mov_b32_e32 v5, 0x7f
	v_cmp_lt_u32_e32 vcc, s10, v3
	v_cndmask_b32_e32 v4, v4, v5, vcc
; %bb.2745:
	s_or_b64 exec, exec, s[2:3]
	global_store_byte v[0:1], v4, off
.LBB14_2746:
	s_mov_b64 s[2:3], 0
.LBB14_2747:
	s_andn2_b64 vcc, exec, s[2:3]
	s_cbranch_vccnz .LBB14_2757
; %bb.2748:
	v_cndmask_b32_e64 v3, 0, 1.0, s[4:5]
	s_mov_b32 s2, 0x47800000
	v_cmp_gt_u32_e32 vcc, s2, v3
                                        ; implicit-def: $vgpr4
	s_and_saveexec_b64 s[2:3], vcc
	s_xor_b64 s[2:3], exec, s[2:3]
	s_cbranch_execz .LBB14_2754
; %bb.2749:
	s_mov_b32 s10, 0x387fffff
	v_cmp_lt_u32_e32 vcc, s10, v3
                                        ; implicit-def: $vgpr4
	s_and_saveexec_b64 s[10:11], vcc
	s_xor_b64 s[10:11], exec, s[10:11]
; %bb.2750:
	v_bfe_u32 v4, v3, 21, 1
	s_mov_b32 s14, 0x80fffff
	v_add3_u32 v3, v3, v4, s14
	v_lshrrev_b32_e32 v4, 21, v3
                                        ; implicit-def: $vgpr3
; %bb.2751:
	s_andn2_saveexec_b64 s[10:11], s[10:11]
; %bb.2752:
	v_add_f32_e32 v4, 0x43000000, v3
; %bb.2753:
	s_or_b64 exec, exec, s[10:11]
                                        ; implicit-def: $vgpr3
.LBB14_2754:
	s_andn2_saveexec_b64 s[2:3], s[2:3]
; %bb.2755:
	s_mov_b32 s10, 0x7f800000
	v_mov_b32_e32 v4, 0x7c
	v_mov_b32_e32 v5, 0x7f
	v_cmp_lt_u32_e32 vcc, s10, v3
	v_cndmask_b32_e32 v4, v4, v5, vcc
; %bb.2756:
	s_or_b64 exec, exec, s[2:3]
	global_store_byte v[0:1], v4, off
.LBB14_2757:
	s_mov_b64 s[2:3], 0
	s_mov_b64 s[10:11], -1
.LBB14_2758:
	s_andn2_b64 vcc, exec, s[2:3]
	s_mov_b64 s[2:3], 0
	s_cbranch_vccnz .LBB14_2765
; %bb.2759:
	s_cmp_gt_i32 s13, 14
	s_mov_b64 s[14:15], -1
	s_cbranch_scc0 .LBB14_2763
; %bb.2760:
	s_cmp_eq_u32 s13, 15
	s_mov_b64 s[0:1], -1
	s_cbranch_scc0 .LBB14_2762
; %bb.2761:
	v_cndmask_b32_e64 v3, 0, 1.0, s[4:5]
	v_bfe_u32 v4, v3, 16, 1
	s_movk_i32 s0, 0x7fff
	v_add3_u32 v3, v3, v4, s0
	global_store_short_d16_hi v[0:1], v3, off
	s_mov_b64 s[0:1], 0
	s_mov_b64 s[10:11], -1
.LBB14_2762:
	s_mov_b64 s[14:15], 0
.LBB14_2763:
	s_and_b64 vcc, exec, s[14:15]
	s_cbranch_vccz .LBB14_2765
; %bb.2764:
	s_cmp_lg_u32 s13, 11
	s_mov_b64 s[2:3], -1
	s_cselect_b64 s[0:1], -1, 0
.LBB14_2765:
	s_and_b64 vcc, exec, s[0:1]
	s_cbranch_vccnz .LBB14_3131
; %bb.2766:
	s_andn2_b64 vcc, exec, s[2:3]
	s_cbranch_vccnz .LBB14_2768
.LBB14_2767:
	v_cndmask_b32_e64 v3, 0, 1, s[4:5]
	s_mov_b64 s[10:11], -1
	global_store_byte v[0:1], v3, off
.LBB14_2768:
	s_mov_b64 s[0:1], 0
	s_branch .LBB14_2772
.LBB14_2769:
	s_andn2_b64 vcc, exec, s[2:3]
	s_cbranch_vccnz .LBB14_2689
.LBB14_2770:
	s_waitcnt vmcnt(0)
	v_cmp_lt_u16_sdwa s[2:3], v0, v3 src0_sel:BYTE_0 src1_sel:BYTE_0
	s_andn2_b64 s[10:11], s[24:25], exec
	s_and_b64 s[2:3], s[2:3], exec
	s_or_b64 s[24:25], s[10:11], s[2:3]
	s_cbranch_execz .LBB14_2690
	s_branch .LBB14_2691
.LBB14_2771:
	s_mov_b64 s[0:1], -1
	s_mov_b64 s[10:11], 0
.LBB14_2772:
	s_and_b64 vcc, exec, s[0:1]
	s_cbranch_vccz .LBB14_2811
; %bb.2773:
	s_and_b32 s2, 0xffff, s28
	s_cmp_lt_i32 s2, 5
	s_mov_b64 s[0:1], -1
	s_cbranch_scc1 .LBB14_2794
; %bb.2774:
	s_cmp_lt_i32 s2, 8
	s_cbranch_scc1 .LBB14_2784
; %bb.2775:
	s_cmp_lt_i32 s2, 9
	s_cbranch_scc1 .LBB14_2781
; %bb.2776:
	s_cmp_gt_i32 s2, 9
	s_cbranch_scc0 .LBB14_2778
; %bb.2777:
	v_cndmask_b32_e64 v3, 0, 1, s[4:5]
	v_cvt_f64_u32_e32 v[3:4], v3
	v_mov_b32_e32 v5, 0
	v_mov_b32_e32 v6, v5
	s_mov_b64 s[0:1], 0
	global_store_dwordx4 v[0:1], v[3:6], off
.LBB14_2778:
	s_andn2_b64 vcc, exec, s[0:1]
	s_cbranch_vccnz .LBB14_2780
; %bb.2779:
	v_cndmask_b32_e64 v3, 0, 1.0, s[4:5]
	v_mov_b32_e32 v4, 0
	global_store_dwordx2 v[0:1], v[3:4], off
.LBB14_2780:
	s_mov_b64 s[0:1], 0
.LBB14_2781:
	s_andn2_b64 vcc, exec, s[0:1]
	s_cbranch_vccnz .LBB14_2783
; %bb.2782:
	v_cndmask_b32_e64 v3, 0, 1.0, s[4:5]
	v_cvt_f16_f32_e32 v3, v3
	global_store_dword v[0:1], v3, off
.LBB14_2783:
	s_mov_b64 s[0:1], 0
.LBB14_2784:
	s_andn2_b64 vcc, exec, s[0:1]
	s_cbranch_vccnz .LBB14_2793
; %bb.2785:
	s_cmp_lt_i32 s2, 6
	s_mov_b64 s[0:1], -1
	s_cbranch_scc1 .LBB14_2791
; %bb.2786:
	s_cmp_gt_i32 s2, 6
	s_cbranch_scc0 .LBB14_2788
; %bb.2787:
	v_cndmask_b32_e64 v3, 0, 1, s[4:5]
	v_cvt_f64_u32_e32 v[3:4], v3
	s_mov_b64 s[0:1], 0
	global_store_dwordx2 v[0:1], v[3:4], off
.LBB14_2788:
	s_andn2_b64 vcc, exec, s[0:1]
	s_cbranch_vccnz .LBB14_2790
; %bb.2789:
	v_cndmask_b32_e64 v3, 0, 1.0, s[4:5]
	global_store_dword v[0:1], v3, off
.LBB14_2790:
	s_mov_b64 s[0:1], 0
.LBB14_2791:
	s_andn2_b64 vcc, exec, s[0:1]
	s_cbranch_vccnz .LBB14_2793
; %bb.2792:
	v_cndmask_b32_e64 v3, 0, 1.0, s[4:5]
	v_cvt_f16_f32_e32 v3, v3
	global_store_short v[0:1], v3, off
.LBB14_2793:
	s_mov_b64 s[0:1], 0
.LBB14_2794:
	s_andn2_b64 vcc, exec, s[0:1]
	s_cbranch_vccnz .LBB14_2810
; %bb.2795:
	s_cmp_lt_i32 s2, 2
	s_mov_b64 s[0:1], -1
	s_cbranch_scc1 .LBB14_2805
; %bb.2796:
	s_cmp_lt_i32 s2, 3
	s_cbranch_scc1 .LBB14_2802
; %bb.2797:
	s_cmp_gt_i32 s2, 3
	s_cbranch_scc0 .LBB14_2799
; %bb.2798:
	s_mov_b32 s0, 0
	v_cndmask_b32_e64 v3, 0, 1, s[4:5]
	v_mov_b32_e32 v4, s0
	global_store_dwordx2 v[0:1], v[3:4], off
	s_mov_b64 s[0:1], 0
.LBB14_2799:
	s_andn2_b64 vcc, exec, s[0:1]
	s_cbranch_vccnz .LBB14_2801
; %bb.2800:
	v_cndmask_b32_e64 v3, 0, 1, s[4:5]
	global_store_dword v[0:1], v3, off
.LBB14_2801:
	s_mov_b64 s[0:1], 0
.LBB14_2802:
	s_andn2_b64 vcc, exec, s[0:1]
	s_cbranch_vccnz .LBB14_2804
; %bb.2803:
	v_cndmask_b32_e64 v3, 0, 1, s[4:5]
	global_store_short v[0:1], v3, off
.LBB14_2804:
	s_mov_b64 s[0:1], 0
.LBB14_2805:
	s_andn2_b64 vcc, exec, s[0:1]
	s_cbranch_vccnz .LBB14_2810
; %bb.2806:
	s_mov_b64 s[0:1], -1
	s_cmp_gt_i32 s2, 0
	v_cndmask_b32_e64 v3, 0, 1, s[4:5]
	s_cbranch_scc0 .LBB14_2808
; %bb.2807:
	global_store_byte v[0:1], v3, off
	s_mov_b64 s[0:1], 0
.LBB14_2808:
	s_andn2_b64 vcc, exec, s[0:1]
	s_cbranch_vccnz .LBB14_2810
; %bb.2809:
	global_store_byte v[0:1], v3, off
.LBB14_2810:
	s_mov_b64 s[10:11], -1
.LBB14_2811:
	s_andn2_b64 vcc, exec, s[10:11]
	s_cbranch_vccnz .LBB14_3126
; %bb.2812:
	s_lshl_b32 s14, s12, 7
	v_add_u32_e32 v2, s14, v2
	v_ashrrev_i32_e32 v1, 31, v2
	v_mov_b32_e32 v3, s9
	v_add_co_u32_e32 v0, vcc, s8, v2
	s_cmp_lt_i32 s28, 11
	v_addc_co_u32_e32 v1, vcc, v3, v1, vcc
	s_cbranch_scc1 .LBB14_2890
; %bb.2813:
	s_and_b32 s15, 0xffff, s28
	s_mov_b64 s[10:11], -1
	s_mov_b64 s[2:3], 0
	s_cmp_gt_i32 s15, 25
	s_mov_b64 s[4:5], 0
	s_mov_b64 s[0:1], 0
	s_cbranch_scc0 .LBB14_2846
; %bb.2814:
	s_cmp_gt_i32 s15, 28
	s_cbranch_scc0 .LBB14_2829
; %bb.2815:
	s_cmp_gt_i32 s15, 43
	;; [unrolled: 3-line block ×3, first 2 shown]
	s_cbranch_scc0 .LBB14_2819
; %bb.2817:
	s_mov_b64 s[0:1], -1
	s_mov_b64 s[10:11], 0
	s_cmp_eq_u32 s15, 46
	s_cbranch_scc0 .LBB14_2819
; %bb.2818:
	v_cndmask_b32_e64 v3, 0, 1.0, s[20:21]
	v_bfe_u32 v4, v3, 16, 1
	s_movk_i32 s0, 0x7fff
	v_add3_u32 v3, v3, v4, s0
	v_lshrrev_b32_e32 v3, 16, v3
	global_store_dword v[0:1], v3, off
	s_mov_b64 s[0:1], 0
	s_mov_b64 s[4:5], -1
.LBB14_2819:
	s_and_b64 vcc, exec, s[10:11]
	s_cbranch_vccz .LBB14_2824
; %bb.2820:
	s_cmp_eq_u32 s15, 44
	s_mov_b64 s[0:1], -1
	s_cbranch_scc0 .LBB14_2824
; %bb.2821:
	v_cndmask_b32_e64 v4, 0, 1.0, s[20:21]
	v_lshrrev_b32_e32 v3, 23, v4
	s_movk_i32 s0, 0xff
	v_cmp_ne_u32_e32 vcc, s0, v3
	v_mov_b32_e32 v5, 0xff
	s_and_saveexec_b64 s[4:5], vcc
; %bb.2822:
	s_mov_b32 s0, 0x3fffff
	v_and_b32_e32 v5, 0x400000, v4
	v_and_or_b32 v4, v4, s0, v3
	v_cmp_ne_u32_e32 vcc, 0, v5
	v_cmp_ne_u32_e64 s[0:1], 0, v4
	s_and_b64 s[0:1], vcc, s[0:1]
	v_cndmask_b32_e64 v4, 0, 1, s[0:1]
	v_add_u32_e32 v5, v3, v4
; %bb.2823:
	s_or_b64 exec, exec, s[4:5]
	s_mov_b64 s[0:1], 0
	s_mov_b64 s[4:5], -1
	global_store_byte v[0:1], v5, off
.LBB14_2824:
	s_mov_b64 s[10:11], 0
.LBB14_2825:
	s_and_b64 vcc, exec, s[10:11]
	s_cbranch_vccz .LBB14_2828
; %bb.2826:
	s_cmp_eq_u32 s15, 29
	s_mov_b64 s[0:1], -1
	s_cbranch_scc0 .LBB14_2828
; %bb.2827:
	s_mov_b32 s0, 0
	v_cndmask_b32_e64 v3, 0, 1, s[20:21]
	v_mov_b32_e32 v4, s0
	global_store_dwordx2 v[0:1], v[3:4], off
	s_mov_b64 s[0:1], 0
	s_mov_b64 s[4:5], -1
.LBB14_2828:
	s_mov_b64 s[10:11], 0
.LBB14_2829:
	s_and_b64 vcc, exec, s[10:11]
	s_cbranch_vccz .LBB14_2845
; %bb.2830:
	s_cmp_lt_i32 s15, 27
	s_mov_b64 s[4:5], -1
	s_cbranch_scc1 .LBB14_2836
; %bb.2831:
	s_cmp_gt_i32 s15, 27
	s_cbranch_scc0 .LBB14_2833
; %bb.2832:
	v_cndmask_b32_e64 v3, 0, 1, s[20:21]
	s_mov_b64 s[4:5], 0
	global_store_dword v[0:1], v3, off
.LBB14_2833:
	s_andn2_b64 vcc, exec, s[4:5]
	s_cbranch_vccnz .LBB14_2835
; %bb.2834:
	v_cndmask_b32_e64 v3, 0, 1, s[20:21]
	global_store_short v[0:1], v3, off
.LBB14_2835:
	s_mov_b64 s[4:5], 0
.LBB14_2836:
	s_andn2_b64 vcc, exec, s[4:5]
	s_cbranch_vccnz .LBB14_2844
; %bb.2837:
	v_cndmask_b32_e64 v4, 0, 1.0, s[20:21]
	s_mov_b32 s4, 0x43800000
	v_cmp_gt_u32_e32 vcc, s4, v4
	v_mov_b32_e32 v5, 0x80
	s_and_saveexec_b64 s[4:5], vcc
	s_cbranch_execz .LBB14_2843
; %bb.2838:
	s_mov_b32 s10, 0x3bffffff
	v_cmp_lt_u32_e32 vcc, s10, v4
	s_mov_b64 s[10:11], 0
                                        ; implicit-def: $vgpr3
	s_and_saveexec_b64 s[12:13], vcc
	s_xor_b64 s[12:13], exec, s[12:13]
	s_cbranch_execz .LBB14_3134
; %bb.2839:
	v_bfe_u32 v3, v4, 20, 1
	s_mov_b32 s26, 0x487ffff
	v_add3_u32 v3, v4, v3, s26
	s_mov_b64 s[10:11], exec
	v_lshrrev_b32_e32 v3, 20, v3
                                        ; implicit-def: $vgpr4
	s_andn2_saveexec_b64 s[12:13], s[12:13]
	s_cbranch_execnz .LBB14_3135
.LBB14_2840:
	s_or_b64 exec, exec, s[12:13]
	v_mov_b32_e32 v5, 0
	s_and_saveexec_b64 s[12:13], s[10:11]
.LBB14_2841:
	v_mov_b32_e32 v5, v3
.LBB14_2842:
	s_or_b64 exec, exec, s[12:13]
.LBB14_2843:
	s_or_b64 exec, exec, s[4:5]
	global_store_byte v[0:1], v5, off
.LBB14_2844:
	s_mov_b64 s[4:5], -1
.LBB14_2845:
	s_mov_b64 s[10:11], 0
.LBB14_2846:
	s_and_b64 vcc, exec, s[10:11]
	s_cbranch_vccz .LBB14_2886
; %bb.2847:
	s_cmp_gt_i32 s15, 22
	s_mov_b64 s[2:3], -1
	s_cbranch_scc0 .LBB14_2879
; %bb.2848:
	s_cmp_lt_i32 s15, 24
	s_cbranch_scc1 .LBB14_2868
; %bb.2849:
	s_cmp_gt_i32 s15, 24
	s_cbranch_scc0 .LBB14_2857
; %bb.2850:
	v_cndmask_b32_e64 v4, 0, 1.0, s[20:21]
	s_mov_b32 s2, 0x47800000
	v_cmp_gt_u32_e32 vcc, s2, v4
	v_mov_b32_e32 v5, 0x80
	s_and_saveexec_b64 s[2:3], vcc
	s_cbranch_execz .LBB14_2856
; %bb.2851:
	s_mov_b32 s4, 0x37ffffff
	v_cmp_lt_u32_e32 vcc, s4, v4
	s_mov_b64 s[4:5], 0
                                        ; implicit-def: $vgpr3
	s_and_saveexec_b64 s[10:11], vcc
	s_xor_b64 s[10:11], exec, s[10:11]
	s_cbranch_execz .LBB14_3137
; %bb.2852:
	v_bfe_u32 v3, v4, 21, 1
	s_mov_b32 s12, 0x88fffff
	v_add3_u32 v3, v4, v3, s12
	s_mov_b64 s[4:5], exec
	v_lshrrev_b32_e32 v3, 21, v3
                                        ; implicit-def: $vgpr4
	s_andn2_saveexec_b64 s[10:11], s[10:11]
	s_cbranch_execnz .LBB14_3138
.LBB14_2853:
	s_or_b64 exec, exec, s[10:11]
	v_mov_b32_e32 v5, 0
	s_and_saveexec_b64 s[10:11], s[4:5]
.LBB14_2854:
	v_mov_b32_e32 v5, v3
.LBB14_2855:
	s_or_b64 exec, exec, s[10:11]
.LBB14_2856:
	s_or_b64 exec, exec, s[2:3]
	s_mov_b64 s[2:3], 0
	global_store_byte v[0:1], v5, off
.LBB14_2857:
	s_and_b64 vcc, exec, s[2:3]
	s_cbranch_vccz .LBB14_2867
; %bb.2858:
	v_cndmask_b32_e64 v3, 0, 1.0, s[20:21]
	s_mov_b32 s2, 0x43f00000
	v_cmp_gt_u32_e32 vcc, s2, v3
                                        ; implicit-def: $vgpr4
	s_and_saveexec_b64 s[2:3], vcc
	s_xor_b64 s[2:3], exec, s[2:3]
	s_cbranch_execz .LBB14_2864
; %bb.2859:
	s_mov_b32 s4, 0x3c7fffff
	v_cmp_lt_u32_e32 vcc, s4, v3
                                        ; implicit-def: $vgpr4
	s_and_saveexec_b64 s[4:5], vcc
	s_xor_b64 s[4:5], exec, s[4:5]
; %bb.2860:
	v_bfe_u32 v4, v3, 20, 1
	s_mov_b32 s10, 0x407ffff
	v_add3_u32 v3, v3, v4, s10
	v_lshrrev_b32_e32 v4, 20, v3
	v_and_b32_e32 v3, 0xff00000, v3
	s_mov_b32 s10, 0x7f00000
	v_mov_b32_e32 v5, 0x7e
	v_cmp_ne_u32_e32 vcc, s10, v3
	v_cndmask_b32_e32 v4, v5, v4, vcc
                                        ; implicit-def: $vgpr3
; %bb.2861:
	s_andn2_saveexec_b64 s[4:5], s[4:5]
; %bb.2862:
	v_add_f32_e32 v4, 0x46800000, v3
; %bb.2863:
	s_or_b64 exec, exec, s[4:5]
                                        ; implicit-def: $vgpr3
.LBB14_2864:
	s_andn2_saveexec_b64 s[2:3], s[2:3]
; %bb.2865:
	s_mov_b32 s4, 0x7f800000
	v_mov_b32_e32 v4, 0x7e
	v_mov_b32_e32 v5, 0x7f
	v_cmp_lt_u32_e32 vcc, s4, v3
	v_cndmask_b32_e32 v4, v4, v5, vcc
; %bb.2866:
	s_or_b64 exec, exec, s[2:3]
	global_store_byte v[0:1], v4, off
.LBB14_2867:
	s_mov_b64 s[2:3], 0
.LBB14_2868:
	s_andn2_b64 vcc, exec, s[2:3]
	s_cbranch_vccnz .LBB14_2878
; %bb.2869:
	v_cndmask_b32_e64 v3, 0, 1.0, s[20:21]
	s_mov_b32 s2, 0x47800000
	v_cmp_gt_u32_e32 vcc, s2, v3
                                        ; implicit-def: $vgpr4
	s_and_saveexec_b64 s[2:3], vcc
	s_xor_b64 s[2:3], exec, s[2:3]
	s_cbranch_execz .LBB14_2875
; %bb.2870:
	s_mov_b32 s4, 0x387fffff
	v_cmp_lt_u32_e32 vcc, s4, v3
                                        ; implicit-def: $vgpr4
	s_and_saveexec_b64 s[4:5], vcc
	s_xor_b64 s[4:5], exec, s[4:5]
; %bb.2871:
	v_bfe_u32 v4, v3, 21, 1
	s_mov_b32 s10, 0x80fffff
	v_add3_u32 v3, v3, v4, s10
	v_lshrrev_b32_e32 v4, 21, v3
                                        ; implicit-def: $vgpr3
; %bb.2872:
	s_andn2_saveexec_b64 s[4:5], s[4:5]
; %bb.2873:
	v_add_f32_e32 v4, 0x43000000, v3
; %bb.2874:
	s_or_b64 exec, exec, s[4:5]
                                        ; implicit-def: $vgpr3
.LBB14_2875:
	s_andn2_saveexec_b64 s[2:3], s[2:3]
; %bb.2876:
	s_mov_b32 s4, 0x7f800000
	v_mov_b32_e32 v4, 0x7c
	v_mov_b32_e32 v5, 0x7f
	v_cmp_lt_u32_e32 vcc, s4, v3
	v_cndmask_b32_e32 v4, v4, v5, vcc
; %bb.2877:
	s_or_b64 exec, exec, s[2:3]
	global_store_byte v[0:1], v4, off
.LBB14_2878:
	s_mov_b64 s[2:3], 0
	s_mov_b64 s[4:5], -1
.LBB14_2879:
	s_andn2_b64 vcc, exec, s[2:3]
	s_mov_b64 s[2:3], 0
	s_cbranch_vccnz .LBB14_2886
; %bb.2880:
	s_cmp_gt_i32 s15, 14
	s_mov_b64 s[10:11], -1
	s_cbranch_scc0 .LBB14_2884
; %bb.2881:
	s_cmp_eq_u32 s15, 15
	s_mov_b64 s[0:1], -1
	s_cbranch_scc0 .LBB14_2883
; %bb.2882:
	v_cndmask_b32_e64 v3, 0, 1.0, s[20:21]
	v_bfe_u32 v4, v3, 16, 1
	s_movk_i32 s0, 0x7fff
	v_add3_u32 v3, v3, v4, s0
	global_store_short_d16_hi v[0:1], v3, off
	s_mov_b64 s[0:1], 0
	s_mov_b64 s[4:5], -1
.LBB14_2883:
	s_mov_b64 s[10:11], 0
.LBB14_2884:
	s_and_b64 vcc, exec, s[10:11]
	s_cbranch_vccz .LBB14_2886
; %bb.2885:
	s_cmp_lg_u32 s15, 11
	s_mov_b64 s[2:3], -1
	s_cselect_b64 s[0:1], -1, 0
.LBB14_2886:
	s_and_b64 vcc, exec, s[0:1]
	s_cbranch_vccnz .LBB14_3136
; %bb.2887:
	s_andn2_b64 vcc, exec, s[2:3]
	s_cbranch_vccnz .LBB14_2889
.LBB14_2888:
	v_cndmask_b32_e64 v3, 0, 1, s[20:21]
	s_mov_b64 s[4:5], -1
	global_store_byte v[0:1], v3, off
.LBB14_2889:
	s_mov_b64 s[0:1], 0
	s_branch .LBB14_2891
.LBB14_2890:
	s_mov_b64 s[0:1], -1
	s_mov_b64 s[4:5], 0
.LBB14_2891:
	s_and_b64 vcc, exec, s[0:1]
	s_cbranch_vccz .LBB14_2930
; %bb.2892:
	s_and_b32 s2, 0xffff, s28
	s_cmp_lt_i32 s2, 5
	s_mov_b64 s[0:1], -1
	s_cbranch_scc1 .LBB14_2913
; %bb.2893:
	s_cmp_lt_i32 s2, 8
	s_cbranch_scc1 .LBB14_2903
; %bb.2894:
	s_cmp_lt_i32 s2, 9
	s_cbranch_scc1 .LBB14_2900
; %bb.2895:
	s_cmp_gt_i32 s2, 9
	s_cbranch_scc0 .LBB14_2897
; %bb.2896:
	v_cndmask_b32_e64 v3, 0, 1, s[20:21]
	v_cvt_f64_u32_e32 v[3:4], v3
	v_mov_b32_e32 v5, 0
	v_mov_b32_e32 v6, v5
	s_mov_b64 s[0:1], 0
	global_store_dwordx4 v[0:1], v[3:6], off
.LBB14_2897:
	s_andn2_b64 vcc, exec, s[0:1]
	s_cbranch_vccnz .LBB14_2899
; %bb.2898:
	v_cndmask_b32_e64 v3, 0, 1.0, s[20:21]
	v_mov_b32_e32 v4, 0
	global_store_dwordx2 v[0:1], v[3:4], off
.LBB14_2899:
	s_mov_b64 s[0:1], 0
.LBB14_2900:
	s_andn2_b64 vcc, exec, s[0:1]
	s_cbranch_vccnz .LBB14_2902
; %bb.2901:
	v_cndmask_b32_e64 v3, 0, 1.0, s[20:21]
	v_cvt_f16_f32_e32 v3, v3
	global_store_dword v[0:1], v3, off
.LBB14_2902:
	s_mov_b64 s[0:1], 0
.LBB14_2903:
	s_andn2_b64 vcc, exec, s[0:1]
	s_cbranch_vccnz .LBB14_2912
; %bb.2904:
	s_cmp_lt_i32 s2, 6
	s_mov_b64 s[0:1], -1
	s_cbranch_scc1 .LBB14_2910
; %bb.2905:
	s_cmp_gt_i32 s2, 6
	s_cbranch_scc0 .LBB14_2907
; %bb.2906:
	v_cndmask_b32_e64 v3, 0, 1, s[20:21]
	v_cvt_f64_u32_e32 v[3:4], v3
	s_mov_b64 s[0:1], 0
	global_store_dwordx2 v[0:1], v[3:4], off
.LBB14_2907:
	s_andn2_b64 vcc, exec, s[0:1]
	s_cbranch_vccnz .LBB14_2909
; %bb.2908:
	v_cndmask_b32_e64 v3, 0, 1.0, s[20:21]
	global_store_dword v[0:1], v3, off
.LBB14_2909:
	s_mov_b64 s[0:1], 0
.LBB14_2910:
	s_andn2_b64 vcc, exec, s[0:1]
	s_cbranch_vccnz .LBB14_2912
; %bb.2911:
	v_cndmask_b32_e64 v3, 0, 1.0, s[20:21]
	v_cvt_f16_f32_e32 v3, v3
	global_store_short v[0:1], v3, off
.LBB14_2912:
	s_mov_b64 s[0:1], 0
.LBB14_2913:
	s_andn2_b64 vcc, exec, s[0:1]
	s_cbranch_vccnz .LBB14_2929
; %bb.2914:
	s_cmp_lt_i32 s2, 2
	s_mov_b64 s[0:1], -1
	s_cbranch_scc1 .LBB14_2924
; %bb.2915:
	s_cmp_lt_i32 s2, 3
	s_cbranch_scc1 .LBB14_2921
; %bb.2916:
	s_cmp_gt_i32 s2, 3
	s_cbranch_scc0 .LBB14_2918
; %bb.2917:
	s_mov_b32 s0, 0
	v_cndmask_b32_e64 v3, 0, 1, s[20:21]
	v_mov_b32_e32 v4, s0
	global_store_dwordx2 v[0:1], v[3:4], off
	s_mov_b64 s[0:1], 0
.LBB14_2918:
	s_andn2_b64 vcc, exec, s[0:1]
	s_cbranch_vccnz .LBB14_2920
; %bb.2919:
	v_cndmask_b32_e64 v3, 0, 1, s[20:21]
	global_store_dword v[0:1], v3, off
.LBB14_2920:
	s_mov_b64 s[0:1], 0
.LBB14_2921:
	s_andn2_b64 vcc, exec, s[0:1]
	s_cbranch_vccnz .LBB14_2923
; %bb.2922:
	v_cndmask_b32_e64 v3, 0, 1, s[20:21]
	global_store_short v[0:1], v3, off
.LBB14_2923:
	s_mov_b64 s[0:1], 0
.LBB14_2924:
	s_andn2_b64 vcc, exec, s[0:1]
	s_cbranch_vccnz .LBB14_2929
; %bb.2925:
	s_mov_b64 s[0:1], -1
	s_cmp_gt_i32 s2, 0
	v_cndmask_b32_e64 v3, 0, 1, s[20:21]
	s_cbranch_scc0 .LBB14_2927
; %bb.2926:
	global_store_byte v[0:1], v3, off
	s_mov_b64 s[0:1], 0
.LBB14_2927:
	s_andn2_b64 vcc, exec, s[0:1]
	s_cbranch_vccnz .LBB14_2929
; %bb.2928:
	global_store_byte v[0:1], v3, off
.LBB14_2929:
	s_mov_b64 s[4:5], -1
.LBB14_2930:
	s_andn2_b64 vcc, exec, s[4:5]
	s_cbranch_vccnz .LBB14_3126
; %bb.2931:
	v_add_u32_e32 v2, s14, v2
	v_ashrrev_i32_e32 v1, 31, v2
	v_mov_b32_e32 v3, s9
	v_add_co_u32_e32 v0, vcc, s8, v2
	s_cmp_lt_i32 s28, 11
	v_addc_co_u32_e32 v1, vcc, v3, v1, vcc
	s_cbranch_scc1 .LBB14_3009
; %bb.2932:
	s_and_b32 s15, 0xffff, s28
	s_mov_b64 s[10:11], -1
	s_mov_b64 s[2:3], 0
	s_cmp_gt_i32 s15, 25
	s_mov_b64 s[4:5], 0
	s_mov_b64 s[0:1], 0
	s_cbranch_scc0 .LBB14_2965
; %bb.2933:
	s_cmp_gt_i32 s15, 28
	s_cbranch_scc0 .LBB14_2948
; %bb.2934:
	s_cmp_gt_i32 s15, 43
	;; [unrolled: 3-line block ×3, first 2 shown]
	s_cbranch_scc0 .LBB14_2938
; %bb.2936:
	s_mov_b64 s[0:1], -1
	s_mov_b64 s[10:11], 0
	s_cmp_eq_u32 s15, 46
	s_cbranch_scc0 .LBB14_2938
; %bb.2937:
	v_cndmask_b32_e64 v3, 0, 1.0, s[22:23]
	v_bfe_u32 v4, v3, 16, 1
	s_movk_i32 s0, 0x7fff
	v_add3_u32 v3, v3, v4, s0
	v_lshrrev_b32_e32 v3, 16, v3
	global_store_dword v[0:1], v3, off
	s_mov_b64 s[0:1], 0
	s_mov_b64 s[4:5], -1
.LBB14_2938:
	s_and_b64 vcc, exec, s[10:11]
	s_cbranch_vccz .LBB14_2943
; %bb.2939:
	s_cmp_eq_u32 s15, 44
	s_mov_b64 s[0:1], -1
	s_cbranch_scc0 .LBB14_2943
; %bb.2940:
	v_cndmask_b32_e64 v4, 0, 1.0, s[22:23]
	v_lshrrev_b32_e32 v3, 23, v4
	s_movk_i32 s0, 0xff
	v_cmp_ne_u32_e32 vcc, s0, v3
	v_mov_b32_e32 v5, 0xff
	s_and_saveexec_b64 s[4:5], vcc
; %bb.2941:
	s_mov_b32 s0, 0x3fffff
	v_and_b32_e32 v5, 0x400000, v4
	v_and_or_b32 v4, v4, s0, v3
	v_cmp_ne_u32_e32 vcc, 0, v5
	v_cmp_ne_u32_e64 s[0:1], 0, v4
	s_and_b64 s[0:1], vcc, s[0:1]
	v_cndmask_b32_e64 v4, 0, 1, s[0:1]
	v_add_u32_e32 v5, v3, v4
; %bb.2942:
	s_or_b64 exec, exec, s[4:5]
	s_mov_b64 s[0:1], 0
	s_mov_b64 s[4:5], -1
	global_store_byte v[0:1], v5, off
.LBB14_2943:
	s_mov_b64 s[10:11], 0
.LBB14_2944:
	s_and_b64 vcc, exec, s[10:11]
	s_cbranch_vccz .LBB14_2947
; %bb.2945:
	s_cmp_eq_u32 s15, 29
	s_mov_b64 s[0:1], -1
	s_cbranch_scc0 .LBB14_2947
; %bb.2946:
	s_mov_b32 s0, 0
	v_cndmask_b32_e64 v3, 0, 1, s[22:23]
	v_mov_b32_e32 v4, s0
	global_store_dwordx2 v[0:1], v[3:4], off
	s_mov_b64 s[0:1], 0
	s_mov_b64 s[4:5], -1
.LBB14_2947:
	s_mov_b64 s[10:11], 0
.LBB14_2948:
	s_and_b64 vcc, exec, s[10:11]
	s_cbranch_vccz .LBB14_2964
; %bb.2949:
	s_cmp_lt_i32 s15, 27
	s_mov_b64 s[4:5], -1
	s_cbranch_scc1 .LBB14_2955
; %bb.2950:
	s_cmp_gt_i32 s15, 27
	s_cbranch_scc0 .LBB14_2952
; %bb.2951:
	v_cndmask_b32_e64 v3, 0, 1, s[22:23]
	s_mov_b64 s[4:5], 0
	global_store_dword v[0:1], v3, off
.LBB14_2952:
	s_andn2_b64 vcc, exec, s[4:5]
	s_cbranch_vccnz .LBB14_2954
; %bb.2953:
	v_cndmask_b32_e64 v3, 0, 1, s[22:23]
	global_store_short v[0:1], v3, off
.LBB14_2954:
	s_mov_b64 s[4:5], 0
.LBB14_2955:
	s_andn2_b64 vcc, exec, s[4:5]
	s_cbranch_vccnz .LBB14_2963
; %bb.2956:
	v_cndmask_b32_e64 v4, 0, 1.0, s[22:23]
	s_mov_b32 s4, 0x43800000
	v_cmp_gt_u32_e32 vcc, s4, v4
	v_mov_b32_e32 v5, 0x80
	s_and_saveexec_b64 s[4:5], vcc
	s_cbranch_execz .LBB14_2962
; %bb.2957:
	s_mov_b32 s10, 0x3bffffff
	v_cmp_lt_u32_e32 vcc, s10, v4
	s_mov_b64 s[10:11], 0
                                        ; implicit-def: $vgpr3
	s_and_saveexec_b64 s[12:13], vcc
	s_xor_b64 s[12:13], exec, s[12:13]
	s_cbranch_execz .LBB14_3139
; %bb.2958:
	v_bfe_u32 v3, v4, 20, 1
	s_mov_b32 s20, 0x487ffff
	v_add3_u32 v3, v4, v3, s20
	s_mov_b64 s[10:11], exec
	v_lshrrev_b32_e32 v3, 20, v3
                                        ; implicit-def: $vgpr4
	s_andn2_saveexec_b64 s[12:13], s[12:13]
	s_cbranch_execnz .LBB14_3140
.LBB14_2959:
	s_or_b64 exec, exec, s[12:13]
	v_mov_b32_e32 v5, 0
	s_and_saveexec_b64 s[12:13], s[10:11]
.LBB14_2960:
	v_mov_b32_e32 v5, v3
.LBB14_2961:
	s_or_b64 exec, exec, s[12:13]
.LBB14_2962:
	s_or_b64 exec, exec, s[4:5]
	global_store_byte v[0:1], v5, off
.LBB14_2963:
	s_mov_b64 s[4:5], -1
.LBB14_2964:
	s_mov_b64 s[10:11], 0
.LBB14_2965:
	s_and_b64 vcc, exec, s[10:11]
	s_cbranch_vccz .LBB14_3005
; %bb.2966:
	s_cmp_gt_i32 s15, 22
	s_mov_b64 s[2:3], -1
	s_cbranch_scc0 .LBB14_2998
; %bb.2967:
	s_cmp_lt_i32 s15, 24
	s_cbranch_scc1 .LBB14_2987
; %bb.2968:
	s_cmp_gt_i32 s15, 24
	s_cbranch_scc0 .LBB14_2976
; %bb.2969:
	v_cndmask_b32_e64 v4, 0, 1.0, s[22:23]
	s_mov_b32 s2, 0x47800000
	v_cmp_gt_u32_e32 vcc, s2, v4
	v_mov_b32_e32 v5, 0x80
	s_and_saveexec_b64 s[2:3], vcc
	s_cbranch_execz .LBB14_2975
; %bb.2970:
	s_mov_b32 s4, 0x37ffffff
	v_cmp_lt_u32_e32 vcc, s4, v4
	s_mov_b64 s[4:5], 0
                                        ; implicit-def: $vgpr3
	s_and_saveexec_b64 s[10:11], vcc
	s_xor_b64 s[10:11], exec, s[10:11]
	s_cbranch_execz .LBB14_3142
; %bb.2971:
	v_bfe_u32 v3, v4, 21, 1
	s_mov_b32 s12, 0x88fffff
	v_add3_u32 v3, v4, v3, s12
	s_mov_b64 s[4:5], exec
	v_lshrrev_b32_e32 v3, 21, v3
                                        ; implicit-def: $vgpr4
	s_andn2_saveexec_b64 s[10:11], s[10:11]
	s_cbranch_execnz .LBB14_3143
.LBB14_2972:
	s_or_b64 exec, exec, s[10:11]
	v_mov_b32_e32 v5, 0
	s_and_saveexec_b64 s[10:11], s[4:5]
.LBB14_2973:
	v_mov_b32_e32 v5, v3
.LBB14_2974:
	s_or_b64 exec, exec, s[10:11]
.LBB14_2975:
	s_or_b64 exec, exec, s[2:3]
	s_mov_b64 s[2:3], 0
	global_store_byte v[0:1], v5, off
.LBB14_2976:
	s_and_b64 vcc, exec, s[2:3]
	s_cbranch_vccz .LBB14_2986
; %bb.2977:
	v_cndmask_b32_e64 v3, 0, 1.0, s[22:23]
	s_mov_b32 s2, 0x43f00000
	v_cmp_gt_u32_e32 vcc, s2, v3
                                        ; implicit-def: $vgpr4
	s_and_saveexec_b64 s[2:3], vcc
	s_xor_b64 s[2:3], exec, s[2:3]
	s_cbranch_execz .LBB14_2983
; %bb.2978:
	s_mov_b32 s4, 0x3c7fffff
	v_cmp_lt_u32_e32 vcc, s4, v3
                                        ; implicit-def: $vgpr4
	s_and_saveexec_b64 s[4:5], vcc
	s_xor_b64 s[4:5], exec, s[4:5]
; %bb.2979:
	v_bfe_u32 v4, v3, 20, 1
	s_mov_b32 s10, 0x407ffff
	v_add3_u32 v3, v3, v4, s10
	v_lshrrev_b32_e32 v4, 20, v3
	v_and_b32_e32 v3, 0xff00000, v3
	s_mov_b32 s10, 0x7f00000
	v_mov_b32_e32 v5, 0x7e
	v_cmp_ne_u32_e32 vcc, s10, v3
	v_cndmask_b32_e32 v4, v5, v4, vcc
                                        ; implicit-def: $vgpr3
; %bb.2980:
	s_andn2_saveexec_b64 s[4:5], s[4:5]
; %bb.2981:
	v_add_f32_e32 v4, 0x46800000, v3
; %bb.2982:
	s_or_b64 exec, exec, s[4:5]
                                        ; implicit-def: $vgpr3
.LBB14_2983:
	s_andn2_saveexec_b64 s[2:3], s[2:3]
; %bb.2984:
	s_mov_b32 s4, 0x7f800000
	v_mov_b32_e32 v4, 0x7e
	v_mov_b32_e32 v5, 0x7f
	v_cmp_lt_u32_e32 vcc, s4, v3
	v_cndmask_b32_e32 v4, v4, v5, vcc
; %bb.2985:
	s_or_b64 exec, exec, s[2:3]
	global_store_byte v[0:1], v4, off
.LBB14_2986:
	s_mov_b64 s[2:3], 0
.LBB14_2987:
	s_andn2_b64 vcc, exec, s[2:3]
	s_cbranch_vccnz .LBB14_2997
; %bb.2988:
	v_cndmask_b32_e64 v3, 0, 1.0, s[22:23]
	s_mov_b32 s2, 0x47800000
	v_cmp_gt_u32_e32 vcc, s2, v3
                                        ; implicit-def: $vgpr4
	s_and_saveexec_b64 s[2:3], vcc
	s_xor_b64 s[2:3], exec, s[2:3]
	s_cbranch_execz .LBB14_2994
; %bb.2989:
	s_mov_b32 s4, 0x387fffff
	v_cmp_lt_u32_e32 vcc, s4, v3
                                        ; implicit-def: $vgpr4
	s_and_saveexec_b64 s[4:5], vcc
	s_xor_b64 s[4:5], exec, s[4:5]
; %bb.2990:
	v_bfe_u32 v4, v3, 21, 1
	s_mov_b32 s10, 0x80fffff
	v_add3_u32 v3, v3, v4, s10
	v_lshrrev_b32_e32 v4, 21, v3
                                        ; implicit-def: $vgpr3
; %bb.2991:
	s_andn2_saveexec_b64 s[4:5], s[4:5]
; %bb.2992:
	v_add_f32_e32 v4, 0x43000000, v3
; %bb.2993:
	s_or_b64 exec, exec, s[4:5]
                                        ; implicit-def: $vgpr3
.LBB14_2994:
	s_andn2_saveexec_b64 s[2:3], s[2:3]
; %bb.2995:
	s_mov_b32 s4, 0x7f800000
	v_mov_b32_e32 v4, 0x7c
	v_mov_b32_e32 v5, 0x7f
	v_cmp_lt_u32_e32 vcc, s4, v3
	v_cndmask_b32_e32 v4, v4, v5, vcc
; %bb.2996:
	s_or_b64 exec, exec, s[2:3]
	global_store_byte v[0:1], v4, off
.LBB14_2997:
	s_mov_b64 s[2:3], 0
	s_mov_b64 s[4:5], -1
.LBB14_2998:
	s_andn2_b64 vcc, exec, s[2:3]
	s_mov_b64 s[2:3], 0
	s_cbranch_vccnz .LBB14_3005
; %bb.2999:
	s_cmp_gt_i32 s15, 14
	s_mov_b64 s[10:11], -1
	s_cbranch_scc0 .LBB14_3003
; %bb.3000:
	s_cmp_eq_u32 s15, 15
	s_mov_b64 s[0:1], -1
	s_cbranch_scc0 .LBB14_3002
; %bb.3001:
	v_cndmask_b32_e64 v3, 0, 1.0, s[22:23]
	v_bfe_u32 v4, v3, 16, 1
	s_movk_i32 s0, 0x7fff
	v_add3_u32 v3, v3, v4, s0
	global_store_short_d16_hi v[0:1], v3, off
	s_mov_b64 s[0:1], 0
	s_mov_b64 s[4:5], -1
.LBB14_3002:
	s_mov_b64 s[10:11], 0
.LBB14_3003:
	s_and_b64 vcc, exec, s[10:11]
	s_cbranch_vccz .LBB14_3005
; %bb.3004:
	s_cmp_lg_u32 s15, 11
	s_mov_b64 s[2:3], -1
	s_cselect_b64 s[0:1], -1, 0
.LBB14_3005:
	s_and_b64 vcc, exec, s[0:1]
	s_cbranch_vccnz .LBB14_3141
; %bb.3006:
	s_andn2_b64 vcc, exec, s[2:3]
	s_cbranch_vccnz .LBB14_3008
.LBB14_3007:
	v_cndmask_b32_e64 v3, 0, 1, s[22:23]
	s_mov_b64 s[4:5], -1
	global_store_byte v[0:1], v3, off
.LBB14_3008:
	s_mov_b64 s[0:1], 0
	s_branch .LBB14_3010
.LBB14_3009:
	s_mov_b64 s[0:1], -1
	s_mov_b64 s[4:5], 0
.LBB14_3010:
	s_and_b64 vcc, exec, s[0:1]
	s_cbranch_vccz .LBB14_3049
; %bb.3011:
	s_and_b32 s2, 0xffff, s28
	s_cmp_lt_i32 s2, 5
	s_mov_b64 s[0:1], -1
	s_cbranch_scc1 .LBB14_3032
; %bb.3012:
	s_cmp_lt_i32 s2, 8
	s_cbranch_scc1 .LBB14_3022
; %bb.3013:
	s_cmp_lt_i32 s2, 9
	s_cbranch_scc1 .LBB14_3019
; %bb.3014:
	s_cmp_gt_i32 s2, 9
	s_cbranch_scc0 .LBB14_3016
; %bb.3015:
	v_cndmask_b32_e64 v3, 0, 1, s[22:23]
	v_cvt_f64_u32_e32 v[3:4], v3
	v_mov_b32_e32 v5, 0
	v_mov_b32_e32 v6, v5
	s_mov_b64 s[0:1], 0
	global_store_dwordx4 v[0:1], v[3:6], off
.LBB14_3016:
	s_andn2_b64 vcc, exec, s[0:1]
	s_cbranch_vccnz .LBB14_3018
; %bb.3017:
	v_cndmask_b32_e64 v3, 0, 1.0, s[22:23]
	v_mov_b32_e32 v4, 0
	global_store_dwordx2 v[0:1], v[3:4], off
.LBB14_3018:
	s_mov_b64 s[0:1], 0
.LBB14_3019:
	s_andn2_b64 vcc, exec, s[0:1]
	s_cbranch_vccnz .LBB14_3021
; %bb.3020:
	v_cndmask_b32_e64 v3, 0, 1.0, s[22:23]
	v_cvt_f16_f32_e32 v3, v3
	global_store_dword v[0:1], v3, off
.LBB14_3021:
	s_mov_b64 s[0:1], 0
.LBB14_3022:
	s_andn2_b64 vcc, exec, s[0:1]
	s_cbranch_vccnz .LBB14_3031
; %bb.3023:
	s_cmp_lt_i32 s2, 6
	s_mov_b64 s[0:1], -1
	s_cbranch_scc1 .LBB14_3029
; %bb.3024:
	s_cmp_gt_i32 s2, 6
	s_cbranch_scc0 .LBB14_3026
; %bb.3025:
	v_cndmask_b32_e64 v3, 0, 1, s[22:23]
	v_cvt_f64_u32_e32 v[3:4], v3
	s_mov_b64 s[0:1], 0
	global_store_dwordx2 v[0:1], v[3:4], off
.LBB14_3026:
	s_andn2_b64 vcc, exec, s[0:1]
	s_cbranch_vccnz .LBB14_3028
; %bb.3027:
	v_cndmask_b32_e64 v3, 0, 1.0, s[22:23]
	global_store_dword v[0:1], v3, off
.LBB14_3028:
	s_mov_b64 s[0:1], 0
.LBB14_3029:
	s_andn2_b64 vcc, exec, s[0:1]
	s_cbranch_vccnz .LBB14_3031
; %bb.3030:
	v_cndmask_b32_e64 v3, 0, 1.0, s[22:23]
	v_cvt_f16_f32_e32 v3, v3
	global_store_short v[0:1], v3, off
.LBB14_3031:
	s_mov_b64 s[0:1], 0
.LBB14_3032:
	s_andn2_b64 vcc, exec, s[0:1]
	s_cbranch_vccnz .LBB14_3048
; %bb.3033:
	s_cmp_lt_i32 s2, 2
	s_mov_b64 s[0:1], -1
	s_cbranch_scc1 .LBB14_3043
; %bb.3034:
	s_cmp_lt_i32 s2, 3
	s_cbranch_scc1 .LBB14_3040
; %bb.3035:
	s_cmp_gt_i32 s2, 3
	s_cbranch_scc0 .LBB14_3037
; %bb.3036:
	s_mov_b32 s0, 0
	v_cndmask_b32_e64 v3, 0, 1, s[22:23]
	v_mov_b32_e32 v4, s0
	global_store_dwordx2 v[0:1], v[3:4], off
	s_mov_b64 s[0:1], 0
.LBB14_3037:
	s_andn2_b64 vcc, exec, s[0:1]
	s_cbranch_vccnz .LBB14_3039
; %bb.3038:
	v_cndmask_b32_e64 v3, 0, 1, s[22:23]
	global_store_dword v[0:1], v3, off
.LBB14_3039:
	s_mov_b64 s[0:1], 0
.LBB14_3040:
	s_andn2_b64 vcc, exec, s[0:1]
	s_cbranch_vccnz .LBB14_3042
; %bb.3041:
	v_cndmask_b32_e64 v3, 0, 1, s[22:23]
	global_store_short v[0:1], v3, off
.LBB14_3042:
	s_mov_b64 s[0:1], 0
.LBB14_3043:
	s_andn2_b64 vcc, exec, s[0:1]
	s_cbranch_vccnz .LBB14_3048
; %bb.3044:
	s_mov_b64 s[0:1], -1
	s_cmp_gt_i32 s2, 0
	v_cndmask_b32_e64 v3, 0, 1, s[22:23]
	s_cbranch_scc0 .LBB14_3046
; %bb.3045:
	global_store_byte v[0:1], v3, off
	s_mov_b64 s[0:1], 0
.LBB14_3046:
	s_andn2_b64 vcc, exec, s[0:1]
	s_cbranch_vccnz .LBB14_3048
; %bb.3047:
	global_store_byte v[0:1], v3, off
.LBB14_3048:
	s_mov_b64 s[4:5], -1
.LBB14_3049:
	s_andn2_b64 vcc, exec, s[4:5]
	s_cbranch_vccnz .LBB14_3126
; %bb.3050:
	v_add_u32_e32 v0, s14, v2
	v_ashrrev_i32_e32 v1, 31, v0
	v_mov_b32_e32 v2, s9
	v_add_co_u32_e32 v0, vcc, s8, v0
	s_cmp_lt_i32 s28, 11
	v_addc_co_u32_e32 v1, vcc, v2, v1, vcc
	s_cbranch_scc1 .LBB14_3127
; %bb.3051:
	s_and_b32 s12, 0xffff, s28
	s_mov_b64 s[4:5], -1
	s_mov_b64 s[2:3], 0
	s_cmp_gt_i32 s12, 25
	s_mov_b64 s[0:1], 0
	s_cbranch_scc0 .LBB14_3084
; %bb.3052:
	s_cmp_gt_i32 s12, 28
	s_cbranch_scc0 .LBB14_3068
; %bb.3053:
	s_cmp_gt_i32 s12, 43
	;; [unrolled: 3-line block ×3, first 2 shown]
	s_cbranch_scc0 .LBB14_3058
; %bb.3055:
	s_cmp_eq_u32 s12, 46
	s_mov_b64 s[0:1], -1
	s_cbranch_scc0 .LBB14_3057
; %bb.3056:
	v_cndmask_b32_e64 v2, 0, 1.0, s[24:25]
	v_bfe_u32 v3, v2, 16, 1
	s_movk_i32 s0, 0x7fff
	v_add3_u32 v2, v2, v3, s0
	v_lshrrev_b32_e32 v2, 16, v2
	global_store_dword v[0:1], v2, off
	s_mov_b64 s[0:1], 0
.LBB14_3057:
	s_mov_b64 s[4:5], 0
.LBB14_3058:
	s_and_b64 vcc, exec, s[4:5]
	s_cbranch_vccz .LBB14_3063
; %bb.3059:
	s_cmp_eq_u32 s12, 44
	s_mov_b64 s[0:1], -1
	s_cbranch_scc0 .LBB14_3063
; %bb.3060:
	v_cndmask_b32_e64 v3, 0, 1.0, s[24:25]
	v_lshrrev_b32_e32 v2, 23, v3
	s_movk_i32 s0, 0xff
	v_cmp_ne_u32_e32 vcc, s0, v2
	v_mov_b32_e32 v4, 0xff
	s_and_saveexec_b64 s[4:5], vcc
; %bb.3061:
	s_mov_b32 s0, 0x3fffff
	v_and_b32_e32 v4, 0x400000, v3
	v_and_or_b32 v3, v3, s0, v2
	v_cmp_ne_u32_e32 vcc, 0, v4
	v_cmp_ne_u32_e64 s[0:1], 0, v3
	s_and_b64 s[0:1], vcc, s[0:1]
	v_cndmask_b32_e64 v3, 0, 1, s[0:1]
	v_add_u32_e32 v4, v2, v3
; %bb.3062:
	s_or_b64 exec, exec, s[4:5]
	s_mov_b64 s[0:1], 0
	global_store_byte v[0:1], v4, off
.LBB14_3063:
	s_mov_b64 s[4:5], 0
.LBB14_3064:
	s_and_b64 vcc, exec, s[4:5]
	s_cbranch_vccz .LBB14_3067
; %bb.3065:
	s_cmp_eq_u32 s12, 29
	s_mov_b64 s[0:1], -1
	s_cbranch_scc0 .LBB14_3067
; %bb.3066:
	s_mov_b32 s0, 0
	v_cndmask_b32_e64 v2, 0, 1, s[24:25]
	v_mov_b32_e32 v3, s0
	global_store_dwordx2 v[0:1], v[2:3], off
	s_mov_b64 s[0:1], 0
.LBB14_3067:
	s_mov_b64 s[4:5], 0
.LBB14_3068:
	s_and_b64 vcc, exec, s[4:5]
	s_cbranch_vccz .LBB14_3083
; %bb.3069:
	s_cmp_lt_i32 s12, 27
	s_mov_b64 s[4:5], -1
	s_cbranch_scc1 .LBB14_3075
; %bb.3070:
	s_cmp_gt_i32 s12, 27
	v_cndmask_b32_e64 v2, 0, 1, s[24:25]
	s_cbranch_scc0 .LBB14_3072
; %bb.3071:
	global_store_dword v[0:1], v2, off
	s_mov_b64 s[4:5], 0
.LBB14_3072:
	s_andn2_b64 vcc, exec, s[4:5]
	s_cbranch_vccnz .LBB14_3074
; %bb.3073:
	global_store_short v[0:1], v2, off
.LBB14_3074:
	s_mov_b64 s[4:5], 0
.LBB14_3075:
	s_andn2_b64 vcc, exec, s[4:5]
	s_cbranch_vccnz .LBB14_3083
; %bb.3076:
	v_cndmask_b32_e64 v3, 0, 1.0, s[24:25]
	s_mov_b32 s4, 0x43800000
	v_cmp_gt_u32_e32 vcc, s4, v3
	v_mov_b32_e32 v4, 0x80
	s_and_saveexec_b64 s[4:5], vcc
	s_cbranch_execz .LBB14_3082
; %bb.3077:
	s_mov_b32 s8, 0x3bffffff
	v_cmp_lt_u32_e32 vcc, s8, v3
	s_mov_b64 s[8:9], 0
                                        ; implicit-def: $vgpr2
	s_and_saveexec_b64 s[10:11], vcc
	s_xor_b64 s[10:11], exec, s[10:11]
	s_cbranch_execz .LBB14_3144
; %bb.3078:
	v_bfe_u32 v2, v3, 20, 1
	s_mov_b32 s13, 0x487ffff
	v_add3_u32 v2, v3, v2, s13
	s_mov_b64 s[8:9], exec
	v_lshrrev_b32_e32 v2, 20, v2
                                        ; implicit-def: $vgpr3
	s_andn2_saveexec_b64 s[10:11], s[10:11]
	s_cbranch_execnz .LBB14_3145
.LBB14_3079:
	s_or_b64 exec, exec, s[10:11]
	v_mov_b32_e32 v4, 0
	s_and_saveexec_b64 s[10:11], s[8:9]
.LBB14_3080:
	v_mov_b32_e32 v4, v2
.LBB14_3081:
	s_or_b64 exec, exec, s[10:11]
.LBB14_3082:
	s_or_b64 exec, exec, s[4:5]
	global_store_byte v[0:1], v4, off
.LBB14_3083:
	s_mov_b64 s[4:5], 0
.LBB14_3084:
	s_and_b64 vcc, exec, s[4:5]
	s_cbranch_vccz .LBB14_3124
; %bb.3085:
	s_cmp_gt_i32 s12, 22
	s_mov_b64 s[2:3], -1
	s_cbranch_scc0 .LBB14_3117
; %bb.3086:
	s_cmp_lt_i32 s12, 24
	s_cbranch_scc1 .LBB14_3106
; %bb.3087:
	s_cmp_gt_i32 s12, 24
	s_cbranch_scc0 .LBB14_3095
; %bb.3088:
	v_cndmask_b32_e64 v3, 0, 1.0, s[24:25]
	s_mov_b32 s2, 0x47800000
	v_cmp_gt_u32_e32 vcc, s2, v3
	v_mov_b32_e32 v4, 0x80
	s_and_saveexec_b64 s[2:3], vcc
	s_cbranch_execz .LBB14_3094
; %bb.3089:
	s_mov_b32 s4, 0x37ffffff
	v_cmp_lt_u32_e32 vcc, s4, v3
	s_mov_b64 s[4:5], 0
                                        ; implicit-def: $vgpr2
	s_and_saveexec_b64 s[8:9], vcc
	s_xor_b64 s[8:9], exec, s[8:9]
	s_cbranch_execz .LBB14_3147
; %bb.3090:
	v_bfe_u32 v2, v3, 21, 1
	s_mov_b32 s10, 0x88fffff
	v_add3_u32 v2, v3, v2, s10
	s_mov_b64 s[4:5], exec
	v_lshrrev_b32_e32 v2, 21, v2
                                        ; implicit-def: $vgpr3
	s_andn2_saveexec_b64 s[8:9], s[8:9]
	s_cbranch_execnz .LBB14_3148
.LBB14_3091:
	s_or_b64 exec, exec, s[8:9]
	v_mov_b32_e32 v4, 0
	s_and_saveexec_b64 s[8:9], s[4:5]
.LBB14_3092:
	v_mov_b32_e32 v4, v2
.LBB14_3093:
	s_or_b64 exec, exec, s[8:9]
.LBB14_3094:
	s_or_b64 exec, exec, s[2:3]
	s_mov_b64 s[2:3], 0
	global_store_byte v[0:1], v4, off
.LBB14_3095:
	s_and_b64 vcc, exec, s[2:3]
	s_cbranch_vccz .LBB14_3105
; %bb.3096:
	v_cndmask_b32_e64 v2, 0, 1.0, s[24:25]
	s_mov_b32 s2, 0x43f00000
	v_cmp_gt_u32_e32 vcc, s2, v2
                                        ; implicit-def: $vgpr3
	s_and_saveexec_b64 s[2:3], vcc
	s_xor_b64 s[2:3], exec, s[2:3]
	s_cbranch_execz .LBB14_3102
; %bb.3097:
	s_mov_b32 s4, 0x3c7fffff
	v_cmp_lt_u32_e32 vcc, s4, v2
                                        ; implicit-def: $vgpr3
	s_and_saveexec_b64 s[4:5], vcc
	s_xor_b64 s[4:5], exec, s[4:5]
; %bb.3098:
	v_bfe_u32 v3, v2, 20, 1
	s_mov_b32 s8, 0x407ffff
	v_add3_u32 v2, v2, v3, s8
	v_lshrrev_b32_e32 v3, 20, v2
	v_and_b32_e32 v2, 0xff00000, v2
	s_mov_b32 s8, 0x7f00000
	v_mov_b32_e32 v4, 0x7e
	v_cmp_ne_u32_e32 vcc, s8, v2
	v_cndmask_b32_e32 v3, v4, v3, vcc
                                        ; implicit-def: $vgpr2
; %bb.3099:
	s_andn2_saveexec_b64 s[4:5], s[4:5]
; %bb.3100:
	v_add_f32_e32 v3, 0x46800000, v2
; %bb.3101:
	s_or_b64 exec, exec, s[4:5]
                                        ; implicit-def: $vgpr2
.LBB14_3102:
	s_andn2_saveexec_b64 s[2:3], s[2:3]
; %bb.3103:
	s_mov_b32 s4, 0x7f800000
	v_mov_b32_e32 v3, 0x7e
	v_mov_b32_e32 v4, 0x7f
	v_cmp_lt_u32_e32 vcc, s4, v2
	v_cndmask_b32_e32 v3, v3, v4, vcc
; %bb.3104:
	s_or_b64 exec, exec, s[2:3]
	global_store_byte v[0:1], v3, off
.LBB14_3105:
	s_mov_b64 s[2:3], 0
.LBB14_3106:
	s_andn2_b64 vcc, exec, s[2:3]
	s_cbranch_vccnz .LBB14_3116
; %bb.3107:
	v_cndmask_b32_e64 v2, 0, 1.0, s[24:25]
	s_mov_b32 s2, 0x47800000
	v_cmp_gt_u32_e32 vcc, s2, v2
                                        ; implicit-def: $vgpr3
	s_and_saveexec_b64 s[2:3], vcc
	s_xor_b64 s[2:3], exec, s[2:3]
	s_cbranch_execz .LBB14_3113
; %bb.3108:
	s_mov_b32 s4, 0x387fffff
	v_cmp_lt_u32_e32 vcc, s4, v2
                                        ; implicit-def: $vgpr3
	s_and_saveexec_b64 s[4:5], vcc
	s_xor_b64 s[4:5], exec, s[4:5]
; %bb.3109:
	v_bfe_u32 v3, v2, 21, 1
	s_mov_b32 s8, 0x80fffff
	v_add3_u32 v2, v2, v3, s8
	v_lshrrev_b32_e32 v3, 21, v2
                                        ; implicit-def: $vgpr2
; %bb.3110:
	s_andn2_saveexec_b64 s[4:5], s[4:5]
; %bb.3111:
	v_add_f32_e32 v3, 0x43000000, v2
; %bb.3112:
	s_or_b64 exec, exec, s[4:5]
                                        ; implicit-def: $vgpr2
.LBB14_3113:
	s_andn2_saveexec_b64 s[2:3], s[2:3]
; %bb.3114:
	s_mov_b32 s4, 0x7f800000
	v_mov_b32_e32 v3, 0x7c
	v_mov_b32_e32 v4, 0x7f
	v_cmp_lt_u32_e32 vcc, s4, v2
	v_cndmask_b32_e32 v3, v3, v4, vcc
; %bb.3115:
	s_or_b64 exec, exec, s[2:3]
	global_store_byte v[0:1], v3, off
.LBB14_3116:
	s_mov_b64 s[2:3], 0
.LBB14_3117:
	s_andn2_b64 vcc, exec, s[2:3]
	s_mov_b64 s[2:3], 0
	s_cbranch_vccnz .LBB14_3124
; %bb.3118:
	s_cmp_gt_i32 s12, 14
	s_mov_b64 s[4:5], -1
	s_cbranch_scc0 .LBB14_3122
; %bb.3119:
	s_cmp_eq_u32 s12, 15
	s_mov_b64 s[0:1], -1
	s_cbranch_scc0 .LBB14_3121
; %bb.3120:
	v_cndmask_b32_e64 v2, 0, 1.0, s[24:25]
	v_bfe_u32 v3, v2, 16, 1
	s_movk_i32 s0, 0x7fff
	v_add3_u32 v2, v2, v3, s0
	global_store_short_d16_hi v[0:1], v2, off
	s_mov_b64 s[0:1], 0
.LBB14_3121:
	s_mov_b64 s[4:5], 0
.LBB14_3122:
	s_and_b64 vcc, exec, s[4:5]
	s_cbranch_vccz .LBB14_3124
; %bb.3123:
	s_cmp_lg_u32 s12, 11
	s_mov_b64 s[2:3], -1
	s_cselect_b64 s[0:1], -1, 0
.LBB14_3124:
	s_and_b64 vcc, exec, s[0:1]
	s_cbranch_vccnz .LBB14_3146
.LBB14_3125:
	s_mov_b64 s[0:1], 0
	s_branch .LBB14_2636
.LBB14_3126:
	s_mov_b64 s[0:1], 0
	s_branch .LBB14_2635
.LBB14_3127:
	s_mov_b64 s[2:3], 0
	s_mov_b64 s[0:1], -1
	s_branch .LBB14_2636
.LBB14_3128:
	s_trap 2
	s_or_b64 s[18:19], s[18:19], exec
	s_cbranch_execz .LBB14_2578
	s_branch .LBB14_2579
.LBB14_3129:
	s_andn2_saveexec_b64 s[26:27], s[26:27]
	s_cbranch_execz .LBB14_2719
.LBB14_3130:
	v_add_f32_e32 v3, 0x46000000, v4
	v_and_b32_e32 v3, 0xff, v3
	v_cmp_ne_u32_e32 vcc, 0, v3
	s_andn2_b64 s[14:15], s[14:15], exec
	s_and_b64 s[30:31], vcc, exec
	s_or_b64 s[14:15], s[14:15], s[30:31]
	s_or_b64 exec, exec, s[26:27]
	v_mov_b32_e32 v5, 0
	s_and_saveexec_b64 s[26:27], s[14:15]
	s_cbranch_execnz .LBB14_2720
	s_branch .LBB14_2721
.LBB14_3131:
	s_trap 2
	s_or_b64 s[18:19], s[18:19], exec
	s_cbranch_execz .LBB14_2767
	s_branch .LBB14_2768
.LBB14_3132:
	s_andn2_saveexec_b64 s[14:15], s[14:15]
	s_cbranch_execz .LBB14_2732
.LBB14_3133:
	v_add_f32_e32 v3, 0x42800000, v4
	v_and_b32_e32 v3, 0xff, v3
	v_cmp_ne_u32_e32 vcc, 0, v3
	s_andn2_b64 s[10:11], s[10:11], exec
	s_and_b64 s[26:27], vcc, exec
	s_or_b64 s[10:11], s[10:11], s[26:27]
	s_or_b64 exec, exec, s[14:15]
	v_mov_b32_e32 v5, 0
	s_and_saveexec_b64 s[14:15], s[10:11]
	s_cbranch_execnz .LBB14_2733
	s_branch .LBB14_2734
.LBB14_3134:
	s_andn2_saveexec_b64 s[12:13], s[12:13]
	s_cbranch_execz .LBB14_2840
.LBB14_3135:
	v_add_f32_e32 v3, 0x46000000, v4
	v_and_b32_e32 v3, 0xff, v3
	v_cmp_ne_u32_e32 vcc, 0, v3
	s_andn2_b64 s[10:11], s[10:11], exec
	s_and_b64 s[26:27], vcc, exec
	s_or_b64 s[10:11], s[10:11], s[26:27]
	s_or_b64 exec, exec, s[12:13]
	v_mov_b32_e32 v5, 0
	s_and_saveexec_b64 s[12:13], s[10:11]
	s_cbranch_execnz .LBB14_2841
	s_branch .LBB14_2842
.LBB14_3136:
	s_trap 2
	s_or_b64 s[18:19], s[18:19], exec
	s_cbranch_execz .LBB14_2888
	s_branch .LBB14_2889
.LBB14_3137:
	s_andn2_saveexec_b64 s[10:11], s[10:11]
	s_cbranch_execz .LBB14_2853
.LBB14_3138:
	v_add_f32_e32 v3, 0x42800000, v4
	v_and_b32_e32 v3, 0xff, v3
	v_cmp_ne_u32_e32 vcc, 0, v3
	s_andn2_b64 s[4:5], s[4:5], exec
	s_and_b64 s[12:13], vcc, exec
	s_or_b64 s[4:5], s[4:5], s[12:13]
	s_or_b64 exec, exec, s[10:11]
	v_mov_b32_e32 v5, 0
	s_and_saveexec_b64 s[10:11], s[4:5]
	s_cbranch_execnz .LBB14_2854
	s_branch .LBB14_2855
.LBB14_3139:
	s_andn2_saveexec_b64 s[12:13], s[12:13]
	s_cbranch_execz .LBB14_2959
.LBB14_3140:
	v_add_f32_e32 v3, 0x46000000, v4
	v_and_b32_e32 v3, 0xff, v3
	v_cmp_ne_u32_e32 vcc, 0, v3
	s_andn2_b64 s[10:11], s[10:11], exec
	s_and_b64 s[20:21], vcc, exec
	s_or_b64 s[10:11], s[10:11], s[20:21]
	s_or_b64 exec, exec, s[12:13]
	v_mov_b32_e32 v5, 0
	s_and_saveexec_b64 s[12:13], s[10:11]
	s_cbranch_execnz .LBB14_2960
	s_branch .LBB14_2961
.LBB14_3141:
	s_trap 2
	s_or_b64 s[18:19], s[18:19], exec
	s_cbranch_execz .LBB14_3007
	s_branch .LBB14_3008
.LBB14_3142:
	s_andn2_saveexec_b64 s[10:11], s[10:11]
	s_cbranch_execz .LBB14_2972
.LBB14_3143:
	v_add_f32_e32 v3, 0x42800000, v4
	v_and_b32_e32 v3, 0xff, v3
	v_cmp_ne_u32_e32 vcc, 0, v3
	s_andn2_b64 s[4:5], s[4:5], exec
	s_and_b64 s[12:13], vcc, exec
	s_or_b64 s[4:5], s[4:5], s[12:13]
	s_or_b64 exec, exec, s[10:11]
	v_mov_b32_e32 v5, 0
	s_and_saveexec_b64 s[10:11], s[4:5]
	s_cbranch_execnz .LBB14_2973
	s_branch .LBB14_2974
.LBB14_3144:
	s_andn2_saveexec_b64 s[10:11], s[10:11]
	s_cbranch_execz .LBB14_3079
.LBB14_3145:
	v_add_f32_e32 v2, 0x46000000, v3
	v_and_b32_e32 v2, 0xff, v2
	v_cmp_ne_u32_e32 vcc, 0, v2
	s_andn2_b64 s[8:9], s[8:9], exec
	s_and_b64 s[14:15], vcc, exec
	s_or_b64 s[8:9], s[8:9], s[14:15]
	s_or_b64 exec, exec, s[10:11]
	v_mov_b32_e32 v4, 0
	s_and_saveexec_b64 s[10:11], s[8:9]
	s_cbranch_execnz .LBB14_3080
	s_branch .LBB14_3081
.LBB14_3146:
	s_mov_b64 s[2:3], 0
	s_or_b64 s[18:19], s[18:19], exec
	s_trap 2
	s_branch .LBB14_3125
.LBB14_3147:
	s_andn2_saveexec_b64 s[8:9], s[8:9]
	s_cbranch_execz .LBB14_3091
.LBB14_3148:
	v_add_f32_e32 v2, 0x42800000, v3
	v_and_b32_e32 v2, 0xff, v2
	v_cmp_ne_u32_e32 vcc, 0, v2
	s_andn2_b64 s[4:5], s[4:5], exec
	s_and_b64 s[10:11], vcc, exec
	s_or_b64 s[4:5], s[4:5], s[10:11]
	s_or_b64 exec, exec, s[8:9]
	v_mov_b32_e32 v4, 0
	s_and_saveexec_b64 s[8:9], s[4:5]
	s_cbranch_execnz .LBB14_3092
	s_branch .LBB14_3093
	.section	.rodata,"a",@progbits
	.p2align	6, 0x0
	.amdhsa_kernel _ZN2at6native32elementwise_kernel_manual_unrollILi128ELi4EZNS0_15gpu_kernel_implINS0_12_GLOBAL__N_114CompareFunctorIhEEEEvRNS_18TensorIteratorBaseERKT_EUlibE_EEviT1_
		.amdhsa_group_segment_fixed_size 0
		.amdhsa_private_segment_fixed_size 0
		.amdhsa_kernarg_size 56
		.amdhsa_user_sgpr_count 6
		.amdhsa_user_sgpr_private_segment_buffer 1
		.amdhsa_user_sgpr_dispatch_ptr 0
		.amdhsa_user_sgpr_queue_ptr 0
		.amdhsa_user_sgpr_kernarg_segment_ptr 1
		.amdhsa_user_sgpr_dispatch_id 0
		.amdhsa_user_sgpr_flat_scratch_init 0
		.amdhsa_user_sgpr_private_segment_size 0
		.amdhsa_uses_dynamic_stack 0
		.amdhsa_system_sgpr_private_segment_wavefront_offset 0
		.amdhsa_system_sgpr_workgroup_id_x 1
		.amdhsa_system_sgpr_workgroup_id_y 0
		.amdhsa_system_sgpr_workgroup_id_z 0
		.amdhsa_system_sgpr_workgroup_info 0
		.amdhsa_system_vgpr_workitem_id 0
		.amdhsa_next_free_vgpr 12
		.amdhsa_next_free_sgpr 57
		.amdhsa_reserve_vcc 1
		.amdhsa_reserve_flat_scratch 0
		.amdhsa_float_round_mode_32 0
		.amdhsa_float_round_mode_16_64 0
		.amdhsa_float_denorm_mode_32 3
		.amdhsa_float_denorm_mode_16_64 3
		.amdhsa_dx10_clamp 1
		.amdhsa_ieee_mode 1
		.amdhsa_fp16_overflow 0
		.amdhsa_exception_fp_ieee_invalid_op 0
		.amdhsa_exception_fp_denorm_src 0
		.amdhsa_exception_fp_ieee_div_zero 0
		.amdhsa_exception_fp_ieee_overflow 0
		.amdhsa_exception_fp_ieee_underflow 0
		.amdhsa_exception_fp_ieee_inexact 0
		.amdhsa_exception_int_div_zero 0
	.end_amdhsa_kernel
	.section	.text._ZN2at6native32elementwise_kernel_manual_unrollILi128ELi4EZNS0_15gpu_kernel_implINS0_12_GLOBAL__N_114CompareFunctorIhEEEEvRNS_18TensorIteratorBaseERKT_EUlibE_EEviT1_,"axG",@progbits,_ZN2at6native32elementwise_kernel_manual_unrollILi128ELi4EZNS0_15gpu_kernel_implINS0_12_GLOBAL__N_114CompareFunctorIhEEEEvRNS_18TensorIteratorBaseERKT_EUlibE_EEviT1_,comdat
.Lfunc_end14:
	.size	_ZN2at6native32elementwise_kernel_manual_unrollILi128ELi4EZNS0_15gpu_kernel_implINS0_12_GLOBAL__N_114CompareFunctorIhEEEEvRNS_18TensorIteratorBaseERKT_EUlibE_EEviT1_, .Lfunc_end14-_ZN2at6native32elementwise_kernel_manual_unrollILi128ELi4EZNS0_15gpu_kernel_implINS0_12_GLOBAL__N_114CompareFunctorIhEEEEvRNS_18TensorIteratorBaseERKT_EUlibE_EEviT1_
                                        ; -- End function
	.set _ZN2at6native32elementwise_kernel_manual_unrollILi128ELi4EZNS0_15gpu_kernel_implINS0_12_GLOBAL__N_114CompareFunctorIhEEEEvRNS_18TensorIteratorBaseERKT_EUlibE_EEviT1_.num_vgpr, 12
	.set _ZN2at6native32elementwise_kernel_manual_unrollILi128ELi4EZNS0_15gpu_kernel_implINS0_12_GLOBAL__N_114CompareFunctorIhEEEEvRNS_18TensorIteratorBaseERKT_EUlibE_EEviT1_.num_agpr, 0
	.set _ZN2at6native32elementwise_kernel_manual_unrollILi128ELi4EZNS0_15gpu_kernel_implINS0_12_GLOBAL__N_114CompareFunctorIhEEEEvRNS_18TensorIteratorBaseERKT_EUlibE_EEviT1_.numbered_sgpr, 57
	.set _ZN2at6native32elementwise_kernel_manual_unrollILi128ELi4EZNS0_15gpu_kernel_implINS0_12_GLOBAL__N_114CompareFunctorIhEEEEvRNS_18TensorIteratorBaseERKT_EUlibE_EEviT1_.num_named_barrier, 0
	.set _ZN2at6native32elementwise_kernel_manual_unrollILi128ELi4EZNS0_15gpu_kernel_implINS0_12_GLOBAL__N_114CompareFunctorIhEEEEvRNS_18TensorIteratorBaseERKT_EUlibE_EEviT1_.private_seg_size, 0
	.set _ZN2at6native32elementwise_kernel_manual_unrollILi128ELi4EZNS0_15gpu_kernel_implINS0_12_GLOBAL__N_114CompareFunctorIhEEEEvRNS_18TensorIteratorBaseERKT_EUlibE_EEviT1_.uses_vcc, 1
	.set _ZN2at6native32elementwise_kernel_manual_unrollILi128ELi4EZNS0_15gpu_kernel_implINS0_12_GLOBAL__N_114CompareFunctorIhEEEEvRNS_18TensorIteratorBaseERKT_EUlibE_EEviT1_.uses_flat_scratch, 0
	.set _ZN2at6native32elementwise_kernel_manual_unrollILi128ELi4EZNS0_15gpu_kernel_implINS0_12_GLOBAL__N_114CompareFunctorIhEEEEvRNS_18TensorIteratorBaseERKT_EUlibE_EEviT1_.has_dyn_sized_stack, 0
	.set _ZN2at6native32elementwise_kernel_manual_unrollILi128ELi4EZNS0_15gpu_kernel_implINS0_12_GLOBAL__N_114CompareFunctorIhEEEEvRNS_18TensorIteratorBaseERKT_EUlibE_EEviT1_.has_recursion, 0
	.set _ZN2at6native32elementwise_kernel_manual_unrollILi128ELi4EZNS0_15gpu_kernel_implINS0_12_GLOBAL__N_114CompareFunctorIhEEEEvRNS_18TensorIteratorBaseERKT_EUlibE_EEviT1_.has_indirect_call, 0
	.section	.AMDGPU.csdata,"",@progbits
; Kernel info:
; codeLenInByte = 54252
; TotalNumSgprs: 61
; NumVgprs: 12
; ScratchSize: 0
; MemoryBound: 1
; FloatMode: 240
; IeeeMode: 1
; LDSByteSize: 0 bytes/workgroup (compile time only)
; SGPRBlocks: 7
; VGPRBlocks: 2
; NumSGPRsForWavesPerEU: 61
; NumVGPRsForWavesPerEU: 12
; Occupancy: 10
; WaveLimiterHint : 0
; COMPUTE_PGM_RSRC2:SCRATCH_EN: 0
; COMPUTE_PGM_RSRC2:USER_SGPR: 6
; COMPUTE_PGM_RSRC2:TRAP_HANDLER: 0
; COMPUTE_PGM_RSRC2:TGID_X_EN: 1
; COMPUTE_PGM_RSRC2:TGID_Y_EN: 0
; COMPUTE_PGM_RSRC2:TGID_Z_EN: 0
; COMPUTE_PGM_RSRC2:TIDIG_COMP_CNT: 0
	.section	.text._ZN2at6native32elementwise_kernel_manual_unrollILi128ELi4EZNS0_15gpu_kernel_implINS0_12_GLOBAL__N_114CompareFunctorIhEEEEvRNS_18TensorIteratorBaseERKT_EUlibE0_EEviT1_,"axG",@progbits,_ZN2at6native32elementwise_kernel_manual_unrollILi128ELi4EZNS0_15gpu_kernel_implINS0_12_GLOBAL__N_114CompareFunctorIhEEEEvRNS_18TensorIteratorBaseERKT_EUlibE0_EEviT1_,comdat
	.globl	_ZN2at6native32elementwise_kernel_manual_unrollILi128ELi4EZNS0_15gpu_kernel_implINS0_12_GLOBAL__N_114CompareFunctorIhEEEEvRNS_18TensorIteratorBaseERKT_EUlibE0_EEviT1_ ; -- Begin function _ZN2at6native32elementwise_kernel_manual_unrollILi128ELi4EZNS0_15gpu_kernel_implINS0_12_GLOBAL__N_114CompareFunctorIhEEEEvRNS_18TensorIteratorBaseERKT_EUlibE0_EEviT1_
	.p2align	8
	.type	_ZN2at6native32elementwise_kernel_manual_unrollILi128ELi4EZNS0_15gpu_kernel_implINS0_12_GLOBAL__N_114CompareFunctorIhEEEEvRNS_18TensorIteratorBaseERKT_EUlibE0_EEviT1_,@function
_ZN2at6native32elementwise_kernel_manual_unrollILi128ELi4EZNS0_15gpu_kernel_implINS0_12_GLOBAL__N_114CompareFunctorIhEEEEvRNS_18TensorIteratorBaseERKT_EUlibE0_EEviT1_: ; @_ZN2at6native32elementwise_kernel_manual_unrollILi128ELi4EZNS0_15gpu_kernel_implINS0_12_GLOBAL__N_114CompareFunctorIhEEEEvRNS_18TensorIteratorBaseERKT_EUlibE0_EEviT1_
; %bb.0:
	s_load_dword s68, s[4:5], 0x0
	s_load_dword s33, s[4:5], 0x8
	s_add_u32 s2, s4, 8
	s_addc_u32 s3, s5, 0
	v_lshl_or_b32 v8, s6, 9, v0
	v_or_b32_e32 v23, 0x180, v8
	s_waitcnt lgkmcnt(0)
	s_add_i32 s70, s33, -1
	s_cmp_gt_u32 s70, 1
	v_cmp_le_i32_e32 vcc, s68, v23
	s_cselect_b64 s[24:25], -1, 0
	s_mov_b64 s[6:7], 0
	s_mov_b64 s[12:13], 0
	s_and_saveexec_b64 s[0:1], vcc
	s_xor_b64 s[26:27], exec, s[0:1]
	s_cbranch_execz .LBB15_1623
; %bb.1:
	s_cmp_lg_u32 s33, 0
	s_load_dwordx4 s[16:19], s[2:3], 0x4
	s_load_dwordx2 s[30:31], s[2:3], 0x14
	s_load_dwordx8 s[8:15], s[2:3], 0x188
	s_load_dwordx4 s[20:23], s[2:3], 0xc4
	s_load_dwordx2 s[28:29], s[2:3], 0xd4
	s_cselect_b64 s[36:37], -1, 0
	s_min_u32 s73, s70, 15
	s_cmp_gt_u32 s33, 1
	s_cselect_b64 s[34:35], -1, 0
	s_waitcnt lgkmcnt(0)
	s_lshr_b32 s72, s15, 8
	s_lshr_b32 s71, s15, 16
	v_cmp_gt_i32_e32 vcc, s68, v8
	s_mov_b64 s[0:1], -1
	s_mov_b64 s[48:49], 0
	s_mov_b64 s[42:43], 0
	;; [unrolled: 1-line block ×4, first 2 shown]
	s_and_saveexec_b64 s[44:45], vcc
	s_cbranch_execz .LBB15_402
; %bb.2:
	s_andn2_b64 vcc, exec, s[24:25]
	s_cbranch_vccnz .LBB15_8
; %bb.3:
	s_andn2_b64 vcc, exec, s[36:37]
	s_cbranch_vccnz .LBB15_9
; %bb.4:
	s_add_i32 s0, s73, 1
	s_and_b32 s38, s0, 30
	s_add_u32 s0, s2, 0xffffffe8
	s_addc_u32 s1, s3, -1
	v_mov_b32_e32 v3, 0
	v_mov_b32_e32 v5, 0
	;; [unrolled: 1-line block ×4, first 2 shown]
.LBB15_5:                               ; =>This Inner Loop Header: Depth=1
	s_load_dwordx4 s[40:43], s[0:1], 0x1c
	s_load_dwordx2 s[46:47], s[0:1], 0x2c
	s_load_dwordx2 s[50:51], s[0:1], 0xec
	s_load_dwordx4 s[52:55], s[0:1], 0xdc
	s_add_u32 s0, s0, 24
	s_waitcnt lgkmcnt(0)
	v_mul_hi_u32 v2, s41, v1
	s_addc_u32 s1, s1, 0
	s_add_i32 s38, s38, -2
	s_cmp_lg_u32 s38, 0
	v_add_u32_e32 v2, v1, v2
	v_lshrrev_b32_e32 v2, s42, v2
	v_mul_lo_u32 v4, v2, s40
	v_mul_hi_u32 v6, s46, v2
	v_sub_u32_e32 v4, v1, v4
	v_add_u32_e32 v1, v2, v6
	v_lshrrev_b32_e32 v1, s47, v1
	v_mul_lo_u32 v9, v1, s43
	v_mul_lo_u32 v6, v4, s52
	v_mul_lo_u32 v7, v4, s53
	v_mul_lo_u32 v4, v4, s54
	v_sub_u32_e32 v2, v2, v9
	v_mul_lo_u32 v9, v2, s55
	v_mul_lo_u32 v10, v2, s50
	;; [unrolled: 1-line block ×3, first 2 shown]
	v_add3_u32 v0, v6, v0, v9
	v_add3_u32 v5, v7, v5, v10
	;; [unrolled: 1-line block ×3, first 2 shown]
	s_cbranch_scc1 .LBB15_5
; %bb.6:
	s_bitcmp1_b32 s73, 0
	s_cselect_b64 s[38:39], -1, 0
	s_and_b64 vcc, exec, s[38:39]
	s_cbranch_vccnz .LBB15_10
; %bb.7:
	s_load_dwordx2 s[38:39], s[0:1], 0x1c
	s_load_dword s42, s[0:1], 0x24
	s_load_dwordx2 s[40:41], s[0:1], 0xdc
	s_waitcnt lgkmcnt(0)
	v_mul_hi_u32 v2, s39, v1
	v_add_u32_e32 v2, v1, v2
	v_lshrrev_b32_e32 v2, s42, v2
	v_mul_lo_u32 v2, v2, s38
	s_load_dword s38, s[0:1], 0xe4
	v_sub_u32_e32 v2, v1, v2
	v_mad_u64_u32 v[0:1], s[0:1], v2, s40, v[0:1]
	v_mad_u64_u32 v[5:6], s[0:1], v2, s41, v[5:6]
	s_waitcnt lgkmcnt(0)
	v_mad_u64_u32 v[3:4], s[0:1], v2, s38, v[3:4]
	s_cbranch_execz .LBB15_11
	s_branch .LBB15_13
.LBB15_8:
                                        ; implicit-def: $vgpr0
                                        ; implicit-def: $vgpr5
                                        ; implicit-def: $vgpr3
	s_andn2_b64 vcc, exec, s[0:1]
	s_cbranch_vccz .LBB15_11
	s_branch .LBB15_13
.LBB15_9:
	v_mov_b32_e32 v0, 0
	v_mov_b32_e32 v5, 0
	;; [unrolled: 1-line block ×3, first 2 shown]
.LBB15_10:
	s_cbranch_execnz .LBB15_13
.LBB15_11:
	v_mul_hi_u32 v0, s17, v8
	s_andn2_b64 vcc, exec, s[34:35]
	v_add_u32_e32 v0, v8, v0
	v_lshrrev_b32_e32 v1, s18, v0
	v_mul_lo_u32 v0, v1, s16
	v_sub_u32_e32 v2, v8, v0
	v_mul_lo_u32 v0, v2, s20
	v_mul_lo_u32 v5, v2, s21
	;; [unrolled: 1-line block ×3, first 2 shown]
	s_cbranch_vccnz .LBB15_13
; %bb.12:
	v_mul_hi_u32 v2, s30, v1
	v_add_u32_e32 v2, v1, v2
	v_lshrrev_b32_e32 v2, s31, v2
	v_mul_lo_u32 v2, v2, s19
	v_sub_u32_e32 v2, v1, v2
	v_mad_u64_u32 v[0:1], s[0:1], v2, s23, v[0:1]
	v_mad_u64_u32 v[5:6], s[0:1], v2, s28, v[5:6]
	;; [unrolled: 1-line block ×3, first 2 shown]
.LBB15_13:
	v_mov_b32_e32 v1, s11
	s_and_b32 s40, s72, 0xff
	v_add_co_u32_e32 v4, vcc, s10, v5
	s_cmp_lt_i32 s40, 11
	v_addc_co_u32_e32 v5, vcc, 0, v1, vcc
	s_cbranch_scc1 .LBB15_20
; %bb.14:
	s_and_b32 s41, 0xffff, s40
	s_cmp_gt_i32 s41, 25
	s_cbranch_scc0 .LBB15_29
; %bb.15:
	s_cmp_gt_i32 s41, 28
	s_cbranch_scc0 .LBB15_36
; %bb.16:
	;; [unrolled: 3-line block ×4, first 2 shown]
	s_cmp_eq_u32 s41, 46
	s_mov_b64 s[38:39], 0
	s_cbranch_scc0 .LBB15_64
; %bb.19:
	global_load_dword v1, v[4:5], off
	s_mov_b32 s0, 0x2f800000
	s_mov_b32 s1, 0xcf800000
	s_mov_b64 s[42:43], 0
	s_waitcnt vmcnt(0)
	v_lshlrev_b32_e32 v1, 16, v1
	v_trunc_f32_e32 v1, v1
	v_mul_f32_e64 v2, |v1|, s0
	v_floor_f32_e32 v2, v2
	v_fma_f32 v2, v2, s1, |v1|
	v_cvt_u32_f32_e32 v2, v2
	v_ashrrev_i32_e32 v1, 31, v1
	s_mov_b64 s[0:1], -1
	v_xor_b32_e32 v2, v2, v1
	v_sub_u32_e32 v1, v2, v1
	s_branch .LBB15_66
.LBB15_20:
	s_mov_b64 s[42:43], 0
                                        ; implicit-def: $vgpr1
	s_mov_b64 s[0:1], 0
	s_cbranch_execnz .LBB15_128
.LBB15_21:
	s_andn2_b64 vcc, exec, s[0:1]
	s_cbranch_vccnz .LBB15_175
.LBB15_22:
	v_mov_b32_e32 v4, s13
	s_and_b32 s46, s71, 0xff
	s_waitcnt vmcnt(0)
	v_add_co_u32_e32 v2, vcc, s12, v3
	s_cmp_lt_i32 s46, 11
	v_addc_co_u32_e32 v3, vcc, 0, v4, vcc
	s_cbranch_scc1 .LBB15_30
; %bb.23:
	s_and_b32 s47, 0xffff, s46
	s_cmp_gt_i32 s47, 25
	s_cbranch_scc0 .LBB15_37
; %bb.24:
	s_cmp_gt_i32 s47, 28
	s_cbranch_scc0 .LBB15_42
; %bb.25:
	;; [unrolled: 3-line block ×4, first 2 shown]
	s_cmp_eq_u32 s47, 46
	s_mov_b64 s[38:39], 0
	s_cbranch_scc0 .LBB15_176
; %bb.28:
	global_load_dword v4, v[2:3], off
	s_mov_b32 s0, 0x2f800000
	s_mov_b32 s1, 0xcf800000
	s_mov_b64 s[40:41], 0
	s_waitcnt vmcnt(0)
	v_lshlrev_b32_e32 v4, 16, v4
	v_trunc_f32_e32 v4, v4
	v_mul_f32_e64 v5, |v4|, s0
	v_floor_f32_e32 v5, v5
	v_fma_f32 v5, v5, s1, |v4|
	v_cvt_u32_f32_e32 v5, v5
	v_ashrrev_i32_e32 v4, 31, v4
	s_mov_b64 s[0:1], -1
	v_xor_b32_e32 v5, v5, v4
	v_sub_u32_e32 v4, v5, v4
	s_branch .LBB15_178
.LBB15_29:
	s_mov_b64 s[42:43], 0
	s_mov_b64 s[0:1], 0
                                        ; implicit-def: $vgpr1
	s_cbranch_execnz .LBB15_95
	s_branch .LBB15_127
.LBB15_30:
	s_mov_b64 s[40:41], 0
                                        ; implicit-def: $vgpr4
	s_mov_b64 s[0:1], 0
	s_cbranch_execnz .LBB15_351
.LBB15_31:
	s_andn2_b64 vcc, exec, s[0:1]
	s_cbranch_vccnz .LBB15_399
.LBB15_32:
	s_cmp_lt_i32 s14, 1
	s_mov_b64 s[0:1], 0
	s_cbranch_scc1 .LBB15_38
; %bb.33:
	s_cmp_gt_i32 s14, 1
	s_cbranch_scc0 .LBB15_43
; %bb.34:
	s_cmp_eq_u32 s14, 2
	s_cbranch_scc0 .LBB15_46
; %bb.35:
	s_waitcnt vmcnt(0)
	v_cmp_le_u16_sdwa s[38:39], v1, v4 src0_sel:BYTE_0 src1_sel:BYTE_0
	s_mov_b64 s[46:47], 0
	s_branch .LBB15_47
.LBB15_36:
	s_mov_b64 s[38:39], -1
	s_mov_b64 s[42:43], 0
	s_mov_b64 s[0:1], 0
                                        ; implicit-def: $vgpr1
	s_branch .LBB15_78
.LBB15_37:
	s_mov_b64 s[38:39], -1
	s_mov_b64 s[40:41], 0
	s_mov_b64 s[0:1], 0
                                        ; implicit-def: $vgpr4
	s_branch .LBB15_317
.LBB15_38:
                                        ; implicit-def: $sgpr38_sgpr39
	s_mov_b64 s[46:47], 0
	s_cbranch_execnz .LBB15_51
.LBB15_39:
	s_andn2_b64 vcc, exec, s[46:47]
	s_cbranch_vccnz .LBB15_52
.LBB15_40:
	s_waitcnt vmcnt(0)
	v_cmp_lt_u16_sdwa s[46:47], v1, v4 src0_sel:BYTE_0 src1_sel:BYTE_0
	s_andn2_b64 s[38:39], s[38:39], exec
	s_and_b64 s[46:47], s[46:47], exec
	s_or_b64 s[38:39], s[38:39], s[46:47]
	s_cbranch_execz .LBB15_53
	s_branch .LBB15_54
.LBB15_41:
	s_mov_b64 s[38:39], -1
	s_mov_b64 s[42:43], 0
	s_mov_b64 s[0:1], 0
                                        ; implicit-def: $vgpr1
	s_branch .LBB15_73
.LBB15_42:
	s_mov_b64 s[38:39], -1
	s_mov_b64 s[40:41], 0
	s_mov_b64 s[0:1], 0
                                        ; implicit-def: $vgpr4
	s_branch .LBB15_300
.LBB15_43:
	s_mov_b64 s[50:51], -1
	s_mov_b64 s[46:47], 0
                                        ; implicit-def: $sgpr38_sgpr39
	s_branch .LBB15_48
.LBB15_44:
	s_mov_b64 s[38:39], -1
	s_mov_b64 s[42:43], 0
	s_branch .LBB15_65
.LBB15_45:
	s_mov_b64 s[38:39], -1
	s_mov_b64 s[40:41], 0
	s_mov_b64 s[0:1], 0
                                        ; implicit-def: $vgpr4
	s_branch .LBB15_295
.LBB15_46:
	s_mov_b64 s[46:47], -1
                                        ; implicit-def: $sgpr38_sgpr39
.LBB15_47:
	s_mov_b64 s[50:51], 0
.LBB15_48:
	s_and_b64 vcc, exec, s[50:51]
	s_cbranch_vccz .LBB15_50
; %bb.49:
	s_waitcnt vmcnt(0)
	v_cmp_gt_u16_sdwa s[50:51], v1, v4 src0_sel:BYTE_0 src1_sel:BYTE_0
	s_andn2_b64 s[38:39], s[38:39], exec
	s_and_b64 s[50:51], s[50:51], exec
	s_or_b64 s[38:39], s[38:39], s[50:51]
.LBB15_50:
	s_branch .LBB15_39
.LBB15_51:
	s_cmp_lg_u32 s14, 0
	s_mov_b64 s[0:1], -1
	s_cselect_b64 s[46:47], -1, 0
	s_andn2_b64 vcc, exec, s[46:47]
	s_cbranch_vccz .LBB15_40
.LBB15_52:
	s_andn2_b64 vcc, exec, s[0:1]
	s_cbranch_vccnz .LBB15_54
.LBB15_53:
	s_waitcnt vmcnt(0)
	v_cmp_ge_u16_sdwa s[0:1], v1, v4 src0_sel:BYTE_0 src1_sel:BYTE_0
	s_andn2_b64 s[38:39], s[38:39], exec
	s_and_b64 s[0:1], s[0:1], exec
	s_or_b64 s[38:39], s[38:39], s[0:1]
.LBB15_54:
	v_mov_b32_e32 v1, s9
	s_and_b32 s54, s15, 0xff
	v_add_co_u32_e32 v0, vcc, s8, v0
	s_cmp_lt_i32 s54, 11
	v_addc_co_u32_e32 v1, vcc, 0, v1, vcc
	s_cbranch_scc1 .LBB15_61
; %bb.55:
	s_and_b32 s55, 0xffff, s54
	s_cmp_gt_i32 s55, 25
	s_cbranch_scc0 .LBB15_62
; %bb.56:
	s_cmp_gt_i32 s55, 28
	s_cbranch_scc0 .LBB15_63
; %bb.57:
	;; [unrolled: 3-line block ×4, first 2 shown]
	s_mov_b64 s[50:51], 0
	s_mov_b64 s[0:1], -1
	s_cmp_eq_u32 s55, 46
	s_mov_b64 s[46:47], 0
	s_cbranch_scc0 .LBB15_182
; %bb.60:
	v_cndmask_b32_e64 v2, 0, 1.0, s[38:39]
	v_bfe_u32 v3, v2, 16, 1
	s_movk_i32 s0, 0x7fff
	v_add3_u32 v2, v2, v3, s0
	v_lshrrev_b32_e32 v2, 16, v2
	global_store_dword v[0:1], v2, off
	s_mov_b64 s[46:47], -1
	s_mov_b64 s[0:1], 0
	s_branch .LBB15_182
.LBB15_61:
	s_mov_b64 s[50:51], -1
	s_mov_b64 s[0:1], 0
	s_mov_b64 s[46:47], 0
	s_branch .LBB15_251
.LBB15_62:
	s_mov_b64 s[50:51], -1
	s_mov_b64 s[0:1], 0
	s_mov_b64 s[46:47], 0
	s_branch .LBB15_209
.LBB15_63:
	s_mov_b64 s[50:51], -1
	s_mov_b64 s[0:1], 0
	s_mov_b64 s[46:47], 0
	s_branch .LBB15_192
.LBB15_64:
	s_mov_b64 s[42:43], -1
.LBB15_65:
	s_mov_b64 s[0:1], 0
                                        ; implicit-def: $vgpr1
.LBB15_66:
	s_and_b64 vcc, exec, s[38:39]
	s_cbranch_vccz .LBB15_72
; %bb.67:
	s_cmp_eq_u32 s41, 44
	s_cbranch_scc0 .LBB15_71
; %bb.68:
	global_load_ubyte v1, v[4:5], off
	s_mov_b32 s0, 0x2f800000
	s_mov_b32 s1, 0xcf800000
	s_mov_b64 s[42:43], 0
	s_waitcnt vmcnt(0)
	v_lshlrev_b32_e32 v2, 23, v1
	v_trunc_f32_e32 v2, v2
	v_mul_f32_e64 v6, |v2|, s0
	v_floor_f32_e32 v6, v6
	v_fma_f32 v6, v6, s1, |v2|
	v_cvt_u32_f32_e32 v6, v6
	v_ashrrev_i32_e32 v2, 31, v2
	v_cmp_ne_u32_e32 vcc, 0, v1
	s_mov_b64 s[0:1], -1
	v_xor_b32_e32 v6, v6, v2
	v_sub_u32_e32 v2, v6, v2
	v_cndmask_b32_e32 v1, 0, v2, vcc
	s_branch .LBB15_72
.LBB15_69:
	s_mov_b64 s[38:39], -1
	s_mov_b64 s[40:41], 0
	s_branch .LBB15_177
.LBB15_70:
	s_mov_b64 s[50:51], -1
	s_mov_b64 s[0:1], 0
	s_mov_b64 s[46:47], 0
	s_branch .LBB15_188
.LBB15_71:
	s_mov_b64 s[42:43], -1
                                        ; implicit-def: $vgpr1
.LBB15_72:
	s_mov_b64 s[38:39], 0
.LBB15_73:
	s_and_b64 vcc, exec, s[38:39]
	s_cbranch_vccz .LBB15_77
; %bb.74:
	s_cmp_eq_u32 s41, 29
	s_cbranch_scc0 .LBB15_76
; %bb.75:
	global_load_dwordx2 v[1:2], v[4:5], off
	s_mov_b64 s[0:1], -1
	s_mov_b64 s[42:43], 0
	s_branch .LBB15_77
.LBB15_76:
	s_mov_b64 s[42:43], -1
                                        ; implicit-def: $vgpr1
.LBB15_77:
	s_mov_b64 s[38:39], 0
.LBB15_78:
	s_and_b64 vcc, exec, s[38:39]
	s_cbranch_vccz .LBB15_94
; %bb.79:
	s_cmp_lt_i32 s41, 27
	s_cbranch_scc1 .LBB15_82
; %bb.80:
	s_cmp_gt_i32 s41, 27
	s_cbranch_scc0 .LBB15_83
; %bb.81:
	global_load_dword v1, v[4:5], off
	s_mov_b64 s[0:1], 0
	s_branch .LBB15_84
.LBB15_82:
	s_mov_b64 s[0:1], -1
                                        ; implicit-def: $vgpr1
	s_branch .LBB15_87
.LBB15_83:
	s_mov_b64 s[0:1], -1
                                        ; implicit-def: $vgpr1
.LBB15_84:
	s_andn2_b64 vcc, exec, s[0:1]
	s_cbranch_vccnz .LBB15_86
; %bb.85:
	global_load_ushort v1, v[4:5], off
.LBB15_86:
	s_mov_b64 s[0:1], 0
.LBB15_87:
	s_andn2_b64 vcc, exec, s[0:1]
	s_cbranch_vccnz .LBB15_93
; %bb.88:
	global_load_ubyte v2, v[4:5], off
	s_movk_i32 s0, 0x7f
	s_mov_b64 s[38:39], 0
	s_waitcnt vmcnt(0)
	v_cmp_lt_i16_e32 vcc, s0, v2
	s_and_saveexec_b64 s[0:1], vcc
	s_xor_b64 s[0:1], exec, s[0:1]
	s_cbranch_execz .LBB15_104
; %bb.89:
	s_movk_i32 s38, 0x80
	v_cmp_ne_u16_e32 vcc, s38, v2
	s_and_b64 s[38:39], vcc, exec
	s_andn2_saveexec_b64 s[0:1], s[0:1]
	s_cbranch_execnz .LBB15_105
.LBB15_90:
	s_or_b64 exec, exec, s[0:1]
	v_mov_b32_e32 v1, 0
	s_and_saveexec_b64 s[0:1], s[38:39]
	s_cbranch_execz .LBB15_92
.LBB15_91:
	v_lshlrev_b32_e32 v1, 24, v2
	v_and_b32_e32 v2, 0xffff, v2
	v_and_b32_e32 v6, 7, v2
	v_ffbh_u32_e32 v9, v6
	v_min_u32_e32 v9, 32, v9
	v_subrev_u32_e32 v10, 28, v9
	v_bfe_u32 v7, v2, 3, 4
	v_lshlrev_b32_e32 v2, v10, v2
	v_sub_u32_e32 v9, 29, v9
	v_and_b32_e32 v2, 7, v2
	v_cmp_eq_u32_e32 vcc, 0, v7
	v_cndmask_b32_e32 v7, v7, v9, vcc
	v_cndmask_b32_e32 v2, v6, v2, vcc
	v_mov_b32_e32 v6, 0x3b800000
	v_lshlrev_b32_e32 v2, 20, v2
	v_and_b32_e32 v1, 0x80000000, v1
	v_lshl_add_u32 v6, v7, 23, v6
	v_or3_b32 v1, v1, v6, v2
	v_trunc_f32_e32 v1, v1
	s_mov_b32 s38, 0x2f800000
	v_mul_f32_e64 v2, |v1|, s38
	v_floor_f32_e32 v2, v2
	s_mov_b32 s38, 0xcf800000
	v_fma_f32 v2, v2, s38, |v1|
	v_cvt_u32_f32_e32 v2, v2
	v_ashrrev_i32_e32 v1, 31, v1
	v_xor_b32_e32 v2, v2, v1
	v_sub_u32_e32 v1, v2, v1
.LBB15_92:
	s_or_b64 exec, exec, s[0:1]
.LBB15_93:
	s_mov_b64 s[0:1], -1
.LBB15_94:
	s_branch .LBB15_127
.LBB15_95:
	s_cmp_gt_i32 s41, 22
	s_cbranch_scc0 .LBB15_103
; %bb.96:
	s_cmp_lt_i32 s41, 24
	s_cbranch_scc1 .LBB15_106
; %bb.97:
	s_cmp_gt_i32 s41, 24
	s_cbranch_scc0 .LBB15_107
; %bb.98:
	global_load_ubyte v2, v[4:5], off
	s_movk_i32 s0, 0x7f
	s_mov_b64 s[38:39], 0
	s_waitcnt vmcnt(0)
	v_cmp_lt_i16_e32 vcc, s0, v2
	s_and_saveexec_b64 s[0:1], vcc
	s_xor_b64 s[0:1], exec, s[0:1]
	s_cbranch_execz .LBB15_119
; %bb.99:
	s_movk_i32 s38, 0x80
	v_cmp_ne_u16_e32 vcc, s38, v2
	s_and_b64 s[38:39], vcc, exec
	s_andn2_saveexec_b64 s[0:1], s[0:1]
	s_cbranch_execnz .LBB15_120
.LBB15_100:
	s_or_b64 exec, exec, s[0:1]
	v_mov_b32_e32 v1, 0
	s_and_saveexec_b64 s[0:1], s[38:39]
	s_cbranch_execz .LBB15_102
.LBB15_101:
	v_lshlrev_b32_e32 v1, 24, v2
	v_and_b32_e32 v2, 0xffff, v2
	v_and_b32_e32 v6, 3, v2
	v_ffbh_u32_e32 v9, v6
	v_min_u32_e32 v9, 32, v9
	v_subrev_u32_e32 v10, 29, v9
	v_bfe_u32 v7, v2, 2, 5
	v_lshlrev_b32_e32 v2, v10, v2
	v_sub_u32_e32 v9, 30, v9
	v_and_b32_e32 v2, 3, v2
	v_cmp_eq_u32_e32 vcc, 0, v7
	v_cndmask_b32_e32 v7, v7, v9, vcc
	v_cndmask_b32_e32 v2, v6, v2, vcc
	v_mov_b32_e32 v6, 0x37800000
	v_lshlrev_b32_e32 v2, 21, v2
	v_and_b32_e32 v1, 0x80000000, v1
	v_lshl_add_u32 v6, v7, 23, v6
	v_or3_b32 v1, v1, v6, v2
	v_trunc_f32_e32 v1, v1
	s_mov_b32 s38, 0x2f800000
	v_mul_f32_e64 v2, |v1|, s38
	v_floor_f32_e32 v2, v2
	s_mov_b32 s38, 0xcf800000
	v_fma_f32 v2, v2, s38, |v1|
	v_cvt_u32_f32_e32 v2, v2
	v_ashrrev_i32_e32 v1, 31, v1
	v_xor_b32_e32 v2, v2, v1
	v_sub_u32_e32 v1, v2, v1
.LBB15_102:
	s_or_b64 exec, exec, s[0:1]
	s_mov_b64 s[0:1], 0
	s_branch .LBB15_108
.LBB15_103:
	s_mov_b64 s[38:39], -1
                                        ; implicit-def: $vgpr1
	s_branch .LBB15_114
.LBB15_104:
	s_andn2_saveexec_b64 s[0:1], s[0:1]
	s_cbranch_execz .LBB15_90
.LBB15_105:
	v_cmp_ne_u16_e32 vcc, 0, v2
	s_andn2_b64 s[38:39], s[38:39], exec
	s_and_b64 s[46:47], vcc, exec
	s_or_b64 s[38:39], s[38:39], s[46:47]
	s_or_b64 exec, exec, s[0:1]
	v_mov_b32_e32 v1, 0
	s_and_saveexec_b64 s[0:1], s[38:39]
	s_cbranch_execnz .LBB15_91
	s_branch .LBB15_92
.LBB15_106:
	s_mov_b64 s[0:1], -1
                                        ; implicit-def: $vgpr1
	s_branch .LBB15_111
.LBB15_107:
	s_mov_b64 s[0:1], -1
                                        ; implicit-def: $vgpr1
.LBB15_108:
	s_and_b64 vcc, exec, s[0:1]
	s_cbranch_vccz .LBB15_110
; %bb.109:
	global_load_ubyte v1, v[4:5], off
	s_mov_b32 s0, 0x7f800000
	s_brev_b32 s1, 1
	s_mov_b32 s38, 0x2f800000
	s_waitcnt vmcnt(0)
	v_lshlrev_b32_e32 v1, 24, v1
	v_and_b32_e32 v2, 0x7f000000, v1
	v_ffbh_u32_e32 v6, v2
	v_min_u32_e32 v6, 32, v6
	v_sub_u32_e64 v6, v6, 4 clamp
	v_lshlrev_b32_e32 v9, v6, v2
	v_lshlrev_b32_e32 v6, 23, v6
	v_lshrrev_b32_e32 v9, 4, v9
	v_add_u32_e32 v7, 0x1000000, v2
	v_sub_u32_e32 v6, v9, v6
	v_ashrrev_i32_e32 v7, 8, v7
	v_add_u32_e32 v6, 0x3c000000, v6
	v_and_or_b32 v6, v7, s0, v6
	v_cmp_ne_u32_e32 vcc, 0, v2
	v_cndmask_b32_e32 v2, 0, v6, vcc
	v_and_or_b32 v1, v1, s1, v2
	v_trunc_f32_e32 v1, v1
	v_mul_f32_e64 v2, |v1|, s38
	v_floor_f32_e32 v2, v2
	s_mov_b32 s0, 0xcf800000
	v_fma_f32 v2, v2, s0, |v1|
	v_cvt_u32_f32_e32 v2, v2
	v_ashrrev_i32_e32 v1, 31, v1
	v_xor_b32_e32 v2, v2, v1
	v_sub_u32_e32 v1, v2, v1
.LBB15_110:
	s_mov_b64 s[0:1], 0
.LBB15_111:
	s_andn2_b64 vcc, exec, s[0:1]
	s_cbranch_vccnz .LBB15_113
; %bb.112:
	global_load_ubyte v1, v[4:5], off
	s_movk_i32 s0, 0x7f00
	s_brev_b32 s1, 16
	s_brev_b32 s38, 1
	s_mov_b32 s39, 0x2f800000
	s_waitcnt vmcnt(0)
	v_lshlrev_b16_e32 v2, 8, v1
	v_lshlrev_b32_e32 v1, 25, v1
	v_lshrrev_b32_e32 v6, 4, v1
	v_and_or_b32 v7, v2, s0, 0.5
	v_or_b32_e32 v6, 0x70000000, v6
	v_add_f32_e32 v7, -0.5, v7
	v_mul_f32_e32 v6, 0x7800000, v6
	v_cmp_gt_u32_e32 vcc, s1, v1
	v_bfe_i32 v2, v2, 0, 16
	v_cndmask_b32_e32 v1, v6, v7, vcc
	v_and_or_b32 v1, v2, s38, v1
	v_trunc_f32_e32 v1, v1
	v_mul_f32_e64 v2, |v1|, s39
	v_floor_f32_e32 v2, v2
	s_mov_b32 s0, 0xcf800000
	v_fma_f32 v2, v2, s0, |v1|
	v_cvt_u32_f32_e32 v2, v2
	v_ashrrev_i32_e32 v1, 31, v1
	v_xor_b32_e32 v2, v2, v1
	v_sub_u32_e32 v1, v2, v1
.LBB15_113:
	s_mov_b64 s[38:39], 0
	s_mov_b64 s[0:1], -1
.LBB15_114:
	s_andn2_b64 vcc, exec, s[38:39]
	s_cbranch_vccnz .LBB15_127
; %bb.115:
	s_cmp_gt_i32 s41, 14
	s_cbranch_scc0 .LBB15_118
; %bb.116:
	s_cmp_eq_u32 s41, 15
	s_cbranch_scc0 .LBB15_121
; %bb.117:
	global_load_ushort v1, v[4:5], off
	s_mov_b32 s0, 0x2f800000
	s_mov_b32 s1, 0xcf800000
	s_mov_b64 s[42:43], 0
	s_waitcnt vmcnt(0)
	v_lshlrev_b32_e32 v1, 16, v1
	v_trunc_f32_e32 v1, v1
	v_mul_f32_e64 v2, |v1|, s0
	v_floor_f32_e32 v2, v2
	v_fma_f32 v2, v2, s1, |v1|
	v_cvt_u32_f32_e32 v2, v2
	v_ashrrev_i32_e32 v1, 31, v1
	s_mov_b64 s[0:1], -1
	v_xor_b32_e32 v2, v2, v1
	v_sub_u32_e32 v1, v2, v1
	s_branch .LBB15_122
.LBB15_118:
	s_mov_b64 s[38:39], -1
                                        ; implicit-def: $vgpr1
	s_branch .LBB15_123
.LBB15_119:
	s_andn2_saveexec_b64 s[0:1], s[0:1]
	s_cbranch_execz .LBB15_100
.LBB15_120:
	v_cmp_ne_u16_e32 vcc, 0, v2
	s_andn2_b64 s[38:39], s[38:39], exec
	s_and_b64 s[46:47], vcc, exec
	s_or_b64 s[38:39], s[38:39], s[46:47]
	s_or_b64 exec, exec, s[0:1]
	v_mov_b32_e32 v1, 0
	s_and_saveexec_b64 s[0:1], s[38:39]
	s_cbranch_execnz .LBB15_101
	s_branch .LBB15_102
.LBB15_121:
	s_mov_b64 s[42:43], -1
                                        ; implicit-def: $vgpr1
.LBB15_122:
	s_mov_b64 s[38:39], 0
.LBB15_123:
	s_and_b64 vcc, exec, s[38:39]
	s_cbranch_vccz .LBB15_127
; %bb.124:
	s_cmp_eq_u32 s41, 11
	s_cbranch_scc0 .LBB15_126
; %bb.125:
	global_load_ubyte v1, v[4:5], off
	s_mov_b64 s[0:1], -1
	s_mov_b64 s[42:43], 0
	s_waitcnt vmcnt(0)
	v_cmp_ne_u16_e32 vcc, 0, v1
	v_cndmask_b32_e64 v1, 0, 1, vcc
	s_branch .LBB15_127
.LBB15_126:
	s_mov_b64 s[42:43], -1
                                        ; implicit-def: $vgpr1
.LBB15_127:
	s_branch .LBB15_21
.LBB15_128:
	s_and_b32 s38, 0xffff, s40
	s_cmp_lt_i32 s38, 5
	s_cbranch_scc1 .LBB15_133
; %bb.129:
	s_cmp_lt_i32 s38, 8
	s_cbranch_scc1 .LBB15_134
; %bb.130:
	;; [unrolled: 3-line block ×3, first 2 shown]
	s_cmp_gt_i32 s38, 9
	s_cbranch_scc0 .LBB15_136
; %bb.132:
	global_load_dwordx2 v[1:2], v[4:5], off
	s_movk_i32 s0, 0xffe0
	s_waitcnt vmcnt(0)
	v_trunc_f64_e32 v[1:2], v[1:2]
	v_ldexp_f64 v[6:7], v[1:2], s0
	s_mov_b32 s0, 0
	s_mov_b32 s1, 0xc1f00000
	v_floor_f64_e32 v[6:7], v[6:7]
	v_fma_f64 v[1:2], v[6:7], s[0:1], v[1:2]
	s_mov_b64 s[0:1], 0
	v_cvt_u32_f64_e32 v1, v[1:2]
	s_branch .LBB15_137
.LBB15_133:
                                        ; implicit-def: $vgpr1
	s_branch .LBB15_155
.LBB15_134:
	s_mov_b64 s[0:1], -1
                                        ; implicit-def: $vgpr1
	s_branch .LBB15_143
.LBB15_135:
	s_mov_b64 s[0:1], -1
                                        ; implicit-def: $vgpr1
	s_branch .LBB15_140
.LBB15_136:
	s_mov_b64 s[0:1], -1
                                        ; implicit-def: $vgpr1
.LBB15_137:
	s_andn2_b64 vcc, exec, s[0:1]
	s_cbranch_vccnz .LBB15_139
; %bb.138:
	global_load_dword v1, v[4:5], off
	s_mov_b32 s0, 0x2f800000
	s_waitcnt vmcnt(0)
	v_trunc_f32_e32 v1, v1
	v_mul_f32_e64 v2, |v1|, s0
	v_floor_f32_e32 v2, v2
	s_mov_b32 s0, 0xcf800000
	v_fma_f32 v2, v2, s0, |v1|
	v_cvt_u32_f32_e32 v2, v2
	v_ashrrev_i32_e32 v1, 31, v1
	v_xor_b32_e32 v2, v2, v1
	v_sub_u32_e32 v1, v2, v1
.LBB15_139:
	s_mov_b64 s[0:1], 0
.LBB15_140:
	s_andn2_b64 vcc, exec, s[0:1]
	s_cbranch_vccnz .LBB15_142
; %bb.141:
	global_load_dword v1, v[4:5], off
	s_waitcnt vmcnt(0)
	v_cvt_f32_f16_e32 v1, v1
	v_cvt_i32_f32_e32 v1, v1
.LBB15_142:
	s_mov_b64 s[0:1], 0
.LBB15_143:
	s_andn2_b64 vcc, exec, s[0:1]
	s_cbranch_vccnz .LBB15_154
; %bb.144:
	s_cmp_lt_i32 s38, 6
	s_cbranch_scc1 .LBB15_147
; %bb.145:
	s_cmp_gt_i32 s38, 6
	s_cbranch_scc0 .LBB15_148
; %bb.146:
	global_load_dwordx2 v[1:2], v[4:5], off
	s_movk_i32 s0, 0xffe0
	s_waitcnt vmcnt(0)
	v_trunc_f64_e32 v[1:2], v[1:2]
	v_ldexp_f64 v[6:7], v[1:2], s0
	s_mov_b32 s0, 0
	s_mov_b32 s1, 0xc1f00000
	v_floor_f64_e32 v[6:7], v[6:7]
	v_fma_f64 v[1:2], v[6:7], s[0:1], v[1:2]
	s_mov_b64 s[0:1], 0
	v_cvt_u32_f64_e32 v1, v[1:2]
	s_branch .LBB15_149
.LBB15_147:
	s_mov_b64 s[0:1], -1
                                        ; implicit-def: $vgpr1
	s_branch .LBB15_152
.LBB15_148:
	s_mov_b64 s[0:1], -1
                                        ; implicit-def: $vgpr1
.LBB15_149:
	s_andn2_b64 vcc, exec, s[0:1]
	s_cbranch_vccnz .LBB15_151
; %bb.150:
	global_load_dword v1, v[4:5], off
	s_mov_b32 s0, 0x2f800000
	s_waitcnt vmcnt(0)
	v_trunc_f32_e32 v1, v1
	v_mul_f32_e64 v2, |v1|, s0
	v_floor_f32_e32 v2, v2
	s_mov_b32 s0, 0xcf800000
	v_fma_f32 v2, v2, s0, |v1|
	v_cvt_u32_f32_e32 v2, v2
	v_ashrrev_i32_e32 v1, 31, v1
	v_xor_b32_e32 v2, v2, v1
	v_sub_u32_e32 v1, v2, v1
.LBB15_151:
	s_mov_b64 s[0:1], 0
.LBB15_152:
	s_andn2_b64 vcc, exec, s[0:1]
	s_cbranch_vccnz .LBB15_154
; %bb.153:
	global_load_ushort v1, v[4:5], off
	s_waitcnt vmcnt(0)
	v_cvt_f32_f16_e32 v1, v1
	v_cvt_i32_f32_e32 v1, v1
.LBB15_154:
	s_cbranch_execnz .LBB15_174
.LBB15_155:
	s_cmp_lt_i32 s38, 2
	s_cbranch_scc1 .LBB15_159
; %bb.156:
	s_cmp_lt_i32 s38, 3
	s_cbranch_scc1 .LBB15_160
; %bb.157:
	s_cmp_gt_i32 s38, 3
	s_cbranch_scc0 .LBB15_161
; %bb.158:
	global_load_dwordx2 v[1:2], v[4:5], off
	s_mov_b64 s[0:1], 0
	s_branch .LBB15_162
.LBB15_159:
	s_mov_b64 s[0:1], -1
                                        ; implicit-def: $vgpr1
	s_branch .LBB15_168
.LBB15_160:
	s_mov_b64 s[0:1], -1
                                        ; implicit-def: $vgpr1
	s_branch .LBB15_165
.LBB15_161:
	s_mov_b64 s[0:1], -1
                                        ; implicit-def: $vgpr1
.LBB15_162:
	s_andn2_b64 vcc, exec, s[0:1]
	s_cbranch_vccnz .LBB15_164
; %bb.163:
	global_load_dword v1, v[4:5], off
.LBB15_164:
	s_mov_b64 s[0:1], 0
.LBB15_165:
	s_andn2_b64 vcc, exec, s[0:1]
	s_cbranch_vccnz .LBB15_167
; %bb.166:
	global_load_ushort v1, v[4:5], off
.LBB15_167:
	s_mov_b64 s[0:1], 0
.LBB15_168:
	s_andn2_b64 vcc, exec, s[0:1]
	s_cbranch_vccnz .LBB15_174
; %bb.169:
	s_cmp_gt_i32 s38, 0
	s_cbranch_scc0 .LBB15_171
; %bb.170:
	global_load_ubyte v1, v[4:5], off
	s_mov_b64 s[0:1], 0
	s_branch .LBB15_172
.LBB15_171:
	s_mov_b64 s[0:1], -1
                                        ; implicit-def: $vgpr1
.LBB15_172:
	s_andn2_b64 vcc, exec, s[0:1]
	s_cbranch_vccnz .LBB15_174
; %bb.173:
	global_load_ubyte v1, v[4:5], off
.LBB15_174:
	s_branch .LBB15_22
.LBB15_175:
	s_mov_b64 s[0:1], 0
	s_mov_b64 s[40:41], 0
	s_branch .LBB15_400
.LBB15_176:
	s_mov_b64 s[40:41], -1
.LBB15_177:
	s_mov_b64 s[0:1], 0
                                        ; implicit-def: $vgpr4
.LBB15_178:
	s_and_b64 vcc, exec, s[38:39]
	s_cbranch_vccz .LBB15_294
; %bb.179:
	s_cmp_eq_u32 s47, 44
	s_cbranch_scc0 .LBB15_293
; %bb.180:
	global_load_ubyte v4, v[2:3], off
	s_mov_b32 s0, 0x2f800000
	s_mov_b32 s1, 0xcf800000
	s_mov_b64 s[40:41], 0
	s_waitcnt vmcnt(0)
	v_lshlrev_b32_e32 v5, 23, v4
	v_trunc_f32_e32 v5, v5
	v_mul_f32_e64 v6, |v5|, s0
	v_floor_f32_e32 v6, v6
	v_fma_f32 v6, v6, s1, |v5|
	v_cvt_u32_f32_e32 v6, v6
	v_ashrrev_i32_e32 v5, 31, v5
	v_cmp_ne_u32_e32 vcc, 0, v4
	s_mov_b64 s[0:1], -1
	v_xor_b32_e32 v6, v6, v5
	v_sub_u32_e32 v5, v6, v5
	v_cndmask_b32_e32 v4, 0, v5, vcc
	s_branch .LBB15_294
.LBB15_181:
	s_mov_b64 s[50:51], -1
	s_mov_b64 s[0:1], 0
	s_mov_b64 s[46:47], 0
.LBB15_182:
	s_and_b64 vcc, exec, s[50:51]
	s_cbranch_vccz .LBB15_187
; %bb.183:
	s_cmp_eq_u32 s55, 44
	s_mov_b64 s[0:1], -1
	s_cbranch_scc0 .LBB15_187
; %bb.184:
	v_cndmask_b32_e64 v3, 0, 1.0, s[38:39]
	v_lshrrev_b32_e32 v2, 23, v3
	s_movk_i32 s0, 0xff
	v_cmp_ne_u32_e32 vcc, s0, v2
	s_waitcnt vmcnt(0)
	v_mov_b32_e32 v4, 0xff
	s_and_saveexec_b64 s[46:47], vcc
; %bb.185:
	s_mov_b32 s0, 0x3fffff
	v_and_b32_e32 v4, 0x400000, v3
	v_and_or_b32 v3, v3, s0, v2
	v_cmp_ne_u32_e32 vcc, 0, v4
	v_cmp_ne_u32_e64 s[0:1], 0, v3
	s_and_b64 s[0:1], vcc, s[0:1]
	v_cndmask_b32_e64 v3, 0, 1, s[0:1]
	v_add_u32_e32 v4, v2, v3
; %bb.186:
	s_or_b64 exec, exec, s[46:47]
	s_mov_b64 s[46:47], -1
	s_mov_b64 s[0:1], 0
	global_store_byte v[0:1], v4, off
.LBB15_187:
	s_mov_b64 s[50:51], 0
.LBB15_188:
	s_and_b64 vcc, exec, s[50:51]
	s_cbranch_vccz .LBB15_191
; %bb.189:
	s_cmp_eq_u32 s55, 29
	s_mov_b64 s[0:1], -1
	s_cbranch_scc0 .LBB15_191
; %bb.190:
	s_mov_b32 s0, 0
	v_cndmask_b32_e64 v2, 0, 1, s[38:39]
	v_mov_b32_e32 v3, s0
	global_store_dwordx2 v[0:1], v[2:3], off
	s_mov_b64 s[46:47], -1
	s_mov_b64 s[0:1], 0
.LBB15_191:
	s_mov_b64 s[50:51], 0
.LBB15_192:
	s_and_b64 vcc, exec, s[50:51]
	s_cbranch_vccz .LBB15_208
; %bb.193:
	s_cmp_lt_i32 s55, 27
	s_mov_b64 s[46:47], -1
	s_cbranch_scc1 .LBB15_199
; %bb.194:
	s_cmp_gt_i32 s55, 27
	s_cbranch_scc0 .LBB15_196
; %bb.195:
	v_cndmask_b32_e64 v2, 0, 1, s[38:39]
	s_mov_b64 s[46:47], 0
	global_store_dword v[0:1], v2, off
.LBB15_196:
	s_andn2_b64 vcc, exec, s[46:47]
	s_cbranch_vccnz .LBB15_198
; %bb.197:
	v_cndmask_b32_e64 v2, 0, 1, s[38:39]
	global_store_short v[0:1], v2, off
.LBB15_198:
	s_mov_b64 s[46:47], 0
.LBB15_199:
	s_andn2_b64 vcc, exec, s[46:47]
	s_cbranch_vccnz .LBB15_207
; %bb.200:
	v_cndmask_b32_e64 v3, 0, 1.0, s[38:39]
	s_mov_b32 s46, 0x43800000
	v_cmp_gt_u32_e32 vcc, s46, v3
	s_waitcnt vmcnt(0)
	v_mov_b32_e32 v4, 0x80
	s_and_saveexec_b64 s[46:47], vcc
	s_cbranch_execz .LBB15_206
; %bb.201:
	s_mov_b32 s50, 0x3bffffff
	v_cmp_lt_u32_e32 vcc, s50, v3
	s_mov_b64 s[50:51], 0
                                        ; implicit-def: $vgpr2
	s_and_saveexec_b64 s[52:53], vcc
	s_xor_b64 s[52:53], exec, s[52:53]
	s_cbranch_execz .LBB15_442
; %bb.202:
	v_bfe_u32 v2, v3, 20, 1
	s_mov_b32 s56, 0x487ffff
	v_add3_u32 v2, v3, v2, s56
	s_mov_b64 s[50:51], exec
	v_lshrrev_b32_e32 v2, 20, v2
                                        ; implicit-def: $vgpr3
	s_andn2_saveexec_b64 s[52:53], s[52:53]
	s_cbranch_execnz .LBB15_443
.LBB15_203:
	s_or_b64 exec, exec, s[52:53]
	v_mov_b32_e32 v4, 0
	s_and_saveexec_b64 s[52:53], s[50:51]
.LBB15_204:
	v_mov_b32_e32 v4, v2
.LBB15_205:
	s_or_b64 exec, exec, s[52:53]
.LBB15_206:
	s_or_b64 exec, exec, s[46:47]
	global_store_byte v[0:1], v4, off
.LBB15_207:
	s_mov_b64 s[46:47], -1
.LBB15_208:
	s_mov_b64 s[50:51], 0
.LBB15_209:
	s_and_b64 vcc, exec, s[50:51]
	s_cbranch_vccz .LBB15_250
; %bb.210:
	s_cmp_gt_i32 s55, 22
	s_mov_b64 s[50:51], -1
	s_cbranch_scc0 .LBB15_242
; %bb.211:
	s_cmp_lt_i32 s55, 24
	s_mov_b64 s[46:47], -1
	s_cbranch_scc1 .LBB15_231
; %bb.212:
	s_cmp_gt_i32 s55, 24
	s_cbranch_scc0 .LBB15_220
; %bb.213:
	v_cndmask_b32_e64 v3, 0, 1.0, s[38:39]
	s_mov_b32 s46, 0x47800000
	v_cmp_gt_u32_e32 vcc, s46, v3
	s_waitcnt vmcnt(0)
	v_mov_b32_e32 v4, 0x80
	s_and_saveexec_b64 s[46:47], vcc
	s_cbranch_execz .LBB15_219
; %bb.214:
	s_mov_b32 s50, 0x37ffffff
	v_cmp_lt_u32_e32 vcc, s50, v3
	s_mov_b64 s[50:51], 0
                                        ; implicit-def: $vgpr2
	s_and_saveexec_b64 s[52:53], vcc
	s_xor_b64 s[52:53], exec, s[52:53]
	s_cbranch_execz .LBB15_557
; %bb.215:
	v_bfe_u32 v2, v3, 21, 1
	s_mov_b32 s56, 0x88fffff
	v_add3_u32 v2, v3, v2, s56
	s_mov_b64 s[50:51], exec
	v_lshrrev_b32_e32 v2, 21, v2
                                        ; implicit-def: $vgpr3
	s_andn2_saveexec_b64 s[52:53], s[52:53]
	s_cbranch_execnz .LBB15_558
.LBB15_216:
	s_or_b64 exec, exec, s[52:53]
	v_mov_b32_e32 v4, 0
	s_and_saveexec_b64 s[52:53], s[50:51]
.LBB15_217:
	v_mov_b32_e32 v4, v2
.LBB15_218:
	s_or_b64 exec, exec, s[52:53]
.LBB15_219:
	s_or_b64 exec, exec, s[46:47]
	s_mov_b64 s[46:47], 0
	global_store_byte v[0:1], v4, off
.LBB15_220:
	s_and_b64 vcc, exec, s[46:47]
	s_cbranch_vccz .LBB15_230
; %bb.221:
	v_cndmask_b32_e64 v2, 0, 1.0, s[38:39]
	s_mov_b32 s46, 0x43f00000
	v_cmp_gt_u32_e32 vcc, s46, v2
                                        ; implicit-def: $vgpr3
	s_and_saveexec_b64 s[46:47], vcc
	s_xor_b64 s[46:47], exec, s[46:47]
	s_cbranch_execz .LBB15_227
; %bb.222:
	s_mov_b32 s50, 0x3c7fffff
	v_cmp_lt_u32_e32 vcc, s50, v2
                                        ; implicit-def: $vgpr3
	s_and_saveexec_b64 s[50:51], vcc
	s_xor_b64 s[50:51], exec, s[50:51]
	s_cbranch_execz .LBB15_224
; %bb.223:
	v_bfe_u32 v3, v2, 20, 1
	s_mov_b32 s52, 0x407ffff
	v_add3_u32 v2, v2, v3, s52
	v_lshrrev_b32_e32 v3, 20, v2
	v_and_b32_e32 v2, 0xff00000, v2
	s_mov_b32 s52, 0x7f00000
	s_waitcnt vmcnt(0)
	v_mov_b32_e32 v4, 0x7e
	v_cmp_ne_u32_e32 vcc, s52, v2
	v_cndmask_b32_e32 v3, v4, v3, vcc
                                        ; implicit-def: $vgpr2
.LBB15_224:
	s_andn2_saveexec_b64 s[50:51], s[50:51]
; %bb.225:
	v_add_f32_e32 v3, 0x46800000, v2
; %bb.226:
	s_or_b64 exec, exec, s[50:51]
                                        ; implicit-def: $vgpr2
.LBB15_227:
	s_andn2_saveexec_b64 s[46:47], s[46:47]
	s_cbranch_execz .LBB15_229
; %bb.228:
	s_mov_b32 s50, 0x7f800000
	v_mov_b32_e32 v3, 0x7e
	s_waitcnt vmcnt(0)
	v_mov_b32_e32 v4, 0x7f
	v_cmp_lt_u32_e32 vcc, s50, v2
	v_cndmask_b32_e32 v3, v3, v4, vcc
.LBB15_229:
	s_or_b64 exec, exec, s[46:47]
	global_store_byte v[0:1], v3, off
.LBB15_230:
	s_mov_b64 s[46:47], 0
.LBB15_231:
	s_andn2_b64 vcc, exec, s[46:47]
	s_cbranch_vccnz .LBB15_241
; %bb.232:
	v_cndmask_b32_e64 v2, 0, 1.0, s[38:39]
	s_mov_b32 s46, 0x47800000
	v_cmp_gt_u32_e32 vcc, s46, v2
                                        ; implicit-def: $vgpr3
	s_and_saveexec_b64 s[46:47], vcc
	s_xor_b64 s[46:47], exec, s[46:47]
	s_cbranch_execz .LBB15_238
; %bb.233:
	s_mov_b32 s50, 0x387fffff
	v_cmp_lt_u32_e32 vcc, s50, v2
                                        ; implicit-def: $vgpr3
	s_and_saveexec_b64 s[50:51], vcc
	s_xor_b64 s[50:51], exec, s[50:51]
; %bb.234:
	v_bfe_u32 v3, v2, 21, 1
	s_mov_b32 s52, 0x80fffff
	v_add3_u32 v2, v2, v3, s52
	v_lshrrev_b32_e32 v3, 21, v2
                                        ; implicit-def: $vgpr2
; %bb.235:
	s_andn2_saveexec_b64 s[50:51], s[50:51]
; %bb.236:
	v_add_f32_e32 v3, 0x43000000, v2
; %bb.237:
	s_or_b64 exec, exec, s[50:51]
                                        ; implicit-def: $vgpr2
.LBB15_238:
	s_andn2_saveexec_b64 s[46:47], s[46:47]
	s_cbranch_execz .LBB15_240
; %bb.239:
	s_mov_b32 s50, 0x7f800000
	v_mov_b32_e32 v3, 0x7c
	s_waitcnt vmcnt(0)
	v_mov_b32_e32 v4, 0x7f
	v_cmp_lt_u32_e32 vcc, s50, v2
	v_cndmask_b32_e32 v3, v3, v4, vcc
.LBB15_240:
	s_or_b64 exec, exec, s[46:47]
	global_store_byte v[0:1], v3, off
.LBB15_241:
	s_mov_b64 s[50:51], 0
	s_mov_b64 s[46:47], -1
.LBB15_242:
	s_andn2_b64 vcc, exec, s[50:51]
	s_cbranch_vccnz .LBB15_250
; %bb.243:
	s_cmp_gt_i32 s55, 14
	s_mov_b64 s[50:51], -1
	s_cbranch_scc0 .LBB15_247
; %bb.244:
	s_cmp_eq_u32 s55, 15
	s_mov_b64 s[0:1], -1
	s_cbranch_scc0 .LBB15_246
; %bb.245:
	v_cndmask_b32_e64 v2, 0, 1.0, s[38:39]
	v_bfe_u32 v3, v2, 16, 1
	s_movk_i32 s0, 0x7fff
	v_add3_u32 v2, v2, v3, s0
	global_store_short_d16_hi v[0:1], v2, off
	s_mov_b64 s[46:47], -1
	s_mov_b64 s[0:1], 0
.LBB15_246:
	s_mov_b64 s[50:51], 0
.LBB15_247:
	s_and_b64 vcc, exec, s[50:51]
	s_cbranch_vccz .LBB15_250
; %bb.248:
	s_cmp_eq_u32 s55, 11
	s_mov_b64 s[0:1], -1
	s_cbranch_scc0 .LBB15_250
; %bb.249:
	v_cndmask_b32_e64 v2, 0, 1, s[38:39]
	s_mov_b64 s[46:47], -1
	s_mov_b64 s[0:1], 0
	global_store_byte v[0:1], v2, off
.LBB15_250:
	s_mov_b64 s[50:51], 0
.LBB15_251:
	s_and_b64 vcc, exec, s[50:51]
	s_cbranch_vccz .LBB15_290
; %bb.252:
	s_and_b32 s50, 0xffff, s54
	s_cmp_lt_i32 s50, 5
	s_mov_b64 s[46:47], -1
	s_cbranch_scc1 .LBB15_273
; %bb.253:
	s_cmp_lt_i32 s50, 8
	s_cbranch_scc1 .LBB15_263
; %bb.254:
	s_cmp_lt_i32 s50, 9
	s_cbranch_scc1 .LBB15_260
; %bb.255:
	s_cmp_gt_i32 s50, 9
	s_cbranch_scc0 .LBB15_257
; %bb.256:
	v_cndmask_b32_e64 v2, 0, 1, s[38:39]
	v_cvt_f64_u32_e32 v[2:3], v2
	s_waitcnt vmcnt(0)
	v_mov_b32_e32 v4, 0
	v_mov_b32_e32 v5, v4
	s_mov_b64 s[46:47], 0
	global_store_dwordx4 v[0:1], v[2:5], off
.LBB15_257:
	s_andn2_b64 vcc, exec, s[46:47]
	s_cbranch_vccnz .LBB15_259
; %bb.258:
	v_cndmask_b32_e64 v2, 0, 1.0, s[38:39]
	v_mov_b32_e32 v3, 0
	global_store_dwordx2 v[0:1], v[2:3], off
.LBB15_259:
	s_mov_b64 s[46:47], 0
.LBB15_260:
	s_andn2_b64 vcc, exec, s[46:47]
	s_cbranch_vccnz .LBB15_262
; %bb.261:
	v_cndmask_b32_e64 v2, 0, 1.0, s[38:39]
	v_cvt_f16_f32_e32 v2, v2
	global_store_dword v[0:1], v2, off
.LBB15_262:
	s_mov_b64 s[46:47], 0
.LBB15_263:
	s_andn2_b64 vcc, exec, s[46:47]
	s_cbranch_vccnz .LBB15_272
; %bb.264:
	s_cmp_lt_i32 s50, 6
	s_mov_b64 s[46:47], -1
	s_cbranch_scc1 .LBB15_270
; %bb.265:
	s_cmp_gt_i32 s50, 6
	s_cbranch_scc0 .LBB15_267
; %bb.266:
	v_cndmask_b32_e64 v2, 0, 1, s[38:39]
	v_cvt_f64_u32_e32 v[2:3], v2
	s_mov_b64 s[46:47], 0
	global_store_dwordx2 v[0:1], v[2:3], off
.LBB15_267:
	s_andn2_b64 vcc, exec, s[46:47]
	s_cbranch_vccnz .LBB15_269
; %bb.268:
	v_cndmask_b32_e64 v2, 0, 1.0, s[38:39]
	global_store_dword v[0:1], v2, off
.LBB15_269:
	s_mov_b64 s[46:47], 0
.LBB15_270:
	s_andn2_b64 vcc, exec, s[46:47]
	s_cbranch_vccnz .LBB15_272
; %bb.271:
	v_cndmask_b32_e64 v2, 0, 1.0, s[38:39]
	v_cvt_f16_f32_e32 v2, v2
	global_store_short v[0:1], v2, off
.LBB15_272:
	s_mov_b64 s[46:47], 0
.LBB15_273:
	s_andn2_b64 vcc, exec, s[46:47]
	s_cbranch_vccnz .LBB15_289
; %bb.274:
	s_cmp_lt_i32 s50, 2
	s_mov_b64 s[46:47], -1
	s_cbranch_scc1 .LBB15_284
; %bb.275:
	s_cmp_lt_i32 s50, 3
	s_cbranch_scc1 .LBB15_281
; %bb.276:
	s_cmp_gt_i32 s50, 3
	s_cbranch_scc0 .LBB15_278
; %bb.277:
	s_mov_b32 s46, 0
	v_cndmask_b32_e64 v2, 0, 1, s[38:39]
	v_mov_b32_e32 v3, s46
	global_store_dwordx2 v[0:1], v[2:3], off
	s_mov_b64 s[46:47], 0
.LBB15_278:
	s_andn2_b64 vcc, exec, s[46:47]
	s_cbranch_vccnz .LBB15_280
; %bb.279:
	v_cndmask_b32_e64 v2, 0, 1, s[38:39]
	global_store_dword v[0:1], v2, off
.LBB15_280:
	s_mov_b64 s[46:47], 0
.LBB15_281:
	s_andn2_b64 vcc, exec, s[46:47]
	s_cbranch_vccnz .LBB15_283
; %bb.282:
	v_cndmask_b32_e64 v2, 0, 1, s[38:39]
	global_store_short v[0:1], v2, off
.LBB15_283:
	s_mov_b64 s[46:47], 0
.LBB15_284:
	s_andn2_b64 vcc, exec, s[46:47]
	s_cbranch_vccnz .LBB15_289
; %bb.285:
	s_cmp_gt_i32 s50, 0
	s_mov_b64 s[46:47], -1
	s_cbranch_scc0 .LBB15_287
; %bb.286:
	v_cndmask_b32_e64 v2, 0, 1, s[38:39]
	global_store_byte v[0:1], v2, off
	s_mov_b64 s[46:47], 0
.LBB15_287:
	s_andn2_b64 vcc, exec, s[46:47]
	s_cbranch_vccnz .LBB15_289
; %bb.288:
	v_cndmask_b32_e64 v2, 0, 1, s[38:39]
	global_store_byte v[0:1], v2, off
.LBB15_289:
	s_mov_b64 s[46:47], -1
.LBB15_290:
	s_andn2_b64 vcc, exec, s[46:47]
	s_cbranch_vccnz .LBB15_292
; %bb.291:
	v_add_u32_e32 v8, 0x80, v8
	s_mov_b64 s[46:47], -1
	s_branch .LBB15_401
.LBB15_292:
	s_mov_b64 s[46:47], 0
                                        ; implicit-def: $vgpr8
	s_branch .LBB15_401
.LBB15_293:
	s_mov_b64 s[40:41], -1
                                        ; implicit-def: $vgpr4
.LBB15_294:
	s_mov_b64 s[38:39], 0
.LBB15_295:
	s_and_b64 vcc, exec, s[38:39]
	s_cbranch_vccz .LBB15_299
; %bb.296:
	s_cmp_eq_u32 s47, 29
	s_cbranch_scc0 .LBB15_298
; %bb.297:
	global_load_dwordx2 v[4:5], v[2:3], off
	s_mov_b64 s[0:1], -1
	s_mov_b64 s[40:41], 0
	s_branch .LBB15_299
.LBB15_298:
	s_mov_b64 s[40:41], -1
                                        ; implicit-def: $vgpr4
.LBB15_299:
	s_mov_b64 s[38:39], 0
.LBB15_300:
	s_and_b64 vcc, exec, s[38:39]
	s_cbranch_vccz .LBB15_316
; %bb.301:
	s_cmp_lt_i32 s47, 27
	s_cbranch_scc1 .LBB15_304
; %bb.302:
	s_cmp_gt_i32 s47, 27
	s_cbranch_scc0 .LBB15_305
; %bb.303:
	global_load_dword v4, v[2:3], off
	s_mov_b64 s[0:1], 0
	s_branch .LBB15_306
.LBB15_304:
	s_mov_b64 s[0:1], -1
                                        ; implicit-def: $vgpr4
	s_branch .LBB15_309
.LBB15_305:
	s_mov_b64 s[0:1], -1
                                        ; implicit-def: $vgpr4
.LBB15_306:
	s_andn2_b64 vcc, exec, s[0:1]
	s_cbranch_vccnz .LBB15_308
; %bb.307:
	global_load_ushort v4, v[2:3], off
.LBB15_308:
	s_mov_b64 s[0:1], 0
.LBB15_309:
	s_andn2_b64 vcc, exec, s[0:1]
	s_cbranch_vccnz .LBB15_315
; %bb.310:
	global_load_ubyte v5, v[2:3], off
	s_movk_i32 s0, 0x7f
	s_mov_b64 s[38:39], 0
	s_waitcnt vmcnt(0)
	v_cmp_lt_i16_e32 vcc, s0, v5
	s_and_saveexec_b64 s[0:1], vcc
	s_xor_b64 s[0:1], exec, s[0:1]
	s_cbranch_execz .LBB15_327
; %bb.311:
	s_movk_i32 s38, 0x80
	v_cmp_ne_u16_e32 vcc, s38, v5
	s_and_b64 s[38:39], vcc, exec
	s_andn2_saveexec_b64 s[0:1], s[0:1]
	s_cbranch_execnz .LBB15_328
.LBB15_312:
	s_or_b64 exec, exec, s[0:1]
	v_mov_b32_e32 v4, 0
	s_and_saveexec_b64 s[0:1], s[38:39]
	s_cbranch_execz .LBB15_314
.LBB15_313:
	v_lshlrev_b32_e32 v4, 24, v5
	v_and_b32_e32 v5, 0xffff, v5
	v_and_b32_e32 v6, 7, v5
	v_ffbh_u32_e32 v9, v6
	v_min_u32_e32 v9, 32, v9
	v_subrev_u32_e32 v10, 28, v9
	v_bfe_u32 v7, v5, 3, 4
	v_lshlrev_b32_e32 v5, v10, v5
	v_sub_u32_e32 v9, 29, v9
	v_and_b32_e32 v5, 7, v5
	v_cmp_eq_u32_e32 vcc, 0, v7
	v_cndmask_b32_e32 v7, v7, v9, vcc
	v_cndmask_b32_e32 v5, v6, v5, vcc
	v_mov_b32_e32 v6, 0x3b800000
	v_lshlrev_b32_e32 v5, 20, v5
	v_and_b32_e32 v4, 0x80000000, v4
	v_lshl_add_u32 v6, v7, 23, v6
	v_or3_b32 v4, v4, v6, v5
	v_trunc_f32_e32 v4, v4
	s_mov_b32 s38, 0x2f800000
	v_mul_f32_e64 v5, |v4|, s38
	v_floor_f32_e32 v5, v5
	s_mov_b32 s38, 0xcf800000
	v_fma_f32 v5, v5, s38, |v4|
	v_cvt_u32_f32_e32 v5, v5
	v_ashrrev_i32_e32 v4, 31, v4
	v_xor_b32_e32 v5, v5, v4
	v_sub_u32_e32 v4, v5, v4
.LBB15_314:
	s_or_b64 exec, exec, s[0:1]
.LBB15_315:
	s_mov_b64 s[0:1], -1
.LBB15_316:
	s_mov_b64 s[38:39], 0
.LBB15_317:
	s_and_b64 vcc, exec, s[38:39]
	s_cbranch_vccz .LBB15_350
; %bb.318:
	s_cmp_gt_i32 s47, 22
	s_cbranch_scc0 .LBB15_326
; %bb.319:
	s_cmp_lt_i32 s47, 24
	s_cbranch_scc1 .LBB15_329
; %bb.320:
	s_cmp_gt_i32 s47, 24
	s_cbranch_scc0 .LBB15_330
; %bb.321:
	global_load_ubyte v5, v[2:3], off
	s_movk_i32 s0, 0x7f
	s_mov_b64 s[38:39], 0
	s_waitcnt vmcnt(0)
	v_cmp_lt_i16_e32 vcc, s0, v5
	s_and_saveexec_b64 s[0:1], vcc
	s_xor_b64 s[0:1], exec, s[0:1]
	s_cbranch_execz .LBB15_342
; %bb.322:
	s_movk_i32 s38, 0x80
	v_cmp_ne_u16_e32 vcc, s38, v5
	s_and_b64 s[38:39], vcc, exec
	s_andn2_saveexec_b64 s[0:1], s[0:1]
	s_cbranch_execnz .LBB15_343
.LBB15_323:
	s_or_b64 exec, exec, s[0:1]
	v_mov_b32_e32 v4, 0
	s_and_saveexec_b64 s[0:1], s[38:39]
	s_cbranch_execz .LBB15_325
.LBB15_324:
	v_lshlrev_b32_e32 v4, 24, v5
	v_and_b32_e32 v5, 0xffff, v5
	v_and_b32_e32 v6, 3, v5
	v_ffbh_u32_e32 v9, v6
	v_min_u32_e32 v9, 32, v9
	v_subrev_u32_e32 v10, 29, v9
	v_bfe_u32 v7, v5, 2, 5
	v_lshlrev_b32_e32 v5, v10, v5
	v_sub_u32_e32 v9, 30, v9
	v_and_b32_e32 v5, 3, v5
	v_cmp_eq_u32_e32 vcc, 0, v7
	v_cndmask_b32_e32 v7, v7, v9, vcc
	v_cndmask_b32_e32 v5, v6, v5, vcc
	v_mov_b32_e32 v6, 0x37800000
	v_lshlrev_b32_e32 v5, 21, v5
	v_and_b32_e32 v4, 0x80000000, v4
	v_lshl_add_u32 v6, v7, 23, v6
	v_or3_b32 v4, v4, v6, v5
	v_trunc_f32_e32 v4, v4
	s_mov_b32 s38, 0x2f800000
	v_mul_f32_e64 v5, |v4|, s38
	v_floor_f32_e32 v5, v5
	s_mov_b32 s38, 0xcf800000
	v_fma_f32 v5, v5, s38, |v4|
	v_cvt_u32_f32_e32 v5, v5
	v_ashrrev_i32_e32 v4, 31, v4
	v_xor_b32_e32 v5, v5, v4
	v_sub_u32_e32 v4, v5, v4
.LBB15_325:
	s_or_b64 exec, exec, s[0:1]
	s_mov_b64 s[0:1], 0
	s_branch .LBB15_331
.LBB15_326:
	s_mov_b64 s[38:39], -1
                                        ; implicit-def: $vgpr4
	s_branch .LBB15_337
.LBB15_327:
	s_andn2_saveexec_b64 s[0:1], s[0:1]
	s_cbranch_execz .LBB15_312
.LBB15_328:
	v_cmp_ne_u16_e32 vcc, 0, v5
	s_andn2_b64 s[38:39], s[38:39], exec
	s_and_b64 s[50:51], vcc, exec
	s_or_b64 s[38:39], s[38:39], s[50:51]
	s_or_b64 exec, exec, s[0:1]
	v_mov_b32_e32 v4, 0
	s_and_saveexec_b64 s[0:1], s[38:39]
	s_cbranch_execnz .LBB15_313
	s_branch .LBB15_314
.LBB15_329:
	s_mov_b64 s[0:1], -1
                                        ; implicit-def: $vgpr4
	s_branch .LBB15_334
.LBB15_330:
	s_mov_b64 s[0:1], -1
                                        ; implicit-def: $vgpr4
.LBB15_331:
	s_and_b64 vcc, exec, s[0:1]
	s_cbranch_vccz .LBB15_333
; %bb.332:
	global_load_ubyte v4, v[2:3], off
	s_mov_b32 s0, 0x7f800000
	s_brev_b32 s1, 1
	s_mov_b32 s38, 0x2f800000
	s_waitcnt vmcnt(0)
	v_lshlrev_b32_e32 v4, 24, v4
	v_and_b32_e32 v5, 0x7f000000, v4
	v_ffbh_u32_e32 v6, v5
	v_min_u32_e32 v6, 32, v6
	v_sub_u32_e64 v6, v6, 4 clamp
	v_lshlrev_b32_e32 v9, v6, v5
	v_lshlrev_b32_e32 v6, 23, v6
	v_lshrrev_b32_e32 v9, 4, v9
	v_add_u32_e32 v7, 0x1000000, v5
	v_sub_u32_e32 v6, v9, v6
	v_ashrrev_i32_e32 v7, 8, v7
	v_add_u32_e32 v6, 0x3c000000, v6
	v_and_or_b32 v6, v7, s0, v6
	v_cmp_ne_u32_e32 vcc, 0, v5
	v_cndmask_b32_e32 v5, 0, v6, vcc
	v_and_or_b32 v4, v4, s1, v5
	v_trunc_f32_e32 v4, v4
	v_mul_f32_e64 v5, |v4|, s38
	v_floor_f32_e32 v5, v5
	s_mov_b32 s0, 0xcf800000
	v_fma_f32 v5, v5, s0, |v4|
	v_cvt_u32_f32_e32 v5, v5
	v_ashrrev_i32_e32 v4, 31, v4
	v_xor_b32_e32 v5, v5, v4
	v_sub_u32_e32 v4, v5, v4
.LBB15_333:
	s_mov_b64 s[0:1], 0
.LBB15_334:
	s_andn2_b64 vcc, exec, s[0:1]
	s_cbranch_vccnz .LBB15_336
; %bb.335:
	global_load_ubyte v4, v[2:3], off
	s_movk_i32 s0, 0x7f00
	s_brev_b32 s1, 16
	s_brev_b32 s38, 1
	s_mov_b32 s39, 0x2f800000
	s_waitcnt vmcnt(0)
	v_lshlrev_b16_e32 v5, 8, v4
	v_lshlrev_b32_e32 v4, 25, v4
	v_lshrrev_b32_e32 v6, 4, v4
	v_and_or_b32 v7, v5, s0, 0.5
	v_or_b32_e32 v6, 0x70000000, v6
	v_add_f32_e32 v7, -0.5, v7
	v_mul_f32_e32 v6, 0x7800000, v6
	v_cmp_gt_u32_e32 vcc, s1, v4
	v_bfe_i32 v5, v5, 0, 16
	v_cndmask_b32_e32 v4, v6, v7, vcc
	v_and_or_b32 v4, v5, s38, v4
	v_trunc_f32_e32 v4, v4
	v_mul_f32_e64 v5, |v4|, s39
	v_floor_f32_e32 v5, v5
	s_mov_b32 s0, 0xcf800000
	v_fma_f32 v5, v5, s0, |v4|
	v_cvt_u32_f32_e32 v5, v5
	v_ashrrev_i32_e32 v4, 31, v4
	v_xor_b32_e32 v5, v5, v4
	v_sub_u32_e32 v4, v5, v4
.LBB15_336:
	s_mov_b64 s[38:39], 0
	s_mov_b64 s[0:1], -1
.LBB15_337:
	s_andn2_b64 vcc, exec, s[38:39]
	s_cbranch_vccnz .LBB15_350
; %bb.338:
	s_cmp_gt_i32 s47, 14
	s_cbranch_scc0 .LBB15_341
; %bb.339:
	s_cmp_eq_u32 s47, 15
	s_cbranch_scc0 .LBB15_344
; %bb.340:
	global_load_ushort v4, v[2:3], off
	s_mov_b32 s0, 0x2f800000
	s_mov_b32 s1, 0xcf800000
	s_mov_b64 s[40:41], 0
	s_waitcnt vmcnt(0)
	v_lshlrev_b32_e32 v4, 16, v4
	v_trunc_f32_e32 v4, v4
	v_mul_f32_e64 v5, |v4|, s0
	v_floor_f32_e32 v5, v5
	v_fma_f32 v5, v5, s1, |v4|
	v_cvt_u32_f32_e32 v5, v5
	v_ashrrev_i32_e32 v4, 31, v4
	s_mov_b64 s[0:1], -1
	v_xor_b32_e32 v5, v5, v4
	v_sub_u32_e32 v4, v5, v4
	s_branch .LBB15_345
.LBB15_341:
	s_mov_b64 s[38:39], -1
                                        ; implicit-def: $vgpr4
	s_branch .LBB15_346
.LBB15_342:
	s_andn2_saveexec_b64 s[0:1], s[0:1]
	s_cbranch_execz .LBB15_323
.LBB15_343:
	v_cmp_ne_u16_e32 vcc, 0, v5
	s_andn2_b64 s[38:39], s[38:39], exec
	s_and_b64 s[50:51], vcc, exec
	s_or_b64 s[38:39], s[38:39], s[50:51]
	s_or_b64 exec, exec, s[0:1]
	v_mov_b32_e32 v4, 0
	s_and_saveexec_b64 s[0:1], s[38:39]
	s_cbranch_execnz .LBB15_324
	s_branch .LBB15_325
.LBB15_344:
	s_mov_b64 s[40:41], -1
                                        ; implicit-def: $vgpr4
.LBB15_345:
	s_mov_b64 s[38:39], 0
.LBB15_346:
	s_and_b64 vcc, exec, s[38:39]
	s_cbranch_vccz .LBB15_350
; %bb.347:
	s_cmp_eq_u32 s47, 11
	s_cbranch_scc0 .LBB15_349
; %bb.348:
	global_load_ubyte v4, v[2:3], off
	s_mov_b64 s[0:1], -1
	s_mov_b64 s[40:41], 0
	s_waitcnt vmcnt(0)
	v_cmp_ne_u16_e32 vcc, 0, v4
	v_cndmask_b32_e64 v4, 0, 1, vcc
	s_branch .LBB15_350
.LBB15_349:
	s_mov_b64 s[40:41], -1
                                        ; implicit-def: $vgpr4
.LBB15_350:
	s_branch .LBB15_31
.LBB15_351:
	s_and_b32 s38, 0xffff, s46
	s_cmp_lt_i32 s38, 5
	s_cbranch_scc1 .LBB15_356
; %bb.352:
	s_cmp_lt_i32 s38, 8
	s_cbranch_scc1 .LBB15_357
; %bb.353:
	;; [unrolled: 3-line block ×3, first 2 shown]
	s_cmp_gt_i32 s38, 9
	s_cbranch_scc0 .LBB15_359
; %bb.355:
	global_load_dwordx2 v[4:5], v[2:3], off
	s_movk_i32 s0, 0xffe0
	s_waitcnt vmcnt(0)
	v_trunc_f64_e32 v[4:5], v[4:5]
	v_ldexp_f64 v[6:7], v[4:5], s0
	s_mov_b32 s0, 0
	s_mov_b32 s1, 0xc1f00000
	v_floor_f64_e32 v[6:7], v[6:7]
	v_fma_f64 v[4:5], v[6:7], s[0:1], v[4:5]
	s_mov_b64 s[0:1], 0
	v_cvt_u32_f64_e32 v4, v[4:5]
	s_branch .LBB15_360
.LBB15_356:
	s_mov_b64 s[0:1], -1
                                        ; implicit-def: $vgpr4
	s_branch .LBB15_378
.LBB15_357:
	s_mov_b64 s[0:1], -1
                                        ; implicit-def: $vgpr4
	s_branch .LBB15_366
.LBB15_358:
	s_mov_b64 s[0:1], -1
                                        ; implicit-def: $vgpr4
	s_branch .LBB15_363
.LBB15_359:
	s_mov_b64 s[0:1], -1
                                        ; implicit-def: $vgpr4
.LBB15_360:
	s_andn2_b64 vcc, exec, s[0:1]
	s_cbranch_vccnz .LBB15_362
; %bb.361:
	global_load_dword v4, v[2:3], off
	s_mov_b32 s0, 0x2f800000
	s_waitcnt vmcnt(0)
	v_trunc_f32_e32 v4, v4
	v_mul_f32_e64 v5, |v4|, s0
	v_floor_f32_e32 v5, v5
	s_mov_b32 s0, 0xcf800000
	v_fma_f32 v5, v5, s0, |v4|
	v_cvt_u32_f32_e32 v5, v5
	v_ashrrev_i32_e32 v4, 31, v4
	v_xor_b32_e32 v5, v5, v4
	v_sub_u32_e32 v4, v5, v4
.LBB15_362:
	s_mov_b64 s[0:1], 0
.LBB15_363:
	s_andn2_b64 vcc, exec, s[0:1]
	s_cbranch_vccnz .LBB15_365
; %bb.364:
	global_load_dword v4, v[2:3], off
	s_waitcnt vmcnt(0)
	v_cvt_f32_f16_e32 v4, v4
	v_cvt_i32_f32_e32 v4, v4
.LBB15_365:
	s_mov_b64 s[0:1], 0
.LBB15_366:
	s_andn2_b64 vcc, exec, s[0:1]
	s_cbranch_vccnz .LBB15_377
; %bb.367:
	s_cmp_lt_i32 s38, 6
	s_cbranch_scc1 .LBB15_370
; %bb.368:
	s_cmp_gt_i32 s38, 6
	s_cbranch_scc0 .LBB15_371
; %bb.369:
	global_load_dwordx2 v[4:5], v[2:3], off
	s_movk_i32 s0, 0xffe0
	s_waitcnt vmcnt(0)
	v_trunc_f64_e32 v[4:5], v[4:5]
	v_ldexp_f64 v[6:7], v[4:5], s0
	s_mov_b32 s0, 0
	s_mov_b32 s1, 0xc1f00000
	v_floor_f64_e32 v[6:7], v[6:7]
	v_fma_f64 v[4:5], v[6:7], s[0:1], v[4:5]
	s_mov_b64 s[0:1], 0
	v_cvt_u32_f64_e32 v4, v[4:5]
	s_branch .LBB15_372
.LBB15_370:
	s_mov_b64 s[0:1], -1
                                        ; implicit-def: $vgpr4
	s_branch .LBB15_375
.LBB15_371:
	s_mov_b64 s[0:1], -1
                                        ; implicit-def: $vgpr4
.LBB15_372:
	s_andn2_b64 vcc, exec, s[0:1]
	s_cbranch_vccnz .LBB15_374
; %bb.373:
	global_load_dword v4, v[2:3], off
	s_mov_b32 s0, 0x2f800000
	s_waitcnt vmcnt(0)
	v_trunc_f32_e32 v4, v4
	v_mul_f32_e64 v5, |v4|, s0
	v_floor_f32_e32 v5, v5
	s_mov_b32 s0, 0xcf800000
	v_fma_f32 v5, v5, s0, |v4|
	v_cvt_u32_f32_e32 v5, v5
	v_ashrrev_i32_e32 v4, 31, v4
	v_xor_b32_e32 v5, v5, v4
	v_sub_u32_e32 v4, v5, v4
.LBB15_374:
	s_mov_b64 s[0:1], 0
.LBB15_375:
	s_andn2_b64 vcc, exec, s[0:1]
	s_cbranch_vccnz .LBB15_377
; %bb.376:
	global_load_ushort v4, v[2:3], off
	s_waitcnt vmcnt(0)
	v_cvt_f32_f16_e32 v4, v4
	v_cvt_i32_f32_e32 v4, v4
.LBB15_377:
	s_mov_b64 s[0:1], 0
.LBB15_378:
	s_andn2_b64 vcc, exec, s[0:1]
	s_cbranch_vccnz .LBB15_398
; %bb.379:
	s_cmp_lt_i32 s38, 2
	s_cbranch_scc1 .LBB15_383
; %bb.380:
	s_cmp_lt_i32 s38, 3
	s_cbranch_scc1 .LBB15_384
; %bb.381:
	s_cmp_gt_i32 s38, 3
	s_cbranch_scc0 .LBB15_385
; %bb.382:
	global_load_dwordx2 v[4:5], v[2:3], off
	s_mov_b64 s[0:1], 0
	s_branch .LBB15_386
.LBB15_383:
	s_mov_b64 s[0:1], -1
                                        ; implicit-def: $vgpr4
	s_branch .LBB15_392
.LBB15_384:
	s_mov_b64 s[0:1], -1
                                        ; implicit-def: $vgpr4
	s_branch .LBB15_389
.LBB15_385:
	s_mov_b64 s[0:1], -1
                                        ; implicit-def: $vgpr4
.LBB15_386:
	s_andn2_b64 vcc, exec, s[0:1]
	s_cbranch_vccnz .LBB15_388
; %bb.387:
	global_load_dword v4, v[2:3], off
.LBB15_388:
	s_mov_b64 s[0:1], 0
.LBB15_389:
	s_andn2_b64 vcc, exec, s[0:1]
	s_cbranch_vccnz .LBB15_391
; %bb.390:
	global_load_ushort v4, v[2:3], off
.LBB15_391:
	s_mov_b64 s[0:1], 0
.LBB15_392:
	s_andn2_b64 vcc, exec, s[0:1]
	s_cbranch_vccnz .LBB15_398
; %bb.393:
	s_cmp_gt_i32 s38, 0
	s_cbranch_scc0 .LBB15_395
; %bb.394:
	global_load_ubyte v4, v[2:3], off
	s_mov_b64 s[0:1], 0
	s_branch .LBB15_396
.LBB15_395:
	s_mov_b64 s[0:1], -1
                                        ; implicit-def: $vgpr4
.LBB15_396:
	s_andn2_b64 vcc, exec, s[0:1]
	s_cbranch_vccnz .LBB15_398
; %bb.397:
	global_load_ubyte v4, v[2:3], off
.LBB15_398:
	s_branch .LBB15_32
.LBB15_399:
	s_mov_b64 s[0:1], 0
.LBB15_400:
                                        ; implicit-def: $vgpr8
	s_mov_b64 s[46:47], 0
.LBB15_401:
	s_and_b64 s[38:39], s[0:1], exec
	s_and_b64 s[40:41], s[40:41], exec
	;; [unrolled: 1-line block ×3, first 2 shown]
	s_orn2_b64 s[0:1], s[46:47], exec
.LBB15_402:
	s_or_b64 exec, exec, s[44:45]
	s_mov_b64 s[52:53], 0
	s_mov_b64 s[50:51], 0
                                        ; implicit-def: $sgpr74
                                        ; implicit-def: $vgpr4_vgpr5
                                        ; implicit-def: $vgpr0
                                        ; implicit-def: $vgpr3
                                        ; implicit-def: $vgpr1
	s_and_saveexec_b64 s[44:45], s[0:1]
	s_cbranch_execz .LBB15_410
; %bb.403:
	v_cmp_gt_i32_e32 vcc, s68, v8
	s_mov_b64 s[0:1], -1
	s_mov_b64 s[46:47], s[42:43]
	s_mov_b64 s[48:49], s[40:41]
	s_mov_b64 s[50:51], s[38:39]
	s_and_saveexec_b64 s[52:53], vcc
	s_cbranch_execz .LBB15_812
; %bb.404:
	s_andn2_b64 vcc, exec, s[24:25]
	s_cbranch_vccnz .LBB15_413
; %bb.405:
	s_andn2_b64 vcc, exec, s[36:37]
	s_cbranch_vccnz .LBB15_414
; %bb.406:
	s_add_i32 s0, s73, 1
	s_and_b32 s46, s0, 30
	s_add_u32 s0, s2, 0xffffffe8
	s_addc_u32 s1, s3, -1
	v_mov_b32_e32 v3, 0
	s_waitcnt vmcnt(0)
	v_mov_b32_e32 v5, 0
	v_mov_b32_e32 v0, 0
	;; [unrolled: 1-line block ×3, first 2 shown]
.LBB15_407:                             ; =>This Inner Loop Header: Depth=1
	s_load_dwordx4 s[48:51], s[0:1], 0x1c
	s_load_dwordx2 s[54:55], s[0:1], 0x2c
	s_load_dwordx2 s[60:61], s[0:1], 0xec
	s_load_dwordx4 s[56:59], s[0:1], 0xdc
	s_add_u32 s0, s0, 24
	s_waitcnt lgkmcnt(0)
	v_mul_hi_u32 v2, s49, v1
	s_addc_u32 s1, s1, 0
	s_add_i32 s46, s46, -2
	s_cmp_eq_u32 s46, 0
	v_add_u32_e32 v2, v1, v2
	v_lshrrev_b32_e32 v2, s50, v2
	v_mul_lo_u32 v4, v2, s48
	v_mul_hi_u32 v6, s54, v2
	v_sub_u32_e32 v4, v1, v4
	v_add_u32_e32 v1, v2, v6
	v_lshrrev_b32_e32 v1, s55, v1
	v_mul_lo_u32 v9, v1, s51
	v_mul_lo_u32 v6, v4, s56
	;; [unrolled: 1-line block ×4, first 2 shown]
	v_sub_u32_e32 v2, v2, v9
	v_mul_lo_u32 v9, v2, s59
	v_mul_lo_u32 v10, v2, s60
	;; [unrolled: 1-line block ×3, first 2 shown]
	v_add3_u32 v0, v6, v0, v9
	v_add3_u32 v5, v7, v5, v10
	v_add3_u32 v3, v4, v3, v2
	s_cbranch_scc0 .LBB15_407
; %bb.408:
	s_bitcmp1_b32 s73, 0
	s_cselect_b64 s[46:47], -1, 0
	s_and_b64 vcc, exec, s[46:47]
	s_cbranch_vccnz .LBB15_415
; %bb.409:
	s_load_dwordx2 s[46:47], s[0:1], 0x1c
	s_load_dword s50, s[0:1], 0x24
	s_load_dwordx2 s[48:49], s[0:1], 0xdc
	s_waitcnt lgkmcnt(0)
	v_mul_hi_u32 v2, s47, v1
	v_add_u32_e32 v2, v1, v2
	v_lshrrev_b32_e32 v2, s50, v2
	v_mul_lo_u32 v2, v2, s46
	s_load_dword s46, s[0:1], 0xe4
	v_sub_u32_e32 v2, v1, v2
	v_mad_u64_u32 v[0:1], s[0:1], v2, s48, v[0:1]
	v_mad_u64_u32 v[5:6], s[0:1], v2, s49, v[5:6]
	s_waitcnt lgkmcnt(0)
	v_mad_u64_u32 v[3:4], s[0:1], v2, s46, v[3:4]
	s_branch .LBB15_415
.LBB15_410:
	s_or_b64 exec, exec, s[44:45]
	s_mov_b64 s[10:11], 0
	s_and_saveexec_b64 s[0:1], s[42:43]
	s_cbranch_execnz .LBB15_1315
.LBB15_411:
	s_or_b64 exec, exec, s[0:1]
	s_and_saveexec_b64 s[0:1], s[48:49]
	s_xor_b64 s[0:1], exec, s[0:1]
	s_cbranch_execz .LBB15_1316
.LBB15_412:
	s_waitcnt vmcnt(0)
	global_load_ubyte v1, v[4:5], off
	s_or_b64 s[50:51], s[50:51], exec
	s_waitcnt vmcnt(0)
	v_cmp_ne_u16_e32 vcc, 0, v1
	v_cndmask_b32_e64 v1, 0, 1, vcc
	s_or_b64 exec, exec, s[0:1]
	s_and_saveexec_b64 s[0:1], s[52:53]
	s_cbranch_execz .LBB15_1362
	s_branch .LBB15_1317
.LBB15_413:
                                        ; implicit-def: $vgpr0
                                        ; implicit-def: $vgpr5
                                        ; implicit-def: $vgpr3
	s_andn2_b64 vcc, exec, s[0:1]
	s_cbranch_vccz .LBB15_416
	s_branch .LBB15_418
.LBB15_414:
	v_mov_b32_e32 v0, 0
	s_waitcnt vmcnt(0)
	v_mov_b32_e32 v5, 0
	v_mov_b32_e32 v3, 0
.LBB15_415:
	s_cbranch_execnz .LBB15_418
.LBB15_416:
	v_mul_hi_u32 v0, s17, v8
	s_andn2_b64 vcc, exec, s[34:35]
	v_add_u32_e32 v0, v8, v0
	s_waitcnt vmcnt(0)
	v_lshrrev_b32_e32 v1, s18, v0
	v_mul_lo_u32 v0, v1, s16
	v_sub_u32_e32 v2, v8, v0
	v_mul_lo_u32 v0, v2, s20
	v_mul_lo_u32 v5, v2, s21
	;; [unrolled: 1-line block ×3, first 2 shown]
	s_cbranch_vccnz .LBB15_418
; %bb.417:
	v_mul_hi_u32 v2, s30, v1
	v_add_u32_e32 v2, v1, v2
	v_lshrrev_b32_e32 v2, s31, v2
	v_mul_lo_u32 v2, v2, s19
	v_sub_u32_e32 v2, v1, v2
	v_mad_u64_u32 v[0:1], s[0:1], v2, s23, v[0:1]
	v_mad_u64_u32 v[5:6], s[0:1], v2, s28, v[5:6]
	;; [unrolled: 1-line block ×3, first 2 shown]
.LBB15_418:
	s_waitcnt vmcnt(0)
	v_mov_b32_e32 v1, s11
	s_and_b32 s50, s72, 0xff
	v_add_co_u32_e32 v4, vcc, s10, v5
	s_cmp_lt_i32 s50, 11
	v_addc_co_u32_e32 v5, vcc, 0, v1, vcc
	s_cbranch_scc1 .LBB15_425
; %bb.419:
	s_and_b32 s51, 0xffff, s50
	s_cmp_gt_i32 s51, 25
	s_cbranch_scc0 .LBB15_434
; %bb.420:
	s_cmp_gt_i32 s51, 28
	s_cbranch_scc0 .LBB15_436
; %bb.421:
	;; [unrolled: 3-line block ×4, first 2 shown]
	s_cmp_eq_u32 s51, 46
	s_mov_b64 s[48:49], 0
	s_cbranch_scc0 .LBB15_444
; %bb.424:
	global_load_dword v1, v[4:5], off
	s_mov_b32 s0, 0x2f800000
	s_mov_b32 s1, 0xcf800000
	s_mov_b64 s[46:47], 0
	s_waitcnt vmcnt(0)
	v_lshlrev_b32_e32 v1, 16, v1
	v_trunc_f32_e32 v1, v1
	v_mul_f32_e64 v2, |v1|, s0
	v_floor_f32_e32 v2, v2
	v_fma_f32 v2, v2, s1, |v1|
	v_cvt_u32_f32_e32 v2, v2
	v_ashrrev_i32_e32 v1, 31, v1
	s_mov_b64 s[0:1], -1
	v_xor_b32_e32 v2, v2, v1
	v_sub_u32_e32 v1, v2, v1
	s_branch .LBB15_445
.LBB15_425:
	s_mov_b64 s[0:1], 0
                                        ; implicit-def: $vgpr1
	s_mov_b64 s[46:47], s[42:43]
	s_cbranch_execnz .LBB15_507
.LBB15_426:
	s_andn2_b64 vcc, exec, s[0:1]
	s_cbranch_vccnz .LBB15_555
.LBB15_427:
	v_mov_b32_e32 v4, s13
	s_and_b32 s54, s71, 0xff
	s_waitcnt vmcnt(0)
	v_add_co_u32_e32 v2, vcc, s12, v3
	s_cmp_lt_i32 s54, 11
	v_addc_co_u32_e32 v3, vcc, 0, v4, vcc
	s_cbranch_scc1 .LBB15_435
; %bb.428:
	s_and_b32 s55, 0xffff, s54
	s_cmp_gt_i32 s55, 25
	s_cbranch_scc0 .LBB15_437
; %bb.429:
	s_cmp_gt_i32 s55, 28
	s_cbranch_scc0 .LBB15_439
; %bb.430:
	s_cmp_gt_i32 s55, 43
	s_cbranch_scc0 .LBB15_441
; %bb.431:
	s_cmp_gt_i32 s55, 45
	s_cbranch_scc0 .LBB15_448
; %bb.432:
	s_cmp_eq_u32 s55, 46
	s_mov_b64 s[50:51], 0
	s_cbranch_scc0 .LBB15_559
; %bb.433:
	global_load_dword v4, v[2:3], off
	s_mov_b32 s0, 0x2f800000
	s_mov_b32 s1, 0xcf800000
	s_mov_b64 s[48:49], 0
	s_waitcnt vmcnt(0)
	v_lshlrev_b32_e32 v4, 16, v4
	v_trunc_f32_e32 v4, v4
	v_mul_f32_e64 v5, |v4|, s0
	v_floor_f32_e32 v5, v5
	v_fma_f32 v5, v5, s1, |v4|
	v_cvt_u32_f32_e32 v5, v5
	v_ashrrev_i32_e32 v4, 31, v4
	s_mov_b64 s[0:1], -1
	v_xor_b32_e32 v5, v5, v4
	v_sub_u32_e32 v4, v5, v4
	s_branch .LBB15_560
.LBB15_434:
	s_mov_b64 s[48:49], -1
	s_mov_b64 s[0:1], 0
	s_mov_b64 s[46:47], s[42:43]
                                        ; implicit-def: $vgpr1
	s_branch .LBB15_473
.LBB15_435:
	s_mov_b64 s[50:51], -1
	s_mov_b64 s[0:1], 0
                                        ; implicit-def: $vgpr4
	s_mov_b64 s[48:49], s[40:41]
	s_branch .LBB15_621
.LBB15_436:
	s_mov_b64 s[48:49], -1
	s_mov_b64 s[0:1], 0
	s_mov_b64 s[46:47], s[42:43]
                                        ; implicit-def: $vgpr1
	s_branch .LBB15_456
.LBB15_437:
	s_mov_b64 s[50:51], -1
	s_mov_b64 s[0:1], 0
	s_mov_b64 s[48:49], s[40:41]
                                        ; implicit-def: $vgpr4
	s_branch .LBB15_587
.LBB15_438:
	s_mov_b64 s[48:49], -1
	s_mov_b64 s[0:1], 0
	s_mov_b64 s[46:47], s[42:43]
                                        ; implicit-def: $vgpr1
	s_branch .LBB15_451
.LBB15_439:
	s_mov_b64 s[50:51], -1
	s_mov_b64 s[0:1], 0
	s_mov_b64 s[48:49], s[40:41]
                                        ; implicit-def: $vgpr4
	s_branch .LBB15_570
.LBB15_440:
	s_mov_b64 s[48:49], -1
	s_mov_b64 s[0:1], 0
	s_mov_b64 s[46:47], s[42:43]
                                        ; implicit-def: $vgpr1
	s_branch .LBB15_445
.LBB15_441:
	s_mov_b64 s[50:51], -1
	s_mov_b64 s[0:1], 0
	s_mov_b64 s[48:49], s[40:41]
                                        ; implicit-def: $vgpr4
	s_branch .LBB15_565
.LBB15_442:
	s_andn2_saveexec_b64 s[52:53], s[52:53]
	s_cbranch_execz .LBB15_203
.LBB15_443:
	v_add_f32_e32 v2, 0x46000000, v3
	v_and_b32_e32 v2, 0xff, v2
	v_cmp_ne_u32_e32 vcc, 0, v2
	s_andn2_b64 s[50:51], s[50:51], exec
	s_and_b64 s[56:57], vcc, exec
	s_or_b64 s[50:51], s[50:51], s[56:57]
	s_or_b64 exec, exec, s[52:53]
	v_mov_b32_e32 v4, 0
	s_and_saveexec_b64 s[52:53], s[50:51]
	s_cbranch_execnz .LBB15_204
	s_branch .LBB15_205
.LBB15_444:
	s_mov_b64 s[46:47], -1
                                        ; implicit-def: $vgpr1
	s_mov_b64 s[0:1], 0
.LBB15_445:
	s_and_b64 vcc, exec, s[48:49]
	s_cbranch_vccz .LBB15_450
; %bb.446:
	s_cmp_eq_u32 s51, 44
	s_cbranch_scc0 .LBB15_449
; %bb.447:
	global_load_ubyte v1, v[4:5], off
	s_mov_b32 s0, 0x2f800000
	s_mov_b32 s1, 0xcf800000
	s_mov_b64 s[46:47], 0
	s_waitcnt vmcnt(0)
	v_lshlrev_b32_e32 v2, 23, v1
	v_trunc_f32_e32 v2, v2
	v_mul_f32_e64 v6, |v2|, s0
	v_floor_f32_e32 v6, v6
	v_fma_f32 v6, v6, s1, |v2|
	v_cvt_u32_f32_e32 v6, v6
	v_ashrrev_i32_e32 v2, 31, v2
	v_cmp_ne_u32_e32 vcc, 0, v1
	s_mov_b64 s[0:1], -1
	v_xor_b32_e32 v6, v6, v2
	v_sub_u32_e32 v2, v6, v2
	v_cndmask_b32_e32 v1, 0, v2, vcc
	s_branch .LBB15_450
.LBB15_448:
	s_mov_b64 s[50:51], -1
	s_mov_b64 s[0:1], 0
	s_mov_b64 s[48:49], s[40:41]
                                        ; implicit-def: $vgpr4
	s_branch .LBB15_560
.LBB15_449:
	s_mov_b64 s[46:47], -1
                                        ; implicit-def: $vgpr1
.LBB15_450:
	s_mov_b64 s[48:49], 0
.LBB15_451:
	s_and_b64 vcc, exec, s[48:49]
	s_cbranch_vccz .LBB15_455
; %bb.452:
	s_cmp_eq_u32 s51, 29
	s_cbranch_scc0 .LBB15_454
; %bb.453:
	global_load_dwordx2 v[1:2], v[4:5], off
	s_mov_b64 s[0:1], -1
	s_mov_b64 s[46:47], 0
	s_branch .LBB15_455
.LBB15_454:
	s_mov_b64 s[46:47], -1
                                        ; implicit-def: $vgpr1
.LBB15_455:
	s_mov_b64 s[48:49], 0
.LBB15_456:
	s_and_b64 vcc, exec, s[48:49]
	s_cbranch_vccz .LBB15_472
; %bb.457:
	s_cmp_lt_i32 s51, 27
	s_cbranch_scc1 .LBB15_460
; %bb.458:
	s_cmp_gt_i32 s51, 27
	s_cbranch_scc0 .LBB15_461
; %bb.459:
	global_load_dword v1, v[4:5], off
	s_mov_b64 s[0:1], 0
	s_branch .LBB15_462
.LBB15_460:
	s_mov_b64 s[0:1], -1
                                        ; implicit-def: $vgpr1
	s_branch .LBB15_465
.LBB15_461:
	s_mov_b64 s[0:1], -1
                                        ; implicit-def: $vgpr1
.LBB15_462:
	s_andn2_b64 vcc, exec, s[0:1]
	s_cbranch_vccnz .LBB15_464
; %bb.463:
	global_load_ushort v1, v[4:5], off
.LBB15_464:
	s_mov_b64 s[0:1], 0
.LBB15_465:
	s_andn2_b64 vcc, exec, s[0:1]
	s_cbranch_vccnz .LBB15_471
; %bb.466:
	global_load_ubyte v2, v[4:5], off
	s_movk_i32 s0, 0x7f
	s_mov_b64 s[48:49], 0
	s_waitcnt vmcnt(0)
	v_cmp_lt_i16_e32 vcc, s0, v2
	s_and_saveexec_b64 s[0:1], vcc
	s_xor_b64 s[0:1], exec, s[0:1]
	s_cbranch_execz .LBB15_483
; %bb.467:
	s_movk_i32 s48, 0x80
	v_cmp_ne_u16_e32 vcc, s48, v2
	s_and_b64 s[48:49], vcc, exec
	s_andn2_saveexec_b64 s[0:1], s[0:1]
	s_cbranch_execnz .LBB15_484
.LBB15_468:
	s_or_b64 exec, exec, s[0:1]
	v_mov_b32_e32 v1, 0
	s_and_saveexec_b64 s[0:1], s[48:49]
	s_cbranch_execz .LBB15_470
.LBB15_469:
	v_lshlrev_b32_e32 v1, 24, v2
	v_and_b32_e32 v2, 0xffff, v2
	v_and_b32_e32 v6, 7, v2
	v_ffbh_u32_e32 v9, v6
	v_min_u32_e32 v9, 32, v9
	v_subrev_u32_e32 v10, 28, v9
	v_bfe_u32 v7, v2, 3, 4
	v_lshlrev_b32_e32 v2, v10, v2
	v_sub_u32_e32 v9, 29, v9
	v_and_b32_e32 v2, 7, v2
	v_cmp_eq_u32_e32 vcc, 0, v7
	v_cndmask_b32_e32 v7, v7, v9, vcc
	v_cndmask_b32_e32 v2, v6, v2, vcc
	v_mov_b32_e32 v6, 0x3b800000
	v_lshlrev_b32_e32 v2, 20, v2
	v_and_b32_e32 v1, 0x80000000, v1
	v_lshl_add_u32 v6, v7, 23, v6
	v_or3_b32 v1, v1, v6, v2
	v_trunc_f32_e32 v1, v1
	s_mov_b32 s48, 0x2f800000
	v_mul_f32_e64 v2, |v1|, s48
	v_floor_f32_e32 v2, v2
	s_mov_b32 s48, 0xcf800000
	v_fma_f32 v2, v2, s48, |v1|
	v_cvt_u32_f32_e32 v2, v2
	v_ashrrev_i32_e32 v1, 31, v1
	v_xor_b32_e32 v2, v2, v1
	v_sub_u32_e32 v1, v2, v1
.LBB15_470:
	s_or_b64 exec, exec, s[0:1]
.LBB15_471:
	s_mov_b64 s[0:1], -1
.LBB15_472:
	s_mov_b64 s[48:49], 0
.LBB15_473:
	s_and_b64 vcc, exec, s[48:49]
	s_cbranch_vccz .LBB15_506
; %bb.474:
	s_cmp_gt_i32 s51, 22
	s_cbranch_scc0 .LBB15_482
; %bb.475:
	s_cmp_lt_i32 s51, 24
	s_cbranch_scc1 .LBB15_485
; %bb.476:
	s_cmp_gt_i32 s51, 24
	s_cbranch_scc0 .LBB15_486
; %bb.477:
	global_load_ubyte v2, v[4:5], off
	s_movk_i32 s0, 0x7f
	s_mov_b64 s[48:49], 0
	s_waitcnt vmcnt(0)
	v_cmp_lt_i16_e32 vcc, s0, v2
	s_and_saveexec_b64 s[0:1], vcc
	s_xor_b64 s[0:1], exec, s[0:1]
	s_cbranch_execz .LBB15_498
; %bb.478:
	s_movk_i32 s48, 0x80
	v_cmp_ne_u16_e32 vcc, s48, v2
	s_and_b64 s[48:49], vcc, exec
	s_andn2_saveexec_b64 s[0:1], s[0:1]
	s_cbranch_execnz .LBB15_499
.LBB15_479:
	s_or_b64 exec, exec, s[0:1]
	v_mov_b32_e32 v1, 0
	s_and_saveexec_b64 s[0:1], s[48:49]
	s_cbranch_execz .LBB15_481
.LBB15_480:
	v_lshlrev_b32_e32 v1, 24, v2
	v_and_b32_e32 v2, 0xffff, v2
	v_and_b32_e32 v6, 3, v2
	v_ffbh_u32_e32 v9, v6
	v_min_u32_e32 v9, 32, v9
	v_subrev_u32_e32 v10, 29, v9
	v_bfe_u32 v7, v2, 2, 5
	v_lshlrev_b32_e32 v2, v10, v2
	v_sub_u32_e32 v9, 30, v9
	v_and_b32_e32 v2, 3, v2
	v_cmp_eq_u32_e32 vcc, 0, v7
	v_cndmask_b32_e32 v7, v7, v9, vcc
	v_cndmask_b32_e32 v2, v6, v2, vcc
	v_mov_b32_e32 v6, 0x37800000
	v_lshlrev_b32_e32 v2, 21, v2
	v_and_b32_e32 v1, 0x80000000, v1
	v_lshl_add_u32 v6, v7, 23, v6
	v_or3_b32 v1, v1, v6, v2
	v_trunc_f32_e32 v1, v1
	s_mov_b32 s48, 0x2f800000
	v_mul_f32_e64 v2, |v1|, s48
	v_floor_f32_e32 v2, v2
	s_mov_b32 s48, 0xcf800000
	v_fma_f32 v2, v2, s48, |v1|
	v_cvt_u32_f32_e32 v2, v2
	v_ashrrev_i32_e32 v1, 31, v1
	v_xor_b32_e32 v2, v2, v1
	v_sub_u32_e32 v1, v2, v1
.LBB15_481:
	s_or_b64 exec, exec, s[0:1]
	s_mov_b64 s[0:1], 0
	s_branch .LBB15_487
.LBB15_482:
	s_mov_b64 s[48:49], -1
                                        ; implicit-def: $vgpr1
	s_branch .LBB15_493
.LBB15_483:
	s_andn2_saveexec_b64 s[0:1], s[0:1]
	s_cbranch_execz .LBB15_468
.LBB15_484:
	v_cmp_ne_u16_e32 vcc, 0, v2
	s_andn2_b64 s[48:49], s[48:49], exec
	s_and_b64 s[54:55], vcc, exec
	s_or_b64 s[48:49], s[48:49], s[54:55]
	s_or_b64 exec, exec, s[0:1]
	v_mov_b32_e32 v1, 0
	s_and_saveexec_b64 s[0:1], s[48:49]
	s_cbranch_execnz .LBB15_469
	s_branch .LBB15_470
.LBB15_485:
	s_mov_b64 s[0:1], -1
                                        ; implicit-def: $vgpr1
	s_branch .LBB15_490
.LBB15_486:
	s_mov_b64 s[0:1], -1
                                        ; implicit-def: $vgpr1
.LBB15_487:
	s_and_b64 vcc, exec, s[0:1]
	s_cbranch_vccz .LBB15_489
; %bb.488:
	global_load_ubyte v1, v[4:5], off
	s_mov_b32 s0, 0x7f800000
	s_brev_b32 s1, 1
	s_mov_b32 s48, 0x2f800000
	s_waitcnt vmcnt(0)
	v_lshlrev_b32_e32 v1, 24, v1
	v_and_b32_e32 v2, 0x7f000000, v1
	v_ffbh_u32_e32 v6, v2
	v_min_u32_e32 v6, 32, v6
	v_sub_u32_e64 v6, v6, 4 clamp
	v_lshlrev_b32_e32 v9, v6, v2
	v_lshlrev_b32_e32 v6, 23, v6
	v_lshrrev_b32_e32 v9, 4, v9
	v_add_u32_e32 v7, 0x1000000, v2
	v_sub_u32_e32 v6, v9, v6
	v_ashrrev_i32_e32 v7, 8, v7
	v_add_u32_e32 v6, 0x3c000000, v6
	v_and_or_b32 v6, v7, s0, v6
	v_cmp_ne_u32_e32 vcc, 0, v2
	v_cndmask_b32_e32 v2, 0, v6, vcc
	v_and_or_b32 v1, v1, s1, v2
	v_trunc_f32_e32 v1, v1
	v_mul_f32_e64 v2, |v1|, s48
	v_floor_f32_e32 v2, v2
	s_mov_b32 s0, 0xcf800000
	v_fma_f32 v2, v2, s0, |v1|
	v_cvt_u32_f32_e32 v2, v2
	v_ashrrev_i32_e32 v1, 31, v1
	v_xor_b32_e32 v2, v2, v1
	v_sub_u32_e32 v1, v2, v1
.LBB15_489:
	s_mov_b64 s[0:1], 0
.LBB15_490:
	s_andn2_b64 vcc, exec, s[0:1]
	s_cbranch_vccnz .LBB15_492
; %bb.491:
	global_load_ubyte v1, v[4:5], off
	s_movk_i32 s0, 0x7f00
	s_brev_b32 s1, 16
	s_brev_b32 s48, 1
	s_mov_b32 s49, 0x2f800000
	s_waitcnt vmcnt(0)
	v_lshlrev_b16_e32 v2, 8, v1
	v_lshlrev_b32_e32 v1, 25, v1
	v_lshrrev_b32_e32 v6, 4, v1
	v_and_or_b32 v7, v2, s0, 0.5
	v_or_b32_e32 v6, 0x70000000, v6
	v_add_f32_e32 v7, -0.5, v7
	v_mul_f32_e32 v6, 0x7800000, v6
	v_cmp_gt_u32_e32 vcc, s1, v1
	v_bfe_i32 v2, v2, 0, 16
	v_cndmask_b32_e32 v1, v6, v7, vcc
	v_and_or_b32 v1, v2, s48, v1
	v_trunc_f32_e32 v1, v1
	v_mul_f32_e64 v2, |v1|, s49
	v_floor_f32_e32 v2, v2
	s_mov_b32 s0, 0xcf800000
	v_fma_f32 v2, v2, s0, |v1|
	v_cvt_u32_f32_e32 v2, v2
	v_ashrrev_i32_e32 v1, 31, v1
	v_xor_b32_e32 v2, v2, v1
	v_sub_u32_e32 v1, v2, v1
.LBB15_492:
	s_mov_b64 s[48:49], 0
	s_mov_b64 s[0:1], -1
.LBB15_493:
	s_andn2_b64 vcc, exec, s[48:49]
	s_cbranch_vccnz .LBB15_506
; %bb.494:
	s_cmp_gt_i32 s51, 14
	s_cbranch_scc0 .LBB15_497
; %bb.495:
	s_cmp_eq_u32 s51, 15
	s_cbranch_scc0 .LBB15_500
; %bb.496:
	global_load_ushort v1, v[4:5], off
	s_mov_b32 s0, 0x2f800000
	s_mov_b32 s1, 0xcf800000
	s_mov_b64 s[46:47], 0
	s_waitcnt vmcnt(0)
	v_lshlrev_b32_e32 v1, 16, v1
	v_trunc_f32_e32 v1, v1
	v_mul_f32_e64 v2, |v1|, s0
	v_floor_f32_e32 v2, v2
	v_fma_f32 v2, v2, s1, |v1|
	v_cvt_u32_f32_e32 v2, v2
	v_ashrrev_i32_e32 v1, 31, v1
	s_mov_b64 s[0:1], -1
	v_xor_b32_e32 v2, v2, v1
	v_sub_u32_e32 v1, v2, v1
	s_branch .LBB15_501
.LBB15_497:
	s_mov_b64 s[48:49], -1
                                        ; implicit-def: $vgpr1
	s_branch .LBB15_502
.LBB15_498:
	s_andn2_saveexec_b64 s[0:1], s[0:1]
	s_cbranch_execz .LBB15_479
.LBB15_499:
	v_cmp_ne_u16_e32 vcc, 0, v2
	s_andn2_b64 s[48:49], s[48:49], exec
	s_and_b64 s[54:55], vcc, exec
	s_or_b64 s[48:49], s[48:49], s[54:55]
	s_or_b64 exec, exec, s[0:1]
	v_mov_b32_e32 v1, 0
	s_and_saveexec_b64 s[0:1], s[48:49]
	s_cbranch_execnz .LBB15_480
	s_branch .LBB15_481
.LBB15_500:
	s_mov_b64 s[46:47], -1
                                        ; implicit-def: $vgpr1
.LBB15_501:
	s_mov_b64 s[48:49], 0
.LBB15_502:
	s_and_b64 vcc, exec, s[48:49]
	s_cbranch_vccz .LBB15_506
; %bb.503:
	s_cmp_eq_u32 s51, 11
	s_cbranch_scc0 .LBB15_505
; %bb.504:
	global_load_ubyte v1, v[4:5], off
	s_mov_b64 s[0:1], -1
	s_mov_b64 s[46:47], 0
	s_waitcnt vmcnt(0)
	v_cmp_ne_u16_e32 vcc, 0, v1
	v_cndmask_b32_e64 v1, 0, 1, vcc
	s_branch .LBB15_506
.LBB15_505:
	s_mov_b64 s[46:47], -1
                                        ; implicit-def: $vgpr1
.LBB15_506:
	s_branch .LBB15_426
.LBB15_507:
	s_and_b32 s48, 0xffff, s50
	s_cmp_lt_i32 s48, 5
	s_cbranch_scc1 .LBB15_512
; %bb.508:
	s_cmp_lt_i32 s48, 8
	s_cbranch_scc1 .LBB15_513
; %bb.509:
	;; [unrolled: 3-line block ×3, first 2 shown]
	s_cmp_gt_i32 s48, 9
	s_cbranch_scc0 .LBB15_515
; %bb.511:
	global_load_dwordx2 v[1:2], v[4:5], off
	s_movk_i32 s0, 0xffe0
	s_waitcnt vmcnt(0)
	v_trunc_f64_e32 v[1:2], v[1:2]
	v_ldexp_f64 v[6:7], v[1:2], s0
	s_mov_b32 s0, 0
	s_mov_b32 s1, 0xc1f00000
	v_floor_f64_e32 v[6:7], v[6:7]
	v_fma_f64 v[1:2], v[6:7], s[0:1], v[1:2]
	s_mov_b64 s[0:1], 0
	v_cvt_u32_f64_e32 v1, v[1:2]
	s_branch .LBB15_516
.LBB15_512:
	s_mov_b64 s[0:1], -1
                                        ; implicit-def: $vgpr1
	s_branch .LBB15_534
.LBB15_513:
	s_mov_b64 s[0:1], -1
                                        ; implicit-def: $vgpr1
	s_branch .LBB15_522
.LBB15_514:
	s_mov_b64 s[0:1], -1
                                        ; implicit-def: $vgpr1
	s_branch .LBB15_519
.LBB15_515:
	s_mov_b64 s[0:1], -1
                                        ; implicit-def: $vgpr1
.LBB15_516:
	s_andn2_b64 vcc, exec, s[0:1]
	s_cbranch_vccnz .LBB15_518
; %bb.517:
	global_load_dword v1, v[4:5], off
	s_mov_b32 s0, 0x2f800000
	s_waitcnt vmcnt(0)
	v_trunc_f32_e32 v1, v1
	v_mul_f32_e64 v2, |v1|, s0
	v_floor_f32_e32 v2, v2
	s_mov_b32 s0, 0xcf800000
	v_fma_f32 v2, v2, s0, |v1|
	v_cvt_u32_f32_e32 v2, v2
	v_ashrrev_i32_e32 v1, 31, v1
	v_xor_b32_e32 v2, v2, v1
	v_sub_u32_e32 v1, v2, v1
.LBB15_518:
	s_mov_b64 s[0:1], 0
.LBB15_519:
	s_andn2_b64 vcc, exec, s[0:1]
	s_cbranch_vccnz .LBB15_521
; %bb.520:
	global_load_dword v1, v[4:5], off
	s_waitcnt vmcnt(0)
	v_cvt_f32_f16_e32 v1, v1
	v_cvt_i32_f32_e32 v1, v1
.LBB15_521:
	s_mov_b64 s[0:1], 0
.LBB15_522:
	s_andn2_b64 vcc, exec, s[0:1]
	s_cbranch_vccnz .LBB15_533
; %bb.523:
	s_cmp_lt_i32 s48, 6
	s_cbranch_scc1 .LBB15_526
; %bb.524:
	s_cmp_gt_i32 s48, 6
	s_cbranch_scc0 .LBB15_527
; %bb.525:
	global_load_dwordx2 v[1:2], v[4:5], off
	s_movk_i32 s0, 0xffe0
	s_waitcnt vmcnt(0)
	v_trunc_f64_e32 v[1:2], v[1:2]
	v_ldexp_f64 v[6:7], v[1:2], s0
	s_mov_b32 s0, 0
	s_mov_b32 s1, 0xc1f00000
	v_floor_f64_e32 v[6:7], v[6:7]
	v_fma_f64 v[1:2], v[6:7], s[0:1], v[1:2]
	s_mov_b64 s[0:1], 0
	v_cvt_u32_f64_e32 v1, v[1:2]
	s_branch .LBB15_528
.LBB15_526:
	s_mov_b64 s[0:1], -1
                                        ; implicit-def: $vgpr1
	s_branch .LBB15_531
.LBB15_527:
	s_mov_b64 s[0:1], -1
                                        ; implicit-def: $vgpr1
.LBB15_528:
	s_andn2_b64 vcc, exec, s[0:1]
	s_cbranch_vccnz .LBB15_530
; %bb.529:
	global_load_dword v1, v[4:5], off
	s_mov_b32 s0, 0x2f800000
	s_waitcnt vmcnt(0)
	v_trunc_f32_e32 v1, v1
	v_mul_f32_e64 v2, |v1|, s0
	v_floor_f32_e32 v2, v2
	s_mov_b32 s0, 0xcf800000
	v_fma_f32 v2, v2, s0, |v1|
	v_cvt_u32_f32_e32 v2, v2
	v_ashrrev_i32_e32 v1, 31, v1
	v_xor_b32_e32 v2, v2, v1
	v_sub_u32_e32 v1, v2, v1
.LBB15_530:
	s_mov_b64 s[0:1], 0
.LBB15_531:
	s_andn2_b64 vcc, exec, s[0:1]
	s_cbranch_vccnz .LBB15_533
; %bb.532:
	global_load_ushort v1, v[4:5], off
	s_waitcnt vmcnt(0)
	v_cvt_f32_f16_e32 v1, v1
	v_cvt_i32_f32_e32 v1, v1
.LBB15_533:
	s_mov_b64 s[0:1], 0
.LBB15_534:
	s_andn2_b64 vcc, exec, s[0:1]
	s_cbranch_vccnz .LBB15_554
; %bb.535:
	s_cmp_lt_i32 s48, 2
	s_cbranch_scc1 .LBB15_539
; %bb.536:
	s_cmp_lt_i32 s48, 3
	s_cbranch_scc1 .LBB15_540
; %bb.537:
	s_cmp_gt_i32 s48, 3
	s_cbranch_scc0 .LBB15_541
; %bb.538:
	global_load_dwordx2 v[1:2], v[4:5], off
	s_mov_b64 s[0:1], 0
	s_branch .LBB15_542
.LBB15_539:
	s_mov_b64 s[0:1], -1
                                        ; implicit-def: $vgpr1
	s_branch .LBB15_548
.LBB15_540:
	s_mov_b64 s[0:1], -1
                                        ; implicit-def: $vgpr1
	s_branch .LBB15_545
.LBB15_541:
	s_mov_b64 s[0:1], -1
                                        ; implicit-def: $vgpr1
.LBB15_542:
	s_andn2_b64 vcc, exec, s[0:1]
	s_cbranch_vccnz .LBB15_544
; %bb.543:
	global_load_dword v1, v[4:5], off
.LBB15_544:
	s_mov_b64 s[0:1], 0
.LBB15_545:
	s_andn2_b64 vcc, exec, s[0:1]
	s_cbranch_vccnz .LBB15_547
; %bb.546:
	global_load_ushort v1, v[4:5], off
.LBB15_547:
	s_mov_b64 s[0:1], 0
.LBB15_548:
	s_andn2_b64 vcc, exec, s[0:1]
	s_cbranch_vccnz .LBB15_554
; %bb.549:
	s_cmp_gt_i32 s48, 0
	s_cbranch_scc0 .LBB15_551
; %bb.550:
	global_load_ubyte v1, v[4:5], off
	s_mov_b64 s[0:1], 0
	s_branch .LBB15_552
.LBB15_551:
	s_mov_b64 s[0:1], -1
                                        ; implicit-def: $vgpr1
.LBB15_552:
	s_andn2_b64 vcc, exec, s[0:1]
	s_cbranch_vccnz .LBB15_554
; %bb.553:
	global_load_ubyte v1, v[4:5], off
.LBB15_554:
	s_branch .LBB15_427
.LBB15_555:
	s_mov_b64 s[54:55], 0
	s_mov_b64 s[0:1], s[38:39]
	s_mov_b64 s[48:49], s[40:41]
.LBB15_556:
                                        ; implicit-def: $vgpr8
	s_branch .LBB15_811
.LBB15_557:
	s_andn2_saveexec_b64 s[52:53], s[52:53]
	s_cbranch_execz .LBB15_216
.LBB15_558:
	v_add_f32_e32 v2, 0x42800000, v3
	v_and_b32_e32 v2, 0xff, v2
	v_cmp_ne_u32_e32 vcc, 0, v2
	s_andn2_b64 s[50:51], s[50:51], exec
	s_and_b64 s[56:57], vcc, exec
	s_or_b64 s[50:51], s[50:51], s[56:57]
	s_or_b64 exec, exec, s[52:53]
	v_mov_b32_e32 v4, 0
	s_and_saveexec_b64 s[52:53], s[50:51]
	s_cbranch_execnz .LBB15_217
	s_branch .LBB15_218
.LBB15_559:
	s_mov_b64 s[48:49], -1
                                        ; implicit-def: $vgpr4
	s_mov_b64 s[0:1], 0
.LBB15_560:
	s_and_b64 vcc, exec, s[50:51]
	s_cbranch_vccz .LBB15_564
; %bb.561:
	s_cmp_eq_u32 s55, 44
	s_cbranch_scc0 .LBB15_563
; %bb.562:
	global_load_ubyte v4, v[2:3], off
	s_mov_b32 s0, 0x2f800000
	s_mov_b32 s1, 0xcf800000
	s_mov_b64 s[48:49], 0
	s_waitcnt vmcnt(0)
	v_lshlrev_b32_e32 v5, 23, v4
	v_trunc_f32_e32 v5, v5
	v_mul_f32_e64 v6, |v5|, s0
	v_floor_f32_e32 v6, v6
	v_fma_f32 v6, v6, s1, |v5|
	v_cvt_u32_f32_e32 v6, v6
	v_ashrrev_i32_e32 v5, 31, v5
	v_cmp_ne_u32_e32 vcc, 0, v4
	s_mov_b64 s[0:1], -1
	v_xor_b32_e32 v6, v6, v5
	v_sub_u32_e32 v5, v6, v5
	v_cndmask_b32_e32 v4, 0, v5, vcc
	s_branch .LBB15_564
.LBB15_563:
	s_mov_b64 s[48:49], -1
                                        ; implicit-def: $vgpr4
.LBB15_564:
	s_mov_b64 s[50:51], 0
.LBB15_565:
	s_and_b64 vcc, exec, s[50:51]
	s_cbranch_vccz .LBB15_569
; %bb.566:
	s_cmp_eq_u32 s55, 29
	s_cbranch_scc0 .LBB15_568
; %bb.567:
	global_load_dwordx2 v[4:5], v[2:3], off
	s_mov_b64 s[0:1], -1
	s_mov_b64 s[48:49], 0
	s_branch .LBB15_569
.LBB15_568:
	s_mov_b64 s[48:49], -1
                                        ; implicit-def: $vgpr4
.LBB15_569:
	s_mov_b64 s[50:51], 0
.LBB15_570:
	s_and_b64 vcc, exec, s[50:51]
	s_cbranch_vccz .LBB15_586
; %bb.571:
	s_cmp_lt_i32 s55, 27
	s_cbranch_scc1 .LBB15_574
; %bb.572:
	s_cmp_gt_i32 s55, 27
	s_cbranch_scc0 .LBB15_575
; %bb.573:
	global_load_dword v4, v[2:3], off
	s_mov_b64 s[0:1], 0
	s_branch .LBB15_576
.LBB15_574:
	s_mov_b64 s[0:1], -1
                                        ; implicit-def: $vgpr4
	s_branch .LBB15_579
.LBB15_575:
	s_mov_b64 s[0:1], -1
                                        ; implicit-def: $vgpr4
.LBB15_576:
	s_andn2_b64 vcc, exec, s[0:1]
	s_cbranch_vccnz .LBB15_578
; %bb.577:
	global_load_ushort v4, v[2:3], off
.LBB15_578:
	s_mov_b64 s[0:1], 0
.LBB15_579:
	s_andn2_b64 vcc, exec, s[0:1]
	s_cbranch_vccnz .LBB15_585
; %bb.580:
	global_load_ubyte v5, v[2:3], off
	s_movk_i32 s0, 0x7f
	s_mov_b64 s[50:51], 0
	s_waitcnt vmcnt(0)
	v_cmp_lt_i16_e32 vcc, s0, v5
	s_and_saveexec_b64 s[0:1], vcc
	s_xor_b64 s[0:1], exec, s[0:1]
	s_cbranch_execz .LBB15_597
; %bb.581:
	s_movk_i32 s50, 0x80
	v_cmp_ne_u16_e32 vcc, s50, v5
	s_and_b64 s[50:51], vcc, exec
	s_andn2_saveexec_b64 s[0:1], s[0:1]
	s_cbranch_execnz .LBB15_598
.LBB15_582:
	s_or_b64 exec, exec, s[0:1]
	v_mov_b32_e32 v4, 0
	s_and_saveexec_b64 s[0:1], s[50:51]
	s_cbranch_execz .LBB15_584
.LBB15_583:
	v_lshlrev_b32_e32 v4, 24, v5
	v_and_b32_e32 v5, 0xffff, v5
	v_and_b32_e32 v6, 7, v5
	v_ffbh_u32_e32 v9, v6
	v_min_u32_e32 v9, 32, v9
	v_subrev_u32_e32 v10, 28, v9
	v_bfe_u32 v7, v5, 3, 4
	v_lshlrev_b32_e32 v5, v10, v5
	v_sub_u32_e32 v9, 29, v9
	v_and_b32_e32 v5, 7, v5
	v_cmp_eq_u32_e32 vcc, 0, v7
	v_cndmask_b32_e32 v7, v7, v9, vcc
	v_cndmask_b32_e32 v5, v6, v5, vcc
	v_mov_b32_e32 v6, 0x3b800000
	v_lshlrev_b32_e32 v5, 20, v5
	v_and_b32_e32 v4, 0x80000000, v4
	v_lshl_add_u32 v6, v7, 23, v6
	v_or3_b32 v4, v4, v6, v5
	v_trunc_f32_e32 v4, v4
	s_mov_b32 s50, 0x2f800000
	v_mul_f32_e64 v5, |v4|, s50
	v_floor_f32_e32 v5, v5
	s_mov_b32 s50, 0xcf800000
	v_fma_f32 v5, v5, s50, |v4|
	v_cvt_u32_f32_e32 v5, v5
	v_ashrrev_i32_e32 v4, 31, v4
	v_xor_b32_e32 v5, v5, v4
	v_sub_u32_e32 v4, v5, v4
.LBB15_584:
	s_or_b64 exec, exec, s[0:1]
.LBB15_585:
	s_mov_b64 s[0:1], -1
.LBB15_586:
	s_mov_b64 s[50:51], 0
.LBB15_587:
	s_and_b64 vcc, exec, s[50:51]
	s_cbranch_vccz .LBB15_620
; %bb.588:
	s_cmp_gt_i32 s55, 22
	s_cbranch_scc0 .LBB15_596
; %bb.589:
	s_cmp_lt_i32 s55, 24
	s_cbranch_scc1 .LBB15_599
; %bb.590:
	s_cmp_gt_i32 s55, 24
	s_cbranch_scc0 .LBB15_600
; %bb.591:
	global_load_ubyte v5, v[2:3], off
	s_movk_i32 s0, 0x7f
	s_mov_b64 s[50:51], 0
	s_waitcnt vmcnt(0)
	v_cmp_lt_i16_e32 vcc, s0, v5
	s_and_saveexec_b64 s[0:1], vcc
	s_xor_b64 s[0:1], exec, s[0:1]
	s_cbranch_execz .LBB15_612
; %bb.592:
	s_movk_i32 s50, 0x80
	v_cmp_ne_u16_e32 vcc, s50, v5
	s_and_b64 s[50:51], vcc, exec
	s_andn2_saveexec_b64 s[0:1], s[0:1]
	s_cbranch_execnz .LBB15_613
.LBB15_593:
	s_or_b64 exec, exec, s[0:1]
	v_mov_b32_e32 v4, 0
	s_and_saveexec_b64 s[0:1], s[50:51]
	s_cbranch_execz .LBB15_595
.LBB15_594:
	v_lshlrev_b32_e32 v4, 24, v5
	v_and_b32_e32 v5, 0xffff, v5
	v_and_b32_e32 v6, 3, v5
	v_ffbh_u32_e32 v9, v6
	v_min_u32_e32 v9, 32, v9
	v_subrev_u32_e32 v10, 29, v9
	v_bfe_u32 v7, v5, 2, 5
	v_lshlrev_b32_e32 v5, v10, v5
	v_sub_u32_e32 v9, 30, v9
	v_and_b32_e32 v5, 3, v5
	v_cmp_eq_u32_e32 vcc, 0, v7
	v_cndmask_b32_e32 v7, v7, v9, vcc
	v_cndmask_b32_e32 v5, v6, v5, vcc
	v_mov_b32_e32 v6, 0x37800000
	v_lshlrev_b32_e32 v5, 21, v5
	v_and_b32_e32 v4, 0x80000000, v4
	v_lshl_add_u32 v6, v7, 23, v6
	v_or3_b32 v4, v4, v6, v5
	v_trunc_f32_e32 v4, v4
	s_mov_b32 s50, 0x2f800000
	v_mul_f32_e64 v5, |v4|, s50
	v_floor_f32_e32 v5, v5
	s_mov_b32 s50, 0xcf800000
	v_fma_f32 v5, v5, s50, |v4|
	v_cvt_u32_f32_e32 v5, v5
	v_ashrrev_i32_e32 v4, 31, v4
	v_xor_b32_e32 v5, v5, v4
	v_sub_u32_e32 v4, v5, v4
.LBB15_595:
	s_or_b64 exec, exec, s[0:1]
	s_mov_b64 s[0:1], 0
	s_branch .LBB15_601
.LBB15_596:
	s_mov_b64 s[50:51], -1
                                        ; implicit-def: $vgpr4
	s_branch .LBB15_607
.LBB15_597:
	s_andn2_saveexec_b64 s[0:1], s[0:1]
	s_cbranch_execz .LBB15_582
.LBB15_598:
	v_cmp_ne_u16_e32 vcc, 0, v5
	s_andn2_b64 s[50:51], s[50:51], exec
	s_and_b64 s[56:57], vcc, exec
	s_or_b64 s[50:51], s[50:51], s[56:57]
	s_or_b64 exec, exec, s[0:1]
	v_mov_b32_e32 v4, 0
	s_and_saveexec_b64 s[0:1], s[50:51]
	s_cbranch_execnz .LBB15_583
	s_branch .LBB15_584
.LBB15_599:
	s_mov_b64 s[0:1], -1
                                        ; implicit-def: $vgpr4
	s_branch .LBB15_604
.LBB15_600:
	s_mov_b64 s[0:1], -1
                                        ; implicit-def: $vgpr4
.LBB15_601:
	s_and_b64 vcc, exec, s[0:1]
	s_cbranch_vccz .LBB15_603
; %bb.602:
	global_load_ubyte v4, v[2:3], off
	s_mov_b32 s0, 0x7f800000
	s_brev_b32 s1, 1
	s_mov_b32 s50, 0x2f800000
	s_waitcnt vmcnt(0)
	v_lshlrev_b32_e32 v4, 24, v4
	v_and_b32_e32 v5, 0x7f000000, v4
	v_ffbh_u32_e32 v6, v5
	v_min_u32_e32 v6, 32, v6
	v_sub_u32_e64 v6, v6, 4 clamp
	v_lshlrev_b32_e32 v9, v6, v5
	v_lshlrev_b32_e32 v6, 23, v6
	v_lshrrev_b32_e32 v9, 4, v9
	v_add_u32_e32 v7, 0x1000000, v5
	v_sub_u32_e32 v6, v9, v6
	v_ashrrev_i32_e32 v7, 8, v7
	v_add_u32_e32 v6, 0x3c000000, v6
	v_and_or_b32 v6, v7, s0, v6
	v_cmp_ne_u32_e32 vcc, 0, v5
	v_cndmask_b32_e32 v5, 0, v6, vcc
	v_and_or_b32 v4, v4, s1, v5
	v_trunc_f32_e32 v4, v4
	v_mul_f32_e64 v5, |v4|, s50
	v_floor_f32_e32 v5, v5
	s_mov_b32 s0, 0xcf800000
	v_fma_f32 v5, v5, s0, |v4|
	v_cvt_u32_f32_e32 v5, v5
	v_ashrrev_i32_e32 v4, 31, v4
	v_xor_b32_e32 v5, v5, v4
	v_sub_u32_e32 v4, v5, v4
.LBB15_603:
	s_mov_b64 s[0:1], 0
.LBB15_604:
	s_andn2_b64 vcc, exec, s[0:1]
	s_cbranch_vccnz .LBB15_606
; %bb.605:
	global_load_ubyte v4, v[2:3], off
	s_movk_i32 s0, 0x7f00
	s_brev_b32 s1, 16
	s_brev_b32 s50, 1
	s_mov_b32 s51, 0x2f800000
	s_waitcnt vmcnt(0)
	v_lshlrev_b16_e32 v5, 8, v4
	v_lshlrev_b32_e32 v4, 25, v4
	v_lshrrev_b32_e32 v6, 4, v4
	v_and_or_b32 v7, v5, s0, 0.5
	v_or_b32_e32 v6, 0x70000000, v6
	v_add_f32_e32 v7, -0.5, v7
	v_mul_f32_e32 v6, 0x7800000, v6
	v_cmp_gt_u32_e32 vcc, s1, v4
	v_bfe_i32 v5, v5, 0, 16
	v_cndmask_b32_e32 v4, v6, v7, vcc
	v_and_or_b32 v4, v5, s50, v4
	v_trunc_f32_e32 v4, v4
	v_mul_f32_e64 v5, |v4|, s51
	v_floor_f32_e32 v5, v5
	s_mov_b32 s0, 0xcf800000
	v_fma_f32 v5, v5, s0, |v4|
	v_cvt_u32_f32_e32 v5, v5
	v_ashrrev_i32_e32 v4, 31, v4
	v_xor_b32_e32 v5, v5, v4
	v_sub_u32_e32 v4, v5, v4
.LBB15_606:
	s_mov_b64 s[50:51], 0
	s_mov_b64 s[0:1], -1
.LBB15_607:
	s_andn2_b64 vcc, exec, s[50:51]
	s_cbranch_vccnz .LBB15_620
; %bb.608:
	s_cmp_gt_i32 s55, 14
	s_cbranch_scc0 .LBB15_611
; %bb.609:
	s_cmp_eq_u32 s55, 15
	s_cbranch_scc0 .LBB15_614
; %bb.610:
	global_load_ushort v4, v[2:3], off
	s_mov_b32 s0, 0x2f800000
	s_mov_b32 s1, 0xcf800000
	s_mov_b64 s[48:49], 0
	s_waitcnt vmcnt(0)
	v_lshlrev_b32_e32 v4, 16, v4
	v_trunc_f32_e32 v4, v4
	v_mul_f32_e64 v5, |v4|, s0
	v_floor_f32_e32 v5, v5
	v_fma_f32 v5, v5, s1, |v4|
	v_cvt_u32_f32_e32 v5, v5
	v_ashrrev_i32_e32 v4, 31, v4
	s_mov_b64 s[0:1], -1
	v_xor_b32_e32 v5, v5, v4
	v_sub_u32_e32 v4, v5, v4
	s_branch .LBB15_615
.LBB15_611:
	s_mov_b64 s[50:51], -1
                                        ; implicit-def: $vgpr4
	s_branch .LBB15_616
.LBB15_612:
	s_andn2_saveexec_b64 s[0:1], s[0:1]
	s_cbranch_execz .LBB15_593
.LBB15_613:
	v_cmp_ne_u16_e32 vcc, 0, v5
	s_andn2_b64 s[50:51], s[50:51], exec
	s_and_b64 s[56:57], vcc, exec
	s_or_b64 s[50:51], s[50:51], s[56:57]
	s_or_b64 exec, exec, s[0:1]
	v_mov_b32_e32 v4, 0
	s_and_saveexec_b64 s[0:1], s[50:51]
	s_cbranch_execnz .LBB15_594
	s_branch .LBB15_595
.LBB15_614:
	s_mov_b64 s[48:49], -1
                                        ; implicit-def: $vgpr4
.LBB15_615:
	s_mov_b64 s[50:51], 0
.LBB15_616:
	s_and_b64 vcc, exec, s[50:51]
	s_cbranch_vccz .LBB15_620
; %bb.617:
	s_cmp_eq_u32 s55, 11
	s_cbranch_scc0 .LBB15_619
; %bb.618:
	global_load_ubyte v4, v[2:3], off
	s_mov_b64 s[0:1], -1
	s_mov_b64 s[48:49], 0
	s_waitcnt vmcnt(0)
	v_cmp_ne_u16_e32 vcc, 0, v4
	v_cndmask_b32_e64 v4, 0, 1, vcc
	s_branch .LBB15_620
.LBB15_619:
	s_mov_b64 s[48:49], -1
                                        ; implicit-def: $vgpr4
.LBB15_620:
	s_mov_b64 s[50:51], 0
.LBB15_621:
	s_and_b64 vcc, exec, s[50:51]
	s_cbranch_vccz .LBB15_670
; %bb.622:
	s_and_b32 s50, 0xffff, s54
	s_cmp_lt_i32 s50, 5
	s_cbranch_scc1 .LBB15_627
; %bb.623:
	s_cmp_lt_i32 s50, 8
	s_cbranch_scc1 .LBB15_628
; %bb.624:
	;; [unrolled: 3-line block ×3, first 2 shown]
	s_cmp_gt_i32 s50, 9
	s_cbranch_scc0 .LBB15_630
; %bb.626:
	global_load_dwordx2 v[4:5], v[2:3], off
	s_movk_i32 s0, 0xffe0
	s_waitcnt vmcnt(0)
	v_trunc_f64_e32 v[4:5], v[4:5]
	v_ldexp_f64 v[6:7], v[4:5], s0
	s_mov_b32 s0, 0
	s_mov_b32 s1, 0xc1f00000
	v_floor_f64_e32 v[6:7], v[6:7]
	v_fma_f64 v[4:5], v[6:7], s[0:1], v[4:5]
	s_mov_b64 s[0:1], 0
	v_cvt_u32_f64_e32 v4, v[4:5]
	s_branch .LBB15_631
.LBB15_627:
	s_mov_b64 s[0:1], -1
                                        ; implicit-def: $vgpr4
	s_branch .LBB15_649
.LBB15_628:
	s_mov_b64 s[0:1], -1
                                        ; implicit-def: $vgpr4
	s_branch .LBB15_637
.LBB15_629:
	s_mov_b64 s[0:1], -1
                                        ; implicit-def: $vgpr4
	s_branch .LBB15_634
.LBB15_630:
	s_mov_b64 s[0:1], -1
                                        ; implicit-def: $vgpr4
.LBB15_631:
	s_andn2_b64 vcc, exec, s[0:1]
	s_cbranch_vccnz .LBB15_633
; %bb.632:
	global_load_dword v4, v[2:3], off
	s_mov_b32 s0, 0x2f800000
	s_waitcnt vmcnt(0)
	v_trunc_f32_e32 v4, v4
	v_mul_f32_e64 v5, |v4|, s0
	v_floor_f32_e32 v5, v5
	s_mov_b32 s0, 0xcf800000
	v_fma_f32 v5, v5, s0, |v4|
	v_cvt_u32_f32_e32 v5, v5
	v_ashrrev_i32_e32 v4, 31, v4
	v_xor_b32_e32 v5, v5, v4
	v_sub_u32_e32 v4, v5, v4
.LBB15_633:
	s_mov_b64 s[0:1], 0
.LBB15_634:
	s_andn2_b64 vcc, exec, s[0:1]
	s_cbranch_vccnz .LBB15_636
; %bb.635:
	global_load_dword v4, v[2:3], off
	s_waitcnt vmcnt(0)
	v_cvt_f32_f16_e32 v4, v4
	v_cvt_i32_f32_e32 v4, v4
.LBB15_636:
	s_mov_b64 s[0:1], 0
.LBB15_637:
	s_andn2_b64 vcc, exec, s[0:1]
	s_cbranch_vccnz .LBB15_648
; %bb.638:
	s_cmp_lt_i32 s50, 6
	s_cbranch_scc1 .LBB15_641
; %bb.639:
	s_cmp_gt_i32 s50, 6
	s_cbranch_scc0 .LBB15_642
; %bb.640:
	global_load_dwordx2 v[4:5], v[2:3], off
	s_movk_i32 s0, 0xffe0
	s_waitcnt vmcnt(0)
	v_trunc_f64_e32 v[4:5], v[4:5]
	v_ldexp_f64 v[6:7], v[4:5], s0
	s_mov_b32 s0, 0
	s_mov_b32 s1, 0xc1f00000
	v_floor_f64_e32 v[6:7], v[6:7]
	v_fma_f64 v[4:5], v[6:7], s[0:1], v[4:5]
	s_mov_b64 s[0:1], 0
	v_cvt_u32_f64_e32 v4, v[4:5]
	s_branch .LBB15_643
.LBB15_641:
	s_mov_b64 s[0:1], -1
                                        ; implicit-def: $vgpr4
	s_branch .LBB15_646
.LBB15_642:
	s_mov_b64 s[0:1], -1
                                        ; implicit-def: $vgpr4
.LBB15_643:
	s_andn2_b64 vcc, exec, s[0:1]
	s_cbranch_vccnz .LBB15_645
; %bb.644:
	global_load_dword v4, v[2:3], off
	s_mov_b32 s0, 0x2f800000
	s_waitcnt vmcnt(0)
	v_trunc_f32_e32 v4, v4
	v_mul_f32_e64 v5, |v4|, s0
	v_floor_f32_e32 v5, v5
	s_mov_b32 s0, 0xcf800000
	v_fma_f32 v5, v5, s0, |v4|
	v_cvt_u32_f32_e32 v5, v5
	v_ashrrev_i32_e32 v4, 31, v4
	v_xor_b32_e32 v5, v5, v4
	v_sub_u32_e32 v4, v5, v4
.LBB15_645:
	s_mov_b64 s[0:1], 0
.LBB15_646:
	s_andn2_b64 vcc, exec, s[0:1]
	s_cbranch_vccnz .LBB15_648
; %bb.647:
	global_load_ushort v4, v[2:3], off
	s_waitcnt vmcnt(0)
	v_cvt_f32_f16_e32 v4, v4
	v_cvt_i32_f32_e32 v4, v4
.LBB15_648:
	s_mov_b64 s[0:1], 0
.LBB15_649:
	s_andn2_b64 vcc, exec, s[0:1]
	s_cbranch_vccnz .LBB15_669
; %bb.650:
	s_cmp_lt_i32 s50, 2
	s_cbranch_scc1 .LBB15_654
; %bb.651:
	s_cmp_lt_i32 s50, 3
	s_cbranch_scc1 .LBB15_655
; %bb.652:
	s_cmp_gt_i32 s50, 3
	s_cbranch_scc0 .LBB15_656
; %bb.653:
	global_load_dwordx2 v[4:5], v[2:3], off
	s_mov_b64 s[0:1], 0
	s_branch .LBB15_657
.LBB15_654:
	s_mov_b64 s[0:1], -1
                                        ; implicit-def: $vgpr4
	s_branch .LBB15_663
.LBB15_655:
	s_mov_b64 s[0:1], -1
                                        ; implicit-def: $vgpr4
	s_branch .LBB15_660
.LBB15_656:
	s_mov_b64 s[0:1], -1
                                        ; implicit-def: $vgpr4
.LBB15_657:
	s_andn2_b64 vcc, exec, s[0:1]
	s_cbranch_vccnz .LBB15_659
; %bb.658:
	global_load_dword v4, v[2:3], off
.LBB15_659:
	s_mov_b64 s[0:1], 0
.LBB15_660:
	s_andn2_b64 vcc, exec, s[0:1]
	s_cbranch_vccnz .LBB15_662
; %bb.661:
	global_load_ushort v4, v[2:3], off
.LBB15_662:
	s_mov_b64 s[0:1], 0
.LBB15_663:
	s_andn2_b64 vcc, exec, s[0:1]
	s_cbranch_vccnz .LBB15_669
; %bb.664:
	s_cmp_gt_i32 s50, 0
	s_cbranch_scc0 .LBB15_666
; %bb.665:
	global_load_ubyte v4, v[2:3], off
	s_mov_b64 s[0:1], 0
	s_branch .LBB15_667
.LBB15_666:
	s_mov_b64 s[0:1], -1
                                        ; implicit-def: $vgpr4
.LBB15_667:
	s_andn2_b64 vcc, exec, s[0:1]
	s_cbranch_vccnz .LBB15_669
; %bb.668:
	global_load_ubyte v4, v[2:3], off
.LBB15_669:
	s_mov_b64 s[0:1], -1
.LBB15_670:
	s_andn2_b64 vcc, exec, s[0:1]
	s_cbranch_vccnz .LBB15_675
; %bb.671:
	s_cmp_lt_i32 s14, 1
	s_mov_b64 s[0:1], 0
	s_cbranch_scc1 .LBB15_676
; %bb.672:
	s_cmp_gt_i32 s14, 1
	s_cbranch_scc0 .LBB15_677
; %bb.673:
	s_cmp_eq_u32 s14, 2
	s_cbranch_scc0 .LBB15_678
; %bb.674:
	s_waitcnt vmcnt(0)
	v_cmp_le_u16_sdwa s[50:51], v1, v4 src0_sel:BYTE_0 src1_sel:BYTE_0
	s_mov_b64 s[54:55], 0
	s_branch .LBB15_679
.LBB15_675:
	s_mov_b64 s[54:55], 0
                                        ; implicit-def: $vgpr8
	s_mov_b64 s[0:1], s[38:39]
	s_branch .LBB15_811
.LBB15_676:
	s_mov_b64 s[56:57], -1
                                        ; implicit-def: $sgpr50_sgpr51
	s_mov_b64 s[54:55], 0
	s_branch .LBB15_683
.LBB15_677:
	s_mov_b64 s[56:57], -1
	s_mov_b64 s[54:55], 0
                                        ; implicit-def: $sgpr50_sgpr51
	s_branch .LBB15_680
.LBB15_678:
	s_mov_b64 s[54:55], -1
                                        ; implicit-def: $sgpr50_sgpr51
.LBB15_679:
	s_mov_b64 s[56:57], 0
.LBB15_680:
	s_and_b64 vcc, exec, s[56:57]
	s_cbranch_vccz .LBB15_682
; %bb.681:
	s_waitcnt vmcnt(0)
	v_cmp_gt_u16_sdwa s[56:57], v1, v4 src0_sel:BYTE_0 src1_sel:BYTE_0
	s_andn2_b64 s[50:51], s[50:51], exec
	s_and_b64 s[56:57], s[56:57], exec
	s_or_b64 s[50:51], s[50:51], s[56:57]
.LBB15_682:
	s_mov_b64 s[56:57], 0
.LBB15_683:
	s_and_b64 vcc, exec, s[56:57]
	s_cbranch_vccz .LBB15_694
; %bb.684:
	s_cmp_lg_u32 s14, 0
	s_mov_b64 s[0:1], -1
	s_cselect_b64 s[54:55], -1, 0
	s_andn2_b64 vcc, exec, s[54:55]
	s_cbranch_vccz .LBB15_695
.LBB15_685:
	s_andn2_b64 vcc, exec, s[0:1]
	s_cbranch_vccnz .LBB15_687
.LBB15_686:
	s_waitcnt vmcnt(0)
	v_cmp_ge_u16_sdwa s[0:1], v1, v4 src0_sel:BYTE_0 src1_sel:BYTE_0
	s_andn2_b64 s[50:51], s[50:51], exec
	s_and_b64 s[0:1], s[0:1], exec
	s_or_b64 s[50:51], s[50:51], s[0:1]
.LBB15_687:
	v_mov_b32_e32 v1, s9
	s_and_b32 s60, s15, 0xff
	v_add_co_u32_e32 v0, vcc, s8, v0
	s_cmp_lt_i32 s60, 11
	v_addc_co_u32_e32 v1, vcc, 0, v1, vcc
	s_cbranch_scc1 .LBB15_696
; %bb.688:
	s_and_b32 s61, 0xffff, s60
	s_cmp_gt_i32 s61, 25
	s_cbranch_scc0 .LBB15_697
; %bb.689:
	s_cmp_gt_i32 s61, 28
	s_cbranch_scc0 .LBB15_698
; %bb.690:
	;; [unrolled: 3-line block ×4, first 2 shown]
	s_mov_b64 s[56:57], 0
	s_mov_b64 s[0:1], -1
	s_cmp_eq_u32 s61, 46
	s_mov_b64 s[54:55], 0
	s_cbranch_scc0 .LBB15_701
; %bb.693:
	v_cndmask_b32_e64 v2, 0, 1.0, s[50:51]
	v_bfe_u32 v3, v2, 16, 1
	s_movk_i32 s0, 0x7fff
	v_add3_u32 v2, v2, v3, s0
	v_lshrrev_b32_e32 v2, 16, v2
	global_store_dword v[0:1], v2, off
	s_mov_b64 s[54:55], -1
	s_mov_b64 s[0:1], 0
	s_branch .LBB15_701
.LBB15_694:
	s_andn2_b64 vcc, exec, s[54:55]
	s_cbranch_vccnz .LBB15_685
.LBB15_695:
	s_waitcnt vmcnt(0)
	v_cmp_lt_u16_sdwa s[54:55], v1, v4 src0_sel:BYTE_0 src1_sel:BYTE_0
	s_andn2_b64 s[50:51], s[50:51], exec
	s_and_b64 s[54:55], s[54:55], exec
	s_or_b64 s[50:51], s[50:51], s[54:55]
	s_cbranch_execz .LBB15_686
	s_branch .LBB15_687
.LBB15_696:
	s_mov_b64 s[56:57], -1
	s_mov_b64 s[54:55], 0
	s_mov_b64 s[0:1], s[38:39]
	s_branch .LBB15_770
.LBB15_697:
	s_mov_b64 s[56:57], -1
	s_mov_b64 s[54:55], 0
	s_mov_b64 s[0:1], s[38:39]
	s_branch .LBB15_728
.LBB15_698:
	s_mov_b64 s[56:57], -1
	s_mov_b64 s[54:55], 0
	s_mov_b64 s[0:1], s[38:39]
	s_branch .LBB15_711
.LBB15_699:
	s_mov_b64 s[56:57], -1
	s_mov_b64 s[54:55], 0
	s_mov_b64 s[0:1], s[38:39]
	s_branch .LBB15_707
.LBB15_700:
	s_mov_b64 s[56:57], -1
	s_mov_b64 s[54:55], 0
	s_mov_b64 s[0:1], s[38:39]
.LBB15_701:
	s_and_b64 vcc, exec, s[56:57]
	s_cbranch_vccz .LBB15_706
; %bb.702:
	s_cmp_eq_u32 s61, 44
	s_mov_b64 s[0:1], -1
	s_cbranch_scc0 .LBB15_706
; %bb.703:
	v_cndmask_b32_e64 v3, 0, 1.0, s[50:51]
	v_lshrrev_b32_e32 v2, 23, v3
	s_movk_i32 s0, 0xff
	v_cmp_ne_u32_e32 vcc, s0, v2
	s_waitcnt vmcnt(0)
	v_mov_b32_e32 v4, 0xff
	s_and_saveexec_b64 s[54:55], vcc
; %bb.704:
	s_mov_b32 s0, 0x3fffff
	v_and_b32_e32 v4, 0x400000, v3
	v_and_or_b32 v3, v3, s0, v2
	v_cmp_ne_u32_e32 vcc, 0, v4
	v_cmp_ne_u32_e64 s[0:1], 0, v3
	s_and_b64 s[0:1], vcc, s[0:1]
	v_cndmask_b32_e64 v3, 0, 1, s[0:1]
	v_add_u32_e32 v4, v2, v3
; %bb.705:
	s_or_b64 exec, exec, s[54:55]
	s_mov_b64 s[54:55], -1
	s_mov_b64 s[0:1], 0
	global_store_byte v[0:1], v4, off
.LBB15_706:
	s_mov_b64 s[56:57], 0
.LBB15_707:
	s_and_b64 vcc, exec, s[56:57]
	s_cbranch_vccz .LBB15_710
; %bb.708:
	s_cmp_eq_u32 s61, 29
	s_mov_b64 s[0:1], -1
	s_cbranch_scc0 .LBB15_710
; %bb.709:
	s_mov_b32 s0, 0
	v_cndmask_b32_e64 v2, 0, 1, s[50:51]
	v_mov_b32_e32 v3, s0
	global_store_dwordx2 v[0:1], v[2:3], off
	s_mov_b64 s[54:55], -1
	s_mov_b64 s[0:1], 0
.LBB15_710:
	s_mov_b64 s[56:57], 0
.LBB15_711:
	s_and_b64 vcc, exec, s[56:57]
	s_cbranch_vccz .LBB15_727
; %bb.712:
	s_cmp_lt_i32 s61, 27
	s_mov_b64 s[54:55], -1
	s_cbranch_scc1 .LBB15_718
; %bb.713:
	s_cmp_gt_i32 s61, 27
	s_cbranch_scc0 .LBB15_715
; %bb.714:
	v_cndmask_b32_e64 v2, 0, 1, s[50:51]
	s_mov_b64 s[54:55], 0
	global_store_dword v[0:1], v2, off
.LBB15_715:
	s_andn2_b64 vcc, exec, s[54:55]
	s_cbranch_vccnz .LBB15_717
; %bb.716:
	v_cndmask_b32_e64 v2, 0, 1, s[50:51]
	global_store_short v[0:1], v2, off
.LBB15_717:
	s_mov_b64 s[54:55], 0
.LBB15_718:
	s_andn2_b64 vcc, exec, s[54:55]
	s_cbranch_vccnz .LBB15_726
; %bb.719:
	v_cndmask_b32_e64 v3, 0, 1.0, s[50:51]
	s_mov_b32 s54, 0x43800000
	v_cmp_gt_u32_e32 vcc, s54, v3
	s_waitcnt vmcnt(0)
	v_mov_b32_e32 v4, 0x80
	s_and_saveexec_b64 s[54:55], vcc
	s_cbranch_execz .LBB15_725
; %bb.720:
	s_mov_b32 s56, 0x3bffffff
	v_cmp_lt_u32_e32 vcc, s56, v3
	s_mov_b64 s[56:57], 0
                                        ; implicit-def: $vgpr2
	s_and_saveexec_b64 s[58:59], vcc
	s_xor_b64 s[58:59], exec, s[58:59]
	s_cbranch_execz .LBB15_839
; %bb.721:
	v_bfe_u32 v2, v3, 20, 1
	s_mov_b32 s62, 0x487ffff
	v_add3_u32 v2, v3, v2, s62
	s_mov_b64 s[56:57], exec
	v_lshrrev_b32_e32 v2, 20, v2
                                        ; implicit-def: $vgpr3
	s_andn2_saveexec_b64 s[58:59], s[58:59]
	s_cbranch_execnz .LBB15_840
.LBB15_722:
	s_or_b64 exec, exec, s[58:59]
	v_mov_b32_e32 v4, 0
	s_and_saveexec_b64 s[58:59], s[56:57]
.LBB15_723:
	v_mov_b32_e32 v4, v2
.LBB15_724:
	s_or_b64 exec, exec, s[58:59]
.LBB15_725:
	s_or_b64 exec, exec, s[54:55]
	global_store_byte v[0:1], v4, off
.LBB15_726:
	s_mov_b64 s[54:55], -1
.LBB15_727:
	s_mov_b64 s[56:57], 0
.LBB15_728:
	s_and_b64 vcc, exec, s[56:57]
	s_cbranch_vccz .LBB15_769
; %bb.729:
	s_cmp_gt_i32 s61, 22
	s_mov_b64 s[56:57], -1
	s_cbranch_scc0 .LBB15_761
; %bb.730:
	s_cmp_lt_i32 s61, 24
	s_mov_b64 s[54:55], -1
	s_cbranch_scc1 .LBB15_750
; %bb.731:
	s_cmp_gt_i32 s61, 24
	s_cbranch_scc0 .LBB15_739
; %bb.732:
	v_cndmask_b32_e64 v3, 0, 1.0, s[50:51]
	s_mov_b32 s54, 0x47800000
	v_cmp_gt_u32_e32 vcc, s54, v3
	s_waitcnt vmcnt(0)
	v_mov_b32_e32 v4, 0x80
	s_and_saveexec_b64 s[54:55], vcc
	s_cbranch_execz .LBB15_738
; %bb.733:
	s_mov_b32 s56, 0x37ffffff
	v_cmp_lt_u32_e32 vcc, s56, v3
	s_mov_b64 s[56:57], 0
                                        ; implicit-def: $vgpr2
	s_and_saveexec_b64 s[58:59], vcc
	s_xor_b64 s[58:59], exec, s[58:59]
	s_cbranch_execz .LBB15_967
; %bb.734:
	v_bfe_u32 v2, v3, 21, 1
	s_mov_b32 s62, 0x88fffff
	v_add3_u32 v2, v3, v2, s62
	s_mov_b64 s[56:57], exec
	v_lshrrev_b32_e32 v2, 21, v2
                                        ; implicit-def: $vgpr3
	s_andn2_saveexec_b64 s[58:59], s[58:59]
	s_cbranch_execnz .LBB15_968
.LBB15_735:
	s_or_b64 exec, exec, s[58:59]
	v_mov_b32_e32 v4, 0
	s_and_saveexec_b64 s[58:59], s[56:57]
.LBB15_736:
	v_mov_b32_e32 v4, v2
.LBB15_737:
	s_or_b64 exec, exec, s[58:59]
.LBB15_738:
	s_or_b64 exec, exec, s[54:55]
	s_mov_b64 s[54:55], 0
	global_store_byte v[0:1], v4, off
.LBB15_739:
	s_and_b64 vcc, exec, s[54:55]
	s_cbranch_vccz .LBB15_749
; %bb.740:
	v_cndmask_b32_e64 v2, 0, 1.0, s[50:51]
	s_mov_b32 s54, 0x43f00000
	v_cmp_gt_u32_e32 vcc, s54, v2
                                        ; implicit-def: $vgpr3
	s_and_saveexec_b64 s[54:55], vcc
	s_xor_b64 s[54:55], exec, s[54:55]
	s_cbranch_execz .LBB15_746
; %bb.741:
	s_mov_b32 s56, 0x3c7fffff
	v_cmp_lt_u32_e32 vcc, s56, v2
                                        ; implicit-def: $vgpr3
	s_and_saveexec_b64 s[56:57], vcc
	s_xor_b64 s[56:57], exec, s[56:57]
	s_cbranch_execz .LBB15_743
; %bb.742:
	v_bfe_u32 v3, v2, 20, 1
	s_mov_b32 s58, 0x407ffff
	v_add3_u32 v2, v2, v3, s58
	v_lshrrev_b32_e32 v3, 20, v2
	v_and_b32_e32 v2, 0xff00000, v2
	s_mov_b32 s58, 0x7f00000
	s_waitcnt vmcnt(0)
	v_mov_b32_e32 v4, 0x7e
	v_cmp_ne_u32_e32 vcc, s58, v2
	v_cndmask_b32_e32 v3, v4, v3, vcc
                                        ; implicit-def: $vgpr2
.LBB15_743:
	s_andn2_saveexec_b64 s[56:57], s[56:57]
; %bb.744:
	v_add_f32_e32 v3, 0x46800000, v2
; %bb.745:
	s_or_b64 exec, exec, s[56:57]
                                        ; implicit-def: $vgpr2
.LBB15_746:
	s_andn2_saveexec_b64 s[54:55], s[54:55]
	s_cbranch_execz .LBB15_748
; %bb.747:
	s_mov_b32 s56, 0x7f800000
	v_mov_b32_e32 v3, 0x7e
	s_waitcnt vmcnt(0)
	v_mov_b32_e32 v4, 0x7f
	v_cmp_lt_u32_e32 vcc, s56, v2
	v_cndmask_b32_e32 v3, v3, v4, vcc
.LBB15_748:
	s_or_b64 exec, exec, s[54:55]
	global_store_byte v[0:1], v3, off
.LBB15_749:
	s_mov_b64 s[54:55], 0
.LBB15_750:
	s_andn2_b64 vcc, exec, s[54:55]
	s_cbranch_vccnz .LBB15_760
; %bb.751:
	v_cndmask_b32_e64 v2, 0, 1.0, s[50:51]
	s_mov_b32 s54, 0x47800000
	v_cmp_gt_u32_e32 vcc, s54, v2
                                        ; implicit-def: $vgpr3
	s_and_saveexec_b64 s[54:55], vcc
	s_xor_b64 s[54:55], exec, s[54:55]
	s_cbranch_execz .LBB15_757
; %bb.752:
	s_mov_b32 s56, 0x387fffff
	v_cmp_lt_u32_e32 vcc, s56, v2
                                        ; implicit-def: $vgpr3
	s_and_saveexec_b64 s[56:57], vcc
	s_xor_b64 s[56:57], exec, s[56:57]
; %bb.753:
	v_bfe_u32 v3, v2, 21, 1
	s_mov_b32 s58, 0x80fffff
	v_add3_u32 v2, v2, v3, s58
	v_lshrrev_b32_e32 v3, 21, v2
                                        ; implicit-def: $vgpr2
; %bb.754:
	s_andn2_saveexec_b64 s[56:57], s[56:57]
; %bb.755:
	v_add_f32_e32 v3, 0x43000000, v2
; %bb.756:
	s_or_b64 exec, exec, s[56:57]
                                        ; implicit-def: $vgpr2
.LBB15_757:
	s_andn2_saveexec_b64 s[54:55], s[54:55]
	s_cbranch_execz .LBB15_759
; %bb.758:
	s_mov_b32 s56, 0x7f800000
	v_mov_b32_e32 v3, 0x7c
	s_waitcnt vmcnt(0)
	v_mov_b32_e32 v4, 0x7f
	v_cmp_lt_u32_e32 vcc, s56, v2
	v_cndmask_b32_e32 v3, v3, v4, vcc
.LBB15_759:
	s_or_b64 exec, exec, s[54:55]
	global_store_byte v[0:1], v3, off
.LBB15_760:
	s_mov_b64 s[56:57], 0
	s_mov_b64 s[54:55], -1
.LBB15_761:
	s_andn2_b64 vcc, exec, s[56:57]
	s_cbranch_vccnz .LBB15_769
; %bb.762:
	s_cmp_gt_i32 s61, 14
	s_mov_b64 s[56:57], -1
	s_cbranch_scc0 .LBB15_766
; %bb.763:
	s_cmp_eq_u32 s61, 15
	s_mov_b64 s[0:1], -1
	s_cbranch_scc0 .LBB15_765
; %bb.764:
	v_cndmask_b32_e64 v2, 0, 1.0, s[50:51]
	v_bfe_u32 v3, v2, 16, 1
	s_movk_i32 s0, 0x7fff
	v_add3_u32 v2, v2, v3, s0
	global_store_short_d16_hi v[0:1], v2, off
	s_mov_b64 s[54:55], -1
	s_mov_b64 s[0:1], 0
.LBB15_765:
	s_mov_b64 s[56:57], 0
.LBB15_766:
	s_and_b64 vcc, exec, s[56:57]
	s_cbranch_vccz .LBB15_769
; %bb.767:
	s_cmp_eq_u32 s61, 11
	s_mov_b64 s[0:1], -1
	s_cbranch_scc0 .LBB15_769
; %bb.768:
	v_cndmask_b32_e64 v2, 0, 1, s[50:51]
	s_mov_b64 s[54:55], -1
	s_mov_b64 s[0:1], 0
	global_store_byte v[0:1], v2, off
.LBB15_769:
	s_mov_b64 s[56:57], 0
.LBB15_770:
	s_and_b64 vcc, exec, s[56:57]
	s_cbranch_vccz .LBB15_809
; %bb.771:
	s_and_b32 s56, 0xffff, s60
	s_cmp_lt_i32 s56, 5
	s_mov_b64 s[54:55], -1
	s_cbranch_scc1 .LBB15_792
; %bb.772:
	s_cmp_lt_i32 s56, 8
	s_cbranch_scc1 .LBB15_782
; %bb.773:
	s_cmp_lt_i32 s56, 9
	s_cbranch_scc1 .LBB15_779
; %bb.774:
	s_cmp_gt_i32 s56, 9
	s_cbranch_scc0 .LBB15_776
; %bb.775:
	v_cndmask_b32_e64 v2, 0, 1, s[50:51]
	v_cvt_f64_u32_e32 v[2:3], v2
	s_waitcnt vmcnt(0)
	v_mov_b32_e32 v4, 0
	v_mov_b32_e32 v5, v4
	s_mov_b64 s[54:55], 0
	global_store_dwordx4 v[0:1], v[2:5], off
.LBB15_776:
	s_andn2_b64 vcc, exec, s[54:55]
	s_cbranch_vccnz .LBB15_778
; %bb.777:
	v_cndmask_b32_e64 v2, 0, 1.0, s[50:51]
	v_mov_b32_e32 v3, 0
	global_store_dwordx2 v[0:1], v[2:3], off
.LBB15_778:
	s_mov_b64 s[54:55], 0
.LBB15_779:
	s_andn2_b64 vcc, exec, s[54:55]
	s_cbranch_vccnz .LBB15_781
; %bb.780:
	v_cndmask_b32_e64 v2, 0, 1.0, s[50:51]
	v_cvt_f16_f32_e32 v2, v2
	global_store_dword v[0:1], v2, off
.LBB15_781:
	s_mov_b64 s[54:55], 0
.LBB15_782:
	s_andn2_b64 vcc, exec, s[54:55]
	s_cbranch_vccnz .LBB15_791
; %bb.783:
	s_cmp_lt_i32 s56, 6
	s_mov_b64 s[54:55], -1
	s_cbranch_scc1 .LBB15_789
; %bb.784:
	s_cmp_gt_i32 s56, 6
	s_cbranch_scc0 .LBB15_786
; %bb.785:
	v_cndmask_b32_e64 v2, 0, 1, s[50:51]
	v_cvt_f64_u32_e32 v[2:3], v2
	s_mov_b64 s[54:55], 0
	global_store_dwordx2 v[0:1], v[2:3], off
.LBB15_786:
	s_andn2_b64 vcc, exec, s[54:55]
	s_cbranch_vccnz .LBB15_788
; %bb.787:
	v_cndmask_b32_e64 v2, 0, 1.0, s[50:51]
	global_store_dword v[0:1], v2, off
.LBB15_788:
	s_mov_b64 s[54:55], 0
.LBB15_789:
	s_andn2_b64 vcc, exec, s[54:55]
	s_cbranch_vccnz .LBB15_791
; %bb.790:
	v_cndmask_b32_e64 v2, 0, 1.0, s[50:51]
	v_cvt_f16_f32_e32 v2, v2
	global_store_short v[0:1], v2, off
.LBB15_791:
	s_mov_b64 s[54:55], 0
.LBB15_792:
	s_andn2_b64 vcc, exec, s[54:55]
	s_cbranch_vccnz .LBB15_808
; %bb.793:
	s_cmp_lt_i32 s56, 2
	s_mov_b64 s[54:55], -1
	s_cbranch_scc1 .LBB15_803
; %bb.794:
	s_cmp_lt_i32 s56, 3
	s_cbranch_scc1 .LBB15_800
; %bb.795:
	s_cmp_gt_i32 s56, 3
	s_cbranch_scc0 .LBB15_797
; %bb.796:
	s_mov_b32 s54, 0
	v_cndmask_b32_e64 v2, 0, 1, s[50:51]
	v_mov_b32_e32 v3, s54
	s_mov_b64 s[54:55], 0
	global_store_dwordx2 v[0:1], v[2:3], off
.LBB15_797:
	s_andn2_b64 vcc, exec, s[54:55]
	s_cbranch_vccnz .LBB15_799
; %bb.798:
	v_cndmask_b32_e64 v2, 0, 1, s[50:51]
	global_store_dword v[0:1], v2, off
.LBB15_799:
	s_mov_b64 s[54:55], 0
.LBB15_800:
	s_andn2_b64 vcc, exec, s[54:55]
	s_cbranch_vccnz .LBB15_802
; %bb.801:
	v_cndmask_b32_e64 v2, 0, 1, s[50:51]
	global_store_short v[0:1], v2, off
.LBB15_802:
	s_mov_b64 s[54:55], 0
.LBB15_803:
	s_andn2_b64 vcc, exec, s[54:55]
	s_cbranch_vccnz .LBB15_808
; %bb.804:
	s_mov_b64 s[54:55], -1
	s_cmp_gt_i32 s56, 0
	v_cndmask_b32_e64 v2, 0, 1, s[50:51]
	s_cbranch_scc0 .LBB15_806
; %bb.805:
	s_mov_b64 s[54:55], 0
	global_store_byte v[0:1], v2, off
.LBB15_806:
	s_andn2_b64 vcc, exec, s[54:55]
	s_cbranch_vccnz .LBB15_808
; %bb.807:
	global_store_byte v[0:1], v2, off
.LBB15_808:
	s_mov_b64 s[54:55], -1
.LBB15_809:
	s_andn2_b64 vcc, exec, s[54:55]
	s_cbranch_vccnz .LBB15_821
; %bb.810:
	v_add_u32_e32 v8, 0x80, v8
	s_mov_b64 s[54:55], -1
.LBB15_811:
	s_andn2_b64 s[50:51], s[38:39], exec
	s_and_b64 s[0:1], s[0:1], exec
	s_or_b64 s[50:51], s[50:51], s[0:1]
	s_andn2_b64 s[0:1], s[40:41], exec
	s_and_b64 s[48:49], s[48:49], exec
	s_or_b64 s[48:49], s[0:1], s[48:49]
	;; [unrolled: 3-line block ×3, first 2 shown]
	s_orn2_b64 s[0:1], s[54:55], exec
.LBB15_812:
	s_or_b64 exec, exec, s[52:53]
	s_mov_b64 s[54:55], 0
	s_mov_b64 s[56:57], 0
	;; [unrolled: 1-line block ×3, first 2 shown]
                                        ; implicit-def: $sgpr74
                                        ; implicit-def: $vgpr4_vgpr5
                                        ; implicit-def: $vgpr0
                                        ; implicit-def: $vgpr3
                                        ; implicit-def: $vgpr1
	s_and_saveexec_b64 s[52:53], s[0:1]
	s_cbranch_execz .LBB15_1314
; %bb.813:
	v_cmp_gt_i32_e32 vcc, s68, v8
	s_mov_b64 s[66:67], -1
	s_mov_b64 s[0:1], s[46:47]
	s_mov_b64 s[58:59], s[48:49]
	;; [unrolled: 1-line block ×3, first 2 shown]
	s_and_saveexec_b64 s[54:55], vcc
	s_cbranch_execz .LBB15_1222
; %bb.814:
	s_andn2_b64 vcc, exec, s[24:25]
	s_cbranch_vccnz .LBB15_820
; %bb.815:
	s_andn2_b64 vcc, exec, s[36:37]
	s_cbranch_vccnz .LBB15_822
; %bb.816:
	s_add_i32 s0, s73, 1
	s_and_b32 s56, s0, 30
	s_add_u32 s0, s2, 0xffffffe8
	s_addc_u32 s1, s3, -1
	v_mov_b32_e32 v3, 0
	s_waitcnt vmcnt(0)
	v_mov_b32_e32 v5, 0
	v_mov_b32_e32 v0, 0
	;; [unrolled: 1-line block ×3, first 2 shown]
.LBB15_817:                             ; =>This Inner Loop Header: Depth=1
	s_load_dwordx4 s[60:63], s[0:1], 0x1c
	s_load_dwordx2 s[58:59], s[0:1], 0x2c
	s_load_dwordx2 s[74:75], s[0:1], 0xec
	s_load_dwordx4 s[64:67], s[0:1], 0xdc
	s_add_u32 s0, s0, 24
	s_waitcnt lgkmcnt(0)
	v_mul_hi_u32 v2, s61, v1
	s_addc_u32 s1, s1, 0
	s_add_i32 s56, s56, -2
	s_cmp_eq_u32 s56, 0
	v_add_u32_e32 v2, v1, v2
	v_lshrrev_b32_e32 v2, s62, v2
	v_mul_lo_u32 v4, v2, s60
	v_mul_hi_u32 v6, s58, v2
	v_sub_u32_e32 v4, v1, v4
	v_add_u32_e32 v1, v2, v6
	v_lshrrev_b32_e32 v1, s59, v1
	v_mul_lo_u32 v9, v1, s63
	v_mul_lo_u32 v6, v4, s64
	v_mul_lo_u32 v7, v4, s65
	v_mul_lo_u32 v4, v4, s66
	v_sub_u32_e32 v2, v2, v9
	v_mul_lo_u32 v9, v2, s67
	v_mul_lo_u32 v10, v2, s74
	;; [unrolled: 1-line block ×3, first 2 shown]
	v_add3_u32 v0, v6, v0, v9
	v_add3_u32 v5, v7, v5, v10
	;; [unrolled: 1-line block ×3, first 2 shown]
	s_cbranch_scc0 .LBB15_817
; %bb.818:
	s_bitcmp1_b32 s73, 0
	s_cselect_b64 s[56:57], -1, 0
	s_and_b64 vcc, exec, s[56:57]
	s_cbranch_vccnz .LBB15_823
; %bb.819:
	s_load_dwordx2 s[56:57], s[0:1], 0x1c
	s_load_dword s60, s[0:1], 0x24
	s_load_dwordx2 s[58:59], s[0:1], 0xdc
	s_waitcnt lgkmcnt(0)
	v_mul_hi_u32 v2, s57, v1
	v_add_u32_e32 v2, v1, v2
	v_lshrrev_b32_e32 v2, s60, v2
	v_mul_lo_u32 v2, v2, s56
	s_load_dword s56, s[0:1], 0xe4
	v_sub_u32_e32 v2, v1, v2
	v_mad_u64_u32 v[0:1], s[0:1], v2, s58, v[0:1]
	v_mad_u64_u32 v[5:6], s[0:1], v2, s59, v[5:6]
	s_waitcnt lgkmcnt(0)
	v_mad_u64_u32 v[3:4], s[0:1], v2, s56, v[3:4]
	s_branch .LBB15_823
.LBB15_820:
	s_mov_b64 s[0:1], -1
                                        ; implicit-def: $vgpr0
                                        ; implicit-def: $vgpr5
                                        ; implicit-def: $vgpr3
	s_branch .LBB15_824
.LBB15_821:
	s_mov_b64 s[54:55], 0
	s_branch .LBB15_556
.LBB15_822:
	v_mov_b32_e32 v0, 0
	s_waitcnt vmcnt(0)
	v_mov_b32_e32 v5, 0
	v_mov_b32_e32 v3, 0
.LBB15_823:
	s_mov_b64 s[0:1], 0
.LBB15_824:
	s_andn2_b64 vcc, exec, s[0:1]
	s_cbranch_vccnz .LBB15_827
; %bb.825:
	v_mul_hi_u32 v0, s17, v8
	s_andn2_b64 vcc, exec, s[34:35]
	v_add_u32_e32 v0, v8, v0
	s_waitcnt vmcnt(0)
	v_lshrrev_b32_e32 v1, s18, v0
	v_mul_lo_u32 v0, v1, s16
	v_sub_u32_e32 v2, v8, v0
	v_mul_lo_u32 v0, v2, s20
	v_mul_lo_u32 v5, v2, s21
	;; [unrolled: 1-line block ×3, first 2 shown]
	s_cbranch_vccnz .LBB15_827
; %bb.826:
	v_mul_hi_u32 v2, s30, v1
	v_add_u32_e32 v2, v1, v2
	v_lshrrev_b32_e32 v2, s31, v2
	v_mul_lo_u32 v2, v2, s19
	v_sub_u32_e32 v2, v1, v2
	v_mad_u64_u32 v[0:1], s[0:1], v2, s23, v[0:1]
	v_mad_u64_u32 v[5:6], s[0:1], v2, s28, v[5:6]
	;; [unrolled: 1-line block ×3, first 2 shown]
.LBB15_827:
	s_waitcnt vmcnt(0)
	v_mov_b32_e32 v1, s11
	s_and_b32 s60, s72, 0xff
	v_add_co_u32_e32 v4, vcc, s10, v5
	s_cmp_lt_i32 s60, 11
	v_addc_co_u32_e32 v5, vcc, 0, v1, vcc
	s_cbranch_scc1 .LBB15_834
; %bb.828:
	s_and_b32 s61, 0xffff, s60
	s_cmp_gt_i32 s61, 25
	s_cbranch_scc0 .LBB15_835
; %bb.829:
	s_cmp_gt_i32 s61, 28
	s_cbranch_scc0 .LBB15_836
; %bb.830:
	;; [unrolled: 3-line block ×4, first 2 shown]
	s_cmp_eq_u32 s61, 46
	s_mov_b64 s[58:59], 0
	s_cbranch_scc0 .LBB15_841
; %bb.833:
	global_load_dword v1, v[4:5], off
	s_mov_b32 s0, 0x2f800000
	s_mov_b32 s1, 0xcf800000
	s_mov_b64 s[56:57], 0
	s_waitcnt vmcnt(0)
	v_lshlrev_b32_e32 v1, 16, v1
	v_trunc_f32_e32 v1, v1
	v_mul_f32_e64 v2, |v1|, s0
	v_floor_f32_e32 v2, v2
	v_fma_f32 v2, v2, s1, |v1|
	v_cvt_u32_f32_e32 v2, v2
	v_ashrrev_i32_e32 v1, 31, v1
	s_mov_b64 s[0:1], -1
	v_xor_b32_e32 v2, v2, v1
	v_sub_u32_e32 v1, v2, v1
	s_branch .LBB15_842
.LBB15_834:
	s_mov_b64 s[58:59], -1
	s_mov_b64 s[0:1], 0
                                        ; implicit-def: $vgpr1
	s_mov_b64 s[56:57], s[46:47]
	s_branch .LBB15_903
.LBB15_835:
	s_mov_b64 s[58:59], -1
	s_mov_b64 s[0:1], 0
	s_mov_b64 s[56:57], s[46:47]
                                        ; implicit-def: $vgpr1
	s_branch .LBB15_869
.LBB15_836:
	s_mov_b64 s[58:59], -1
	s_mov_b64 s[0:1], 0
	s_mov_b64 s[56:57], s[46:47]
                                        ; implicit-def: $vgpr1
	s_branch .LBB15_852
.LBB15_837:
	s_mov_b64 s[58:59], -1
	s_mov_b64 s[0:1], 0
	s_mov_b64 s[56:57], s[46:47]
                                        ; implicit-def: $vgpr1
	s_branch .LBB15_847
.LBB15_838:
	s_mov_b64 s[58:59], -1
	s_mov_b64 s[0:1], 0
	s_mov_b64 s[56:57], s[46:47]
                                        ; implicit-def: $vgpr1
	s_branch .LBB15_842
.LBB15_839:
	s_andn2_saveexec_b64 s[58:59], s[58:59]
	s_cbranch_execz .LBB15_722
.LBB15_840:
	v_add_f32_e32 v2, 0x46000000, v3
	v_and_b32_e32 v2, 0xff, v2
	v_cmp_ne_u32_e32 vcc, 0, v2
	s_andn2_b64 s[56:57], s[56:57], exec
	s_and_b64 s[62:63], vcc, exec
	s_or_b64 s[56:57], s[56:57], s[62:63]
	s_or_b64 exec, exec, s[58:59]
	v_mov_b32_e32 v4, 0
	s_and_saveexec_b64 s[58:59], s[56:57]
	s_cbranch_execnz .LBB15_723
	s_branch .LBB15_724
.LBB15_841:
	s_mov_b64 s[56:57], -1
                                        ; implicit-def: $vgpr1
	s_mov_b64 s[0:1], 0
.LBB15_842:
	s_and_b64 vcc, exec, s[58:59]
	s_cbranch_vccz .LBB15_846
; %bb.843:
	s_cmp_eq_u32 s61, 44
	s_cbranch_scc0 .LBB15_845
; %bb.844:
	global_load_ubyte v1, v[4:5], off
	s_mov_b32 s0, 0x2f800000
	s_mov_b32 s1, 0xcf800000
	s_mov_b64 s[56:57], 0
	s_waitcnt vmcnt(0)
	v_lshlrev_b32_e32 v2, 23, v1
	v_trunc_f32_e32 v2, v2
	v_mul_f32_e64 v6, |v2|, s0
	v_floor_f32_e32 v6, v6
	v_fma_f32 v6, v6, s1, |v2|
	v_cvt_u32_f32_e32 v6, v6
	v_ashrrev_i32_e32 v2, 31, v2
	v_cmp_ne_u32_e32 vcc, 0, v1
	s_mov_b64 s[0:1], -1
	v_xor_b32_e32 v6, v6, v2
	v_sub_u32_e32 v2, v6, v2
	v_cndmask_b32_e32 v1, 0, v2, vcc
	s_branch .LBB15_846
.LBB15_845:
	s_mov_b64 s[56:57], -1
                                        ; implicit-def: $vgpr1
.LBB15_846:
	s_mov_b64 s[58:59], 0
.LBB15_847:
	s_and_b64 vcc, exec, s[58:59]
	s_cbranch_vccz .LBB15_851
; %bb.848:
	s_cmp_eq_u32 s61, 29
	s_cbranch_scc0 .LBB15_850
; %bb.849:
	global_load_dwordx2 v[1:2], v[4:5], off
	s_mov_b64 s[0:1], -1
	s_mov_b64 s[56:57], 0
	s_branch .LBB15_851
.LBB15_850:
	s_mov_b64 s[56:57], -1
                                        ; implicit-def: $vgpr1
.LBB15_851:
	s_mov_b64 s[58:59], 0
.LBB15_852:
	s_and_b64 vcc, exec, s[58:59]
	s_cbranch_vccz .LBB15_868
; %bb.853:
	s_cmp_lt_i32 s61, 27
	s_cbranch_scc1 .LBB15_856
; %bb.854:
	s_cmp_gt_i32 s61, 27
	s_cbranch_scc0 .LBB15_857
; %bb.855:
	global_load_dword v1, v[4:5], off
	s_mov_b64 s[0:1], 0
	s_branch .LBB15_858
.LBB15_856:
	s_mov_b64 s[0:1], -1
                                        ; implicit-def: $vgpr1
	s_branch .LBB15_861
.LBB15_857:
	s_mov_b64 s[0:1], -1
                                        ; implicit-def: $vgpr1
.LBB15_858:
	s_andn2_b64 vcc, exec, s[0:1]
	s_cbranch_vccnz .LBB15_860
; %bb.859:
	global_load_ushort v1, v[4:5], off
.LBB15_860:
	s_mov_b64 s[0:1], 0
.LBB15_861:
	s_andn2_b64 vcc, exec, s[0:1]
	s_cbranch_vccnz .LBB15_867
; %bb.862:
	global_load_ubyte v2, v[4:5], off
	s_movk_i32 s0, 0x7f
	s_mov_b64 s[58:59], 0
	s_waitcnt vmcnt(0)
	v_cmp_lt_i16_e32 vcc, s0, v2
	s_and_saveexec_b64 s[0:1], vcc
	s_xor_b64 s[0:1], exec, s[0:1]
	s_cbranch_execz .LBB15_879
; %bb.863:
	s_movk_i32 s58, 0x80
	v_cmp_ne_u16_e32 vcc, s58, v2
	s_and_b64 s[58:59], vcc, exec
	s_andn2_saveexec_b64 s[0:1], s[0:1]
	s_cbranch_execnz .LBB15_880
.LBB15_864:
	s_or_b64 exec, exec, s[0:1]
	v_mov_b32_e32 v1, 0
	s_and_saveexec_b64 s[0:1], s[58:59]
	s_cbranch_execz .LBB15_866
.LBB15_865:
	v_lshlrev_b32_e32 v1, 24, v2
	v_and_b32_e32 v2, 0xffff, v2
	v_and_b32_e32 v6, 7, v2
	v_ffbh_u32_e32 v9, v6
	v_min_u32_e32 v9, 32, v9
	v_subrev_u32_e32 v10, 28, v9
	v_bfe_u32 v7, v2, 3, 4
	v_lshlrev_b32_e32 v2, v10, v2
	v_sub_u32_e32 v9, 29, v9
	v_and_b32_e32 v2, 7, v2
	v_cmp_eq_u32_e32 vcc, 0, v7
	v_cndmask_b32_e32 v7, v7, v9, vcc
	v_cndmask_b32_e32 v2, v6, v2, vcc
	v_mov_b32_e32 v6, 0x3b800000
	v_lshlrev_b32_e32 v2, 20, v2
	v_and_b32_e32 v1, 0x80000000, v1
	v_lshl_add_u32 v6, v7, 23, v6
	v_or3_b32 v1, v1, v6, v2
	v_trunc_f32_e32 v1, v1
	s_mov_b32 s58, 0x2f800000
	v_mul_f32_e64 v2, |v1|, s58
	v_floor_f32_e32 v2, v2
	s_mov_b32 s58, 0xcf800000
	v_fma_f32 v2, v2, s58, |v1|
	v_cvt_u32_f32_e32 v2, v2
	v_ashrrev_i32_e32 v1, 31, v1
	v_xor_b32_e32 v2, v2, v1
	v_sub_u32_e32 v1, v2, v1
.LBB15_866:
	s_or_b64 exec, exec, s[0:1]
.LBB15_867:
	s_mov_b64 s[0:1], -1
.LBB15_868:
	s_mov_b64 s[58:59], 0
.LBB15_869:
	s_and_b64 vcc, exec, s[58:59]
	s_cbranch_vccz .LBB15_902
; %bb.870:
	s_cmp_gt_i32 s61, 22
	s_cbranch_scc0 .LBB15_878
; %bb.871:
	s_cmp_lt_i32 s61, 24
	s_cbranch_scc1 .LBB15_881
; %bb.872:
	s_cmp_gt_i32 s61, 24
	s_cbranch_scc0 .LBB15_882
; %bb.873:
	global_load_ubyte v2, v[4:5], off
	s_movk_i32 s0, 0x7f
	s_mov_b64 s[58:59], 0
	s_waitcnt vmcnt(0)
	v_cmp_lt_i16_e32 vcc, s0, v2
	s_and_saveexec_b64 s[0:1], vcc
	s_xor_b64 s[0:1], exec, s[0:1]
	s_cbranch_execz .LBB15_894
; %bb.874:
	s_movk_i32 s58, 0x80
	v_cmp_ne_u16_e32 vcc, s58, v2
	s_and_b64 s[58:59], vcc, exec
	s_andn2_saveexec_b64 s[0:1], s[0:1]
	s_cbranch_execnz .LBB15_895
.LBB15_875:
	s_or_b64 exec, exec, s[0:1]
	v_mov_b32_e32 v1, 0
	s_and_saveexec_b64 s[0:1], s[58:59]
	s_cbranch_execz .LBB15_877
.LBB15_876:
	v_lshlrev_b32_e32 v1, 24, v2
	v_and_b32_e32 v2, 0xffff, v2
	v_and_b32_e32 v6, 3, v2
	v_ffbh_u32_e32 v9, v6
	v_min_u32_e32 v9, 32, v9
	v_subrev_u32_e32 v10, 29, v9
	v_bfe_u32 v7, v2, 2, 5
	v_lshlrev_b32_e32 v2, v10, v2
	v_sub_u32_e32 v9, 30, v9
	v_and_b32_e32 v2, 3, v2
	v_cmp_eq_u32_e32 vcc, 0, v7
	v_cndmask_b32_e32 v7, v7, v9, vcc
	v_cndmask_b32_e32 v2, v6, v2, vcc
	v_mov_b32_e32 v6, 0x37800000
	v_lshlrev_b32_e32 v2, 21, v2
	v_and_b32_e32 v1, 0x80000000, v1
	v_lshl_add_u32 v6, v7, 23, v6
	v_or3_b32 v1, v1, v6, v2
	v_trunc_f32_e32 v1, v1
	s_mov_b32 s58, 0x2f800000
	v_mul_f32_e64 v2, |v1|, s58
	v_floor_f32_e32 v2, v2
	s_mov_b32 s58, 0xcf800000
	v_fma_f32 v2, v2, s58, |v1|
	v_cvt_u32_f32_e32 v2, v2
	v_ashrrev_i32_e32 v1, 31, v1
	v_xor_b32_e32 v2, v2, v1
	v_sub_u32_e32 v1, v2, v1
.LBB15_877:
	s_or_b64 exec, exec, s[0:1]
	s_mov_b64 s[0:1], 0
	s_branch .LBB15_883
.LBB15_878:
	s_mov_b64 s[58:59], -1
                                        ; implicit-def: $vgpr1
	s_branch .LBB15_889
.LBB15_879:
	s_andn2_saveexec_b64 s[0:1], s[0:1]
	s_cbranch_execz .LBB15_864
.LBB15_880:
	v_cmp_ne_u16_e32 vcc, 0, v2
	s_andn2_b64 s[58:59], s[58:59], exec
	s_and_b64 s[62:63], vcc, exec
	s_or_b64 s[58:59], s[58:59], s[62:63]
	s_or_b64 exec, exec, s[0:1]
	v_mov_b32_e32 v1, 0
	s_and_saveexec_b64 s[0:1], s[58:59]
	s_cbranch_execnz .LBB15_865
	s_branch .LBB15_866
.LBB15_881:
	s_mov_b64 s[0:1], -1
                                        ; implicit-def: $vgpr1
	s_branch .LBB15_886
.LBB15_882:
	s_mov_b64 s[0:1], -1
                                        ; implicit-def: $vgpr1
.LBB15_883:
	s_and_b64 vcc, exec, s[0:1]
	s_cbranch_vccz .LBB15_885
; %bb.884:
	global_load_ubyte v1, v[4:5], off
	s_mov_b32 s0, 0x7f800000
	s_brev_b32 s1, 1
	s_mov_b32 s58, 0x2f800000
	s_waitcnt vmcnt(0)
	v_lshlrev_b32_e32 v1, 24, v1
	v_and_b32_e32 v2, 0x7f000000, v1
	v_ffbh_u32_e32 v6, v2
	v_min_u32_e32 v6, 32, v6
	v_sub_u32_e64 v6, v6, 4 clamp
	v_lshlrev_b32_e32 v9, v6, v2
	v_lshlrev_b32_e32 v6, 23, v6
	v_lshrrev_b32_e32 v9, 4, v9
	v_add_u32_e32 v7, 0x1000000, v2
	v_sub_u32_e32 v6, v9, v6
	v_ashrrev_i32_e32 v7, 8, v7
	v_add_u32_e32 v6, 0x3c000000, v6
	v_and_or_b32 v6, v7, s0, v6
	v_cmp_ne_u32_e32 vcc, 0, v2
	v_cndmask_b32_e32 v2, 0, v6, vcc
	v_and_or_b32 v1, v1, s1, v2
	v_trunc_f32_e32 v1, v1
	v_mul_f32_e64 v2, |v1|, s58
	v_floor_f32_e32 v2, v2
	s_mov_b32 s0, 0xcf800000
	v_fma_f32 v2, v2, s0, |v1|
	v_cvt_u32_f32_e32 v2, v2
	v_ashrrev_i32_e32 v1, 31, v1
	v_xor_b32_e32 v2, v2, v1
	v_sub_u32_e32 v1, v2, v1
.LBB15_885:
	s_mov_b64 s[0:1], 0
.LBB15_886:
	s_andn2_b64 vcc, exec, s[0:1]
	s_cbranch_vccnz .LBB15_888
; %bb.887:
	global_load_ubyte v1, v[4:5], off
	s_movk_i32 s0, 0x7f00
	s_brev_b32 s1, 16
	s_brev_b32 s58, 1
	s_mov_b32 s59, 0x2f800000
	s_waitcnt vmcnt(0)
	v_lshlrev_b16_e32 v2, 8, v1
	v_lshlrev_b32_e32 v1, 25, v1
	v_lshrrev_b32_e32 v6, 4, v1
	v_and_or_b32 v7, v2, s0, 0.5
	v_or_b32_e32 v6, 0x70000000, v6
	v_add_f32_e32 v7, -0.5, v7
	v_mul_f32_e32 v6, 0x7800000, v6
	v_cmp_gt_u32_e32 vcc, s1, v1
	v_bfe_i32 v2, v2, 0, 16
	v_cndmask_b32_e32 v1, v6, v7, vcc
	v_and_or_b32 v1, v2, s58, v1
	v_trunc_f32_e32 v1, v1
	v_mul_f32_e64 v2, |v1|, s59
	v_floor_f32_e32 v2, v2
	s_mov_b32 s0, 0xcf800000
	v_fma_f32 v2, v2, s0, |v1|
	v_cvt_u32_f32_e32 v2, v2
	v_ashrrev_i32_e32 v1, 31, v1
	v_xor_b32_e32 v2, v2, v1
	v_sub_u32_e32 v1, v2, v1
.LBB15_888:
	s_mov_b64 s[58:59], 0
	s_mov_b64 s[0:1], -1
.LBB15_889:
	s_andn2_b64 vcc, exec, s[58:59]
	s_cbranch_vccnz .LBB15_902
; %bb.890:
	s_cmp_gt_i32 s61, 14
	s_cbranch_scc0 .LBB15_893
; %bb.891:
	s_cmp_eq_u32 s61, 15
	s_cbranch_scc0 .LBB15_896
; %bb.892:
	global_load_ushort v1, v[4:5], off
	s_mov_b32 s0, 0x2f800000
	s_mov_b32 s1, 0xcf800000
	s_mov_b64 s[56:57], 0
	s_waitcnt vmcnt(0)
	v_lshlrev_b32_e32 v1, 16, v1
	v_trunc_f32_e32 v1, v1
	v_mul_f32_e64 v2, |v1|, s0
	v_floor_f32_e32 v2, v2
	v_fma_f32 v2, v2, s1, |v1|
	v_cvt_u32_f32_e32 v2, v2
	v_ashrrev_i32_e32 v1, 31, v1
	s_mov_b64 s[0:1], -1
	v_xor_b32_e32 v2, v2, v1
	v_sub_u32_e32 v1, v2, v1
	s_branch .LBB15_897
.LBB15_893:
	s_mov_b64 s[58:59], -1
                                        ; implicit-def: $vgpr1
	s_branch .LBB15_898
.LBB15_894:
	s_andn2_saveexec_b64 s[0:1], s[0:1]
	s_cbranch_execz .LBB15_875
.LBB15_895:
	v_cmp_ne_u16_e32 vcc, 0, v2
	s_andn2_b64 s[58:59], s[58:59], exec
	s_and_b64 s[62:63], vcc, exec
	s_or_b64 s[58:59], s[58:59], s[62:63]
	s_or_b64 exec, exec, s[0:1]
	v_mov_b32_e32 v1, 0
	s_and_saveexec_b64 s[0:1], s[58:59]
	s_cbranch_execnz .LBB15_876
	s_branch .LBB15_877
.LBB15_896:
	s_mov_b64 s[56:57], -1
                                        ; implicit-def: $vgpr1
.LBB15_897:
	s_mov_b64 s[58:59], 0
.LBB15_898:
	s_and_b64 vcc, exec, s[58:59]
	s_cbranch_vccz .LBB15_902
; %bb.899:
	s_cmp_eq_u32 s61, 11
	s_cbranch_scc0 .LBB15_901
; %bb.900:
	global_load_ubyte v1, v[4:5], off
	s_mov_b64 s[0:1], -1
	s_mov_b64 s[56:57], 0
	s_waitcnt vmcnt(0)
	v_cmp_ne_u16_e32 vcc, 0, v1
	v_cndmask_b32_e64 v1, 0, 1, vcc
	s_branch .LBB15_902
.LBB15_901:
	s_mov_b64 s[56:57], -1
                                        ; implicit-def: $vgpr1
.LBB15_902:
	s_mov_b64 s[58:59], 0
.LBB15_903:
	s_and_b64 vcc, exec, s[58:59]
	s_cbranch_vccz .LBB15_952
; %bb.904:
	s_and_b32 s58, 0xffff, s60
	s_cmp_lt_i32 s58, 5
	s_cbranch_scc1 .LBB15_909
; %bb.905:
	s_cmp_lt_i32 s58, 8
	s_cbranch_scc1 .LBB15_910
; %bb.906:
	;; [unrolled: 3-line block ×3, first 2 shown]
	s_cmp_gt_i32 s58, 9
	s_cbranch_scc0 .LBB15_912
; %bb.908:
	global_load_dwordx2 v[1:2], v[4:5], off
	s_movk_i32 s0, 0xffe0
	s_waitcnt vmcnt(0)
	v_trunc_f64_e32 v[1:2], v[1:2]
	v_ldexp_f64 v[6:7], v[1:2], s0
	s_mov_b32 s0, 0
	s_mov_b32 s1, 0xc1f00000
	v_floor_f64_e32 v[6:7], v[6:7]
	v_fma_f64 v[1:2], v[6:7], s[0:1], v[1:2]
	s_mov_b64 s[0:1], 0
	v_cvt_u32_f64_e32 v1, v[1:2]
	s_branch .LBB15_913
.LBB15_909:
	s_mov_b64 s[0:1], -1
                                        ; implicit-def: $vgpr1
	s_branch .LBB15_931
.LBB15_910:
	s_mov_b64 s[0:1], -1
                                        ; implicit-def: $vgpr1
	s_branch .LBB15_919
.LBB15_911:
	s_mov_b64 s[0:1], -1
                                        ; implicit-def: $vgpr1
	s_branch .LBB15_916
.LBB15_912:
	s_mov_b64 s[0:1], -1
                                        ; implicit-def: $vgpr1
.LBB15_913:
	s_andn2_b64 vcc, exec, s[0:1]
	s_cbranch_vccnz .LBB15_915
; %bb.914:
	global_load_dword v1, v[4:5], off
	s_mov_b32 s0, 0x2f800000
	s_waitcnt vmcnt(0)
	v_trunc_f32_e32 v1, v1
	v_mul_f32_e64 v2, |v1|, s0
	v_floor_f32_e32 v2, v2
	s_mov_b32 s0, 0xcf800000
	v_fma_f32 v2, v2, s0, |v1|
	v_cvt_u32_f32_e32 v2, v2
	v_ashrrev_i32_e32 v1, 31, v1
	v_xor_b32_e32 v2, v2, v1
	v_sub_u32_e32 v1, v2, v1
.LBB15_915:
	s_mov_b64 s[0:1], 0
.LBB15_916:
	s_andn2_b64 vcc, exec, s[0:1]
	s_cbranch_vccnz .LBB15_918
; %bb.917:
	global_load_dword v1, v[4:5], off
	s_waitcnt vmcnt(0)
	v_cvt_f32_f16_e32 v1, v1
	v_cvt_i32_f32_e32 v1, v1
.LBB15_918:
	s_mov_b64 s[0:1], 0
.LBB15_919:
	s_andn2_b64 vcc, exec, s[0:1]
	s_cbranch_vccnz .LBB15_930
; %bb.920:
	s_cmp_lt_i32 s58, 6
	s_cbranch_scc1 .LBB15_923
; %bb.921:
	s_cmp_gt_i32 s58, 6
	s_cbranch_scc0 .LBB15_924
; %bb.922:
	global_load_dwordx2 v[1:2], v[4:5], off
	s_movk_i32 s0, 0xffe0
	s_waitcnt vmcnt(0)
	v_trunc_f64_e32 v[1:2], v[1:2]
	v_ldexp_f64 v[6:7], v[1:2], s0
	s_mov_b32 s0, 0
	s_mov_b32 s1, 0xc1f00000
	v_floor_f64_e32 v[6:7], v[6:7]
	v_fma_f64 v[1:2], v[6:7], s[0:1], v[1:2]
	s_mov_b64 s[0:1], 0
	v_cvt_u32_f64_e32 v1, v[1:2]
	s_branch .LBB15_925
.LBB15_923:
	s_mov_b64 s[0:1], -1
                                        ; implicit-def: $vgpr1
	s_branch .LBB15_928
.LBB15_924:
	s_mov_b64 s[0:1], -1
                                        ; implicit-def: $vgpr1
.LBB15_925:
	s_andn2_b64 vcc, exec, s[0:1]
	s_cbranch_vccnz .LBB15_927
; %bb.926:
	global_load_dword v1, v[4:5], off
	s_mov_b32 s0, 0x2f800000
	s_waitcnt vmcnt(0)
	v_trunc_f32_e32 v1, v1
	v_mul_f32_e64 v2, |v1|, s0
	v_floor_f32_e32 v2, v2
	s_mov_b32 s0, 0xcf800000
	v_fma_f32 v2, v2, s0, |v1|
	v_cvt_u32_f32_e32 v2, v2
	v_ashrrev_i32_e32 v1, 31, v1
	v_xor_b32_e32 v2, v2, v1
	v_sub_u32_e32 v1, v2, v1
.LBB15_927:
	s_mov_b64 s[0:1], 0
.LBB15_928:
	s_andn2_b64 vcc, exec, s[0:1]
	s_cbranch_vccnz .LBB15_930
; %bb.929:
	global_load_ushort v1, v[4:5], off
	s_waitcnt vmcnt(0)
	v_cvt_f32_f16_e32 v1, v1
	v_cvt_i32_f32_e32 v1, v1
.LBB15_930:
	s_mov_b64 s[0:1], 0
.LBB15_931:
	s_andn2_b64 vcc, exec, s[0:1]
	s_cbranch_vccnz .LBB15_951
; %bb.932:
	s_cmp_lt_i32 s58, 2
	s_cbranch_scc1 .LBB15_936
; %bb.933:
	s_cmp_lt_i32 s58, 3
	s_cbranch_scc1 .LBB15_937
; %bb.934:
	s_cmp_gt_i32 s58, 3
	s_cbranch_scc0 .LBB15_938
; %bb.935:
	global_load_dwordx2 v[1:2], v[4:5], off
	s_mov_b64 s[0:1], 0
	s_branch .LBB15_939
.LBB15_936:
	s_mov_b64 s[0:1], -1
                                        ; implicit-def: $vgpr1
	s_branch .LBB15_945
.LBB15_937:
	s_mov_b64 s[0:1], -1
                                        ; implicit-def: $vgpr1
	s_branch .LBB15_942
.LBB15_938:
	s_mov_b64 s[0:1], -1
                                        ; implicit-def: $vgpr1
.LBB15_939:
	s_andn2_b64 vcc, exec, s[0:1]
	s_cbranch_vccnz .LBB15_941
; %bb.940:
	global_load_dword v1, v[4:5], off
.LBB15_941:
	s_mov_b64 s[0:1], 0
.LBB15_942:
	s_andn2_b64 vcc, exec, s[0:1]
	s_cbranch_vccnz .LBB15_944
; %bb.943:
	global_load_ushort v1, v[4:5], off
.LBB15_944:
	s_mov_b64 s[0:1], 0
.LBB15_945:
	s_andn2_b64 vcc, exec, s[0:1]
	s_cbranch_vccnz .LBB15_951
; %bb.946:
	s_cmp_gt_i32 s58, 0
	s_cbranch_scc0 .LBB15_948
; %bb.947:
	global_load_ubyte v1, v[4:5], off
	s_mov_b64 s[0:1], 0
	s_branch .LBB15_949
.LBB15_948:
	s_mov_b64 s[0:1], -1
                                        ; implicit-def: $vgpr1
.LBB15_949:
	s_andn2_b64 vcc, exec, s[0:1]
	s_cbranch_vccnz .LBB15_951
; %bb.950:
	global_load_ubyte v1, v[4:5], off
.LBB15_951:
	s_mov_b64 s[0:1], -1
.LBB15_952:
	s_andn2_b64 vcc, exec, s[0:1]
	s_cbranch_vccnz .LBB15_960
; %bb.953:
	v_mov_b32_e32 v4, s13
	s_and_b32 s62, s71, 0xff
	s_waitcnt vmcnt(0)
	v_add_co_u32_e32 v2, vcc, s12, v3
	s_cmp_lt_i32 s62, 11
	v_addc_co_u32_e32 v3, vcc, 0, v4, vcc
	s_cbranch_scc1 .LBB15_962
; %bb.954:
	s_and_b32 s63, 0xffff, s62
	s_cmp_gt_i32 s63, 25
	s_cbranch_scc0 .LBB15_963
; %bb.955:
	s_cmp_gt_i32 s63, 28
	s_cbranch_scc0 .LBB15_964
; %bb.956:
	;; [unrolled: 3-line block ×4, first 2 shown]
	s_cmp_eq_u32 s63, 46
	s_mov_b64 s[60:61], 0
	s_cbranch_scc0 .LBB15_969
; %bb.959:
	global_load_dword v4, v[2:3], off
	s_mov_b32 s0, 0x2f800000
	s_mov_b32 s1, 0xcf800000
	s_mov_b64 s[58:59], 0
	s_waitcnt vmcnt(0)
	v_lshlrev_b32_e32 v4, 16, v4
	v_trunc_f32_e32 v4, v4
	v_mul_f32_e64 v5, |v4|, s0
	v_floor_f32_e32 v5, v5
	v_fma_f32 v5, v5, s1, |v4|
	v_cvt_u32_f32_e32 v5, v5
	v_ashrrev_i32_e32 v4, 31, v4
	s_mov_b64 s[0:1], -1
	v_xor_b32_e32 v5, v5, v4
	v_sub_u32_e32 v4, v5, v4
	s_branch .LBB15_970
.LBB15_960:
	s_mov_b64 s[62:63], 0
	s_mov_b64 s[0:1], s[50:51]
	;; [unrolled: 1-line block ×3, first 2 shown]
.LBB15_961:
                                        ; implicit-def: $vgpr8
	s_branch .LBB15_1221
.LBB15_962:
	s_mov_b64 s[60:61], -1
	s_mov_b64 s[0:1], 0
                                        ; implicit-def: $vgpr4
	s_mov_b64 s[58:59], s[48:49]
	s_branch .LBB15_1031
.LBB15_963:
	s_mov_b64 s[60:61], -1
	s_mov_b64 s[0:1], 0
	s_mov_b64 s[58:59], s[48:49]
                                        ; implicit-def: $vgpr4
	s_branch .LBB15_997
.LBB15_964:
	s_mov_b64 s[60:61], -1
	s_mov_b64 s[0:1], 0
	s_mov_b64 s[58:59], s[48:49]
                                        ; implicit-def: $vgpr4
	s_branch .LBB15_980
.LBB15_965:
	s_mov_b64 s[60:61], -1
	s_mov_b64 s[0:1], 0
	s_mov_b64 s[58:59], s[48:49]
                                        ; implicit-def: $vgpr4
	s_branch .LBB15_975
.LBB15_966:
	s_mov_b64 s[60:61], -1
	s_mov_b64 s[0:1], 0
	s_mov_b64 s[58:59], s[48:49]
                                        ; implicit-def: $vgpr4
	s_branch .LBB15_970
.LBB15_967:
	s_andn2_saveexec_b64 s[58:59], s[58:59]
	s_cbranch_execz .LBB15_735
.LBB15_968:
	v_add_f32_e32 v2, 0x42800000, v3
	v_and_b32_e32 v2, 0xff, v2
	v_cmp_ne_u32_e32 vcc, 0, v2
	s_andn2_b64 s[56:57], s[56:57], exec
	s_and_b64 s[62:63], vcc, exec
	s_or_b64 s[56:57], s[56:57], s[62:63]
	s_or_b64 exec, exec, s[58:59]
	v_mov_b32_e32 v4, 0
	s_and_saveexec_b64 s[58:59], s[56:57]
	s_cbranch_execnz .LBB15_736
	s_branch .LBB15_737
.LBB15_969:
	s_mov_b64 s[58:59], -1
                                        ; implicit-def: $vgpr4
	s_mov_b64 s[0:1], 0
.LBB15_970:
	s_and_b64 vcc, exec, s[60:61]
	s_cbranch_vccz .LBB15_974
; %bb.971:
	s_cmp_eq_u32 s63, 44
	s_cbranch_scc0 .LBB15_973
; %bb.972:
	global_load_ubyte v4, v[2:3], off
	s_mov_b32 s0, 0x2f800000
	s_mov_b32 s1, 0xcf800000
	s_mov_b64 s[58:59], 0
	s_waitcnt vmcnt(0)
	v_lshlrev_b32_e32 v5, 23, v4
	v_trunc_f32_e32 v5, v5
	v_mul_f32_e64 v6, |v5|, s0
	v_floor_f32_e32 v6, v6
	v_fma_f32 v6, v6, s1, |v5|
	v_cvt_u32_f32_e32 v6, v6
	v_ashrrev_i32_e32 v5, 31, v5
	v_cmp_ne_u32_e32 vcc, 0, v4
	s_mov_b64 s[0:1], -1
	v_xor_b32_e32 v6, v6, v5
	v_sub_u32_e32 v5, v6, v5
	v_cndmask_b32_e32 v4, 0, v5, vcc
	s_branch .LBB15_974
.LBB15_973:
	s_mov_b64 s[58:59], -1
                                        ; implicit-def: $vgpr4
.LBB15_974:
	s_mov_b64 s[60:61], 0
.LBB15_975:
	s_and_b64 vcc, exec, s[60:61]
	s_cbranch_vccz .LBB15_979
; %bb.976:
	s_cmp_eq_u32 s63, 29
	s_cbranch_scc0 .LBB15_978
; %bb.977:
	global_load_dwordx2 v[4:5], v[2:3], off
	s_mov_b64 s[0:1], -1
	s_mov_b64 s[58:59], 0
	s_branch .LBB15_979
.LBB15_978:
	s_mov_b64 s[58:59], -1
                                        ; implicit-def: $vgpr4
.LBB15_979:
	s_mov_b64 s[60:61], 0
.LBB15_980:
	s_and_b64 vcc, exec, s[60:61]
	s_cbranch_vccz .LBB15_996
; %bb.981:
	s_cmp_lt_i32 s63, 27
	s_cbranch_scc1 .LBB15_984
; %bb.982:
	s_cmp_gt_i32 s63, 27
	s_cbranch_scc0 .LBB15_985
; %bb.983:
	global_load_dword v4, v[2:3], off
	s_mov_b64 s[0:1], 0
	s_branch .LBB15_986
.LBB15_984:
	s_mov_b64 s[0:1], -1
                                        ; implicit-def: $vgpr4
	s_branch .LBB15_989
.LBB15_985:
	s_mov_b64 s[0:1], -1
                                        ; implicit-def: $vgpr4
.LBB15_986:
	s_andn2_b64 vcc, exec, s[0:1]
	s_cbranch_vccnz .LBB15_988
; %bb.987:
	global_load_ushort v4, v[2:3], off
.LBB15_988:
	s_mov_b64 s[0:1], 0
.LBB15_989:
	s_andn2_b64 vcc, exec, s[0:1]
	s_cbranch_vccnz .LBB15_995
; %bb.990:
	global_load_ubyte v5, v[2:3], off
	s_movk_i32 s0, 0x7f
	s_mov_b64 s[60:61], 0
	s_waitcnt vmcnt(0)
	v_cmp_lt_i16_e32 vcc, s0, v5
	s_and_saveexec_b64 s[0:1], vcc
	s_xor_b64 s[0:1], exec, s[0:1]
	s_cbranch_execz .LBB15_1007
; %bb.991:
	s_movk_i32 s60, 0x80
	v_cmp_ne_u16_e32 vcc, s60, v5
	s_and_b64 s[60:61], vcc, exec
	s_andn2_saveexec_b64 s[0:1], s[0:1]
	s_cbranch_execnz .LBB15_1008
.LBB15_992:
	s_or_b64 exec, exec, s[0:1]
	v_mov_b32_e32 v4, 0
	s_and_saveexec_b64 s[0:1], s[60:61]
	s_cbranch_execz .LBB15_994
.LBB15_993:
	v_lshlrev_b32_e32 v4, 24, v5
	v_and_b32_e32 v5, 0xffff, v5
	v_and_b32_e32 v6, 7, v5
	v_ffbh_u32_e32 v9, v6
	v_min_u32_e32 v9, 32, v9
	v_subrev_u32_e32 v10, 28, v9
	v_bfe_u32 v7, v5, 3, 4
	v_lshlrev_b32_e32 v5, v10, v5
	v_sub_u32_e32 v9, 29, v9
	v_and_b32_e32 v5, 7, v5
	v_cmp_eq_u32_e32 vcc, 0, v7
	v_cndmask_b32_e32 v7, v7, v9, vcc
	v_cndmask_b32_e32 v5, v6, v5, vcc
	v_mov_b32_e32 v6, 0x3b800000
	v_lshlrev_b32_e32 v5, 20, v5
	v_and_b32_e32 v4, 0x80000000, v4
	v_lshl_add_u32 v6, v7, 23, v6
	v_or3_b32 v4, v4, v6, v5
	v_trunc_f32_e32 v4, v4
	s_mov_b32 s60, 0x2f800000
	v_mul_f32_e64 v5, |v4|, s60
	v_floor_f32_e32 v5, v5
	s_mov_b32 s60, 0xcf800000
	v_fma_f32 v5, v5, s60, |v4|
	v_cvt_u32_f32_e32 v5, v5
	v_ashrrev_i32_e32 v4, 31, v4
	v_xor_b32_e32 v5, v5, v4
	v_sub_u32_e32 v4, v5, v4
.LBB15_994:
	s_or_b64 exec, exec, s[0:1]
.LBB15_995:
	s_mov_b64 s[0:1], -1
.LBB15_996:
	s_mov_b64 s[60:61], 0
.LBB15_997:
	s_and_b64 vcc, exec, s[60:61]
	s_cbranch_vccz .LBB15_1030
; %bb.998:
	s_cmp_gt_i32 s63, 22
	s_cbranch_scc0 .LBB15_1006
; %bb.999:
	s_cmp_lt_i32 s63, 24
	s_cbranch_scc1 .LBB15_1009
; %bb.1000:
	s_cmp_gt_i32 s63, 24
	s_cbranch_scc0 .LBB15_1010
; %bb.1001:
	global_load_ubyte v5, v[2:3], off
	s_movk_i32 s0, 0x7f
	s_mov_b64 s[60:61], 0
	s_waitcnt vmcnt(0)
	v_cmp_lt_i16_e32 vcc, s0, v5
	s_and_saveexec_b64 s[0:1], vcc
	s_xor_b64 s[0:1], exec, s[0:1]
	s_cbranch_execz .LBB15_1022
; %bb.1002:
	s_movk_i32 s60, 0x80
	v_cmp_ne_u16_e32 vcc, s60, v5
	s_and_b64 s[60:61], vcc, exec
	s_andn2_saveexec_b64 s[0:1], s[0:1]
	s_cbranch_execnz .LBB15_1023
.LBB15_1003:
	s_or_b64 exec, exec, s[0:1]
	v_mov_b32_e32 v4, 0
	s_and_saveexec_b64 s[0:1], s[60:61]
	s_cbranch_execz .LBB15_1005
.LBB15_1004:
	v_lshlrev_b32_e32 v4, 24, v5
	v_and_b32_e32 v5, 0xffff, v5
	v_and_b32_e32 v6, 3, v5
	v_ffbh_u32_e32 v9, v6
	v_min_u32_e32 v9, 32, v9
	v_subrev_u32_e32 v10, 29, v9
	v_bfe_u32 v7, v5, 2, 5
	v_lshlrev_b32_e32 v5, v10, v5
	v_sub_u32_e32 v9, 30, v9
	v_and_b32_e32 v5, 3, v5
	v_cmp_eq_u32_e32 vcc, 0, v7
	v_cndmask_b32_e32 v7, v7, v9, vcc
	v_cndmask_b32_e32 v5, v6, v5, vcc
	v_mov_b32_e32 v6, 0x37800000
	v_lshlrev_b32_e32 v5, 21, v5
	v_and_b32_e32 v4, 0x80000000, v4
	v_lshl_add_u32 v6, v7, 23, v6
	v_or3_b32 v4, v4, v6, v5
	v_trunc_f32_e32 v4, v4
	s_mov_b32 s60, 0x2f800000
	v_mul_f32_e64 v5, |v4|, s60
	v_floor_f32_e32 v5, v5
	s_mov_b32 s60, 0xcf800000
	v_fma_f32 v5, v5, s60, |v4|
	v_cvt_u32_f32_e32 v5, v5
	v_ashrrev_i32_e32 v4, 31, v4
	v_xor_b32_e32 v5, v5, v4
	v_sub_u32_e32 v4, v5, v4
.LBB15_1005:
	s_or_b64 exec, exec, s[0:1]
	s_mov_b64 s[0:1], 0
	s_branch .LBB15_1011
.LBB15_1006:
	s_mov_b64 s[60:61], -1
                                        ; implicit-def: $vgpr4
	s_branch .LBB15_1017
.LBB15_1007:
	s_andn2_saveexec_b64 s[0:1], s[0:1]
	s_cbranch_execz .LBB15_992
.LBB15_1008:
	v_cmp_ne_u16_e32 vcc, 0, v5
	s_andn2_b64 s[60:61], s[60:61], exec
	s_and_b64 s[64:65], vcc, exec
	s_or_b64 s[60:61], s[60:61], s[64:65]
	s_or_b64 exec, exec, s[0:1]
	v_mov_b32_e32 v4, 0
	s_and_saveexec_b64 s[0:1], s[60:61]
	s_cbranch_execnz .LBB15_993
	s_branch .LBB15_994
.LBB15_1009:
	s_mov_b64 s[0:1], -1
                                        ; implicit-def: $vgpr4
	s_branch .LBB15_1014
.LBB15_1010:
	s_mov_b64 s[0:1], -1
                                        ; implicit-def: $vgpr4
.LBB15_1011:
	s_and_b64 vcc, exec, s[0:1]
	s_cbranch_vccz .LBB15_1013
; %bb.1012:
	global_load_ubyte v4, v[2:3], off
	s_mov_b32 s0, 0x7f800000
	s_brev_b32 s1, 1
	s_mov_b32 s60, 0x2f800000
	s_waitcnt vmcnt(0)
	v_lshlrev_b32_e32 v4, 24, v4
	v_and_b32_e32 v5, 0x7f000000, v4
	v_ffbh_u32_e32 v6, v5
	v_min_u32_e32 v6, 32, v6
	v_sub_u32_e64 v6, v6, 4 clamp
	v_lshlrev_b32_e32 v9, v6, v5
	v_lshlrev_b32_e32 v6, 23, v6
	v_lshrrev_b32_e32 v9, 4, v9
	v_add_u32_e32 v7, 0x1000000, v5
	v_sub_u32_e32 v6, v9, v6
	v_ashrrev_i32_e32 v7, 8, v7
	v_add_u32_e32 v6, 0x3c000000, v6
	v_and_or_b32 v6, v7, s0, v6
	v_cmp_ne_u32_e32 vcc, 0, v5
	v_cndmask_b32_e32 v5, 0, v6, vcc
	v_and_or_b32 v4, v4, s1, v5
	v_trunc_f32_e32 v4, v4
	v_mul_f32_e64 v5, |v4|, s60
	v_floor_f32_e32 v5, v5
	s_mov_b32 s0, 0xcf800000
	v_fma_f32 v5, v5, s0, |v4|
	v_cvt_u32_f32_e32 v5, v5
	v_ashrrev_i32_e32 v4, 31, v4
	v_xor_b32_e32 v5, v5, v4
	v_sub_u32_e32 v4, v5, v4
.LBB15_1013:
	s_mov_b64 s[0:1], 0
.LBB15_1014:
	s_andn2_b64 vcc, exec, s[0:1]
	s_cbranch_vccnz .LBB15_1016
; %bb.1015:
	global_load_ubyte v4, v[2:3], off
	s_movk_i32 s0, 0x7f00
	s_brev_b32 s1, 16
	s_brev_b32 s60, 1
	s_mov_b32 s61, 0x2f800000
	s_waitcnt vmcnt(0)
	v_lshlrev_b16_e32 v5, 8, v4
	v_lshlrev_b32_e32 v4, 25, v4
	v_lshrrev_b32_e32 v6, 4, v4
	v_and_or_b32 v7, v5, s0, 0.5
	v_or_b32_e32 v6, 0x70000000, v6
	v_add_f32_e32 v7, -0.5, v7
	v_mul_f32_e32 v6, 0x7800000, v6
	v_cmp_gt_u32_e32 vcc, s1, v4
	v_bfe_i32 v5, v5, 0, 16
	v_cndmask_b32_e32 v4, v6, v7, vcc
	v_and_or_b32 v4, v5, s60, v4
	v_trunc_f32_e32 v4, v4
	v_mul_f32_e64 v5, |v4|, s61
	v_floor_f32_e32 v5, v5
	s_mov_b32 s0, 0xcf800000
	v_fma_f32 v5, v5, s0, |v4|
	v_cvt_u32_f32_e32 v5, v5
	v_ashrrev_i32_e32 v4, 31, v4
	v_xor_b32_e32 v5, v5, v4
	v_sub_u32_e32 v4, v5, v4
.LBB15_1016:
	s_mov_b64 s[60:61], 0
	s_mov_b64 s[0:1], -1
.LBB15_1017:
	s_andn2_b64 vcc, exec, s[60:61]
	s_cbranch_vccnz .LBB15_1030
; %bb.1018:
	s_cmp_gt_i32 s63, 14
	s_cbranch_scc0 .LBB15_1021
; %bb.1019:
	s_cmp_eq_u32 s63, 15
	s_cbranch_scc0 .LBB15_1024
; %bb.1020:
	global_load_ushort v4, v[2:3], off
	s_mov_b32 s0, 0x2f800000
	s_mov_b32 s1, 0xcf800000
	s_mov_b64 s[58:59], 0
	s_waitcnt vmcnt(0)
	v_lshlrev_b32_e32 v4, 16, v4
	v_trunc_f32_e32 v4, v4
	v_mul_f32_e64 v5, |v4|, s0
	v_floor_f32_e32 v5, v5
	v_fma_f32 v5, v5, s1, |v4|
	v_cvt_u32_f32_e32 v5, v5
	v_ashrrev_i32_e32 v4, 31, v4
	s_mov_b64 s[0:1], -1
	v_xor_b32_e32 v5, v5, v4
	v_sub_u32_e32 v4, v5, v4
	s_branch .LBB15_1025
.LBB15_1021:
	s_mov_b64 s[60:61], -1
                                        ; implicit-def: $vgpr4
	s_branch .LBB15_1026
.LBB15_1022:
	s_andn2_saveexec_b64 s[0:1], s[0:1]
	s_cbranch_execz .LBB15_1003
.LBB15_1023:
	v_cmp_ne_u16_e32 vcc, 0, v5
	s_andn2_b64 s[60:61], s[60:61], exec
	s_and_b64 s[64:65], vcc, exec
	s_or_b64 s[60:61], s[60:61], s[64:65]
	s_or_b64 exec, exec, s[0:1]
	v_mov_b32_e32 v4, 0
	s_and_saveexec_b64 s[0:1], s[60:61]
	s_cbranch_execnz .LBB15_1004
	s_branch .LBB15_1005
.LBB15_1024:
	s_mov_b64 s[58:59], -1
                                        ; implicit-def: $vgpr4
.LBB15_1025:
	s_mov_b64 s[60:61], 0
.LBB15_1026:
	s_and_b64 vcc, exec, s[60:61]
	s_cbranch_vccz .LBB15_1030
; %bb.1027:
	s_cmp_eq_u32 s63, 11
	s_cbranch_scc0 .LBB15_1029
; %bb.1028:
	global_load_ubyte v4, v[2:3], off
	s_mov_b64 s[0:1], -1
	s_mov_b64 s[58:59], 0
	s_waitcnt vmcnt(0)
	v_cmp_ne_u16_e32 vcc, 0, v4
	v_cndmask_b32_e64 v4, 0, 1, vcc
	s_branch .LBB15_1030
.LBB15_1029:
	s_mov_b64 s[58:59], -1
                                        ; implicit-def: $vgpr4
.LBB15_1030:
	s_mov_b64 s[60:61], 0
.LBB15_1031:
	s_and_b64 vcc, exec, s[60:61]
	s_cbranch_vccz .LBB15_1080
; %bb.1032:
	s_and_b32 s60, 0xffff, s62
	s_cmp_lt_i32 s60, 5
	s_cbranch_scc1 .LBB15_1037
; %bb.1033:
	s_cmp_lt_i32 s60, 8
	s_cbranch_scc1 .LBB15_1038
; %bb.1034:
	;; [unrolled: 3-line block ×3, first 2 shown]
	s_cmp_gt_i32 s60, 9
	s_cbranch_scc0 .LBB15_1040
; %bb.1036:
	global_load_dwordx2 v[4:5], v[2:3], off
	s_movk_i32 s0, 0xffe0
	s_waitcnt vmcnt(0)
	v_trunc_f64_e32 v[4:5], v[4:5]
	v_ldexp_f64 v[6:7], v[4:5], s0
	s_mov_b32 s0, 0
	s_mov_b32 s1, 0xc1f00000
	v_floor_f64_e32 v[6:7], v[6:7]
	v_fma_f64 v[4:5], v[6:7], s[0:1], v[4:5]
	s_mov_b64 s[0:1], 0
	v_cvt_u32_f64_e32 v4, v[4:5]
	s_branch .LBB15_1041
.LBB15_1037:
	s_mov_b64 s[0:1], -1
                                        ; implicit-def: $vgpr4
	s_branch .LBB15_1059
.LBB15_1038:
	s_mov_b64 s[0:1], -1
                                        ; implicit-def: $vgpr4
	s_branch .LBB15_1047
.LBB15_1039:
	s_mov_b64 s[0:1], -1
                                        ; implicit-def: $vgpr4
	s_branch .LBB15_1044
.LBB15_1040:
	s_mov_b64 s[0:1], -1
                                        ; implicit-def: $vgpr4
.LBB15_1041:
	s_andn2_b64 vcc, exec, s[0:1]
	s_cbranch_vccnz .LBB15_1043
; %bb.1042:
	global_load_dword v4, v[2:3], off
	s_mov_b32 s0, 0x2f800000
	s_waitcnt vmcnt(0)
	v_trunc_f32_e32 v4, v4
	v_mul_f32_e64 v5, |v4|, s0
	v_floor_f32_e32 v5, v5
	s_mov_b32 s0, 0xcf800000
	v_fma_f32 v5, v5, s0, |v4|
	v_cvt_u32_f32_e32 v5, v5
	v_ashrrev_i32_e32 v4, 31, v4
	v_xor_b32_e32 v5, v5, v4
	v_sub_u32_e32 v4, v5, v4
.LBB15_1043:
	s_mov_b64 s[0:1], 0
.LBB15_1044:
	s_andn2_b64 vcc, exec, s[0:1]
	s_cbranch_vccnz .LBB15_1046
; %bb.1045:
	global_load_dword v4, v[2:3], off
	s_waitcnt vmcnt(0)
	v_cvt_f32_f16_e32 v4, v4
	v_cvt_i32_f32_e32 v4, v4
.LBB15_1046:
	s_mov_b64 s[0:1], 0
.LBB15_1047:
	s_andn2_b64 vcc, exec, s[0:1]
	s_cbranch_vccnz .LBB15_1058
; %bb.1048:
	s_cmp_lt_i32 s60, 6
	s_cbranch_scc1 .LBB15_1051
; %bb.1049:
	s_cmp_gt_i32 s60, 6
	s_cbranch_scc0 .LBB15_1052
; %bb.1050:
	global_load_dwordx2 v[4:5], v[2:3], off
	s_movk_i32 s0, 0xffe0
	s_waitcnt vmcnt(0)
	v_trunc_f64_e32 v[4:5], v[4:5]
	v_ldexp_f64 v[6:7], v[4:5], s0
	s_mov_b32 s0, 0
	s_mov_b32 s1, 0xc1f00000
	v_floor_f64_e32 v[6:7], v[6:7]
	v_fma_f64 v[4:5], v[6:7], s[0:1], v[4:5]
	s_mov_b64 s[0:1], 0
	v_cvt_u32_f64_e32 v4, v[4:5]
	s_branch .LBB15_1053
.LBB15_1051:
	s_mov_b64 s[0:1], -1
                                        ; implicit-def: $vgpr4
	s_branch .LBB15_1056
.LBB15_1052:
	s_mov_b64 s[0:1], -1
                                        ; implicit-def: $vgpr4
.LBB15_1053:
	s_andn2_b64 vcc, exec, s[0:1]
	s_cbranch_vccnz .LBB15_1055
; %bb.1054:
	global_load_dword v4, v[2:3], off
	s_mov_b32 s0, 0x2f800000
	s_waitcnt vmcnt(0)
	v_trunc_f32_e32 v4, v4
	v_mul_f32_e64 v5, |v4|, s0
	v_floor_f32_e32 v5, v5
	s_mov_b32 s0, 0xcf800000
	v_fma_f32 v5, v5, s0, |v4|
	v_cvt_u32_f32_e32 v5, v5
	v_ashrrev_i32_e32 v4, 31, v4
	v_xor_b32_e32 v5, v5, v4
	v_sub_u32_e32 v4, v5, v4
.LBB15_1055:
	s_mov_b64 s[0:1], 0
.LBB15_1056:
	s_andn2_b64 vcc, exec, s[0:1]
	s_cbranch_vccnz .LBB15_1058
; %bb.1057:
	global_load_ushort v4, v[2:3], off
	s_waitcnt vmcnt(0)
	v_cvt_f32_f16_e32 v4, v4
	v_cvt_i32_f32_e32 v4, v4
.LBB15_1058:
	s_mov_b64 s[0:1], 0
.LBB15_1059:
	s_andn2_b64 vcc, exec, s[0:1]
	s_cbranch_vccnz .LBB15_1079
; %bb.1060:
	s_cmp_lt_i32 s60, 2
	s_cbranch_scc1 .LBB15_1064
; %bb.1061:
	s_cmp_lt_i32 s60, 3
	s_cbranch_scc1 .LBB15_1065
; %bb.1062:
	s_cmp_gt_i32 s60, 3
	s_cbranch_scc0 .LBB15_1066
; %bb.1063:
	global_load_dwordx2 v[4:5], v[2:3], off
	s_mov_b64 s[0:1], 0
	s_branch .LBB15_1067
.LBB15_1064:
	s_mov_b64 s[0:1], -1
                                        ; implicit-def: $vgpr4
	s_branch .LBB15_1073
.LBB15_1065:
	s_mov_b64 s[0:1], -1
                                        ; implicit-def: $vgpr4
	s_branch .LBB15_1070
.LBB15_1066:
	s_mov_b64 s[0:1], -1
                                        ; implicit-def: $vgpr4
.LBB15_1067:
	s_andn2_b64 vcc, exec, s[0:1]
	s_cbranch_vccnz .LBB15_1069
; %bb.1068:
	global_load_dword v4, v[2:3], off
.LBB15_1069:
	s_mov_b64 s[0:1], 0
.LBB15_1070:
	s_andn2_b64 vcc, exec, s[0:1]
	s_cbranch_vccnz .LBB15_1072
; %bb.1071:
	global_load_ushort v4, v[2:3], off
.LBB15_1072:
	s_mov_b64 s[0:1], 0
.LBB15_1073:
	s_andn2_b64 vcc, exec, s[0:1]
	s_cbranch_vccnz .LBB15_1079
; %bb.1074:
	s_cmp_gt_i32 s60, 0
	s_cbranch_scc0 .LBB15_1076
; %bb.1075:
	global_load_ubyte v4, v[2:3], off
	s_mov_b64 s[0:1], 0
	s_branch .LBB15_1077
.LBB15_1076:
	s_mov_b64 s[0:1], -1
                                        ; implicit-def: $vgpr4
.LBB15_1077:
	s_andn2_b64 vcc, exec, s[0:1]
	s_cbranch_vccnz .LBB15_1079
; %bb.1078:
	global_load_ubyte v4, v[2:3], off
.LBB15_1079:
	s_mov_b64 s[0:1], -1
.LBB15_1080:
	s_andn2_b64 vcc, exec, s[0:1]
	s_cbranch_vccnz .LBB15_1085
; %bb.1081:
	s_cmp_lt_i32 s14, 1
	s_mov_b64 s[0:1], 0
	s_cbranch_scc1 .LBB15_1086
; %bb.1082:
	s_cmp_gt_i32 s14, 1
	s_cbranch_scc0 .LBB15_1087
; %bb.1083:
	s_cmp_eq_u32 s14, 2
	s_cbranch_scc0 .LBB15_1088
; %bb.1084:
	s_waitcnt vmcnt(0)
	v_cmp_le_u16_sdwa s[60:61], v1, v4 src0_sel:BYTE_0 src1_sel:BYTE_0
	s_mov_b64 s[62:63], 0
	s_branch .LBB15_1089
.LBB15_1085:
	s_mov_b64 s[62:63], 0
                                        ; implicit-def: $vgpr8
	s_mov_b64 s[0:1], s[50:51]
	s_branch .LBB15_1221
.LBB15_1086:
	s_mov_b64 s[64:65], -1
                                        ; implicit-def: $sgpr60_sgpr61
	s_mov_b64 s[62:63], 0
	s_branch .LBB15_1093
.LBB15_1087:
	s_mov_b64 s[64:65], -1
	s_mov_b64 s[62:63], 0
                                        ; implicit-def: $sgpr60_sgpr61
	s_branch .LBB15_1090
.LBB15_1088:
	s_mov_b64 s[62:63], -1
                                        ; implicit-def: $sgpr60_sgpr61
.LBB15_1089:
	s_mov_b64 s[64:65], 0
.LBB15_1090:
	s_and_b64 vcc, exec, s[64:65]
	s_cbranch_vccz .LBB15_1092
; %bb.1091:
	s_waitcnt vmcnt(0)
	v_cmp_gt_u16_sdwa s[64:65], v1, v4 src0_sel:BYTE_0 src1_sel:BYTE_0
	s_andn2_b64 s[60:61], s[60:61], exec
	s_and_b64 s[64:65], s[64:65], exec
	s_or_b64 s[60:61], s[60:61], s[64:65]
.LBB15_1092:
	s_mov_b64 s[64:65], 0
.LBB15_1093:
	s_and_b64 vcc, exec, s[64:65]
	s_cbranch_vccz .LBB15_1104
; %bb.1094:
	s_cmp_lg_u32 s14, 0
	s_mov_b64 s[0:1], -1
	s_cselect_b64 s[62:63], -1, 0
	s_andn2_b64 vcc, exec, s[62:63]
	s_cbranch_vccz .LBB15_1105
.LBB15_1095:
	s_andn2_b64 vcc, exec, s[0:1]
	s_cbranch_vccnz .LBB15_1097
.LBB15_1096:
	s_waitcnt vmcnt(0)
	v_cmp_ge_u16_sdwa s[0:1], v1, v4 src0_sel:BYTE_0 src1_sel:BYTE_0
	s_andn2_b64 s[60:61], s[60:61], exec
	s_and_b64 s[0:1], s[0:1], exec
	s_or_b64 s[60:61], s[60:61], s[0:1]
.LBB15_1097:
	v_mov_b32_e32 v1, s9
	s_and_b32 s69, s15, 0xff
	v_add_co_u32_e32 v0, vcc, s8, v0
	s_cmp_lt_i32 s69, 11
	v_addc_co_u32_e32 v1, vcc, 0, v1, vcc
	s_cbranch_scc1 .LBB15_1106
; %bb.1098:
	s_and_b32 s74, 0xffff, s69
	s_cmp_gt_i32 s74, 25
	s_cbranch_scc0 .LBB15_1107
; %bb.1099:
	s_cmp_gt_i32 s74, 28
	s_cbranch_scc0 .LBB15_1108
; %bb.1100:
	;; [unrolled: 3-line block ×4, first 2 shown]
	s_mov_b64 s[64:65], 0
	s_mov_b64 s[0:1], -1
	s_cmp_eq_u32 s74, 46
	s_mov_b64 s[62:63], 0
	s_cbranch_scc0 .LBB15_1111
; %bb.1103:
	v_cndmask_b32_e64 v2, 0, 1.0, s[60:61]
	v_bfe_u32 v3, v2, 16, 1
	s_movk_i32 s0, 0x7fff
	v_add3_u32 v2, v2, v3, s0
	v_lshrrev_b32_e32 v2, 16, v2
	global_store_dword v[0:1], v2, off
	s_mov_b64 s[62:63], -1
	s_mov_b64 s[0:1], 0
	s_branch .LBB15_1111
.LBB15_1104:
	s_andn2_b64 vcc, exec, s[62:63]
	s_cbranch_vccnz .LBB15_1095
.LBB15_1105:
	s_waitcnt vmcnt(0)
	v_cmp_lt_u16_sdwa s[62:63], v1, v4 src0_sel:BYTE_0 src1_sel:BYTE_0
	s_andn2_b64 s[60:61], s[60:61], exec
	s_and_b64 s[62:63], s[62:63], exec
	s_or_b64 s[60:61], s[60:61], s[62:63]
	s_cbranch_execz .LBB15_1096
	s_branch .LBB15_1097
.LBB15_1106:
	s_mov_b64 s[64:65], -1
	s_mov_b64 s[62:63], 0
	s_mov_b64 s[0:1], s[50:51]
	s_branch .LBB15_1180
.LBB15_1107:
	s_mov_b64 s[64:65], -1
	s_mov_b64 s[62:63], 0
	s_mov_b64 s[0:1], s[50:51]
	s_branch .LBB15_1138
.LBB15_1108:
	s_mov_b64 s[64:65], -1
	s_mov_b64 s[62:63], 0
	s_mov_b64 s[0:1], s[50:51]
	s_branch .LBB15_1121
.LBB15_1109:
	s_mov_b64 s[64:65], -1
	s_mov_b64 s[62:63], 0
	s_mov_b64 s[0:1], s[50:51]
	s_branch .LBB15_1117
.LBB15_1110:
	s_mov_b64 s[64:65], -1
	s_mov_b64 s[62:63], 0
	s_mov_b64 s[0:1], s[50:51]
.LBB15_1111:
	s_and_b64 vcc, exec, s[64:65]
	s_cbranch_vccz .LBB15_1116
; %bb.1112:
	s_cmp_eq_u32 s74, 44
	s_mov_b64 s[0:1], -1
	s_cbranch_scc0 .LBB15_1116
; %bb.1113:
	v_cndmask_b32_e64 v3, 0, 1.0, s[60:61]
	v_lshrrev_b32_e32 v2, 23, v3
	s_movk_i32 s0, 0xff
	v_cmp_ne_u32_e32 vcc, s0, v2
	s_waitcnt vmcnt(0)
	v_mov_b32_e32 v4, 0xff
	s_and_saveexec_b64 s[62:63], vcc
; %bb.1114:
	s_mov_b32 s0, 0x3fffff
	v_and_b32_e32 v4, 0x400000, v3
	v_and_or_b32 v3, v3, s0, v2
	v_cmp_ne_u32_e32 vcc, 0, v4
	v_cmp_ne_u32_e64 s[0:1], 0, v3
	s_and_b64 s[0:1], vcc, s[0:1]
	v_cndmask_b32_e64 v3, 0, 1, s[0:1]
	v_add_u32_e32 v4, v2, v3
; %bb.1115:
	s_or_b64 exec, exec, s[62:63]
	s_mov_b64 s[62:63], -1
	s_mov_b64 s[0:1], 0
	global_store_byte v[0:1], v4, off
.LBB15_1116:
	s_mov_b64 s[64:65], 0
.LBB15_1117:
	s_and_b64 vcc, exec, s[64:65]
	s_cbranch_vccz .LBB15_1120
; %bb.1118:
	s_cmp_eq_u32 s74, 29
	s_mov_b64 s[0:1], -1
	s_cbranch_scc0 .LBB15_1120
; %bb.1119:
	s_mov_b32 s0, 0
	v_cndmask_b32_e64 v2, 0, 1, s[60:61]
	v_mov_b32_e32 v3, s0
	global_store_dwordx2 v[0:1], v[2:3], off
	s_mov_b64 s[62:63], -1
	s_mov_b64 s[0:1], 0
.LBB15_1120:
	s_mov_b64 s[64:65], 0
.LBB15_1121:
	s_and_b64 vcc, exec, s[64:65]
	s_cbranch_vccz .LBB15_1137
; %bb.1122:
	s_cmp_lt_i32 s74, 27
	s_mov_b64 s[62:63], -1
	s_cbranch_scc1 .LBB15_1128
; %bb.1123:
	s_cmp_gt_i32 s74, 27
	s_cbranch_scc0 .LBB15_1125
; %bb.1124:
	v_cndmask_b32_e64 v2, 0, 1, s[60:61]
	s_mov_b64 s[62:63], 0
	global_store_dword v[0:1], v2, off
.LBB15_1125:
	s_andn2_b64 vcc, exec, s[62:63]
	s_cbranch_vccnz .LBB15_1127
; %bb.1126:
	v_cndmask_b32_e64 v2, 0, 1, s[60:61]
	global_store_short v[0:1], v2, off
.LBB15_1127:
	s_mov_b64 s[62:63], 0
.LBB15_1128:
	s_andn2_b64 vcc, exec, s[62:63]
	s_cbranch_vccnz .LBB15_1136
; %bb.1129:
	v_cndmask_b32_e64 v3, 0, 1.0, s[60:61]
	s_mov_b32 s62, 0x43800000
	v_cmp_gt_u32_e32 vcc, s62, v3
	s_waitcnt vmcnt(0)
	v_mov_b32_e32 v4, 0x80
	s_and_saveexec_b64 s[62:63], vcc
	s_cbranch_execz .LBB15_1135
; %bb.1130:
	s_mov_b32 s64, 0x3bffffff
	v_cmp_lt_u32_e32 vcc, s64, v3
	s_mov_b64 s[64:65], 0
                                        ; implicit-def: $vgpr2
	s_and_saveexec_b64 s[66:67], vcc
	s_xor_b64 s[66:67], exec, s[66:67]
	s_cbranch_execz .LBB15_1249
; %bb.1131:
	v_bfe_u32 v2, v3, 20, 1
	s_mov_b32 s75, 0x487ffff
	v_add3_u32 v2, v3, v2, s75
	s_mov_b64 s[64:65], exec
	v_lshrrev_b32_e32 v2, 20, v2
                                        ; implicit-def: $vgpr3
	s_andn2_saveexec_b64 s[66:67], s[66:67]
	s_cbranch_execnz .LBB15_1250
.LBB15_1132:
	s_or_b64 exec, exec, s[66:67]
	v_mov_b32_e32 v4, 0
	s_and_saveexec_b64 s[66:67], s[64:65]
.LBB15_1133:
	v_mov_b32_e32 v4, v2
.LBB15_1134:
	s_or_b64 exec, exec, s[66:67]
.LBB15_1135:
	s_or_b64 exec, exec, s[62:63]
	global_store_byte v[0:1], v4, off
.LBB15_1136:
	s_mov_b64 s[62:63], -1
.LBB15_1137:
	s_mov_b64 s[64:65], 0
.LBB15_1138:
	s_and_b64 vcc, exec, s[64:65]
	s_cbranch_vccz .LBB15_1179
; %bb.1139:
	s_cmp_gt_i32 s74, 22
	s_mov_b64 s[64:65], -1
	s_cbranch_scc0 .LBB15_1171
; %bb.1140:
	s_cmp_lt_i32 s74, 24
	s_mov_b64 s[62:63], -1
	s_cbranch_scc1 .LBB15_1160
; %bb.1141:
	s_cmp_gt_i32 s74, 24
	s_cbranch_scc0 .LBB15_1149
; %bb.1142:
	v_cndmask_b32_e64 v3, 0, 1.0, s[60:61]
	s_mov_b32 s62, 0x47800000
	v_cmp_gt_u32_e32 vcc, s62, v3
	s_waitcnt vmcnt(0)
	v_mov_b32_e32 v4, 0x80
	s_and_saveexec_b64 s[62:63], vcc
	s_cbranch_execz .LBB15_1148
; %bb.1143:
	s_mov_b32 s64, 0x37ffffff
	v_cmp_lt_u32_e32 vcc, s64, v3
	s_mov_b64 s[64:65], 0
                                        ; implicit-def: $vgpr2
	s_and_saveexec_b64 s[66:67], vcc
	s_xor_b64 s[66:67], exec, s[66:67]
	s_cbranch_execz .LBB15_2335
; %bb.1144:
	v_bfe_u32 v2, v3, 21, 1
	s_mov_b32 s75, 0x88fffff
	v_add3_u32 v2, v3, v2, s75
	s_mov_b64 s[64:65], exec
	v_lshrrev_b32_e32 v2, 21, v2
                                        ; implicit-def: $vgpr3
	s_andn2_saveexec_b64 s[66:67], s[66:67]
	s_cbranch_execnz .LBB15_2336
.LBB15_1145:
	s_or_b64 exec, exec, s[66:67]
	v_mov_b32_e32 v4, 0
	s_and_saveexec_b64 s[66:67], s[64:65]
.LBB15_1146:
	v_mov_b32_e32 v4, v2
.LBB15_1147:
	s_or_b64 exec, exec, s[66:67]
.LBB15_1148:
	s_or_b64 exec, exec, s[62:63]
	s_mov_b64 s[62:63], 0
	global_store_byte v[0:1], v4, off
.LBB15_1149:
	s_and_b64 vcc, exec, s[62:63]
	s_cbranch_vccz .LBB15_1159
; %bb.1150:
	v_cndmask_b32_e64 v2, 0, 1.0, s[60:61]
	s_mov_b32 s62, 0x43f00000
	v_cmp_gt_u32_e32 vcc, s62, v2
                                        ; implicit-def: $vgpr3
	s_and_saveexec_b64 s[62:63], vcc
	s_xor_b64 s[62:63], exec, s[62:63]
	s_cbranch_execz .LBB15_1156
; %bb.1151:
	s_mov_b32 s64, 0x3c7fffff
	v_cmp_lt_u32_e32 vcc, s64, v2
                                        ; implicit-def: $vgpr3
	s_and_saveexec_b64 s[64:65], vcc
	s_xor_b64 s[64:65], exec, s[64:65]
	s_cbranch_execz .LBB15_1153
; %bb.1152:
	v_bfe_u32 v3, v2, 20, 1
	s_mov_b32 s66, 0x407ffff
	v_add3_u32 v2, v2, v3, s66
	v_lshrrev_b32_e32 v3, 20, v2
	v_and_b32_e32 v2, 0xff00000, v2
	s_mov_b32 s66, 0x7f00000
	s_waitcnt vmcnt(0)
	v_mov_b32_e32 v4, 0x7e
	v_cmp_ne_u32_e32 vcc, s66, v2
	v_cndmask_b32_e32 v3, v4, v3, vcc
                                        ; implicit-def: $vgpr2
.LBB15_1153:
	s_andn2_saveexec_b64 s[64:65], s[64:65]
; %bb.1154:
	v_add_f32_e32 v3, 0x46800000, v2
; %bb.1155:
	s_or_b64 exec, exec, s[64:65]
                                        ; implicit-def: $vgpr2
.LBB15_1156:
	s_andn2_saveexec_b64 s[62:63], s[62:63]
	s_cbranch_execz .LBB15_1158
; %bb.1157:
	s_mov_b32 s64, 0x7f800000
	v_mov_b32_e32 v3, 0x7e
	s_waitcnt vmcnt(0)
	v_mov_b32_e32 v4, 0x7f
	v_cmp_lt_u32_e32 vcc, s64, v2
	v_cndmask_b32_e32 v3, v3, v4, vcc
.LBB15_1158:
	s_or_b64 exec, exec, s[62:63]
	global_store_byte v[0:1], v3, off
.LBB15_1159:
	s_mov_b64 s[62:63], 0
.LBB15_1160:
	s_andn2_b64 vcc, exec, s[62:63]
	s_cbranch_vccnz .LBB15_1170
; %bb.1161:
	v_cndmask_b32_e64 v2, 0, 1.0, s[60:61]
	s_mov_b32 s62, 0x47800000
	v_cmp_gt_u32_e32 vcc, s62, v2
                                        ; implicit-def: $vgpr3
	s_and_saveexec_b64 s[62:63], vcc
	s_xor_b64 s[62:63], exec, s[62:63]
	s_cbranch_execz .LBB15_1167
; %bb.1162:
	s_mov_b32 s64, 0x387fffff
	v_cmp_lt_u32_e32 vcc, s64, v2
                                        ; implicit-def: $vgpr3
	s_and_saveexec_b64 s[64:65], vcc
	s_xor_b64 s[64:65], exec, s[64:65]
; %bb.1163:
	v_bfe_u32 v3, v2, 21, 1
	s_mov_b32 s66, 0x80fffff
	v_add3_u32 v2, v2, v3, s66
	v_lshrrev_b32_e32 v3, 21, v2
                                        ; implicit-def: $vgpr2
; %bb.1164:
	s_andn2_saveexec_b64 s[64:65], s[64:65]
; %bb.1165:
	v_add_f32_e32 v3, 0x43000000, v2
; %bb.1166:
	s_or_b64 exec, exec, s[64:65]
                                        ; implicit-def: $vgpr2
.LBB15_1167:
	s_andn2_saveexec_b64 s[62:63], s[62:63]
	s_cbranch_execz .LBB15_1169
; %bb.1168:
	s_mov_b32 s64, 0x7f800000
	v_mov_b32_e32 v3, 0x7c
	s_waitcnt vmcnt(0)
	v_mov_b32_e32 v4, 0x7f
	v_cmp_lt_u32_e32 vcc, s64, v2
	v_cndmask_b32_e32 v3, v3, v4, vcc
.LBB15_1169:
	s_or_b64 exec, exec, s[62:63]
	global_store_byte v[0:1], v3, off
.LBB15_1170:
	s_mov_b64 s[64:65], 0
	s_mov_b64 s[62:63], -1
.LBB15_1171:
	s_andn2_b64 vcc, exec, s[64:65]
	s_cbranch_vccnz .LBB15_1179
; %bb.1172:
	s_cmp_gt_i32 s74, 14
	s_mov_b64 s[64:65], -1
	s_cbranch_scc0 .LBB15_1176
; %bb.1173:
	s_cmp_eq_u32 s74, 15
	s_mov_b64 s[0:1], -1
	s_cbranch_scc0 .LBB15_1175
; %bb.1174:
	v_cndmask_b32_e64 v2, 0, 1.0, s[60:61]
	v_bfe_u32 v3, v2, 16, 1
	s_movk_i32 s0, 0x7fff
	v_add3_u32 v2, v2, v3, s0
	global_store_short_d16_hi v[0:1], v2, off
	s_mov_b64 s[62:63], -1
	s_mov_b64 s[0:1], 0
.LBB15_1175:
	s_mov_b64 s[64:65], 0
.LBB15_1176:
	s_and_b64 vcc, exec, s[64:65]
	s_cbranch_vccz .LBB15_1179
; %bb.1177:
	s_cmp_eq_u32 s74, 11
	s_mov_b64 s[0:1], -1
	s_cbranch_scc0 .LBB15_1179
; %bb.1178:
	v_cndmask_b32_e64 v2, 0, 1, s[60:61]
	s_mov_b64 s[62:63], -1
	s_mov_b64 s[0:1], 0
	global_store_byte v[0:1], v2, off
.LBB15_1179:
	s_mov_b64 s[64:65], 0
.LBB15_1180:
	s_and_b64 vcc, exec, s[64:65]
	s_cbranch_vccz .LBB15_1219
; %bb.1181:
	s_and_b32 s64, 0xffff, s69
	s_cmp_lt_i32 s64, 5
	s_mov_b64 s[62:63], -1
	s_cbranch_scc1 .LBB15_1202
; %bb.1182:
	s_cmp_lt_i32 s64, 8
	s_cbranch_scc1 .LBB15_1192
; %bb.1183:
	s_cmp_lt_i32 s64, 9
	s_cbranch_scc1 .LBB15_1189
; %bb.1184:
	s_cmp_gt_i32 s64, 9
	s_cbranch_scc0 .LBB15_1186
; %bb.1185:
	v_cndmask_b32_e64 v2, 0, 1, s[60:61]
	v_cvt_f64_u32_e32 v[2:3], v2
	s_waitcnt vmcnt(0)
	v_mov_b32_e32 v4, 0
	v_mov_b32_e32 v5, v4
	s_mov_b64 s[62:63], 0
	global_store_dwordx4 v[0:1], v[2:5], off
.LBB15_1186:
	s_andn2_b64 vcc, exec, s[62:63]
	s_cbranch_vccnz .LBB15_1188
; %bb.1187:
	v_cndmask_b32_e64 v2, 0, 1.0, s[60:61]
	v_mov_b32_e32 v3, 0
	global_store_dwordx2 v[0:1], v[2:3], off
.LBB15_1188:
	s_mov_b64 s[62:63], 0
.LBB15_1189:
	s_andn2_b64 vcc, exec, s[62:63]
	s_cbranch_vccnz .LBB15_1191
; %bb.1190:
	v_cndmask_b32_e64 v2, 0, 1.0, s[60:61]
	v_cvt_f16_f32_e32 v2, v2
	global_store_dword v[0:1], v2, off
.LBB15_1191:
	s_mov_b64 s[62:63], 0
.LBB15_1192:
	s_andn2_b64 vcc, exec, s[62:63]
	s_cbranch_vccnz .LBB15_1201
; %bb.1193:
	s_cmp_lt_i32 s64, 6
	s_mov_b64 s[62:63], -1
	s_cbranch_scc1 .LBB15_1199
; %bb.1194:
	s_cmp_gt_i32 s64, 6
	s_cbranch_scc0 .LBB15_1196
; %bb.1195:
	v_cndmask_b32_e64 v2, 0, 1, s[60:61]
	v_cvt_f64_u32_e32 v[2:3], v2
	s_mov_b64 s[62:63], 0
	global_store_dwordx2 v[0:1], v[2:3], off
.LBB15_1196:
	s_andn2_b64 vcc, exec, s[62:63]
	s_cbranch_vccnz .LBB15_1198
; %bb.1197:
	v_cndmask_b32_e64 v2, 0, 1.0, s[60:61]
	global_store_dword v[0:1], v2, off
.LBB15_1198:
	s_mov_b64 s[62:63], 0
.LBB15_1199:
	s_andn2_b64 vcc, exec, s[62:63]
	s_cbranch_vccnz .LBB15_1201
; %bb.1200:
	v_cndmask_b32_e64 v2, 0, 1.0, s[60:61]
	v_cvt_f16_f32_e32 v2, v2
	global_store_short v[0:1], v2, off
.LBB15_1201:
	s_mov_b64 s[62:63], 0
.LBB15_1202:
	s_andn2_b64 vcc, exec, s[62:63]
	s_cbranch_vccnz .LBB15_1218
; %bb.1203:
	s_cmp_lt_i32 s64, 2
	s_mov_b64 s[62:63], -1
	s_cbranch_scc1 .LBB15_1213
; %bb.1204:
	s_cmp_lt_i32 s64, 3
	s_cbranch_scc1 .LBB15_1210
; %bb.1205:
	s_cmp_gt_i32 s64, 3
	s_cbranch_scc0 .LBB15_1207
; %bb.1206:
	s_mov_b32 s62, 0
	v_cndmask_b32_e64 v2, 0, 1, s[60:61]
	v_mov_b32_e32 v3, s62
	s_mov_b64 s[62:63], 0
	global_store_dwordx2 v[0:1], v[2:3], off
.LBB15_1207:
	s_andn2_b64 vcc, exec, s[62:63]
	s_cbranch_vccnz .LBB15_1209
; %bb.1208:
	v_cndmask_b32_e64 v2, 0, 1, s[60:61]
	global_store_dword v[0:1], v2, off
.LBB15_1209:
	s_mov_b64 s[62:63], 0
.LBB15_1210:
	s_andn2_b64 vcc, exec, s[62:63]
	s_cbranch_vccnz .LBB15_1212
; %bb.1211:
	v_cndmask_b32_e64 v2, 0, 1, s[60:61]
	global_store_short v[0:1], v2, off
.LBB15_1212:
	s_mov_b64 s[62:63], 0
.LBB15_1213:
	s_andn2_b64 vcc, exec, s[62:63]
	s_cbranch_vccnz .LBB15_1218
; %bb.1214:
	s_mov_b64 s[62:63], -1
	s_cmp_gt_i32 s64, 0
	v_cndmask_b32_e64 v2, 0, 1, s[60:61]
	s_cbranch_scc0 .LBB15_1216
; %bb.1215:
	s_mov_b64 s[62:63], 0
	global_store_byte v[0:1], v2, off
.LBB15_1216:
	s_andn2_b64 vcc, exec, s[62:63]
	s_cbranch_vccnz .LBB15_1218
; %bb.1217:
	global_store_byte v[0:1], v2, off
.LBB15_1218:
	s_mov_b64 s[62:63], -1
.LBB15_1219:
	s_andn2_b64 vcc, exec, s[62:63]
	s_cbranch_vccnz .LBB15_1231
; %bb.1220:
	v_add_u32_e32 v8, 0x80, v8
	s_mov_b64 s[62:63], -1
.LBB15_1221:
	s_andn2_b64 s[60:61], s[50:51], exec
	s_and_b64 s[0:1], s[0:1], exec
	s_or_b64 s[60:61], s[60:61], s[0:1]
	s_andn2_b64 s[0:1], s[48:49], exec
	s_and_b64 s[58:59], s[58:59], exec
	s_or_b64 s[58:59], s[0:1], s[58:59]
	;; [unrolled: 3-line block ×3, first 2 shown]
	s_orn2_b64 s[66:67], s[62:63], exec
.LBB15_1222:
	s_or_b64 exec, exec, s[54:55]
	s_mov_b64 s[62:63], 0
	s_mov_b64 s[56:57], 0
	;; [unrolled: 1-line block ×3, first 2 shown]
                                        ; implicit-def: $sgpr74
                                        ; implicit-def: $vgpr4_vgpr5
                                        ; implicit-def: $vgpr0
                                        ; implicit-def: $vgpr3
                                        ; implicit-def: $vgpr1
	s_and_saveexec_b64 s[54:55], s[66:67]
	s_cbranch_execz .LBB15_1313
; %bb.1223:
	v_cmp_gt_i32_e32 vcc, s68, v8
	s_mov_b64 s[66:67], s[0:1]
	s_mov_b64 s[68:69], 0
                                        ; implicit-def: $sgpr74
                                        ; implicit-def: $vgpr4_vgpr5
                                        ; implicit-def: $vgpr0
                                        ; implicit-def: $vgpr3
                                        ; implicit-def: $vgpr1
	s_and_saveexec_b64 s[56:57], vcc
	s_cbranch_execz .LBB15_1312
; %bb.1224:
	s_andn2_b64 vcc, exec, s[24:25]
	s_cbranch_vccnz .LBB15_1230
; %bb.1225:
	s_andn2_b64 vcc, exec, s[36:37]
	s_cbranch_vccnz .LBB15_1232
; %bb.1226:
	s_add_i32 s36, s73, 1
	s_and_b32 s62, s36, 30
	s_add_u32 s36, s2, 0xffffffe8
	s_addc_u32 s37, s3, -1
	v_mov_b32_e32 v3, 0
	s_waitcnt vmcnt(0)
	v_mov_b32_e32 v5, 0
	v_mov_b32_e32 v0, 0
	;; [unrolled: 1-line block ×3, first 2 shown]
.LBB15_1227:                            ; =>This Inner Loop Header: Depth=1
	s_load_dwordx4 s[64:67], s[36:37], 0x1c
	s_load_dwordx2 s[68:69], s[36:37], 0x2c
	s_load_dwordx2 s[74:75], s[36:37], 0xec
	s_load_dwordx4 s[76:79], s[36:37], 0xdc
	s_add_u32 s36, s36, 24
	s_waitcnt lgkmcnt(0)
	v_mul_hi_u32 v2, s65, v1
	s_addc_u32 s37, s37, 0
	s_add_i32 s62, s62, -2
	s_cmp_eq_u32 s62, 0
	v_add_u32_e32 v2, v1, v2
	v_lshrrev_b32_e32 v2, s66, v2
	v_mul_lo_u32 v4, v2, s64
	v_mul_hi_u32 v6, s68, v2
	v_sub_u32_e32 v4, v1, v4
	v_add_u32_e32 v1, v2, v6
	v_lshrrev_b32_e32 v1, s69, v1
	v_mul_lo_u32 v9, v1, s67
	v_mul_lo_u32 v6, v4, s76
	;; [unrolled: 1-line block ×4, first 2 shown]
	v_sub_u32_e32 v2, v2, v9
	v_mul_lo_u32 v9, v2, s79
	v_mul_lo_u32 v10, v2, s74
	;; [unrolled: 1-line block ×3, first 2 shown]
	v_add3_u32 v0, v6, v0, v9
	v_add3_u32 v5, v7, v5, v10
	;; [unrolled: 1-line block ×3, first 2 shown]
	s_cbranch_scc0 .LBB15_1227
; %bb.1228:
	s_bitcmp1_b32 s73, 0
	s_cselect_b64 s[62:63], -1, 0
	s_and_b64 vcc, exec, s[62:63]
	s_cbranch_vccnz .LBB15_1233
; %bb.1229:
	s_load_dwordx2 s[62:63], s[36:37], 0x1c
	s_load_dword s66, s[36:37], 0x24
	s_load_dwordx2 s[64:65], s[36:37], 0xdc
	s_waitcnt lgkmcnt(0)
	v_mul_hi_u32 v2, s63, v1
	v_add_u32_e32 v2, v1, v2
	v_lshrrev_b32_e32 v2, s66, v2
	v_mul_lo_u32 v2, v2, s62
	s_load_dword s62, s[36:37], 0xe4
	v_sub_u32_e32 v2, v1, v2
	v_mad_u64_u32 v[0:1], s[36:37], v2, s64, v[0:1]
	v_mad_u64_u32 v[5:6], s[36:37], v2, s65, v[5:6]
	s_waitcnt lgkmcnt(0)
	v_mad_u64_u32 v[3:4], s[36:37], v2, s62, v[3:4]
	s_branch .LBB15_1233
.LBB15_1230:
	s_mov_b64 s[36:37], -1
                                        ; implicit-def: $vgpr0
                                        ; implicit-def: $vgpr5
                                        ; implicit-def: $vgpr3
	s_branch .LBB15_1234
.LBB15_1231:
	s_mov_b64 s[62:63], 0
	s_branch .LBB15_961
.LBB15_1232:
	v_mov_b32_e32 v0, 0
	s_waitcnt vmcnt(0)
	v_mov_b32_e32 v5, 0
	v_mov_b32_e32 v3, 0
.LBB15_1233:
	s_mov_b64 s[36:37], 0
.LBB15_1234:
	s_andn2_b64 vcc, exec, s[36:37]
	s_cbranch_vccnz .LBB15_1237
; %bb.1235:
	v_mul_hi_u32 v0, s17, v8
	s_andn2_b64 vcc, exec, s[34:35]
	v_add_u32_e32 v0, v8, v0
	s_waitcnt vmcnt(0)
	v_lshrrev_b32_e32 v1, s18, v0
	v_mul_lo_u32 v0, v1, s16
	v_sub_u32_e32 v2, v8, v0
	v_mul_lo_u32 v0, v2, s20
	v_mul_lo_u32 v5, v2, s21
	;; [unrolled: 1-line block ×3, first 2 shown]
	s_cbranch_vccnz .LBB15_1237
; %bb.1236:
	v_mul_hi_u32 v2, s30, v1
	v_add_u32_e32 v2, v1, v2
	v_lshrrev_b32_e32 v2, s31, v2
	v_mul_lo_u32 v2, v2, s19
	v_sub_u32_e32 v2, v1, v2
	v_mad_u64_u32 v[0:1], s[16:17], v2, s23, v[0:1]
	v_mad_u64_u32 v[5:6], s[16:17], v2, s28, v[5:6]
	;; [unrolled: 1-line block ×3, first 2 shown]
.LBB15_1237:
	s_waitcnt vmcnt(0)
	v_mov_b32_e32 v1, s11
	s_and_b32 s74, s72, 0xff
	v_add_co_u32_e32 v4, vcc, s10, v5
	s_cmp_lt_i32 s74, 11
	v_addc_co_u32_e32 v5, vcc, 0, v1, vcc
	s_cbranch_scc1 .LBB15_1244
; %bb.1238:
	s_and_b32 s22, 0xffff, s74
	s_cmp_gt_i32 s22, 25
	s_mov_b64 s[16:17], 0
	s_cbranch_scc0 .LBB15_1245
; %bb.1239:
	s_cmp_gt_i32 s22, 28
	s_cbranch_scc0 .LBB15_1246
; %bb.1240:
	s_cmp_gt_i32 s22, 43
	;; [unrolled: 3-line block ×3, first 2 shown]
	s_cbranch_scc0 .LBB15_1248
; %bb.1242:
	s_cmp_eq_u32 s22, 46
	s_mov_b64 s[20:21], 0
	s_cbranch_scc0 .LBB15_1251
; %bb.1243:
	global_load_dword v1, v[4:5], off
	s_mov_b32 s10, 0x2f800000
	s_mov_b32 s11, 0xcf800000
	s_mov_b64 s[18:19], -1
	s_waitcnt vmcnt(0)
	v_lshlrev_b32_e32 v1, 16, v1
	v_trunc_f32_e32 v1, v1
	v_mul_f32_e64 v2, |v1|, s10
	v_floor_f32_e32 v2, v2
	v_fma_f32 v2, v2, s11, |v1|
	v_cvt_u32_f32_e32 v2, v2
	v_ashrrev_i32_e32 v1, 31, v1
	s_mov_b64 s[10:11], 0
	v_xor_b32_e32 v2, v2, v1
	v_sub_u32_e32 v1, v2, v1
	s_branch .LBB15_1252
.LBB15_1244:
	s_mov_b64 s[20:21], -1
	s_mov_b64 s[18:19], 0
	s_mov_b64 s[16:17], 0
	;; [unrolled: 1-line block ×3, first 2 shown]
                                        ; implicit-def: $vgpr1
	s_branch .LBB15_1311
.LBB15_1245:
	s_mov_b64 s[20:21], -1
	s_mov_b64 s[18:19], 0
	s_mov_b64 s[10:11], s[0:1]
                                        ; implicit-def: $vgpr1
	s_branch .LBB15_1279
.LBB15_1246:
	s_mov_b64 s[20:21], -1
	s_mov_b64 s[18:19], 0
	s_mov_b64 s[10:11], s[0:1]
                                        ; implicit-def: $vgpr1
	s_branch .LBB15_1262
.LBB15_1247:
	s_mov_b64 s[20:21], -1
	s_mov_b64 s[18:19], 0
	s_mov_b64 s[10:11], s[0:1]
                                        ; implicit-def: $vgpr1
	s_branch .LBB15_1257
.LBB15_1248:
	s_mov_b64 s[20:21], -1
	s_mov_b64 s[18:19], 0
	s_mov_b64 s[10:11], s[0:1]
                                        ; implicit-def: $vgpr1
	s_branch .LBB15_1252
.LBB15_1249:
	s_andn2_saveexec_b64 s[66:67], s[66:67]
	s_cbranch_execz .LBB15_1132
.LBB15_1250:
	v_add_f32_e32 v2, 0x46000000, v3
	v_and_b32_e32 v2, 0xff, v2
	v_cmp_ne_u32_e32 vcc, 0, v2
	s_andn2_b64 s[64:65], s[64:65], exec
	s_and_b64 s[76:77], vcc, exec
	s_or_b64 s[64:65], s[64:65], s[76:77]
	s_or_b64 exec, exec, s[66:67]
	v_mov_b32_e32 v4, 0
	s_and_saveexec_b64 s[66:67], s[64:65]
	s_cbranch_execnz .LBB15_1133
	s_branch .LBB15_1134
.LBB15_1251:
	s_mov_b64 s[10:11], -1
                                        ; implicit-def: $vgpr1
	s_mov_b64 s[18:19], 0
.LBB15_1252:
	s_and_b64 vcc, exec, s[20:21]
	s_cbranch_vccz .LBB15_1256
; %bb.1253:
	s_cmp_eq_u32 s22, 44
	s_cbranch_scc0 .LBB15_1255
; %bb.1254:
	global_load_ubyte v1, v[4:5], off
	s_mov_b32 s10, 0x2f800000
	s_mov_b32 s11, 0xcf800000
	s_mov_b64 s[18:19], -1
	s_waitcnt vmcnt(0)
	v_lshlrev_b32_e32 v2, 23, v1
	v_trunc_f32_e32 v2, v2
	v_mul_f32_e64 v6, |v2|, s10
	v_floor_f32_e32 v6, v6
	v_fma_f32 v6, v6, s11, |v2|
	v_cvt_u32_f32_e32 v6, v6
	v_ashrrev_i32_e32 v2, 31, v2
	v_cmp_ne_u32_e32 vcc, 0, v1
	s_mov_b64 s[10:11], 0
	v_xor_b32_e32 v6, v6, v2
	v_sub_u32_e32 v2, v6, v2
	v_cndmask_b32_e32 v1, 0, v2, vcc
	s_branch .LBB15_1256
.LBB15_1255:
	s_mov_b64 s[10:11], -1
                                        ; implicit-def: $vgpr1
.LBB15_1256:
	s_mov_b64 s[20:21], 0
.LBB15_1257:
	s_and_b64 vcc, exec, s[20:21]
	s_cbranch_vccz .LBB15_1261
; %bb.1258:
	s_cmp_eq_u32 s22, 29
	s_cbranch_scc0 .LBB15_1260
; %bb.1259:
	global_load_dwordx2 v[1:2], v[4:5], off
	s_mov_b64 s[10:11], 0
	s_mov_b64 s[18:19], -1
	s_branch .LBB15_1261
.LBB15_1260:
	s_mov_b64 s[10:11], -1
                                        ; implicit-def: $vgpr1
.LBB15_1261:
	s_mov_b64 s[20:21], 0
.LBB15_1262:
	s_and_b64 vcc, exec, s[20:21]
	s_cbranch_vccz .LBB15_1278
; %bb.1263:
	s_cmp_lt_i32 s22, 27
	s_cbranch_scc1 .LBB15_1266
; %bb.1264:
	s_cmp_gt_i32 s22, 27
	s_cbranch_scc0 .LBB15_1267
; %bb.1265:
	global_load_dword v1, v[4:5], off
	s_mov_b64 s[18:19], 0
	s_branch .LBB15_1268
.LBB15_1266:
	s_mov_b64 s[18:19], -1
                                        ; implicit-def: $vgpr1
	s_branch .LBB15_1271
.LBB15_1267:
	s_mov_b64 s[18:19], -1
                                        ; implicit-def: $vgpr1
.LBB15_1268:
	s_andn2_b64 vcc, exec, s[18:19]
	s_cbranch_vccnz .LBB15_1270
; %bb.1269:
	global_load_ushort v1, v[4:5], off
.LBB15_1270:
	s_mov_b64 s[18:19], 0
.LBB15_1271:
	s_andn2_b64 vcc, exec, s[18:19]
	s_cbranch_vccnz .LBB15_1277
; %bb.1272:
	global_load_ubyte v2, v[4:5], off
	s_movk_i32 s18, 0x7f
	s_mov_b64 s[20:21], 0
	s_waitcnt vmcnt(0)
	v_cmp_lt_i16_e32 vcc, s18, v2
	s_and_saveexec_b64 s[18:19], vcc
	s_xor_b64 s[18:19], exec, s[18:19]
	s_cbranch_execz .LBB15_1289
; %bb.1273:
	s_movk_i32 s20, 0x80
	v_cmp_ne_u16_e32 vcc, s20, v2
	s_and_b64 s[20:21], vcc, exec
	s_andn2_saveexec_b64 s[18:19], s[18:19]
	s_cbranch_execnz .LBB15_1290
.LBB15_1274:
	s_or_b64 exec, exec, s[18:19]
	v_mov_b32_e32 v1, 0
	s_and_saveexec_b64 s[18:19], s[20:21]
	s_cbranch_execz .LBB15_1276
.LBB15_1275:
	v_lshlrev_b32_e32 v1, 24, v2
	v_and_b32_e32 v2, 0xffff, v2
	v_and_b32_e32 v6, 7, v2
	v_ffbh_u32_e32 v8, v6
	v_min_u32_e32 v8, 32, v8
	v_subrev_u32_e32 v9, 28, v8
	v_bfe_u32 v7, v2, 3, 4
	v_lshlrev_b32_e32 v2, v9, v2
	v_sub_u32_e32 v8, 29, v8
	v_and_b32_e32 v2, 7, v2
	v_cmp_eq_u32_e32 vcc, 0, v7
	v_cndmask_b32_e32 v7, v7, v8, vcc
	v_cndmask_b32_e32 v2, v6, v2, vcc
	v_mov_b32_e32 v6, 0x3b800000
	v_lshlrev_b32_e32 v2, 20, v2
	v_and_b32_e32 v1, 0x80000000, v1
	v_lshl_add_u32 v6, v7, 23, v6
	v_or3_b32 v1, v1, v6, v2
	v_trunc_f32_e32 v1, v1
	s_mov_b32 s20, 0x2f800000
	v_mul_f32_e64 v2, |v1|, s20
	v_floor_f32_e32 v2, v2
	s_mov_b32 s20, 0xcf800000
	v_fma_f32 v2, v2, s20, |v1|
	v_cvt_u32_f32_e32 v2, v2
	v_ashrrev_i32_e32 v1, 31, v1
	v_xor_b32_e32 v2, v2, v1
	v_sub_u32_e32 v1, v2, v1
.LBB15_1276:
	s_or_b64 exec, exec, s[18:19]
.LBB15_1277:
	s_mov_b64 s[18:19], -1
.LBB15_1278:
	s_mov_b64 s[20:21], 0
.LBB15_1279:
	s_and_b64 vcc, exec, s[20:21]
	s_cbranch_vccz .LBB15_1310
; %bb.1280:
	s_cmp_gt_i32 s22, 22
	s_cbranch_scc0 .LBB15_1288
; %bb.1281:
	s_cmp_lt_i32 s22, 24
	s_cbranch_scc1 .LBB15_1291
; %bb.1282:
	s_cmp_gt_i32 s22, 24
	s_cbranch_scc0 .LBB15_1292
; %bb.1283:
	global_load_ubyte v2, v[4:5], off
	s_movk_i32 s16, 0x7f
	s_mov_b64 s[18:19], 0
	s_waitcnt vmcnt(0)
	v_cmp_lt_i16_e32 vcc, s16, v2
	s_and_saveexec_b64 s[16:17], vcc
	s_xor_b64 s[16:17], exec, s[16:17]
	s_cbranch_execz .LBB15_1304
; %bb.1284:
	s_movk_i32 s18, 0x80
	v_cmp_ne_u16_e32 vcc, s18, v2
	s_and_b64 s[18:19], vcc, exec
	s_andn2_saveexec_b64 s[16:17], s[16:17]
	s_cbranch_execnz .LBB15_1305
.LBB15_1285:
	s_or_b64 exec, exec, s[16:17]
	v_mov_b32_e32 v1, 0
	s_and_saveexec_b64 s[16:17], s[18:19]
	s_cbranch_execz .LBB15_1287
.LBB15_1286:
	v_lshlrev_b32_e32 v1, 24, v2
	v_and_b32_e32 v2, 0xffff, v2
	v_and_b32_e32 v6, 3, v2
	v_ffbh_u32_e32 v8, v6
	v_min_u32_e32 v8, 32, v8
	v_subrev_u32_e32 v9, 29, v8
	v_bfe_u32 v7, v2, 2, 5
	v_lshlrev_b32_e32 v2, v9, v2
	v_sub_u32_e32 v8, 30, v8
	v_and_b32_e32 v2, 3, v2
	v_cmp_eq_u32_e32 vcc, 0, v7
	v_cndmask_b32_e32 v7, v7, v8, vcc
	v_cndmask_b32_e32 v2, v6, v2, vcc
	v_mov_b32_e32 v6, 0x37800000
	v_lshlrev_b32_e32 v2, 21, v2
	v_and_b32_e32 v1, 0x80000000, v1
	v_lshl_add_u32 v6, v7, 23, v6
	v_or3_b32 v1, v1, v6, v2
	v_trunc_f32_e32 v1, v1
	s_mov_b32 s18, 0x2f800000
	v_mul_f32_e64 v2, |v1|, s18
	v_floor_f32_e32 v2, v2
	s_mov_b32 s18, 0xcf800000
	v_fma_f32 v2, v2, s18, |v1|
	v_cvt_u32_f32_e32 v2, v2
	v_ashrrev_i32_e32 v1, 31, v1
	v_xor_b32_e32 v2, v2, v1
	v_sub_u32_e32 v1, v2, v1
.LBB15_1287:
	s_or_b64 exec, exec, s[16:17]
	s_mov_b64 s[16:17], 0
	s_branch .LBB15_1293
.LBB15_1288:
	s_mov_b64 s[16:17], -1
                                        ; implicit-def: $vgpr1
	s_branch .LBB15_1299
.LBB15_1289:
	s_andn2_saveexec_b64 s[18:19], s[18:19]
	s_cbranch_execz .LBB15_1274
.LBB15_1290:
	v_cmp_ne_u16_e32 vcc, 0, v2
	s_andn2_b64 s[20:21], s[20:21], exec
	s_and_b64 s[28:29], vcc, exec
	s_or_b64 s[20:21], s[20:21], s[28:29]
	s_or_b64 exec, exec, s[18:19]
	v_mov_b32_e32 v1, 0
	s_and_saveexec_b64 s[18:19], s[20:21]
	s_cbranch_execnz .LBB15_1275
	s_branch .LBB15_1276
.LBB15_1291:
	s_mov_b64 s[16:17], -1
                                        ; implicit-def: $vgpr1
	s_branch .LBB15_1296
.LBB15_1292:
	s_mov_b64 s[16:17], -1
                                        ; implicit-def: $vgpr1
.LBB15_1293:
	s_and_b64 vcc, exec, s[16:17]
	s_cbranch_vccz .LBB15_1295
; %bb.1294:
	global_load_ubyte v1, v[4:5], off
	s_mov_b32 s16, 0x7f800000
	s_brev_b32 s17, 1
	s_mov_b32 s18, 0x2f800000
	s_waitcnt vmcnt(0)
	v_lshlrev_b32_e32 v1, 24, v1
	v_and_b32_e32 v2, 0x7f000000, v1
	v_ffbh_u32_e32 v6, v2
	v_min_u32_e32 v6, 32, v6
	v_sub_u32_e64 v6, v6, 4 clamp
	v_lshlrev_b32_e32 v8, v6, v2
	v_lshlrev_b32_e32 v6, 23, v6
	v_lshrrev_b32_e32 v8, 4, v8
	v_add_u32_e32 v7, 0x1000000, v2
	v_sub_u32_e32 v6, v8, v6
	v_ashrrev_i32_e32 v7, 8, v7
	v_add_u32_e32 v6, 0x3c000000, v6
	v_and_or_b32 v6, v7, s16, v6
	v_cmp_ne_u32_e32 vcc, 0, v2
	v_cndmask_b32_e32 v2, 0, v6, vcc
	v_and_or_b32 v1, v1, s17, v2
	v_trunc_f32_e32 v1, v1
	v_mul_f32_e64 v2, |v1|, s18
	v_floor_f32_e32 v2, v2
	s_mov_b32 s16, 0xcf800000
	v_fma_f32 v2, v2, s16, |v1|
	v_cvt_u32_f32_e32 v2, v2
	v_ashrrev_i32_e32 v1, 31, v1
	v_xor_b32_e32 v2, v2, v1
	v_sub_u32_e32 v1, v2, v1
.LBB15_1295:
	s_mov_b64 s[16:17], 0
.LBB15_1296:
	s_andn2_b64 vcc, exec, s[16:17]
	s_cbranch_vccnz .LBB15_1298
; %bb.1297:
	global_load_ubyte v1, v[4:5], off
	s_movk_i32 s16, 0x7f00
	s_brev_b32 s17, 16
	s_brev_b32 s18, 1
	s_mov_b32 s19, 0x2f800000
	s_waitcnt vmcnt(0)
	v_lshlrev_b16_e32 v2, 8, v1
	v_lshlrev_b32_e32 v1, 25, v1
	v_lshrrev_b32_e32 v6, 4, v1
	v_and_or_b32 v7, v2, s16, 0.5
	v_or_b32_e32 v6, 0x70000000, v6
	v_add_f32_e32 v7, -0.5, v7
	v_mul_f32_e32 v6, 0x7800000, v6
	v_cmp_gt_u32_e32 vcc, s17, v1
	v_bfe_i32 v2, v2, 0, 16
	v_cndmask_b32_e32 v1, v6, v7, vcc
	v_and_or_b32 v1, v2, s18, v1
	v_trunc_f32_e32 v1, v1
	v_mul_f32_e64 v2, |v1|, s19
	v_floor_f32_e32 v2, v2
	s_mov_b32 s16, 0xcf800000
	v_fma_f32 v2, v2, s16, |v1|
	v_cvt_u32_f32_e32 v2, v2
	v_ashrrev_i32_e32 v1, 31, v1
	v_xor_b32_e32 v2, v2, v1
	v_sub_u32_e32 v1, v2, v1
.LBB15_1298:
	s_mov_b64 s[16:17], 0
	s_mov_b64 s[18:19], -1
.LBB15_1299:
	s_andn2_b64 vcc, exec, s[16:17]
	s_mov_b64 s[16:17], 0
	s_cbranch_vccnz .LBB15_1310
; %bb.1300:
	s_cmp_gt_i32 s22, 14
	s_cbranch_scc0 .LBB15_1303
; %bb.1301:
	s_cmp_eq_u32 s22, 15
	s_cbranch_scc0 .LBB15_1306
; %bb.1302:
	global_load_ushort v1, v[4:5], off
	s_mov_b32 s10, 0x2f800000
	s_mov_b32 s11, 0xcf800000
	s_mov_b64 s[18:19], -1
	s_waitcnt vmcnt(0)
	v_lshlrev_b32_e32 v1, 16, v1
	v_trunc_f32_e32 v1, v1
	v_mul_f32_e64 v2, |v1|, s10
	v_floor_f32_e32 v2, v2
	v_fma_f32 v2, v2, s11, |v1|
	v_cvt_u32_f32_e32 v2, v2
	v_ashrrev_i32_e32 v1, 31, v1
	s_mov_b64 s[10:11], 0
	v_xor_b32_e32 v2, v2, v1
	v_sub_u32_e32 v1, v2, v1
	s_branch .LBB15_1307
.LBB15_1303:
	s_mov_b64 s[20:21], -1
                                        ; implicit-def: $vgpr1
	s_branch .LBB15_1308
.LBB15_1304:
	s_andn2_saveexec_b64 s[16:17], s[16:17]
	s_cbranch_execz .LBB15_1285
.LBB15_1305:
	v_cmp_ne_u16_e32 vcc, 0, v2
	s_andn2_b64 s[18:19], s[18:19], exec
	s_and_b64 s[20:21], vcc, exec
	s_or_b64 s[18:19], s[18:19], s[20:21]
	s_or_b64 exec, exec, s[16:17]
	v_mov_b32_e32 v1, 0
	s_and_saveexec_b64 s[16:17], s[18:19]
	s_cbranch_execnz .LBB15_1286
	s_branch .LBB15_1287
.LBB15_1306:
	s_mov_b64 s[10:11], -1
                                        ; implicit-def: $vgpr1
.LBB15_1307:
	s_mov_b64 s[20:21], 0
.LBB15_1308:
	s_and_b64 vcc, exec, s[20:21]
	s_cbranch_vccz .LBB15_1310
; %bb.1309:
	s_cmp_lg_u32 s22, 11
	s_cselect_b64 s[20:21], -1, 0
	s_andn2_b64 s[10:11], s[10:11], exec
	s_and_b64 s[20:21], s[20:21], exec
	s_mov_b64 s[16:17], -1
	s_or_b64 s[10:11], s[10:11], s[20:21]
.LBB15_1310:
	s_mov_b64 s[20:21], 0
.LBB15_1311:
	s_and_b64 s[62:63], s[16:17], exec
	s_andn2_b64 s[16:17], s[0:1], exec
	s_and_b64 s[10:11], s[10:11], exec
	s_and_b64 s[64:65], s[18:19], exec
	;; [unrolled: 1-line block ×3, first 2 shown]
	s_or_b64 s[66:67], s[16:17], s[10:11]
.LBB15_1312:
	s_or_b64 exec, exec, s[56:57]
	s_andn2_b64 s[0:1], s[0:1], exec
	s_and_b64 s[10:11], s[66:67], exec
	s_and_b64 s[64:65], s[64:65], exec
	s_and_b64 s[56:57], s[68:69], exec
	s_and_b64 s[62:63], s[62:63], exec
	s_or_b64 s[0:1], s[0:1], s[10:11]
.LBB15_1313:
	s_or_b64 exec, exec, s[54:55]
	s_andn2_b64 s[10:11], s[50:51], exec
	s_and_b64 s[16:17], s[60:61], exec
	s_or_b64 s[50:51], s[10:11], s[16:17]
	s_andn2_b64 s[10:11], s[48:49], exec
	s_and_b64 s[16:17], s[58:59], exec
	s_or_b64 s[48:49], s[10:11], s[16:17]
	s_andn2_b64 s[10:11], s[46:47], exec
	s_and_b64 s[0:1], s[0:1], exec
	s_and_b64 s[58:59], s[64:65], exec
	;; [unrolled: 1-line block ×4, first 2 shown]
	s_or_b64 s[46:47], s[10:11], s[0:1]
.LBB15_1314:
	s_or_b64 exec, exec, s[52:53]
	s_andn2_b64 s[0:1], s[38:39], exec
	s_and_b64 s[10:11], s[50:51], exec
	s_or_b64 s[38:39], s[0:1], s[10:11]
	s_andn2_b64 s[0:1], s[40:41], exec
	s_and_b64 s[10:11], s[48:49], exec
	s_or_b64 s[40:41], s[0:1], s[10:11]
	s_andn2_b64 s[0:1], s[42:43], exec
	s_and_b64 s[10:11], s[46:47], exec
	s_and_b64 s[50:51], s[58:59], exec
	;; [unrolled: 1-line block ×4, first 2 shown]
	s_or_b64 s[42:43], s[0:1], s[10:11]
	s_or_b64 exec, exec, s[44:45]
	s_mov_b64 s[10:11], 0
	s_and_saveexec_b64 s[0:1], s[42:43]
	s_cbranch_execz .LBB15_411
.LBB15_1315:
	s_mov_b64 s[10:11], exec
	s_andn2_b64 s[48:49], s[48:49], exec
	s_trap 2
	s_or_b64 exec, exec, s[0:1]
	s_and_saveexec_b64 s[0:1], s[48:49]
	s_xor_b64 s[0:1], exec, s[0:1]
	s_cbranch_execnz .LBB15_412
.LBB15_1316:
	s_or_b64 exec, exec, s[0:1]
	s_and_saveexec_b64 s[0:1], s[52:53]
	s_cbranch_execz .LBB15_1362
.LBB15_1317:
	s_sext_i32_i16 s16, s74
	s_cmp_lt_i32 s16, 5
	s_cbranch_scc1 .LBB15_1322
; %bb.1318:
	s_cmp_lt_i32 s16, 8
	s_cbranch_scc1 .LBB15_1323
; %bb.1319:
	;; [unrolled: 3-line block ×3, first 2 shown]
	s_cmp_gt_i32 s16, 9
	s_cbranch_scc0 .LBB15_1325
; %bb.1321:
	s_waitcnt vmcnt(0)
	global_load_dwordx2 v[1:2], v[4:5], off
	s_movk_i32 s16, 0xffe0
	s_waitcnt vmcnt(0)
	v_trunc_f64_e32 v[1:2], v[1:2]
	v_ldexp_f64 v[6:7], v[1:2], s16
	s_mov_b32 s16, 0
	s_mov_b32 s17, 0xc1f00000
	v_floor_f64_e32 v[6:7], v[6:7]
	v_fma_f64 v[1:2], v[6:7], s[16:17], v[1:2]
	s_mov_b64 s[16:17], 0
	v_cvt_u32_f64_e32 v1, v[1:2]
	s_branch .LBB15_1326
.LBB15_1322:
                                        ; implicit-def: $vgpr1
	s_branch .LBB15_1343
.LBB15_1323:
                                        ; implicit-def: $vgpr1
	s_branch .LBB15_1332
.LBB15_1324:
	s_mov_b64 s[16:17], -1
                                        ; implicit-def: $vgpr1
	s_branch .LBB15_1329
.LBB15_1325:
	s_mov_b64 s[16:17], -1
                                        ; implicit-def: $vgpr1
.LBB15_1326:
	s_andn2_b64 vcc, exec, s[16:17]
	s_cbranch_vccnz .LBB15_1328
; %bb.1327:
	s_waitcnt vmcnt(0)
	global_load_dword v1, v[4:5], off
	s_mov_b32 s16, 0x2f800000
	s_waitcnt vmcnt(0)
	v_trunc_f32_e32 v1, v1
	v_mul_f32_e64 v2, |v1|, s16
	v_floor_f32_e32 v2, v2
	s_mov_b32 s16, 0xcf800000
	v_fma_f32 v2, v2, s16, |v1|
	v_cvt_u32_f32_e32 v2, v2
	v_ashrrev_i32_e32 v1, 31, v1
	v_xor_b32_e32 v2, v2, v1
	v_sub_u32_e32 v1, v2, v1
.LBB15_1328:
	s_mov_b64 s[16:17], 0
.LBB15_1329:
	s_andn2_b64 vcc, exec, s[16:17]
	s_cbranch_vccnz .LBB15_1331
; %bb.1330:
	s_waitcnt vmcnt(0)
	global_load_dword v1, v[4:5], off
	s_waitcnt vmcnt(0)
	v_cvt_f32_f16_e32 v1, v1
	v_cvt_i32_f32_e32 v1, v1
.LBB15_1331:
	s_cbranch_execnz .LBB15_1342
.LBB15_1332:
	s_sext_i32_i16 s16, s74
	s_cmp_lt_i32 s16, 6
	s_cbranch_scc1 .LBB15_1335
; %bb.1333:
	s_cmp_gt_i32 s16, 6
	s_cbranch_scc0 .LBB15_1336
; %bb.1334:
	s_waitcnt vmcnt(0)
	global_load_dwordx2 v[1:2], v[4:5], off
	s_movk_i32 s16, 0xffe0
	s_waitcnt vmcnt(0)
	v_trunc_f64_e32 v[1:2], v[1:2]
	v_ldexp_f64 v[6:7], v[1:2], s16
	s_mov_b32 s16, 0
	s_mov_b32 s17, 0xc1f00000
	v_floor_f64_e32 v[6:7], v[6:7]
	v_fma_f64 v[1:2], v[6:7], s[16:17], v[1:2]
	s_mov_b64 s[16:17], 0
	v_cvt_u32_f64_e32 v1, v[1:2]
	s_branch .LBB15_1337
.LBB15_1335:
	s_mov_b64 s[16:17], -1
                                        ; implicit-def: $vgpr1
	s_branch .LBB15_1340
.LBB15_1336:
	s_mov_b64 s[16:17], -1
                                        ; implicit-def: $vgpr1
.LBB15_1337:
	s_andn2_b64 vcc, exec, s[16:17]
	s_cbranch_vccnz .LBB15_1339
; %bb.1338:
	s_waitcnt vmcnt(0)
	global_load_dword v1, v[4:5], off
	s_mov_b32 s16, 0x2f800000
	s_waitcnt vmcnt(0)
	v_trunc_f32_e32 v1, v1
	v_mul_f32_e64 v2, |v1|, s16
	v_floor_f32_e32 v2, v2
	s_mov_b32 s16, 0xcf800000
	v_fma_f32 v2, v2, s16, |v1|
	v_cvt_u32_f32_e32 v2, v2
	v_ashrrev_i32_e32 v1, 31, v1
	v_xor_b32_e32 v2, v2, v1
	v_sub_u32_e32 v1, v2, v1
.LBB15_1339:
	s_mov_b64 s[16:17], 0
.LBB15_1340:
	s_andn2_b64 vcc, exec, s[16:17]
	s_cbranch_vccnz .LBB15_1342
; %bb.1341:
	s_waitcnt vmcnt(0)
	global_load_ushort v1, v[4:5], off
	s_waitcnt vmcnt(0)
	v_cvt_f32_f16_e32 v1, v1
	v_cvt_i32_f32_e32 v1, v1
.LBB15_1342:
	s_cbranch_execnz .LBB15_1361
.LBB15_1343:
	s_sext_i32_i16 s16, s74
	s_cmp_lt_i32 s16, 2
	s_cbranch_scc1 .LBB15_1347
; %bb.1344:
	s_cmp_lt_i32 s16, 3
	s_cbranch_scc1 .LBB15_1348
; %bb.1345:
	s_cmp_gt_i32 s16, 3
	s_cbranch_scc0 .LBB15_1349
; %bb.1346:
	s_waitcnt vmcnt(0)
	global_load_dwordx2 v[1:2], v[4:5], off
	s_mov_b64 s[16:17], 0
	s_branch .LBB15_1350
.LBB15_1347:
                                        ; implicit-def: $vgpr1
	s_branch .LBB15_1356
.LBB15_1348:
	s_mov_b64 s[16:17], -1
                                        ; implicit-def: $vgpr1
	s_branch .LBB15_1353
.LBB15_1349:
	s_mov_b64 s[16:17], -1
                                        ; implicit-def: $vgpr1
.LBB15_1350:
	s_andn2_b64 vcc, exec, s[16:17]
	s_cbranch_vccnz .LBB15_1352
; %bb.1351:
	s_waitcnt vmcnt(0)
	global_load_dword v1, v[4:5], off
.LBB15_1352:
	s_mov_b64 s[16:17], 0
.LBB15_1353:
	s_andn2_b64 vcc, exec, s[16:17]
	s_cbranch_vccnz .LBB15_1355
; %bb.1354:
	s_waitcnt vmcnt(0)
	global_load_ushort v1, v[4:5], off
.LBB15_1355:
	s_cbranch_execnz .LBB15_1361
.LBB15_1356:
	s_sext_i32_i16 s16, s74
	s_cmp_gt_i32 s16, 0
	s_cbranch_scc0 .LBB15_1358
; %bb.1357:
	s_waitcnt vmcnt(0)
	global_load_ubyte v1, v[4:5], off
	s_mov_b64 s[16:17], 0
	s_branch .LBB15_1359
.LBB15_1358:
	s_mov_b64 s[16:17], -1
                                        ; implicit-def: $vgpr1
.LBB15_1359:
	s_andn2_b64 vcc, exec, s[16:17]
	s_cbranch_vccnz .LBB15_1361
; %bb.1360:
	s_waitcnt vmcnt(0)
	global_load_ubyte v1, v[4:5], off
.LBB15_1361:
	s_or_b64 s[50:51], s[50:51], exec
.LBB15_1362:
	s_or_b64 exec, exec, s[0:1]
	s_mov_b64 s[16:17], 0
	s_mov_b64 s[20:21], 0
	;; [unrolled: 1-line block ×3, first 2 shown]
                                        ; implicit-def: $sgpr22
                                        ; implicit-def: $vgpr4_vgpr5
                                        ; implicit-def: $vgpr6
	s_and_saveexec_b64 s[0:1], s[50:51]
	s_cbranch_execz .LBB15_1370
; %bb.1363:
	s_waitcnt vmcnt(0)
	v_mov_b32_e32 v2, s13
	s_and_b32 s22, s71, 0xff
	v_add_co_u32_e32 v4, vcc, s12, v3
	s_cmp_lt_i32 s22, 11
	v_addc_co_u32_e32 v5, vcc, 0, v2, vcc
	s_cbranch_scc1 .LBB15_1373
; %bb.1364:
	s_and_b32 s23, 0xffff, s22
	s_cmp_gt_i32 s23, 25
	s_cbranch_scc0 .LBB15_1374
; %bb.1365:
	s_cmp_gt_i32 s23, 28
	s_cbranch_scc0 .LBB15_1375
; %bb.1366:
	;; [unrolled: 3-line block ×4, first 2 shown]
	s_cmp_eq_u32 s23, 46
	s_cbranch_scc0 .LBB15_1378
; %bb.1369:
	global_load_dword v2, v[4:5], off
	s_mov_b32 s12, 0x2f800000
	s_mov_b32 s13, 0xcf800000
	s_mov_b64 s[18:19], -1
	s_waitcnt vmcnt(0)
	v_lshlrev_b32_e32 v2, 16, v2
	v_trunc_f32_e32 v2, v2
	v_mul_f32_e64 v3, |v2|, s12
	v_floor_f32_e32 v3, v3
	v_fma_f32 v3, v3, s13, |v2|
	v_cvt_u32_f32_e32 v3, v3
	v_ashrrev_i32_e32 v2, 31, v2
	s_mov_b64 s[12:13], 0
	v_xor_b32_e32 v3, v3, v2
	v_sub_u32_e32 v6, v3, v2
	s_branch .LBB15_1380
.LBB15_1370:
	s_or_b64 exec, exec, s[0:1]
	s_and_saveexec_b64 s[0:1], s[40:41]
	s_cbranch_execnz .LBB15_1439
.LBB15_1371:
	s_or_b64 exec, exec, s[0:1]
	s_and_saveexec_b64 s[0:1], s[16:17]
	s_xor_b64 s[0:1], exec, s[0:1]
	s_cbranch_execz .LBB15_1440
.LBB15_1372:
	s_waitcnt vmcnt(0)
	global_load_ubyte v2, v[4:5], off
	s_or_b64 s[18:19], s[18:19], exec
	s_waitcnt vmcnt(0)
	v_cmp_ne_u16_e32 vcc, 0, v2
	v_cndmask_b32_e64 v6, 0, 1, vcc
	s_or_b64 exec, exec, s[0:1]
	s_and_saveexec_b64 s[0:1], s[20:21]
	s_cbranch_execz .LBB15_1486
	s_branch .LBB15_1441
.LBB15_1373:
	s_mov_b64 s[20:21], -1
                                        ; implicit-def: $vgpr6
	s_mov_b64 s[12:13], s[40:41]
	s_branch .LBB15_1438
.LBB15_1374:
	s_mov_b64 s[12:13], s[40:41]
                                        ; implicit-def: $vgpr6
	s_cbranch_execnz .LBB15_1407
	s_branch .LBB15_1437
.LBB15_1375:
	s_mov_b64 s[20:21], -1
	s_mov_b64 s[12:13], s[40:41]
                                        ; implicit-def: $vgpr6
	s_branch .LBB15_1390
.LBB15_1376:
	s_mov_b64 s[20:21], -1
	s_mov_b64 s[12:13], s[40:41]
                                        ; implicit-def: $vgpr6
	s_branch .LBB15_1385
.LBB15_1377:
	s_mov_b64 s[20:21], -1
	s_mov_b64 s[12:13], s[40:41]
	s_branch .LBB15_1379
.LBB15_1378:
	s_mov_b64 s[12:13], -1
.LBB15_1379:
                                        ; implicit-def: $vgpr6
.LBB15_1380:
	s_and_b64 vcc, exec, s[20:21]
	s_cbranch_vccz .LBB15_1384
; %bb.1381:
	s_cmp_eq_u32 s23, 44
	s_cbranch_scc0 .LBB15_1383
; %bb.1382:
	global_load_ubyte v2, v[4:5], off
	s_mov_b32 s12, 0x2f800000
	s_mov_b32 s13, 0xcf800000
	s_mov_b64 s[18:19], -1
	s_waitcnt vmcnt(0)
	v_lshlrev_b32_e32 v3, 23, v2
	v_trunc_f32_e32 v3, v3
	v_mul_f32_e64 v6, |v3|, s12
	v_floor_f32_e32 v6, v6
	v_fma_f32 v6, v6, s13, |v3|
	v_cvt_u32_f32_e32 v6, v6
	v_ashrrev_i32_e32 v3, 31, v3
	v_cmp_ne_u32_e32 vcc, 0, v2
	s_mov_b64 s[12:13], 0
	v_xor_b32_e32 v6, v6, v3
	v_sub_u32_e32 v3, v6, v3
	v_cndmask_b32_e32 v6, 0, v3, vcc
	s_branch .LBB15_1384
.LBB15_1383:
	s_mov_b64 s[12:13], -1
                                        ; implicit-def: $vgpr6
.LBB15_1384:
	s_mov_b64 s[20:21], 0
.LBB15_1385:
	s_and_b64 vcc, exec, s[20:21]
	s_cbranch_vccz .LBB15_1389
; %bb.1386:
	s_cmp_eq_u32 s23, 29
	s_cbranch_scc0 .LBB15_1388
; %bb.1387:
	global_load_dwordx2 v[6:7], v[4:5], off
	s_mov_b64 s[12:13], 0
	s_mov_b64 s[18:19], -1
	s_branch .LBB15_1389
.LBB15_1388:
	s_mov_b64 s[12:13], -1
                                        ; implicit-def: $vgpr6
.LBB15_1389:
	s_mov_b64 s[20:21], 0
.LBB15_1390:
	s_and_b64 vcc, exec, s[20:21]
	s_cbranch_vccz .LBB15_1406
; %bb.1391:
	s_cmp_lt_i32 s23, 27
	s_cbranch_scc1 .LBB15_1394
; %bb.1392:
	s_cmp_gt_i32 s23, 27
	s_cbranch_scc0 .LBB15_1395
; %bb.1393:
	global_load_dword v6, v[4:5], off
	s_mov_b64 s[18:19], 0
	s_branch .LBB15_1396
.LBB15_1394:
	s_mov_b64 s[18:19], -1
                                        ; implicit-def: $vgpr6
	s_branch .LBB15_1399
.LBB15_1395:
	s_mov_b64 s[18:19], -1
                                        ; implicit-def: $vgpr6
.LBB15_1396:
	s_andn2_b64 vcc, exec, s[18:19]
	s_cbranch_vccnz .LBB15_1398
; %bb.1397:
	global_load_ushort v6, v[4:5], off
.LBB15_1398:
	s_mov_b64 s[18:19], 0
.LBB15_1399:
	s_andn2_b64 vcc, exec, s[18:19]
	s_cbranch_vccnz .LBB15_1405
; %bb.1400:
	global_load_ubyte v2, v[4:5], off
	s_movk_i32 s18, 0x7f
	s_mov_b64 s[20:21], 0
	s_waitcnt vmcnt(0)
	v_cmp_lt_i16_e32 vcc, s18, v2
	s_and_saveexec_b64 s[18:19], vcc
	s_xor_b64 s[18:19], exec, s[18:19]
	s_cbranch_execz .LBB15_1416
; %bb.1401:
	s_movk_i32 s20, 0x80
	v_cmp_ne_u16_e32 vcc, s20, v2
	s_and_b64 s[20:21], vcc, exec
	s_andn2_saveexec_b64 s[18:19], s[18:19]
	s_cbranch_execnz .LBB15_1417
.LBB15_1402:
	s_or_b64 exec, exec, s[18:19]
	v_mov_b32_e32 v6, 0
	s_and_saveexec_b64 s[18:19], s[20:21]
	s_cbranch_execz .LBB15_1404
.LBB15_1403:
	v_lshlrev_b32_e32 v3, 24, v2
	v_and_b32_e32 v2, 0xffff, v2
	v_and_b32_e32 v6, 7, v2
	v_ffbh_u32_e32 v8, v6
	v_min_u32_e32 v8, 32, v8
	v_subrev_u32_e32 v9, 28, v8
	v_bfe_u32 v7, v2, 3, 4
	v_lshlrev_b32_e32 v2, v9, v2
	v_sub_u32_e32 v8, 29, v8
	v_and_b32_e32 v2, 7, v2
	v_cmp_eq_u32_e32 vcc, 0, v7
	v_cndmask_b32_e32 v7, v7, v8, vcc
	v_cndmask_b32_e32 v2, v6, v2, vcc
	v_mov_b32_e32 v6, 0x3b800000
	v_lshlrev_b32_e32 v2, 20, v2
	v_and_b32_e32 v3, 0x80000000, v3
	v_lshl_add_u32 v6, v7, 23, v6
	v_or3_b32 v2, v3, v6, v2
	v_trunc_f32_e32 v2, v2
	s_mov_b32 s20, 0x2f800000
	v_mul_f32_e64 v3, |v2|, s20
	v_floor_f32_e32 v3, v3
	s_mov_b32 s20, 0xcf800000
	v_fma_f32 v3, v3, s20, |v2|
	v_cvt_u32_f32_e32 v3, v3
	v_ashrrev_i32_e32 v2, 31, v2
	v_xor_b32_e32 v3, v3, v2
	v_sub_u32_e32 v6, v3, v2
.LBB15_1404:
	s_or_b64 exec, exec, s[18:19]
.LBB15_1405:
	s_mov_b64 s[18:19], -1
.LBB15_1406:
	s_branch .LBB15_1437
.LBB15_1407:
	s_cmp_gt_i32 s23, 22
	s_cbranch_scc0 .LBB15_1415
; %bb.1408:
	s_cmp_lt_i32 s23, 24
	s_cbranch_scc1 .LBB15_1418
; %bb.1409:
	s_cmp_gt_i32 s23, 24
	s_cbranch_scc0 .LBB15_1419
; %bb.1410:
	global_load_ubyte v2, v[4:5], off
	s_movk_i32 s16, 0x7f
	s_mov_b64 s[18:19], 0
	s_waitcnt vmcnt(0)
	v_cmp_lt_i16_e32 vcc, s16, v2
	s_and_saveexec_b64 s[16:17], vcc
	s_xor_b64 s[16:17], exec, s[16:17]
	s_cbranch_execz .LBB15_1431
; %bb.1411:
	s_movk_i32 s18, 0x80
	v_cmp_ne_u16_e32 vcc, s18, v2
	s_and_b64 s[18:19], vcc, exec
	s_andn2_saveexec_b64 s[16:17], s[16:17]
	s_cbranch_execnz .LBB15_1432
.LBB15_1412:
	s_or_b64 exec, exec, s[16:17]
	v_mov_b32_e32 v6, 0
	s_and_saveexec_b64 s[16:17], s[18:19]
	s_cbranch_execz .LBB15_1414
.LBB15_1413:
	v_lshlrev_b32_e32 v3, 24, v2
	v_and_b32_e32 v2, 0xffff, v2
	v_and_b32_e32 v6, 3, v2
	v_ffbh_u32_e32 v8, v6
	v_min_u32_e32 v8, 32, v8
	v_subrev_u32_e32 v9, 29, v8
	v_bfe_u32 v7, v2, 2, 5
	v_lshlrev_b32_e32 v2, v9, v2
	v_sub_u32_e32 v8, 30, v8
	v_and_b32_e32 v2, 3, v2
	v_cmp_eq_u32_e32 vcc, 0, v7
	v_cndmask_b32_e32 v7, v7, v8, vcc
	v_cndmask_b32_e32 v2, v6, v2, vcc
	v_mov_b32_e32 v6, 0x37800000
	v_lshlrev_b32_e32 v2, 21, v2
	v_and_b32_e32 v3, 0x80000000, v3
	v_lshl_add_u32 v6, v7, 23, v6
	v_or3_b32 v2, v3, v6, v2
	v_trunc_f32_e32 v2, v2
	s_mov_b32 s18, 0x2f800000
	v_mul_f32_e64 v3, |v2|, s18
	v_floor_f32_e32 v3, v3
	s_mov_b32 s18, 0xcf800000
	v_fma_f32 v3, v3, s18, |v2|
	v_cvt_u32_f32_e32 v3, v3
	v_ashrrev_i32_e32 v2, 31, v2
	v_xor_b32_e32 v3, v3, v2
	v_sub_u32_e32 v6, v3, v2
.LBB15_1414:
	s_or_b64 exec, exec, s[16:17]
	s_mov_b64 s[16:17], 0
	s_branch .LBB15_1420
.LBB15_1415:
	s_mov_b64 s[16:17], -1
                                        ; implicit-def: $vgpr6
	s_branch .LBB15_1426
.LBB15_1416:
	s_andn2_saveexec_b64 s[18:19], s[18:19]
	s_cbranch_execz .LBB15_1402
.LBB15_1417:
	v_cmp_ne_u16_e32 vcc, 0, v2
	s_andn2_b64 s[20:21], s[20:21], exec
	s_and_b64 s[28:29], vcc, exec
	s_or_b64 s[20:21], s[20:21], s[28:29]
	s_or_b64 exec, exec, s[18:19]
	v_mov_b32_e32 v6, 0
	s_and_saveexec_b64 s[18:19], s[20:21]
	s_cbranch_execnz .LBB15_1403
	s_branch .LBB15_1404
.LBB15_1418:
	s_mov_b64 s[16:17], -1
                                        ; implicit-def: $vgpr6
	s_branch .LBB15_1423
.LBB15_1419:
	s_mov_b64 s[16:17], -1
                                        ; implicit-def: $vgpr6
.LBB15_1420:
	s_and_b64 vcc, exec, s[16:17]
	s_cbranch_vccz .LBB15_1422
; %bb.1421:
	global_load_ubyte v2, v[4:5], off
	s_mov_b32 s16, 0x7f800000
	s_brev_b32 s17, 1
	s_mov_b32 s18, 0x2f800000
	s_waitcnt vmcnt(0)
	v_lshlrev_b32_e32 v2, 24, v2
	v_and_b32_e32 v3, 0x7f000000, v2
	v_ffbh_u32_e32 v6, v3
	v_min_u32_e32 v6, 32, v6
	v_sub_u32_e64 v6, v6, 4 clamp
	v_lshlrev_b32_e32 v8, v6, v3
	v_lshlrev_b32_e32 v6, 23, v6
	v_lshrrev_b32_e32 v8, 4, v8
	v_add_u32_e32 v7, 0x1000000, v3
	v_sub_u32_e32 v6, v8, v6
	v_ashrrev_i32_e32 v7, 8, v7
	v_add_u32_e32 v6, 0x3c000000, v6
	v_and_or_b32 v6, v7, s16, v6
	v_cmp_ne_u32_e32 vcc, 0, v3
	v_cndmask_b32_e32 v3, 0, v6, vcc
	v_and_or_b32 v2, v2, s17, v3
	v_trunc_f32_e32 v2, v2
	v_mul_f32_e64 v3, |v2|, s18
	v_floor_f32_e32 v3, v3
	s_mov_b32 s16, 0xcf800000
	v_fma_f32 v3, v3, s16, |v2|
	v_cvt_u32_f32_e32 v3, v3
	v_ashrrev_i32_e32 v2, 31, v2
	v_xor_b32_e32 v3, v3, v2
	v_sub_u32_e32 v6, v3, v2
.LBB15_1422:
	s_mov_b64 s[16:17], 0
.LBB15_1423:
	s_andn2_b64 vcc, exec, s[16:17]
	s_cbranch_vccnz .LBB15_1425
; %bb.1424:
	global_load_ubyte v2, v[4:5], off
	s_movk_i32 s16, 0x7f00
	s_brev_b32 s17, 16
	s_brev_b32 s18, 1
	s_mov_b32 s19, 0x2f800000
	s_waitcnt vmcnt(0)
	v_lshlrev_b16_e32 v3, 8, v2
	v_lshlrev_b32_e32 v2, 25, v2
	v_lshrrev_b32_e32 v6, 4, v2
	v_and_or_b32 v7, v3, s16, 0.5
	v_or_b32_e32 v6, 0x70000000, v6
	v_add_f32_e32 v7, -0.5, v7
	v_mul_f32_e32 v6, 0x7800000, v6
	v_cmp_gt_u32_e32 vcc, s17, v2
	v_bfe_i32 v3, v3, 0, 16
	v_cndmask_b32_e32 v2, v6, v7, vcc
	v_and_or_b32 v2, v3, s18, v2
	v_trunc_f32_e32 v2, v2
	v_mul_f32_e64 v3, |v2|, s19
	v_floor_f32_e32 v3, v3
	s_mov_b32 s16, 0xcf800000
	v_fma_f32 v3, v3, s16, |v2|
	v_cvt_u32_f32_e32 v3, v3
	v_ashrrev_i32_e32 v2, 31, v2
	v_xor_b32_e32 v3, v3, v2
	v_sub_u32_e32 v6, v3, v2
.LBB15_1425:
	s_mov_b64 s[16:17], 0
	s_mov_b64 s[18:19], -1
.LBB15_1426:
	s_andn2_b64 vcc, exec, s[16:17]
	s_mov_b64 s[16:17], 0
	s_cbranch_vccnz .LBB15_1437
; %bb.1427:
	s_cmp_gt_i32 s23, 14
	s_cbranch_scc0 .LBB15_1430
; %bb.1428:
	s_cmp_eq_u32 s23, 15
	s_cbranch_scc0 .LBB15_1433
; %bb.1429:
	global_load_ushort v2, v[4:5], off
	s_mov_b32 s12, 0x2f800000
	s_mov_b32 s13, 0xcf800000
	s_mov_b64 s[18:19], -1
	s_waitcnt vmcnt(0)
	v_lshlrev_b32_e32 v2, 16, v2
	v_trunc_f32_e32 v2, v2
	v_mul_f32_e64 v3, |v2|, s12
	v_floor_f32_e32 v3, v3
	v_fma_f32 v3, v3, s13, |v2|
	v_cvt_u32_f32_e32 v3, v3
	v_ashrrev_i32_e32 v2, 31, v2
	s_mov_b64 s[12:13], 0
	v_xor_b32_e32 v3, v3, v2
	v_sub_u32_e32 v6, v3, v2
	s_branch .LBB15_1434
.LBB15_1430:
	s_mov_b64 s[20:21], -1
                                        ; implicit-def: $vgpr6
	s_branch .LBB15_1435
.LBB15_1431:
	s_andn2_saveexec_b64 s[16:17], s[16:17]
	s_cbranch_execz .LBB15_1412
.LBB15_1432:
	v_cmp_ne_u16_e32 vcc, 0, v2
	s_andn2_b64 s[18:19], s[18:19], exec
	s_and_b64 s[20:21], vcc, exec
	s_or_b64 s[18:19], s[18:19], s[20:21]
	s_or_b64 exec, exec, s[16:17]
	v_mov_b32_e32 v6, 0
	s_and_saveexec_b64 s[16:17], s[18:19]
	s_cbranch_execnz .LBB15_1413
	s_branch .LBB15_1414
.LBB15_1433:
	s_mov_b64 s[12:13], -1
                                        ; implicit-def: $vgpr6
.LBB15_1434:
	s_mov_b64 s[20:21], 0
.LBB15_1435:
	s_and_b64 vcc, exec, s[20:21]
	s_cbranch_vccz .LBB15_1437
; %bb.1436:
	s_cmp_lg_u32 s23, 11
	s_cselect_b64 s[20:21], -1, 0
	s_andn2_b64 s[12:13], s[12:13], exec
	s_and_b64 s[20:21], s[20:21], exec
	s_mov_b64 s[16:17], -1
	s_or_b64 s[12:13], s[12:13], s[20:21]
.LBB15_1437:
	s_mov_b64 s[20:21], 0
.LBB15_1438:
	s_andn2_b64 s[28:29], s[40:41], exec
	s_and_b64 s[12:13], s[12:13], exec
	s_and_b64 s[18:19], s[18:19], exec
	;; [unrolled: 1-line block ×4, first 2 shown]
	s_or_b64 s[40:41], s[28:29], s[12:13]
	s_or_b64 exec, exec, s[0:1]
	s_and_saveexec_b64 s[0:1], s[40:41]
	s_cbranch_execz .LBB15_1371
.LBB15_1439:
	s_or_b64 s[10:11], s[10:11], exec
	s_andn2_b64 s[16:17], s[16:17], exec
	s_trap 2
	s_or_b64 exec, exec, s[0:1]
	s_and_saveexec_b64 s[0:1], s[16:17]
	s_xor_b64 s[0:1], exec, s[0:1]
	s_cbranch_execnz .LBB15_1372
.LBB15_1440:
	s_or_b64 exec, exec, s[0:1]
	s_and_saveexec_b64 s[0:1], s[20:21]
	s_cbranch_execz .LBB15_1486
.LBB15_1441:
	s_sext_i32_i16 s12, s22
	s_cmp_lt_i32 s12, 5
	s_cbranch_scc1 .LBB15_1446
; %bb.1442:
	s_cmp_lt_i32 s12, 8
	s_cbranch_scc1 .LBB15_1447
; %bb.1443:
	;; [unrolled: 3-line block ×3, first 2 shown]
	s_cmp_gt_i32 s12, 9
	s_cbranch_scc0 .LBB15_1449
; %bb.1445:
	s_waitcnt vmcnt(0)
	global_load_dwordx2 v[2:3], v[4:5], off
	s_movk_i32 s12, 0xffe0
	s_waitcnt vmcnt(0)
	v_trunc_f64_e32 v[2:3], v[2:3]
	v_ldexp_f64 v[6:7], v[2:3], s12
	s_mov_b32 s12, 0
	s_mov_b32 s13, 0xc1f00000
	v_floor_f64_e32 v[6:7], v[6:7]
	v_fma_f64 v[2:3], v[6:7], s[12:13], v[2:3]
	s_mov_b64 s[12:13], 0
	v_cvt_u32_f64_e32 v6, v[2:3]
	s_branch .LBB15_1450
.LBB15_1446:
                                        ; implicit-def: $vgpr6
	s_branch .LBB15_1467
.LBB15_1447:
                                        ; implicit-def: $vgpr6
	s_branch .LBB15_1456
.LBB15_1448:
	s_mov_b64 s[12:13], -1
                                        ; implicit-def: $vgpr6
	s_branch .LBB15_1453
.LBB15_1449:
	s_mov_b64 s[12:13], -1
                                        ; implicit-def: $vgpr6
.LBB15_1450:
	s_andn2_b64 vcc, exec, s[12:13]
	s_cbranch_vccnz .LBB15_1452
; %bb.1451:
	s_waitcnt vmcnt(0)
	global_load_dword v2, v[4:5], off
	s_mov_b32 s12, 0x2f800000
	s_waitcnt vmcnt(0)
	v_trunc_f32_e32 v2, v2
	v_mul_f32_e64 v3, |v2|, s12
	v_floor_f32_e32 v3, v3
	s_mov_b32 s12, 0xcf800000
	v_fma_f32 v3, v3, s12, |v2|
	v_cvt_u32_f32_e32 v3, v3
	v_ashrrev_i32_e32 v2, 31, v2
	v_xor_b32_e32 v3, v3, v2
	v_sub_u32_e32 v6, v3, v2
.LBB15_1452:
	s_mov_b64 s[12:13], 0
.LBB15_1453:
	s_andn2_b64 vcc, exec, s[12:13]
	s_cbranch_vccnz .LBB15_1455
; %bb.1454:
	s_waitcnt vmcnt(0)
	global_load_dword v2, v[4:5], off
	s_waitcnt vmcnt(0)
	v_cvt_f32_f16_e32 v2, v2
	v_cvt_i32_f32_e32 v6, v2
.LBB15_1455:
	s_cbranch_execnz .LBB15_1466
.LBB15_1456:
	s_sext_i32_i16 s12, s22
	s_cmp_lt_i32 s12, 6
	s_cbranch_scc1 .LBB15_1459
; %bb.1457:
	s_cmp_gt_i32 s12, 6
	s_cbranch_scc0 .LBB15_1460
; %bb.1458:
	s_waitcnt vmcnt(0)
	global_load_dwordx2 v[2:3], v[4:5], off
	s_movk_i32 s12, 0xffe0
	s_waitcnt vmcnt(0)
	v_trunc_f64_e32 v[2:3], v[2:3]
	v_ldexp_f64 v[6:7], v[2:3], s12
	s_mov_b32 s12, 0
	s_mov_b32 s13, 0xc1f00000
	v_floor_f64_e32 v[6:7], v[6:7]
	v_fma_f64 v[2:3], v[6:7], s[12:13], v[2:3]
	s_mov_b64 s[12:13], 0
	v_cvt_u32_f64_e32 v6, v[2:3]
	s_branch .LBB15_1461
.LBB15_1459:
	s_mov_b64 s[12:13], -1
                                        ; implicit-def: $vgpr6
	s_branch .LBB15_1464
.LBB15_1460:
	s_mov_b64 s[12:13], -1
                                        ; implicit-def: $vgpr6
.LBB15_1461:
	s_andn2_b64 vcc, exec, s[12:13]
	s_cbranch_vccnz .LBB15_1463
; %bb.1462:
	s_waitcnt vmcnt(0)
	global_load_dword v2, v[4:5], off
	s_mov_b32 s12, 0x2f800000
	s_waitcnt vmcnt(0)
	v_trunc_f32_e32 v2, v2
	v_mul_f32_e64 v3, |v2|, s12
	v_floor_f32_e32 v3, v3
	s_mov_b32 s12, 0xcf800000
	v_fma_f32 v3, v3, s12, |v2|
	v_cvt_u32_f32_e32 v3, v3
	v_ashrrev_i32_e32 v2, 31, v2
	v_xor_b32_e32 v3, v3, v2
	v_sub_u32_e32 v6, v3, v2
.LBB15_1463:
	s_mov_b64 s[12:13], 0
.LBB15_1464:
	s_andn2_b64 vcc, exec, s[12:13]
	s_cbranch_vccnz .LBB15_1466
; %bb.1465:
	s_waitcnt vmcnt(0)
	global_load_ushort v2, v[4:5], off
	s_waitcnt vmcnt(0)
	v_cvt_f32_f16_e32 v2, v2
	v_cvt_i32_f32_e32 v6, v2
.LBB15_1466:
	s_cbranch_execnz .LBB15_1485
.LBB15_1467:
	s_sext_i32_i16 s12, s22
	s_cmp_lt_i32 s12, 2
	s_cbranch_scc1 .LBB15_1471
; %bb.1468:
	s_cmp_lt_i32 s12, 3
	s_cbranch_scc1 .LBB15_1472
; %bb.1469:
	s_cmp_gt_i32 s12, 3
	s_cbranch_scc0 .LBB15_1473
; %bb.1470:
	s_waitcnt vmcnt(0)
	global_load_dwordx2 v[6:7], v[4:5], off
	s_mov_b64 s[12:13], 0
	s_branch .LBB15_1474
.LBB15_1471:
                                        ; implicit-def: $vgpr6
	s_branch .LBB15_1480
.LBB15_1472:
	s_mov_b64 s[12:13], -1
                                        ; implicit-def: $vgpr6
	s_branch .LBB15_1477
.LBB15_1473:
	s_mov_b64 s[12:13], -1
                                        ; implicit-def: $vgpr6
.LBB15_1474:
	s_andn2_b64 vcc, exec, s[12:13]
	s_cbranch_vccnz .LBB15_1476
; %bb.1475:
	s_waitcnt vmcnt(0)
	global_load_dword v6, v[4:5], off
.LBB15_1476:
	s_mov_b64 s[12:13], 0
.LBB15_1477:
	s_andn2_b64 vcc, exec, s[12:13]
	s_cbranch_vccnz .LBB15_1479
; %bb.1478:
	s_waitcnt vmcnt(0)
	global_load_ushort v6, v[4:5], off
.LBB15_1479:
	s_cbranch_execnz .LBB15_1485
.LBB15_1480:
	s_sext_i32_i16 s12, s22
	s_cmp_gt_i32 s12, 0
	s_cbranch_scc0 .LBB15_1482
; %bb.1481:
	s_waitcnt vmcnt(0)
	global_load_ubyte v6, v[4:5], off
	s_mov_b64 s[12:13], 0
	s_branch .LBB15_1483
.LBB15_1482:
	s_mov_b64 s[12:13], -1
                                        ; implicit-def: $vgpr6
.LBB15_1483:
	s_andn2_b64 vcc, exec, s[12:13]
	s_cbranch_vccnz .LBB15_1485
; %bb.1484:
	s_waitcnt vmcnt(0)
	global_load_ubyte v6, v[4:5], off
.LBB15_1485:
	s_or_b64 s[18:19], s[18:19], exec
.LBB15_1486:
	s_or_b64 exec, exec, s[0:1]
	s_mov_b64 s[22:23], 0
	s_mov_b64 s[20:21], 0
                                        ; implicit-def: $sgpr12_sgpr13
                                        ; implicit-def: $sgpr28
                                        ; implicit-def: $vgpr2_vgpr3
	s_and_saveexec_b64 s[16:17], s[18:19]
	s_cbranch_execz .LBB15_1491
; %bb.1487:
	s_cmp_lt_i32 s14, 1
	s_mov_b64 s[0:1], 0
	s_cbranch_scc1 .LBB15_1494
; %bb.1488:
	s_cmp_gt_i32 s14, 1
	s_cbranch_scc0 .LBB15_1495
; %bb.1489:
	s_cmp_eq_u32 s14, 2
	s_cbranch_scc0 .LBB15_1496
; %bb.1490:
	s_waitcnt vmcnt(0)
	v_cmp_le_u16_sdwa s[12:13], v1, v6 src0_sel:BYTE_0 src1_sel:BYTE_0
	s_mov_b64 s[18:19], 0
	s_branch .LBB15_1498
.LBB15_1491:
	s_or_b64 exec, exec, s[16:17]
	s_and_saveexec_b64 s[0:1], s[38:39]
	s_cbranch_execnz .LBB15_1583
.LBB15_1492:
	s_or_b64 exec, exec, s[0:1]
	s_and_saveexec_b64 s[0:1], s[22:23]
	s_xor_b64 s[0:1], exec, s[0:1]
	s_cbranch_execz .LBB15_1584
.LBB15_1493:
	v_cndmask_b32_e64 v0, 0, 1, s[12:13]
	s_waitcnt vmcnt(0)
	global_store_byte v[2:3], v0, off
	s_or_b64 exec, exec, s[0:1]
	s_and_saveexec_b64 s[0:1], s[20:21]
	s_xor_b64 s[0:1], exec, s[0:1]
	s_cbranch_execz .LBB15_1622
	s_branch .LBB15_1585
.LBB15_1494:
                                        ; implicit-def: $sgpr12_sgpr13
	s_mov_b64 s[18:19], 0
	s_cbranch_execnz .LBB15_1501
	s_branch .LBB15_1502
.LBB15_1495:
	s_mov_b64 s[20:21], -1
	s_mov_b64 s[18:19], 0
	s_branch .LBB15_1497
.LBB15_1496:
	s_mov_b64 s[18:19], -1
.LBB15_1497:
                                        ; implicit-def: $sgpr12_sgpr13
.LBB15_1498:
	s_and_b64 vcc, exec, s[20:21]
	s_cbranch_vccz .LBB15_1500
; %bb.1499:
	s_waitcnt vmcnt(0)
	v_cmp_gt_u16_sdwa s[20:21], v1, v6 src0_sel:BYTE_0 src1_sel:BYTE_0
	s_andn2_b64 s[12:13], s[12:13], exec
	s_and_b64 s[20:21], s[20:21], exec
	s_or_b64 s[12:13], s[12:13], s[20:21]
.LBB15_1500:
	s_branch .LBB15_1502
.LBB15_1501:
	s_cmp_lg_u32 s14, 0
	s_mov_b64 s[0:1], -1
	s_cselect_b64 s[18:19], -1, 0
.LBB15_1502:
	s_andn2_b64 vcc, exec, s[18:19]
	s_cbranch_vccnz .LBB15_1504
; %bb.1503:
	s_waitcnt vmcnt(0)
	v_cmp_lt_u16_sdwa s[18:19], v1, v6 src0_sel:BYTE_0 src1_sel:BYTE_0
	s_andn2_b64 s[12:13], s[12:13], exec
	s_and_b64 s[18:19], s[18:19], exec
	s_or_b64 s[12:13], s[12:13], s[18:19]
	s_cbranch_execz .LBB15_1505
	s_branch .LBB15_1506
.LBB15_1504:
	s_andn2_b64 vcc, exec, s[0:1]
	s_cbranch_vccnz .LBB15_1506
.LBB15_1505:
	s_waitcnt vmcnt(0)
	v_cmp_ge_u16_sdwa s[0:1], v1, v6 src0_sel:BYTE_0 src1_sel:BYTE_0
	s_andn2_b64 s[12:13], s[12:13], exec
	s_and_b64 s[0:1], s[0:1], exec
	s_or_b64 s[12:13], s[12:13], s[0:1]
.LBB15_1506:
	s_waitcnt vmcnt(0)
	v_mov_b32_e32 v1, s9
	s_and_b32 s28, s15, 0xff
	v_add_co_u32_e32 v2, vcc, s8, v0
	s_cmp_lt_i32 s28, 11
	v_addc_co_u32_e32 v3, vcc, 0, v1, vcc
	s_cbranch_scc1 .LBB15_1580
; %bb.1507:
	s_and_b32 s22, 0xffff, s28
	s_mov_b64 s[14:15], -1
	s_cmp_gt_i32 s22, 25
	s_mov_b64 s[0:1], s[38:39]
	s_cbranch_scc0 .LBB15_1540
; %bb.1508:
	s_mov_b64 s[8:9], -1
	s_cmp_gt_i32 s22, 28
	s_mov_b64 s[0:1], s[38:39]
	s_cbranch_scc0 .LBB15_1524
; %bb.1509:
	s_cmp_gt_i32 s22, 43
	s_mov_b64 s[0:1], s[38:39]
	s_cbranch_scc0 .LBB15_1520
; %bb.1510:
	;; [unrolled: 4-line block ×3, first 2 shown]
	s_cmp_eq_u32 s22, 46
	s_mov_b64 s[0:1], -1
	s_cbranch_scc0 .LBB15_1513
; %bb.1512:
	v_cndmask_b32_e64 v0, 0, 1.0, s[12:13]
	v_bfe_u32 v1, v0, 16, 1
	s_movk_i32 s0, 0x7fff
	v_add3_u32 v0, v0, v1, s0
	v_lshrrev_b32_e32 v0, 16, v0
	global_store_dword v[2:3], v0, off
	s_mov_b64 s[0:1], 0
.LBB15_1513:
	s_mov_b64 s[8:9], 0
.LBB15_1514:
	s_and_b64 vcc, exec, s[8:9]
	s_cbranch_vccz .LBB15_1519
; %bb.1515:
	s_cmp_eq_u32 s22, 44
	s_mov_b64 s[0:1], -1
	s_cbranch_scc0 .LBB15_1519
; %bb.1516:
	v_cndmask_b32_e64 v1, 0, 1.0, s[12:13]
	v_lshrrev_b32_e32 v0, 23, v1
	s_movk_i32 s0, 0xff
	v_cmp_ne_u32_e32 vcc, s0, v0
	v_mov_b32_e32 v4, 0xff
	s_and_saveexec_b64 s[8:9], vcc
; %bb.1517:
	s_mov_b32 s0, 0x3fffff
	v_and_b32_e32 v4, 0x400000, v1
	v_and_or_b32 v1, v1, s0, v0
	v_cmp_ne_u32_e32 vcc, 0, v4
	v_cmp_ne_u32_e64 s[0:1], 0, v1
	s_and_b64 s[0:1], vcc, s[0:1]
	v_cndmask_b32_e64 v1, 0, 1, s[0:1]
	v_add_u32_e32 v4, v0, v1
; %bb.1518:
	s_or_b64 exec, exec, s[8:9]
	s_mov_b64 s[0:1], 0
	global_store_byte v[2:3], v4, off
.LBB15_1519:
	s_mov_b64 s[8:9], 0
.LBB15_1520:
	s_and_b64 vcc, exec, s[8:9]
	s_cbranch_vccz .LBB15_1523
; %bb.1521:
	s_cmp_eq_u32 s22, 29
	s_mov_b64 s[0:1], -1
	s_cbranch_scc0 .LBB15_1523
; %bb.1522:
	s_mov_b32 s0, 0
	v_cndmask_b32_e64 v0, 0, 1, s[12:13]
	v_mov_b32_e32 v1, s0
	global_store_dwordx2 v[2:3], v[0:1], off
	s_mov_b64 s[0:1], 0
.LBB15_1523:
	s_mov_b64 s[8:9], 0
.LBB15_1524:
	s_and_b64 vcc, exec, s[8:9]
	s_cbranch_vccz .LBB15_1539
; %bb.1525:
	s_cmp_lt_i32 s22, 27
	s_mov_b64 s[8:9], -1
	s_cbranch_scc1 .LBB15_1531
; %bb.1526:
	s_cmp_gt_i32 s22, 27
	s_cbranch_scc0 .LBB15_1528
; %bb.1527:
	v_cndmask_b32_e64 v0, 0, 1, s[12:13]
	s_mov_b64 s[8:9], 0
	global_store_dword v[2:3], v0, off
.LBB15_1528:
	s_andn2_b64 vcc, exec, s[8:9]
	s_cbranch_vccnz .LBB15_1530
; %bb.1529:
	v_cndmask_b32_e64 v0, 0, 1, s[12:13]
	global_store_short v[2:3], v0, off
.LBB15_1530:
	s_mov_b64 s[8:9], 0
.LBB15_1531:
	s_andn2_b64 vcc, exec, s[8:9]
	s_cbranch_vccnz .LBB15_1539
; %bb.1532:
	v_cndmask_b32_e64 v1, 0, 1.0, s[12:13]
	s_mov_b32 s8, 0x43800000
	v_cmp_gt_u32_e32 vcc, s8, v1
	v_mov_b32_e32 v4, 0x80
	s_and_saveexec_b64 s[8:9], vcc
	s_cbranch_execz .LBB15_1538
; %bb.1533:
	s_mov_b32 s14, 0x3bffffff
	v_cmp_lt_u32_e32 vcc, s14, v1
	s_mov_b64 s[14:15], 0
                                        ; implicit-def: $vgpr0
	s_and_saveexec_b64 s[18:19], vcc
	s_xor_b64 s[18:19], exec, s[18:19]
	s_cbranch_execz .LBB15_1681
; %bb.1534:
	v_bfe_u32 v0, v1, 20, 1
	s_mov_b32 s20, 0x487ffff
	v_add3_u32 v0, v1, v0, s20
	s_mov_b64 s[14:15], exec
	v_lshrrev_b32_e32 v0, 20, v0
                                        ; implicit-def: $vgpr1
	s_andn2_saveexec_b64 s[18:19], s[18:19]
	s_cbranch_execnz .LBB15_1682
.LBB15_1535:
	s_or_b64 exec, exec, s[18:19]
	v_mov_b32_e32 v4, 0
	s_and_saveexec_b64 s[18:19], s[14:15]
.LBB15_1536:
	v_mov_b32_e32 v4, v0
.LBB15_1537:
	s_or_b64 exec, exec, s[18:19]
.LBB15_1538:
	s_or_b64 exec, exec, s[8:9]
	global_store_byte v[2:3], v4, off
.LBB15_1539:
	s_mov_b64 s[14:15], 0
.LBB15_1540:
	s_mov_b64 s[8:9], 0
	s_and_b64 vcc, exec, s[14:15]
	s_cbranch_vccz .LBB15_1581
; %bb.1541:
	s_cmp_gt_i32 s22, 22
	s_mov_b64 s[14:15], -1
	s_cbranch_scc0 .LBB15_1573
; %bb.1542:
	s_cmp_lt_i32 s22, 24
	s_cbranch_scc1 .LBB15_1562
; %bb.1543:
	s_cmp_gt_i32 s22, 24
	s_cbranch_scc0 .LBB15_1551
; %bb.1544:
	v_cndmask_b32_e64 v1, 0, 1.0, s[12:13]
	s_mov_b32 s14, 0x47800000
	v_cmp_gt_u32_e32 vcc, s14, v1
	v_mov_b32_e32 v4, 0x80
	s_and_saveexec_b64 s[14:15], vcc
	s_cbranch_execz .LBB15_1550
; %bb.1545:
	s_mov_b32 s18, 0x37ffffff
	v_cmp_lt_u32_e32 vcc, s18, v1
	s_mov_b64 s[18:19], 0
                                        ; implicit-def: $vgpr0
	s_and_saveexec_b64 s[20:21], vcc
	s_xor_b64 s[20:21], exec, s[20:21]
	s_cbranch_execz .LBB15_1801
; %bb.1546:
	v_bfe_u32 v0, v1, 21, 1
	s_mov_b32 s23, 0x88fffff
	v_add3_u32 v0, v1, v0, s23
	s_mov_b64 s[18:19], exec
	v_lshrrev_b32_e32 v0, 21, v0
                                        ; implicit-def: $vgpr1
	s_andn2_saveexec_b64 s[20:21], s[20:21]
	s_cbranch_execnz .LBB15_1802
.LBB15_1547:
	s_or_b64 exec, exec, s[20:21]
	v_mov_b32_e32 v4, 0
	s_and_saveexec_b64 s[20:21], s[18:19]
.LBB15_1548:
	v_mov_b32_e32 v4, v0
.LBB15_1549:
	s_or_b64 exec, exec, s[20:21]
.LBB15_1550:
	s_or_b64 exec, exec, s[14:15]
	s_mov_b64 s[14:15], 0
	global_store_byte v[2:3], v4, off
.LBB15_1551:
	s_and_b64 vcc, exec, s[14:15]
	s_cbranch_vccz .LBB15_1561
; %bb.1552:
	v_cndmask_b32_e64 v0, 0, 1.0, s[12:13]
	s_mov_b32 s14, 0x43f00000
	v_cmp_gt_u32_e32 vcc, s14, v0
                                        ; implicit-def: $vgpr1
	s_and_saveexec_b64 s[14:15], vcc
	s_xor_b64 s[14:15], exec, s[14:15]
	s_cbranch_execz .LBB15_1558
; %bb.1553:
	s_mov_b32 s18, 0x3c7fffff
	v_cmp_lt_u32_e32 vcc, s18, v0
                                        ; implicit-def: $vgpr1
	s_and_saveexec_b64 s[18:19], vcc
	s_xor_b64 s[18:19], exec, s[18:19]
; %bb.1554:
	v_bfe_u32 v1, v0, 20, 1
	s_mov_b32 s20, 0x407ffff
	v_add3_u32 v0, v0, v1, s20
	v_lshrrev_b32_e32 v1, 20, v0
	v_and_b32_e32 v0, 0xff00000, v0
	s_mov_b32 s20, 0x7f00000
	v_mov_b32_e32 v4, 0x7e
	v_cmp_ne_u32_e32 vcc, s20, v0
	v_cndmask_b32_e32 v1, v4, v1, vcc
                                        ; implicit-def: $vgpr0
; %bb.1555:
	s_andn2_saveexec_b64 s[18:19], s[18:19]
; %bb.1556:
	v_add_f32_e32 v1, 0x46800000, v0
; %bb.1557:
	s_or_b64 exec, exec, s[18:19]
                                        ; implicit-def: $vgpr0
.LBB15_1558:
	s_andn2_saveexec_b64 s[14:15], s[14:15]
; %bb.1559:
	s_mov_b32 s18, 0x7f800000
	v_mov_b32_e32 v1, 0x7e
	v_mov_b32_e32 v4, 0x7f
	v_cmp_lt_u32_e32 vcc, s18, v0
	v_cndmask_b32_e32 v1, v1, v4, vcc
; %bb.1560:
	s_or_b64 exec, exec, s[14:15]
	global_store_byte v[2:3], v1, off
.LBB15_1561:
	s_mov_b64 s[14:15], 0
.LBB15_1562:
	s_andn2_b64 vcc, exec, s[14:15]
	s_cbranch_vccnz .LBB15_1572
; %bb.1563:
	v_cndmask_b32_e64 v0, 0, 1.0, s[12:13]
	s_mov_b32 s14, 0x47800000
	v_cmp_gt_u32_e32 vcc, s14, v0
                                        ; implicit-def: $vgpr1
	s_and_saveexec_b64 s[14:15], vcc
	s_xor_b64 s[14:15], exec, s[14:15]
	s_cbranch_execz .LBB15_1569
; %bb.1564:
	s_mov_b32 s18, 0x387fffff
	v_cmp_lt_u32_e32 vcc, s18, v0
                                        ; implicit-def: $vgpr1
	s_and_saveexec_b64 s[18:19], vcc
	s_xor_b64 s[18:19], exec, s[18:19]
; %bb.1565:
	v_bfe_u32 v1, v0, 21, 1
	s_mov_b32 s20, 0x80fffff
	v_add3_u32 v0, v0, v1, s20
	v_lshrrev_b32_e32 v1, 21, v0
                                        ; implicit-def: $vgpr0
; %bb.1566:
	s_andn2_saveexec_b64 s[18:19], s[18:19]
; %bb.1567:
	v_add_f32_e32 v1, 0x43000000, v0
; %bb.1568:
	s_or_b64 exec, exec, s[18:19]
                                        ; implicit-def: $vgpr0
.LBB15_1569:
	s_andn2_saveexec_b64 s[14:15], s[14:15]
; %bb.1570:
	s_mov_b32 s18, 0x7f800000
	v_mov_b32_e32 v1, 0x7c
	v_mov_b32_e32 v4, 0x7f
	v_cmp_lt_u32_e32 vcc, s18, v0
	v_cndmask_b32_e32 v1, v1, v4, vcc
; %bb.1571:
	s_or_b64 exec, exec, s[14:15]
	global_store_byte v[2:3], v1, off
.LBB15_1572:
	s_mov_b64 s[14:15], 0
.LBB15_1573:
	s_andn2_b64 vcc, exec, s[14:15]
	s_mov_b64 s[14:15], 0
	s_cbranch_vccnz .LBB15_1582
; %bb.1574:
	s_cmp_gt_i32 s22, 14
	s_mov_b64 s[18:19], -1
	s_cbranch_scc0 .LBB15_1578
; %bb.1575:
	s_cmp_eq_u32 s22, 15
	s_mov_b64 s[0:1], -1
	s_cbranch_scc0 .LBB15_1577
; %bb.1576:
	v_cndmask_b32_e64 v0, 0, 1.0, s[12:13]
	v_bfe_u32 v1, v0, 16, 1
	s_movk_i32 s0, 0x7fff
	v_add3_u32 v0, v0, v1, s0
	global_store_short_d16_hi v[2:3], v0, off
	s_mov_b64 s[0:1], 0
.LBB15_1577:
	s_mov_b64 s[18:19], 0
.LBB15_1578:
	s_and_b64 vcc, exec, s[18:19]
	s_cbranch_vccz .LBB15_1582
; %bb.1579:
	s_cmp_lg_u32 s22, 11
	s_cselect_b64 s[18:19], -1, 0
	s_andn2_b64 s[0:1], s[0:1], exec
	s_and_b64 s[18:19], s[18:19], exec
	s_mov_b64 s[14:15], -1
	s_or_b64 s[0:1], s[0:1], s[18:19]
	s_branch .LBB15_1582
.LBB15_1580:
	s_mov_b64 s[14:15], 0
	s_mov_b64 s[8:9], -1
	s_mov_b64 s[0:1], s[38:39]
	s_branch .LBB15_1582
.LBB15_1581:
	s_mov_b64 s[14:15], 0
.LBB15_1582:
	s_and_b64 s[20:21], s[8:9], exec
	s_andn2_b64 s[8:9], s[38:39], exec
	s_and_b64 s[0:1], s[0:1], exec
	s_and_b64 s[22:23], s[14:15], exec
	s_or_b64 s[38:39], s[8:9], s[0:1]
	s_or_b64 exec, exec, s[16:17]
	s_and_saveexec_b64 s[0:1], s[38:39]
	s_cbranch_execz .LBB15_1492
.LBB15_1583:
	s_or_b64 s[10:11], s[10:11], exec
	s_andn2_b64 s[22:23], s[22:23], exec
	s_trap 2
	s_or_b64 exec, exec, s[0:1]
	s_and_saveexec_b64 s[0:1], s[22:23]
	s_xor_b64 s[0:1], exec, s[0:1]
	s_cbranch_execnz .LBB15_1493
.LBB15_1584:
	s_or_b64 exec, exec, s[0:1]
	s_and_saveexec_b64 s[0:1], s[20:21]
	s_xor_b64 s[0:1], exec, s[0:1]
	s_cbranch_execz .LBB15_1622
.LBB15_1585:
	s_sext_i32_i16 s14, s28
	s_cmp_lt_i32 s14, 5
	s_mov_b64 s[8:9], -1
	s_cbranch_scc1 .LBB15_1606
; %bb.1586:
	s_cmp_lt_i32 s14, 8
	s_cbranch_scc1 .LBB15_1596
; %bb.1587:
	s_cmp_lt_i32 s14, 9
	s_cbranch_scc1 .LBB15_1593
; %bb.1588:
	s_cmp_gt_i32 s14, 9
	s_cbranch_scc0 .LBB15_1590
; %bb.1589:
	v_cndmask_b32_e64 v0, 0, 1, s[12:13]
	s_waitcnt vmcnt(0)
	v_cvt_f64_u32_e32 v[4:5], v0
	v_mov_b32_e32 v6, 0
	v_mov_b32_e32 v7, v6
	s_mov_b64 s[8:9], 0
	global_store_dwordx4 v[2:3], v[4:7], off
.LBB15_1590:
	s_andn2_b64 vcc, exec, s[8:9]
	s_cbranch_vccnz .LBB15_1592
; %bb.1591:
	v_cndmask_b32_e64 v0, 0, 1.0, s[12:13]
	s_waitcnt vmcnt(0)
	v_mov_b32_e32 v1, 0
	global_store_dwordx2 v[2:3], v[0:1], off
.LBB15_1592:
	s_mov_b64 s[8:9], 0
.LBB15_1593:
	s_andn2_b64 vcc, exec, s[8:9]
	s_cbranch_vccnz .LBB15_1595
; %bb.1594:
	v_cndmask_b32_e64 v0, 0, 1.0, s[12:13]
	v_cvt_f16_f32_e32 v0, v0
	s_waitcnt vmcnt(0)
	global_store_dword v[2:3], v0, off
.LBB15_1595:
	s_mov_b64 s[8:9], 0
.LBB15_1596:
	s_andn2_b64 vcc, exec, s[8:9]
	s_cbranch_vccnz .LBB15_1605
; %bb.1597:
	s_sext_i32_i16 s14, s28
	s_cmp_lt_i32 s14, 6
	s_mov_b64 s[8:9], -1
	s_cbranch_scc1 .LBB15_1603
; %bb.1598:
	s_cmp_gt_i32 s14, 6
	s_cbranch_scc0 .LBB15_1600
; %bb.1599:
	v_cndmask_b32_e64 v0, 0, 1, s[12:13]
	s_waitcnt vmcnt(0)
	v_cvt_f64_u32_e32 v[0:1], v0
	s_mov_b64 s[8:9], 0
	global_store_dwordx2 v[2:3], v[0:1], off
.LBB15_1600:
	s_andn2_b64 vcc, exec, s[8:9]
	s_cbranch_vccnz .LBB15_1602
; %bb.1601:
	v_cndmask_b32_e64 v0, 0, 1.0, s[12:13]
	s_waitcnt vmcnt(0)
	global_store_dword v[2:3], v0, off
.LBB15_1602:
	s_mov_b64 s[8:9], 0
.LBB15_1603:
	s_andn2_b64 vcc, exec, s[8:9]
	s_cbranch_vccnz .LBB15_1605
; %bb.1604:
	v_cndmask_b32_e64 v0, 0, 1.0, s[12:13]
	v_cvt_f16_f32_e32 v0, v0
	s_waitcnt vmcnt(0)
	global_store_short v[2:3], v0, off
.LBB15_1605:
	s_mov_b64 s[8:9], 0
.LBB15_1606:
	s_andn2_b64 vcc, exec, s[8:9]
	s_cbranch_vccnz .LBB15_1622
; %bb.1607:
	s_sext_i32_i16 s14, s28
	s_cmp_lt_i32 s14, 2
	s_mov_b64 s[8:9], -1
	s_cbranch_scc1 .LBB15_1617
; %bb.1608:
	s_cmp_lt_i32 s14, 3
	s_cbranch_scc1 .LBB15_1614
; %bb.1609:
	s_cmp_gt_i32 s14, 3
	s_cbranch_scc0 .LBB15_1611
; %bb.1610:
	s_mov_b32 s8, 0
	v_cndmask_b32_e64 v0, 0, 1, s[12:13]
	s_waitcnt vmcnt(0)
	v_mov_b32_e32 v1, s8
	s_mov_b64 s[8:9], 0
	global_store_dwordx2 v[2:3], v[0:1], off
.LBB15_1611:
	s_andn2_b64 vcc, exec, s[8:9]
	s_cbranch_vccnz .LBB15_1613
; %bb.1612:
	v_cndmask_b32_e64 v0, 0, 1, s[12:13]
	s_waitcnt vmcnt(0)
	global_store_dword v[2:3], v0, off
.LBB15_1613:
	s_mov_b64 s[8:9], 0
.LBB15_1614:
	s_andn2_b64 vcc, exec, s[8:9]
	s_cbranch_vccnz .LBB15_1616
; %bb.1615:
	v_cndmask_b32_e64 v0, 0, 1, s[12:13]
	s_waitcnt vmcnt(0)
	global_store_short v[2:3], v0, off
.LBB15_1616:
	s_mov_b64 s[8:9], 0
.LBB15_1617:
	s_andn2_b64 vcc, exec, s[8:9]
	s_cbranch_vccnz .LBB15_1622
; %bb.1618:
	s_sext_i32_i16 s14, s28
	s_mov_b64 s[8:9], -1
	s_cmp_gt_i32 s14, 0
	v_cndmask_b32_e64 v0, 0, 1, s[12:13]
	s_cbranch_scc0 .LBB15_1620
; %bb.1619:
	s_mov_b64 s[8:9], 0
	s_waitcnt vmcnt(0)
	global_store_byte v[2:3], v0, off
.LBB15_1620:
	s_andn2_b64 vcc, exec, s[8:9]
	s_cbranch_vccnz .LBB15_1622
; %bb.1621:
	s_waitcnt vmcnt(0)
	global_store_byte v[2:3], v0, off
.LBB15_1622:
	s_or_b64 exec, exec, s[0:1]
	s_and_b64 s[12:13], s[10:11], exec
                                        ; implicit-def: $vgpr23
                                        ; implicit-def: $vgpr8
.LBB15_1623:
	s_or_saveexec_b64 s[14:15], s[26:27]
	s_mov_b64 s[0:1], 0
                                        ; implicit-def: $sgpr10_sgpr11
                                        ; implicit-def: $vgpr0_vgpr1
                                        ; implicit-def: $sgpr26
	s_xor_b64 exec, exec, s[14:15]
	s_cbranch_execz .LBB15_2726
; %bb.1624:
	v_cndmask_b32_e64 v0, 0, 1, s[24:25]
	v_cmp_ne_u32_e64 s[0:1], 1, v0
	s_andn2_b64 vcc, exec, s[24:25]
	s_cbranch_vccnz .LBB15_1630
; %bb.1625:
	s_cmp_lg_u32 s33, 0
	s_cbranch_scc0 .LBB15_1631
; %bb.1626:
	s_min_u32 s8, s70, 15
	s_add_i32 s6, s8, 1
	s_and_b32 s9, s6, 30
	s_add_u32 s6, s2, 0xffffffe8
	s_addc_u32 s7, s3, -1
	v_mov_b32_e32 v19, 0
	v_mov_b32_e32 v21, 0
	s_waitcnt vmcnt(0)
	v_mov_b32_e32 v6, 0
	v_mov_b32_e32 v0, v8
.LBB15_1627:                            ; =>This Inner Loop Header: Depth=1
	s_load_dwordx4 s[16:19], s[6:7], 0x1c
	s_load_dwordx2 s[10:11], s[6:7], 0x2c
	s_load_dwordx2 s[24:25], s[6:7], 0xec
	s_load_dwordx4 s[20:23], s[6:7], 0xdc
	s_add_u32 s6, s6, 24
	s_waitcnt lgkmcnt(0)
	v_mul_hi_u32 v1, s17, v0
	s_addc_u32 s7, s7, 0
	s_add_i32 s9, s9, -2
	s_cmp_lg_u32 s9, 0
	v_add_u32_e32 v1, v0, v1
	v_lshrrev_b32_e32 v1, s18, v1
	v_mul_lo_u32 v2, v1, s16
	v_mul_hi_u32 v3, s10, v1
	v_sub_u32_e32 v2, v0, v2
	v_add_u32_e32 v0, v1, v3
	v_lshrrev_b32_e32 v0, s11, v0
	v_mul_lo_u32 v5, v0, s19
	v_mul_lo_u32 v3, v2, s20
	;; [unrolled: 1-line block ×4, first 2 shown]
	v_sub_u32_e32 v1, v1, v5
	v_mul_lo_u32 v5, v1, s23
	v_mul_lo_u32 v7, v1, s24
	v_mul_lo_u32 v1, v1, s25
	v_add3_u32 v6, v3, v6, v5
	v_add3_u32 v21, v4, v21, v7
	;; [unrolled: 1-line block ×3, first 2 shown]
	s_cbranch_scc1 .LBB15_1627
; %bb.1628:
	s_bitcmp1_b32 s8, 0
	s_cselect_b64 s[8:9], -1, 0
	s_and_b64 vcc, exec, s[8:9]
	s_cbranch_vccnz .LBB15_1632
; %bb.1629:
	s_load_dwordx2 s[8:9], s[6:7], 0x1c
	s_load_dword s16, s[6:7], 0x24
	s_load_dwordx2 s[10:11], s[6:7], 0xdc
	s_waitcnt lgkmcnt(0)
	v_mul_hi_u32 v1, s9, v0
	v_add_u32_e32 v1, v0, v1
	v_lshrrev_b32_e32 v1, s16, v1
	v_mul_lo_u32 v1, v1, s8
	s_load_dword s8, s[6:7], 0xe4
	v_sub_u32_e32 v0, v0, v1
	v_mad_u64_u32 v[6:7], s[6:7], v0, s10, v[6:7]
	v_mad_u64_u32 v[21:22], s[6:7], v0, s11, v[21:22]
	s_waitcnt lgkmcnt(0)
	v_mad_u64_u32 v[19:20], s[6:7], v0, s8, v[19:20]
	s_cbranch_execz .LBB15_1633
	s_branch .LBB15_1635
.LBB15_1630:
                                        ; implicit-def: $vgpr6
                                        ; implicit-def: $vgpr21
                                        ; implicit-def: $vgpr19
	s_branch .LBB15_1633
.LBB15_1631:
	s_waitcnt vmcnt(0)
	v_mov_b32_e32 v6, 0
	v_mov_b32_e32 v21, 0
	;; [unrolled: 1-line block ×3, first 2 shown]
.LBB15_1632:
	s_cbranch_execnz .LBB15_1635
.LBB15_1633:
	s_load_dwordx4 s[8:11], s[2:3], 0x4
	s_load_dwordx4 s[16:19], s[2:3], 0xc4
	s_cmp_lt_u32 s33, 2
	s_waitcnt lgkmcnt(0)
	v_mul_hi_u32 v0, s9, v8
	v_add_u32_e32 v0, v8, v0
	v_lshrrev_b32_e32 v0, s10, v0
	s_waitcnt vmcnt(0)
	v_mul_lo_u32 v1, v0, s8
	v_sub_u32_e32 v1, v8, v1
	v_mul_lo_u32 v6, v1, s16
	v_mul_lo_u32 v21, v1, s17
	;; [unrolled: 1-line block ×3, first 2 shown]
	s_cbranch_scc1 .LBB15_1635
; %bb.1634:
	s_load_dwordx4 s[8:11], s[2:3], 0x10
	s_load_dwordx4 s[16:19], s[2:3], 0xd0
	s_waitcnt lgkmcnt(0)
	v_mul_hi_u32 v1, s9, v0
	v_add_u32_e32 v1, v0, v1
	v_lshrrev_b32_e32 v1, s10, v1
	v_mul_lo_u32 v1, v1, s8
	v_sub_u32_e32 v0, v0, v1
	v_mad_u64_u32 v[6:7], s[6:7], v0, s16, v[6:7]
	v_mad_u64_u32 v[21:22], s[6:7], v0, s17, v[21:22]
	;; [unrolled: 1-line block ×3, first 2 shown]
.LBB15_1635:
	s_and_b64 vcc, exec, s[0:1]
	v_add_u32_e32 v0, 0x80, v8
	s_cbranch_vccnz .LBB15_1641
; %bb.1636:
	s_cmp_lg_u32 s33, 0
	s_cbranch_scc0 .LBB15_1642
; %bb.1637:
	s_min_u32 s8, s70, 15
	s_add_i32 s6, s8, 1
	s_and_b32 s9, s6, 30
	s_add_u32 s6, s2, 0xffffffe8
	s_addc_u32 s7, s3, -1
	v_mov_b32_e32 v15, 0
	v_mov_b32_e32 v17, 0
	s_waitcnt vmcnt(0)
	v_mov_b32_e32 v4, 0
	v_mov_b32_e32 v1, v0
.LBB15_1638:                            ; =>This Inner Loop Header: Depth=1
	s_load_dwordx4 s[16:19], s[6:7], 0x1c
	s_load_dwordx2 s[10:11], s[6:7], 0x2c
	s_load_dwordx2 s[24:25], s[6:7], 0xec
	s_load_dwordx4 s[20:23], s[6:7], 0xdc
	s_add_u32 s6, s6, 24
	s_waitcnt lgkmcnt(0)
	v_mul_hi_u32 v2, s17, v1
	s_addc_u32 s7, s7, 0
	s_add_i32 s9, s9, -2
	s_cmp_lg_u32 s9, 0
	v_add_u32_e32 v2, v1, v2
	v_lshrrev_b32_e32 v2, s18, v2
	v_mul_lo_u32 v3, v2, s16
	v_mul_hi_u32 v5, s10, v2
	v_sub_u32_e32 v3, v1, v3
	v_add_u32_e32 v1, v2, v5
	v_lshrrev_b32_e32 v1, s11, v1
	v_mul_lo_u32 v9, v1, s19
	v_mul_lo_u32 v5, v3, s20
	;; [unrolled: 1-line block ×4, first 2 shown]
	v_sub_u32_e32 v2, v2, v9
	v_mul_lo_u32 v9, v2, s23
	v_mul_lo_u32 v10, v2, s24
	;; [unrolled: 1-line block ×3, first 2 shown]
	v_add3_u32 v4, v5, v4, v9
	v_add3_u32 v17, v7, v17, v10
	;; [unrolled: 1-line block ×3, first 2 shown]
	s_cbranch_scc1 .LBB15_1638
; %bb.1639:
	s_bitcmp1_b32 s8, 0
	s_cselect_b64 s[8:9], -1, 0
	s_and_b64 vcc, exec, s[8:9]
	s_cbranch_vccnz .LBB15_1643
; %bb.1640:
	s_load_dwordx2 s[8:9], s[6:7], 0x1c
	s_load_dword s16, s[6:7], 0x24
	s_load_dwordx2 s[10:11], s[6:7], 0xdc
	s_waitcnt lgkmcnt(0)
	v_mul_hi_u32 v2, s9, v1
	v_add_u32_e32 v2, v1, v2
	v_lshrrev_b32_e32 v2, s16, v2
	v_mul_lo_u32 v2, v2, s8
	s_load_dword s8, s[6:7], 0xe4
	v_sub_u32_e32 v1, v1, v2
	v_mad_u64_u32 v[4:5], s[6:7], v1, s10, v[4:5]
	v_mad_u64_u32 v[17:18], s[6:7], v1, s11, v[17:18]
	s_waitcnt lgkmcnt(0)
	v_mad_u64_u32 v[15:16], s[6:7], v1, s8, v[15:16]
	s_cbranch_execz .LBB15_1644
	s_branch .LBB15_1646
.LBB15_1641:
                                        ; implicit-def: $vgpr4
                                        ; implicit-def: $vgpr17
                                        ; implicit-def: $vgpr15
	s_branch .LBB15_1644
.LBB15_1642:
	s_waitcnt vmcnt(0)
	v_mov_b32_e32 v4, 0
	v_mov_b32_e32 v17, 0
	v_mov_b32_e32 v15, 0
.LBB15_1643:
	s_cbranch_execnz .LBB15_1646
.LBB15_1644:
	s_load_dwordx4 s[8:11], s[2:3], 0x4
	s_load_dwordx4 s[16:19], s[2:3], 0xc4
	s_cmp_lt_u32 s33, 2
	s_waitcnt vmcnt(0) lgkmcnt(0)
	v_mul_hi_u32 v1, s9, v0
	v_add_u32_e32 v1, v0, v1
	v_lshrrev_b32_e32 v1, s10, v1
	v_mul_lo_u32 v2, v1, s8
	v_sub_u32_e32 v0, v0, v2
	v_mul_lo_u32 v4, v0, s16
	v_mul_lo_u32 v17, v0, s17
	;; [unrolled: 1-line block ×3, first 2 shown]
	s_cbranch_scc1 .LBB15_1646
; %bb.1645:
	s_load_dwordx4 s[8:11], s[2:3], 0x10
	s_load_dwordx4 s[16:19], s[2:3], 0xd0
	s_waitcnt lgkmcnt(0)
	v_mul_hi_u32 v0, s9, v1
	v_add_u32_e32 v0, v1, v0
	v_lshrrev_b32_e32 v0, s10, v0
	v_mul_lo_u32 v0, v0, s8
	v_sub_u32_e32 v0, v1, v0
	v_mad_u64_u32 v[4:5], s[6:7], v0, s16, v[4:5]
	v_mad_u64_u32 v[17:18], s[6:7], v0, s17, v[17:18]
	;; [unrolled: 1-line block ×3, first 2 shown]
.LBB15_1646:
	s_and_b64 vcc, exec, s[0:1]
	v_add_u32_e32 v0, 0x100, v8
	s_cbranch_vccnz .LBB15_1652
; %bb.1647:
	s_cmp_lg_u32 s33, 0
	s_cbranch_scc0 .LBB15_1653
; %bb.1648:
	s_min_u32 s8, s70, 15
	s_add_i32 s6, s8, 1
	s_and_b32 s9, s6, 30
	s_add_u32 s6, s2, 0xffffffe8
	s_addc_u32 s7, s3, -1
	v_mov_b32_e32 v11, 0
	v_mov_b32_e32 v13, 0
	s_waitcnt vmcnt(0)
	v_mov_b32_e32 v2, 0
	v_mov_b32_e32 v1, v0
.LBB15_1649:                            ; =>This Inner Loop Header: Depth=1
	s_load_dwordx4 s[16:19], s[6:7], 0x1c
	s_load_dwordx2 s[10:11], s[6:7], 0x2c
	s_load_dwordx2 s[24:25], s[6:7], 0xec
	s_load_dwordx4 s[20:23], s[6:7], 0xdc
	s_add_u32 s6, s6, 24
	s_waitcnt lgkmcnt(0)
	v_mul_hi_u32 v3, s17, v1
	s_addc_u32 s7, s7, 0
	s_add_i32 s9, s9, -2
	s_cmp_lg_u32 s9, 0
	v_add_u32_e32 v3, v1, v3
	v_lshrrev_b32_e32 v3, s18, v3
	v_mul_lo_u32 v5, v3, s16
	v_mul_hi_u32 v7, s10, v3
	v_sub_u32_e32 v5, v1, v5
	v_add_u32_e32 v1, v3, v7
	v_lshrrev_b32_e32 v1, s11, v1
	v_mul_lo_u32 v9, v1, s19
	v_mul_lo_u32 v7, v5, s20
	;; [unrolled: 1-line block ×4, first 2 shown]
	v_sub_u32_e32 v3, v3, v9
	v_mul_lo_u32 v9, v3, s23
	v_mul_lo_u32 v10, v3, s24
	;; [unrolled: 1-line block ×3, first 2 shown]
	v_add3_u32 v2, v7, v2, v9
	v_add3_u32 v13, v8, v13, v10
	;; [unrolled: 1-line block ×3, first 2 shown]
	s_cbranch_scc1 .LBB15_1649
; %bb.1650:
	s_bitcmp1_b32 s8, 0
	s_cselect_b64 s[8:9], -1, 0
	s_and_b64 vcc, exec, s[8:9]
	s_cbranch_vccnz .LBB15_1654
; %bb.1651:
	s_load_dwordx2 s[8:9], s[6:7], 0x1c
	s_load_dword s16, s[6:7], 0x24
	s_load_dwordx2 s[10:11], s[6:7], 0xdc
	s_waitcnt lgkmcnt(0)
	v_mul_hi_u32 v3, s9, v1
	v_add_u32_e32 v3, v1, v3
	v_lshrrev_b32_e32 v3, s16, v3
	v_mul_lo_u32 v3, v3, s8
	s_load_dword s8, s[6:7], 0xe4
	v_sub_u32_e32 v1, v1, v3
	v_mad_u64_u32 v[2:3], s[6:7], v1, s10, v[2:3]
	v_mad_u64_u32 v[13:14], s[6:7], v1, s11, v[13:14]
	s_waitcnt lgkmcnt(0)
	v_mad_u64_u32 v[11:12], s[6:7], v1, s8, v[11:12]
	s_cbranch_execz .LBB15_1655
	s_branch .LBB15_1657
.LBB15_1652:
                                        ; implicit-def: $vgpr2
                                        ; implicit-def: $vgpr13
                                        ; implicit-def: $vgpr11
	s_branch .LBB15_1655
.LBB15_1653:
	s_waitcnt vmcnt(0)
	v_mov_b32_e32 v2, 0
	v_mov_b32_e32 v13, 0
	;; [unrolled: 1-line block ×3, first 2 shown]
.LBB15_1654:
	s_cbranch_execnz .LBB15_1657
.LBB15_1655:
	s_load_dwordx4 s[8:11], s[2:3], 0x4
	s_load_dwordx4 s[16:19], s[2:3], 0xc4
	s_cmp_lt_u32 s33, 2
	s_waitcnt vmcnt(0) lgkmcnt(0)
	v_mul_hi_u32 v1, s9, v0
	v_add_u32_e32 v1, v0, v1
	v_lshrrev_b32_e32 v1, s10, v1
	v_mul_lo_u32 v2, v1, s8
	v_sub_u32_e32 v0, v0, v2
	v_mul_lo_u32 v2, v0, s16
	v_mul_lo_u32 v13, v0, s17
	;; [unrolled: 1-line block ×3, first 2 shown]
	s_cbranch_scc1 .LBB15_1657
; %bb.1656:
	s_load_dwordx4 s[8:11], s[2:3], 0x10
	s_load_dwordx4 s[16:19], s[2:3], 0xd0
	s_waitcnt lgkmcnt(0)
	v_mul_hi_u32 v0, s9, v1
	v_add_u32_e32 v0, v1, v0
	v_lshrrev_b32_e32 v0, s10, v0
	v_mul_lo_u32 v0, v0, s8
	v_sub_u32_e32 v0, v1, v0
	v_mad_u64_u32 v[2:3], s[6:7], v0, s16, v[2:3]
	v_mad_u64_u32 v[13:14], s[6:7], v0, s17, v[13:14]
	;; [unrolled: 1-line block ×3, first 2 shown]
.LBB15_1657:
	s_and_b64 vcc, exec, s[0:1]
	s_cbranch_vccnz .LBB15_1663
; %bb.1658:
	s_cmp_lg_u32 s33, 0
	s_cbranch_scc0 .LBB15_1664
; %bb.1659:
	s_min_u32 s6, s70, 15
	s_add_i32 s0, s6, 1
	s_and_b32 s7, s0, 30
	s_add_u32 s0, s2, 0xffffffe8
	s_addc_u32 s1, s3, -1
	s_waitcnt vmcnt(0)
	v_mov_b32_e32 v7, 0
	v_mov_b32_e32 v9, 0
	;; [unrolled: 1-line block ×4, first 2 shown]
.LBB15_1660:                            ; =>This Inner Loop Header: Depth=1
	s_load_dwordx4 s[8:11], s[0:1], 0x1c
	s_load_dwordx2 s[20:21], s[0:1], 0x2c
	s_load_dwordx2 s[22:23], s[0:1], 0xec
	s_load_dwordx4 s[16:19], s[0:1], 0xdc
	s_add_u32 s0, s0, 24
	s_waitcnt lgkmcnt(0)
	v_mul_hi_u32 v3, s9, v1
	s_addc_u32 s1, s1, 0
	s_add_i32 s7, s7, -2
	s_cmp_lg_u32 s7, 0
	v_add_u32_e32 v3, v1, v3
	v_lshrrev_b32_e32 v3, s10, v3
	v_mul_lo_u32 v5, v3, s8
	v_mul_hi_u32 v8, s20, v3
	v_sub_u32_e32 v5, v1, v5
	v_add_u32_e32 v1, v3, v8
	v_lshrrev_b32_e32 v1, s21, v1
	v_mul_lo_u32 v12, v1, s11
	v_mul_lo_u32 v8, v5, s16
	;; [unrolled: 1-line block ×4, first 2 shown]
	v_sub_u32_e32 v3, v3, v12
	v_mul_lo_u32 v12, v3, s19
	v_mul_lo_u32 v14, v3, s22
	;; [unrolled: 1-line block ×3, first 2 shown]
	v_add3_u32 v0, v8, v0, v12
	v_add3_u32 v9, v10, v9, v14
	;; [unrolled: 1-line block ×3, first 2 shown]
	s_cbranch_scc1 .LBB15_1660
; %bb.1661:
	s_bitcmp1_b32 s6, 0
	s_cselect_b64 s[6:7], -1, 0
	s_and_b64 vcc, exec, s[6:7]
	s_cbranch_vccnz .LBB15_1665
; %bb.1662:
	s_load_dwordx2 s[6:7], s[0:1], 0x1c
	s_load_dword s10, s[0:1], 0x24
	s_load_dwordx2 s[8:9], s[0:1], 0xdc
	s_waitcnt lgkmcnt(0)
	v_mul_hi_u32 v3, s7, v1
	v_add_u32_e32 v3, v1, v3
	v_lshrrev_b32_e32 v3, s10, v3
	v_mul_lo_u32 v3, v3, s6
	s_load_dword s6, s[0:1], 0xe4
	v_sub_u32_e32 v3, v1, v3
	v_mad_u64_u32 v[0:1], s[0:1], v3, s8, v[0:1]
	v_mad_u64_u32 v[9:10], s[0:1], v3, s9, v[9:10]
	s_waitcnt lgkmcnt(0)
	v_mad_u64_u32 v[7:8], s[0:1], v3, s6, v[7:8]
	s_cbranch_execz .LBB15_1666
	s_branch .LBB15_1668
.LBB15_1663:
                                        ; implicit-def: $vgpr0
                                        ; implicit-def: $vgpr9
                                        ; implicit-def: $vgpr7
	s_branch .LBB15_1666
.LBB15_1664:
	v_mov_b32_e32 v0, 0
	v_mov_b32_e32 v9, 0
	s_waitcnt vmcnt(0)
	v_mov_b32_e32 v7, 0
.LBB15_1665:
	s_cbranch_execnz .LBB15_1668
.LBB15_1666:
	s_load_dwordx4 s[8:11], s[2:3], 0x4
	s_load_dwordx4 s[16:19], s[2:3], 0xc4
	s_cmp_lt_u32 s33, 2
	s_waitcnt lgkmcnt(0)
	v_mul_hi_u32 v0, s9, v23
	v_add_u32_e32 v0, v23, v0
	s_waitcnt vmcnt(0)
	v_lshrrev_b32_e32 v1, s10, v0
	v_mul_lo_u32 v0, v1, s8
	v_sub_u32_e32 v3, v23, v0
	v_mul_lo_u32 v0, v3, s16
	v_mul_lo_u32 v9, v3, s17
	;; [unrolled: 1-line block ×3, first 2 shown]
	s_cbranch_scc1 .LBB15_1668
; %bb.1667:
	s_load_dwordx4 s[8:11], s[2:3], 0x10
	s_load_dwordx4 s[16:19], s[2:3], 0xd0
	s_waitcnt lgkmcnt(0)
	v_mul_hi_u32 v3, s9, v1
	v_add_u32_e32 v3, v1, v3
	v_lshrrev_b32_e32 v3, s10, v3
	v_mul_lo_u32 v3, v3, s8
	v_sub_u32_e32 v3, v1, v3
	v_mad_u64_u32 v[0:1], s[0:1], v3, s16, v[0:1]
	v_mad_u64_u32 v[9:10], s[0:1], v3, s17, v[9:10]
	;; [unrolled: 1-line block ×3, first 2 shown]
.LBB15_1668:
	s_load_dwordx4 s[8:11], s[2:3], 0x188
	s_load_dword s22, s[4:5], 0x1ac
	s_waitcnt vmcnt(0) lgkmcnt(0)
	v_mov_b32_e32 v1, s11
	s_bfe_u32 s18, s22, 0x80008
	v_add_co_u32_e32 v22, vcc, s10, v21
	s_cmp_lt_i32 s18, 11
	v_addc_co_u32_e32 v23, vcc, 0, v1, vcc
	s_cbranch_scc1 .LBB15_1675
; %bb.1669:
	s_and_b32 s19, 0xffff, s18
	s_cmp_gt_i32 s19, 25
	s_mov_b64 s[6:7], 0
	s_cbranch_scc0 .LBB15_1677
; %bb.1670:
	s_cmp_gt_i32 s19, 28
	s_cbranch_scc0 .LBB15_1678
; %bb.1671:
	s_cmp_gt_i32 s19, 43
	;; [unrolled: 3-line block ×3, first 2 shown]
	s_cbranch_scc0 .LBB15_1680
; %bb.1673:
	s_cmp_eq_u32 s19, 46
	s_mov_b64 s[4:5], 0
	s_cbranch_scc0 .LBB15_1683
; %bb.1674:
	global_load_dword v1, v[22:23], off
	s_mov_b32 s0, 0x2f800000
	s_mov_b32 s1, 0xcf800000
	s_mov_b64 s[16:17], -1
	s_waitcnt vmcnt(0)
	v_lshlrev_b32_e32 v1, 16, v1
	v_trunc_f32_e32 v1, v1
	v_mul_f32_e64 v3, |v1|, s0
	v_floor_f32_e32 v3, v3
	v_fma_f32 v3, v3, s1, |v1|
	v_cvt_u32_f32_e32 v3, v3
	v_ashrrev_i32_e32 v1, 31, v1
	s_mov_b64 s[0:1], 0
	v_xor_b32_e32 v3, v3, v1
	v_sub_u32_e32 v20, v3, v1
	s_branch .LBB15_1684
.LBB15_1675:
	s_mov_b64 s[16:17], 0
                                        ; implicit-def: $vgpr20
	s_mov_b64 s[4:5], s[12:13]
	s_cbranch_execnz .LBB15_1742
.LBB15_1676:
	s_andn2_b64 vcc, exec, s[16:17]
	s_cbranch_vccz .LBB15_1787
	s_branch .LBB15_2723
.LBB15_1677:
	s_mov_b64 s[16:17], 0
	s_mov_b64 s[0:1], 0
                                        ; implicit-def: $vgpr20
	s_cbranch_execnz .LBB15_1709
	s_branch .LBB15_1738
.LBB15_1678:
	s_mov_b64 s[16:17], 0
	s_mov_b64 s[0:1], 0
                                        ; implicit-def: $vgpr20
	s_cbranch_execz .LBB15_1708
	s_branch .LBB15_1693
.LBB15_1679:
	s_mov_b64 s[16:17], 0
	s_mov_b64 s[0:1], 0
                                        ; implicit-def: $vgpr20
	s_cbranch_execnz .LBB15_1689
	s_branch .LBB15_1692
.LBB15_1680:
	s_mov_b64 s[4:5], -1
	s_mov_b64 s[16:17], 0
	s_mov_b64 s[0:1], 0
                                        ; implicit-def: $vgpr20
	s_branch .LBB15_1684
.LBB15_1681:
	s_andn2_saveexec_b64 s[18:19], s[18:19]
	s_cbranch_execz .LBB15_1535
.LBB15_1682:
	v_add_f32_e32 v0, 0x46000000, v1
	v_and_b32_e32 v0, 0xff, v0
	v_cmp_ne_u32_e32 vcc, 0, v0
	s_andn2_b64 s[14:15], s[14:15], exec
	s_and_b64 s[20:21], vcc, exec
	s_or_b64 s[14:15], s[14:15], s[20:21]
	s_or_b64 exec, exec, s[18:19]
	v_mov_b32_e32 v4, 0
	s_and_saveexec_b64 s[18:19], s[14:15]
	s_cbranch_execnz .LBB15_1536
	s_branch .LBB15_1537
.LBB15_1683:
	s_mov_b64 s[0:1], -1
                                        ; implicit-def: $vgpr20
	s_mov_b64 s[16:17], 0
.LBB15_1684:
	s_and_b64 vcc, exec, s[4:5]
	s_cbranch_vccz .LBB15_1687
; %bb.1685:
	s_cmp_eq_u32 s19, 44
	s_cbranch_scc0 .LBB15_1688
; %bb.1686:
	global_load_ubyte v1, v[22:23], off
	s_mov_b32 s0, 0x2f800000
	s_mov_b32 s1, 0xcf800000
	s_mov_b64 s[16:17], -1
	s_waitcnt vmcnt(0)
	v_lshlrev_b32_e32 v3, 23, v1
	v_trunc_f32_e32 v3, v3
	v_mul_f32_e64 v5, |v3|, s0
	v_floor_f32_e32 v5, v5
	v_fma_f32 v5, v5, s1, |v3|
	v_cvt_u32_f32_e32 v5, v5
	v_ashrrev_i32_e32 v3, 31, v3
	v_cmp_ne_u32_e32 vcc, 0, v1
	s_mov_b64 s[0:1], 0
	v_xor_b32_e32 v5, v5, v3
	v_sub_u32_e32 v3, v5, v3
	v_cndmask_b32_e32 v20, 0, v3, vcc
.LBB15_1687:
	s_branch .LBB15_1692
.LBB15_1688:
	s_mov_b64 s[0:1], -1
                                        ; implicit-def: $vgpr20
	s_branch .LBB15_1692
.LBB15_1689:
	s_cmp_eq_u32 s19, 29
	s_cbranch_scc0 .LBB15_1691
; %bb.1690:
	global_load_dwordx2 v[20:21], v[22:23], off
	s_mov_b64 s[0:1], 0
	s_mov_b64 s[16:17], -1
	s_branch .LBB15_1692
.LBB15_1691:
	s_mov_b64 s[0:1], -1
                                        ; implicit-def: $vgpr20
.LBB15_1692:
	s_branch .LBB15_1708
.LBB15_1693:
	s_cmp_lt_i32 s19, 27
	s_cbranch_scc1 .LBB15_1696
; %bb.1694:
	s_cmp_gt_i32 s19, 27
	s_cbranch_scc0 .LBB15_1697
; %bb.1695:
	global_load_dword v20, v[22:23], off
	s_mov_b64 s[4:5], 0
	s_branch .LBB15_1698
.LBB15_1696:
	s_mov_b64 s[4:5], -1
                                        ; implicit-def: $vgpr20
	s_branch .LBB15_1701
.LBB15_1697:
	s_mov_b64 s[4:5], -1
                                        ; implicit-def: $vgpr20
.LBB15_1698:
	s_andn2_b64 vcc, exec, s[4:5]
	s_cbranch_vccnz .LBB15_1700
; %bb.1699:
	global_load_ushort v20, v[22:23], off
.LBB15_1700:
	s_mov_b64 s[4:5], 0
.LBB15_1701:
	s_andn2_b64 vcc, exec, s[4:5]
	s_cbranch_vccnz .LBB15_1707
; %bb.1702:
	global_load_ubyte v1, v[22:23], off
	s_movk_i32 s4, 0x7f
	s_mov_b64 s[16:17], 0
	s_waitcnt vmcnt(0)
	v_cmp_lt_i16_e32 vcc, s4, v1
	s_and_saveexec_b64 s[4:5], vcc
	s_xor_b64 s[4:5], exec, s[4:5]
	s_cbranch_execz .LBB15_1718
; %bb.1703:
	s_movk_i32 s16, 0x80
	v_cmp_ne_u16_e32 vcc, s16, v1
	s_and_b64 s[16:17], vcc, exec
	s_andn2_saveexec_b64 s[4:5], s[4:5]
	s_cbranch_execnz .LBB15_1719
.LBB15_1704:
	s_or_b64 exec, exec, s[4:5]
	v_mov_b32_e32 v20, 0
	s_and_saveexec_b64 s[4:5], s[16:17]
	s_cbranch_execz .LBB15_1706
.LBB15_1705:
	v_lshlrev_b32_e32 v3, 24, v1
	v_and_b32_e32 v1, 0xffff, v1
	v_and_b32_e32 v5, 7, v1
	v_ffbh_u32_e32 v10, v5
	v_min_u32_e32 v10, 32, v10
	v_subrev_u32_e32 v12, 28, v10
	v_bfe_u32 v8, v1, 3, 4
	v_lshlrev_b32_e32 v1, v12, v1
	v_sub_u32_e32 v10, 29, v10
	v_and_b32_e32 v1, 7, v1
	v_cmp_eq_u32_e32 vcc, 0, v8
	v_cndmask_b32_e32 v8, v8, v10, vcc
	v_cndmask_b32_e32 v1, v5, v1, vcc
	v_mov_b32_e32 v5, 0x3b800000
	v_lshlrev_b32_e32 v1, 20, v1
	v_and_b32_e32 v3, 0x80000000, v3
	v_lshl_add_u32 v5, v8, 23, v5
	v_or3_b32 v1, v3, v5, v1
	v_trunc_f32_e32 v1, v1
	s_mov_b32 s16, 0x2f800000
	v_mul_f32_e64 v3, |v1|, s16
	v_floor_f32_e32 v3, v3
	s_mov_b32 s16, 0xcf800000
	v_fma_f32 v3, v3, s16, |v1|
	v_cvt_u32_f32_e32 v3, v3
	v_ashrrev_i32_e32 v1, 31, v1
	v_xor_b32_e32 v3, v3, v1
	v_sub_u32_e32 v20, v3, v1
.LBB15_1706:
	s_or_b64 exec, exec, s[4:5]
.LBB15_1707:
	s_mov_b64 s[16:17], -1
.LBB15_1708:
	s_branch .LBB15_1738
.LBB15_1709:
	s_cmp_gt_i32 s19, 22
	s_cbranch_scc0 .LBB15_1717
; %bb.1710:
	s_cmp_lt_i32 s19, 24
	s_cbranch_scc1 .LBB15_1720
; %bb.1711:
	s_cmp_gt_i32 s19, 24
	s_cbranch_scc0 .LBB15_1721
; %bb.1712:
	global_load_ubyte v1, v[22:23], off
	s_movk_i32 s4, 0x7f
	s_waitcnt vmcnt(0)
	v_cmp_lt_i16_e32 vcc, s4, v1
	s_and_saveexec_b64 s[4:5], vcc
	s_xor_b64 s[4:5], exec, s[4:5]
	s_cbranch_execz .LBB15_1732
; %bb.1713:
	s_movk_i32 s6, 0x80
	v_cmp_ne_u16_e32 vcc, s6, v1
	s_and_b64 s[6:7], vcc, exec
	s_andn2_saveexec_b64 s[4:5], s[4:5]
	s_cbranch_execnz .LBB15_1733
.LBB15_1714:
	s_or_b64 exec, exec, s[4:5]
	v_mov_b32_e32 v20, 0
	s_and_saveexec_b64 s[4:5], s[6:7]
	s_cbranch_execz .LBB15_1716
.LBB15_1715:
	v_lshlrev_b32_e32 v3, 24, v1
	v_and_b32_e32 v1, 0xffff, v1
	v_and_b32_e32 v5, 3, v1
	v_ffbh_u32_e32 v10, v5
	v_min_u32_e32 v10, 32, v10
	v_subrev_u32_e32 v12, 29, v10
	v_bfe_u32 v8, v1, 2, 5
	v_lshlrev_b32_e32 v1, v12, v1
	v_sub_u32_e32 v10, 30, v10
	v_and_b32_e32 v1, 3, v1
	v_cmp_eq_u32_e32 vcc, 0, v8
	v_cndmask_b32_e32 v8, v8, v10, vcc
	v_cndmask_b32_e32 v1, v5, v1, vcc
	v_mov_b32_e32 v5, 0x37800000
	v_lshlrev_b32_e32 v1, 21, v1
	v_and_b32_e32 v3, 0x80000000, v3
	v_lshl_add_u32 v5, v8, 23, v5
	v_or3_b32 v1, v3, v5, v1
	v_trunc_f32_e32 v1, v1
	s_mov_b32 s6, 0x2f800000
	v_mul_f32_e64 v3, |v1|, s6
	v_floor_f32_e32 v3, v3
	s_mov_b32 s6, 0xcf800000
	v_fma_f32 v3, v3, s6, |v1|
	v_cvt_u32_f32_e32 v3, v3
	v_ashrrev_i32_e32 v1, 31, v1
	v_xor_b32_e32 v3, v3, v1
	v_sub_u32_e32 v20, v3, v1
.LBB15_1716:
	s_or_b64 exec, exec, s[4:5]
	s_mov_b64 s[4:5], 0
	s_branch .LBB15_1722
.LBB15_1717:
                                        ; implicit-def: $vgpr20
	s_mov_b64 s[6:7], 0
	s_branch .LBB15_1728
.LBB15_1718:
	s_andn2_saveexec_b64 s[4:5], s[4:5]
	s_cbranch_execz .LBB15_1704
.LBB15_1719:
	v_cmp_ne_u16_e32 vcc, 0, v1
	s_andn2_b64 s[16:17], s[16:17], exec
	s_and_b64 s[20:21], vcc, exec
	s_or_b64 s[16:17], s[16:17], s[20:21]
	s_or_b64 exec, exec, s[4:5]
	v_mov_b32_e32 v20, 0
	s_and_saveexec_b64 s[4:5], s[16:17]
	s_cbranch_execnz .LBB15_1705
	s_branch .LBB15_1706
.LBB15_1720:
	s_mov_b64 s[4:5], -1
                                        ; implicit-def: $vgpr20
	s_branch .LBB15_1725
.LBB15_1721:
	s_mov_b64 s[4:5], -1
                                        ; implicit-def: $vgpr20
.LBB15_1722:
	s_and_b64 vcc, exec, s[4:5]
	s_cbranch_vccz .LBB15_1724
; %bb.1723:
	global_load_ubyte v1, v[22:23], off
	s_mov_b32 s4, 0x7f800000
	s_brev_b32 s5, 1
	s_mov_b32 s6, 0x2f800000
	s_waitcnt vmcnt(0)
	v_lshlrev_b32_e32 v1, 24, v1
	v_and_b32_e32 v3, 0x7f000000, v1
	v_ffbh_u32_e32 v5, v3
	v_min_u32_e32 v5, 32, v5
	v_sub_u32_e64 v5, v5, 4 clamp
	v_lshlrev_b32_e32 v10, v5, v3
	v_lshlrev_b32_e32 v5, 23, v5
	v_lshrrev_b32_e32 v10, 4, v10
	v_add_u32_e32 v8, 0x1000000, v3
	v_sub_u32_e32 v5, v10, v5
	v_ashrrev_i32_e32 v8, 8, v8
	v_add_u32_e32 v5, 0x3c000000, v5
	v_and_or_b32 v5, v8, s4, v5
	v_cmp_ne_u32_e32 vcc, 0, v3
	v_cndmask_b32_e32 v3, 0, v5, vcc
	v_and_or_b32 v1, v1, s5, v3
	v_trunc_f32_e32 v1, v1
	v_mul_f32_e64 v3, |v1|, s6
	v_floor_f32_e32 v3, v3
	s_mov_b32 s4, 0xcf800000
	v_fma_f32 v3, v3, s4, |v1|
	v_cvt_u32_f32_e32 v3, v3
	v_ashrrev_i32_e32 v1, 31, v1
	v_xor_b32_e32 v3, v3, v1
	v_sub_u32_e32 v20, v3, v1
.LBB15_1724:
	s_mov_b64 s[4:5], 0
.LBB15_1725:
	s_andn2_b64 vcc, exec, s[4:5]
	s_cbranch_vccnz .LBB15_1727
; %bb.1726:
	global_load_ubyte v1, v[22:23], off
	s_movk_i32 s4, 0x7f00
	s_brev_b32 s5, 16
	s_brev_b32 s6, 1
	s_mov_b32 s7, 0x2f800000
	s_waitcnt vmcnt(0)
	v_lshlrev_b16_e32 v3, 8, v1
	v_lshlrev_b32_e32 v1, 25, v1
	v_lshrrev_b32_e32 v5, 4, v1
	v_and_or_b32 v8, v3, s4, 0.5
	v_or_b32_e32 v5, 0x70000000, v5
	v_add_f32_e32 v8, -0.5, v8
	v_mul_f32_e32 v5, 0x7800000, v5
	v_cmp_gt_u32_e32 vcc, s5, v1
	v_bfe_i32 v3, v3, 0, 16
	v_cndmask_b32_e32 v1, v5, v8, vcc
	v_and_or_b32 v1, v3, s6, v1
	v_trunc_f32_e32 v1, v1
	v_mul_f32_e64 v3, |v1|, s7
	v_floor_f32_e32 v3, v3
	s_mov_b32 s4, 0xcf800000
	v_fma_f32 v3, v3, s4, |v1|
	v_cvt_u32_f32_e32 v3, v3
	v_ashrrev_i32_e32 v1, 31, v1
	v_xor_b32_e32 v3, v3, v1
	v_sub_u32_e32 v20, v3, v1
.LBB15_1727:
	s_mov_b64 s[16:17], -1
	s_mov_b64 s[6:7], 0
	s_cbranch_execnz .LBB15_1738
.LBB15_1728:
	s_cmp_gt_i32 s19, 14
	s_cbranch_scc0 .LBB15_1731
; %bb.1729:
	s_cmp_eq_u32 s19, 15
	s_cbranch_scc0 .LBB15_1734
; %bb.1730:
	global_load_ushort v1, v[22:23], off
	s_mov_b32 s0, 0x2f800000
	s_mov_b32 s1, 0xcf800000
	s_mov_b64 s[16:17], -1
	s_waitcnt vmcnt(0)
	v_lshlrev_b32_e32 v1, 16, v1
	v_trunc_f32_e32 v1, v1
	v_mul_f32_e64 v3, |v1|, s0
	v_floor_f32_e32 v3, v3
	v_fma_f32 v3, v3, s1, |v1|
	v_cvt_u32_f32_e32 v3, v3
	v_ashrrev_i32_e32 v1, 31, v1
	s_mov_b64 s[0:1], 0
	v_xor_b32_e32 v3, v3, v1
	v_sub_u32_e32 v20, v3, v1
	s_branch .LBB15_1735
.LBB15_1731:
	s_mov_b64 s[4:5], -1
                                        ; implicit-def: $vgpr20
	s_branch .LBB15_1736
.LBB15_1732:
	s_andn2_saveexec_b64 s[4:5], s[4:5]
	s_cbranch_execz .LBB15_1714
.LBB15_1733:
	v_cmp_ne_u16_e32 vcc, 0, v1
	s_andn2_b64 s[6:7], s[6:7], exec
	s_and_b64 s[16:17], vcc, exec
	s_or_b64 s[6:7], s[6:7], s[16:17]
	s_or_b64 exec, exec, s[4:5]
	v_mov_b32_e32 v20, 0
	s_and_saveexec_b64 s[4:5], s[6:7]
	s_cbranch_execnz .LBB15_1715
	s_branch .LBB15_1716
.LBB15_1734:
	s_mov_b64 s[0:1], -1
                                        ; implicit-def: $vgpr20
.LBB15_1735:
	s_mov_b64 s[4:5], 0
.LBB15_1736:
	s_and_b64 vcc, exec, s[4:5]
	s_cbranch_vccz .LBB15_1738
; %bb.1737:
	s_cmp_lg_u32 s19, 11
	s_mov_b64 s[6:7], -1
	s_cselect_b64 s[0:1], -1, 0
.LBB15_1738:
	s_and_b64 vcc, exec, s[0:1]
	s_mov_b64 s[4:5], s[12:13]
	s_cbranch_vccnz .LBB15_1799
; %bb.1739:
	s_andn2_b64 vcc, exec, s[6:7]
	s_cbranch_vccnz .LBB15_1741
.LBB15_1740:
	global_load_ubyte v1, v[22:23], off
	s_mov_b64 s[16:17], -1
	s_waitcnt vmcnt(0)
	v_cmp_ne_u16_e32 vcc, 0, v1
	v_cndmask_b32_e64 v20, 0, 1, vcc
.LBB15_1741:
	s_branch .LBB15_1676
.LBB15_1742:
	s_and_b32 s6, 0xffff, s18
	s_cmp_lt_i32 s6, 5
	s_cbranch_scc1 .LBB15_1747
; %bb.1743:
	s_cmp_lt_i32 s6, 8
	s_cbranch_scc1 .LBB15_1748
; %bb.1744:
	s_cmp_lt_i32 s6, 9
	s_cbranch_scc1 .LBB15_1749
; %bb.1745:
	s_cmp_gt_i32 s6, 9
	s_cbranch_scc0 .LBB15_1750
; %bb.1746:
	global_load_dwordx2 v[20:21], v[22:23], off
	s_movk_i32 s0, 0xffe0
	s_waitcnt vmcnt(0)
	v_trunc_f64_e32 v[20:21], v[20:21]
	v_ldexp_f64 v[24:25], v[20:21], s0
	s_mov_b32 s0, 0
	s_mov_b32 s1, 0xc1f00000
	v_floor_f64_e32 v[24:25], v[24:25]
	v_fma_f64 v[20:21], v[24:25], s[0:1], v[20:21]
	s_mov_b64 s[0:1], 0
	v_cvt_u32_f64_e32 v20, v[20:21]
	s_branch .LBB15_1751
.LBB15_1747:
                                        ; implicit-def: $vgpr20
	s_branch .LBB15_1768
.LBB15_1748:
                                        ; implicit-def: $vgpr20
	s_branch .LBB15_1757
.LBB15_1749:
	s_mov_b64 s[0:1], -1
                                        ; implicit-def: $vgpr20
	s_branch .LBB15_1754
.LBB15_1750:
	s_mov_b64 s[0:1], -1
                                        ; implicit-def: $vgpr20
.LBB15_1751:
	s_andn2_b64 vcc, exec, s[0:1]
	s_cbranch_vccnz .LBB15_1753
; %bb.1752:
	global_load_dword v1, v[22:23], off
	s_mov_b32 s0, 0x2f800000
	s_waitcnt vmcnt(0)
	v_trunc_f32_e32 v1, v1
	v_mul_f32_e64 v3, |v1|, s0
	v_floor_f32_e32 v3, v3
	s_mov_b32 s0, 0xcf800000
	v_fma_f32 v3, v3, s0, |v1|
	v_cvt_u32_f32_e32 v3, v3
	v_ashrrev_i32_e32 v1, 31, v1
	v_xor_b32_e32 v3, v3, v1
	v_sub_u32_e32 v20, v3, v1
.LBB15_1753:
	s_mov_b64 s[0:1], 0
.LBB15_1754:
	s_andn2_b64 vcc, exec, s[0:1]
	s_cbranch_vccnz .LBB15_1756
; %bb.1755:
	global_load_dword v1, v[22:23], off
	s_waitcnt vmcnt(0)
	v_cvt_f32_f16_e32 v1, v1
	v_cvt_i32_f32_e32 v20, v1
.LBB15_1756:
	s_cbranch_execnz .LBB15_1767
.LBB15_1757:
	s_cmp_lt_i32 s6, 6
	s_cbranch_scc1 .LBB15_1760
; %bb.1758:
	s_cmp_gt_i32 s6, 6
	s_cbranch_scc0 .LBB15_1761
; %bb.1759:
	global_load_dwordx2 v[20:21], v[22:23], off
	s_movk_i32 s0, 0xffe0
	s_waitcnt vmcnt(0)
	v_trunc_f64_e32 v[20:21], v[20:21]
	v_ldexp_f64 v[24:25], v[20:21], s0
	s_mov_b32 s0, 0
	s_mov_b32 s1, 0xc1f00000
	v_floor_f64_e32 v[24:25], v[24:25]
	v_fma_f64 v[20:21], v[24:25], s[0:1], v[20:21]
	s_mov_b64 s[0:1], 0
	v_cvt_u32_f64_e32 v20, v[20:21]
	s_branch .LBB15_1762
.LBB15_1760:
	s_mov_b64 s[0:1], -1
                                        ; implicit-def: $vgpr20
	s_branch .LBB15_1765
.LBB15_1761:
	s_mov_b64 s[0:1], -1
                                        ; implicit-def: $vgpr20
.LBB15_1762:
	s_andn2_b64 vcc, exec, s[0:1]
	s_cbranch_vccnz .LBB15_1764
; %bb.1763:
	global_load_dword v1, v[22:23], off
	s_mov_b32 s0, 0x2f800000
	s_waitcnt vmcnt(0)
	v_trunc_f32_e32 v1, v1
	v_mul_f32_e64 v3, |v1|, s0
	v_floor_f32_e32 v3, v3
	s_mov_b32 s0, 0xcf800000
	v_fma_f32 v3, v3, s0, |v1|
	v_cvt_u32_f32_e32 v3, v3
	v_ashrrev_i32_e32 v1, 31, v1
	v_xor_b32_e32 v3, v3, v1
	v_sub_u32_e32 v20, v3, v1
.LBB15_1764:
	s_mov_b64 s[0:1], 0
.LBB15_1765:
	s_andn2_b64 vcc, exec, s[0:1]
	s_cbranch_vccnz .LBB15_1767
; %bb.1766:
	global_load_ushort v1, v[22:23], off
	s_waitcnt vmcnt(0)
	v_cvt_f32_f16_e32 v1, v1
	v_cvt_i32_f32_e32 v20, v1
.LBB15_1767:
	s_cbranch_execnz .LBB15_1786
.LBB15_1768:
	s_cmp_lt_i32 s6, 2
	s_cbranch_scc1 .LBB15_1772
; %bb.1769:
	s_cmp_lt_i32 s6, 3
	s_cbranch_scc1 .LBB15_1773
; %bb.1770:
	s_cmp_gt_i32 s6, 3
	s_cbranch_scc0 .LBB15_1774
; %bb.1771:
	global_load_dwordx2 v[20:21], v[22:23], off
	s_mov_b64 s[0:1], 0
	s_branch .LBB15_1775
.LBB15_1772:
                                        ; implicit-def: $vgpr20
	s_branch .LBB15_1781
.LBB15_1773:
	s_mov_b64 s[0:1], -1
                                        ; implicit-def: $vgpr20
	s_branch .LBB15_1778
.LBB15_1774:
	s_mov_b64 s[0:1], -1
                                        ; implicit-def: $vgpr20
.LBB15_1775:
	s_andn2_b64 vcc, exec, s[0:1]
	s_cbranch_vccnz .LBB15_1777
; %bb.1776:
	global_load_dword v20, v[22:23], off
.LBB15_1777:
	s_mov_b64 s[0:1], 0
.LBB15_1778:
	s_andn2_b64 vcc, exec, s[0:1]
	s_cbranch_vccnz .LBB15_1780
; %bb.1779:
	global_load_ushort v20, v[22:23], off
.LBB15_1780:
	s_cbranch_execnz .LBB15_1786
.LBB15_1781:
	s_cmp_gt_i32 s6, 0
	s_cbranch_scc0 .LBB15_1783
; %bb.1782:
	global_load_ubyte v20, v[22:23], off
	s_mov_b64 s[0:1], 0
	s_branch .LBB15_1784
.LBB15_1783:
	s_mov_b64 s[0:1], -1
                                        ; implicit-def: $vgpr20
.LBB15_1784:
	s_andn2_b64 vcc, exec, s[0:1]
	s_cbranch_vccnz .LBB15_1786
; %bb.1785:
	global_load_ubyte v20, v[22:23], off
.LBB15_1786:
.LBB15_1787:
	s_load_dwordx2 s[0:1], s[2:3], 0x198
	s_bfe_u32 s23, s22, 0x80010
	s_cmp_lt_i32 s23, 11
	s_waitcnt lgkmcnt(0)
	v_mov_b32_e32 v1, s1
	v_add_co_u32_e32 v18, vcc, s0, v19
	v_addc_co_u32_e32 v19, vcc, 0, v1, vcc
	s_cbranch_scc1 .LBB15_1794
; %bb.1788:
	s_and_b32 s24, 0xffff, s23
	s_cmp_gt_i32 s24, 25
	s_mov_b64 s[16:17], 0
	s_cbranch_scc0 .LBB15_1796
; %bb.1789:
	s_cmp_gt_i32 s24, 28
	s_cbranch_scc0 .LBB15_1797
; %bb.1790:
	s_cmp_gt_i32 s24, 43
	;; [unrolled: 3-line block ×3, first 2 shown]
	s_cbranch_scc0 .LBB15_1800
; %bb.1792:
	s_cmp_eq_u32 s24, 46
	s_mov_b64 s[20:21], 0
	s_cbranch_scc0 .LBB15_1803
; %bb.1793:
	global_load_dword v1, v[18:19], off
	s_mov_b32 s6, 0x2f800000
	s_mov_b32 s7, 0xcf800000
	s_mov_b64 s[18:19], -1
	s_waitcnt vmcnt(0)
	v_lshlrev_b32_e32 v1, 16, v1
	v_trunc_f32_e32 v1, v1
	v_mul_f32_e64 v3, |v1|, s6
	v_floor_f32_e32 v3, v3
	v_fma_f32 v3, v3, s7, |v1|
	v_cvt_u32_f32_e32 v3, v3
	v_ashrrev_i32_e32 v1, 31, v1
	s_mov_b64 s[6:7], 0
	v_xor_b32_e32 v3, v3, v1
	v_sub_u32_e32 v21, v3, v1
	s_branch .LBB15_1804
.LBB15_1794:
	s_mov_b64 s[18:19], 0
                                        ; implicit-def: $vgpr21
	s_cbranch_execnz .LBB15_1865
.LBB15_1795:
	s_andn2_b64 vcc, exec, s[18:19]
	s_cbranch_vccnz .LBB15_2723
	s_branch .LBB15_1912
.LBB15_1796:
	s_mov_b64 s[18:19], 0
	s_mov_b64 s[6:7], 0
                                        ; implicit-def: $vgpr21
	s_cbranch_execnz .LBB15_1831
	s_branch .LBB15_1861
.LBB15_1797:
	s_mov_b64 s[20:21], -1
	s_mov_b64 s[18:19], 0
	s_mov_b64 s[6:7], 0
                                        ; implicit-def: $vgpr21
	s_branch .LBB15_1814
.LBB15_1798:
	s_mov_b64 s[20:21], -1
	s_mov_b64 s[18:19], 0
	s_mov_b64 s[6:7], 0
                                        ; implicit-def: $vgpr21
	s_branch .LBB15_1809
.LBB15_1799:
	s_or_b64 s[4:5], s[12:13], exec
	s_trap 2
	s_cbranch_execz .LBB15_1740
	s_branch .LBB15_1741
.LBB15_1800:
	s_mov_b64 s[20:21], -1
	s_mov_b64 s[18:19], 0
	s_mov_b64 s[6:7], 0
                                        ; implicit-def: $vgpr21
	s_branch .LBB15_1804
.LBB15_1801:
	s_andn2_saveexec_b64 s[20:21], s[20:21]
	s_cbranch_execz .LBB15_1547
.LBB15_1802:
	v_add_f32_e32 v0, 0x42800000, v1
	v_and_b32_e32 v0, 0xff, v0
	v_cmp_ne_u32_e32 vcc, 0, v0
	s_andn2_b64 s[18:19], s[18:19], exec
	s_and_b64 s[30:31], vcc, exec
	s_or_b64 s[18:19], s[18:19], s[30:31]
	s_or_b64 exec, exec, s[20:21]
	v_mov_b32_e32 v4, 0
	s_and_saveexec_b64 s[20:21], s[18:19]
	s_cbranch_execnz .LBB15_1548
	s_branch .LBB15_1549
.LBB15_1803:
	s_mov_b64 s[6:7], -1
                                        ; implicit-def: $vgpr21
	s_mov_b64 s[18:19], 0
.LBB15_1804:
	s_and_b64 vcc, exec, s[20:21]
	s_cbranch_vccz .LBB15_1808
; %bb.1805:
	s_cmp_eq_u32 s24, 44
	s_cbranch_scc0 .LBB15_1807
; %bb.1806:
	global_load_ubyte v1, v[18:19], off
	s_mov_b32 s6, 0x2f800000
	s_mov_b32 s7, 0xcf800000
	s_mov_b64 s[18:19], -1
	s_waitcnt vmcnt(0)
	v_lshlrev_b32_e32 v3, 23, v1
	v_trunc_f32_e32 v3, v3
	v_mul_f32_e64 v5, |v3|, s6
	v_floor_f32_e32 v5, v5
	v_fma_f32 v5, v5, s7, |v3|
	v_cvt_u32_f32_e32 v5, v5
	v_ashrrev_i32_e32 v3, 31, v3
	v_cmp_ne_u32_e32 vcc, 0, v1
	s_mov_b64 s[6:7], 0
	v_xor_b32_e32 v5, v5, v3
	v_sub_u32_e32 v3, v5, v3
	v_cndmask_b32_e32 v21, 0, v3, vcc
	s_branch .LBB15_1808
.LBB15_1807:
	s_mov_b64 s[6:7], -1
                                        ; implicit-def: $vgpr21
.LBB15_1808:
	s_mov_b64 s[20:21], 0
.LBB15_1809:
	s_and_b64 vcc, exec, s[20:21]
	s_cbranch_vccz .LBB15_1813
; %bb.1810:
	s_cmp_eq_u32 s24, 29
	s_cbranch_scc0 .LBB15_1812
; %bb.1811:
	global_load_dwordx2 v[21:22], v[18:19], off
	s_mov_b64 s[6:7], 0
	s_mov_b64 s[18:19], -1
	s_branch .LBB15_1813
.LBB15_1812:
	s_mov_b64 s[6:7], -1
                                        ; implicit-def: $vgpr21
.LBB15_1813:
	s_mov_b64 s[20:21], 0
.LBB15_1814:
	s_and_b64 vcc, exec, s[20:21]
	s_cbranch_vccz .LBB15_1830
; %bb.1815:
	s_cmp_lt_i32 s24, 27
	s_cbranch_scc1 .LBB15_1818
; %bb.1816:
	s_cmp_gt_i32 s24, 27
	s_cbranch_scc0 .LBB15_1819
; %bb.1817:
	global_load_dword v21, v[18:19], off
	s_mov_b64 s[18:19], 0
	s_branch .LBB15_1820
.LBB15_1818:
	s_mov_b64 s[18:19], -1
                                        ; implicit-def: $vgpr21
	s_branch .LBB15_1823
.LBB15_1819:
	s_mov_b64 s[18:19], -1
                                        ; implicit-def: $vgpr21
.LBB15_1820:
	s_andn2_b64 vcc, exec, s[18:19]
	s_cbranch_vccnz .LBB15_1822
; %bb.1821:
	global_load_ushort v21, v[18:19], off
.LBB15_1822:
	s_mov_b64 s[18:19], 0
.LBB15_1823:
	s_andn2_b64 vcc, exec, s[18:19]
	s_cbranch_vccnz .LBB15_1829
; %bb.1824:
	global_load_ubyte v1, v[18:19], off
	s_movk_i32 s18, 0x7f
	s_mov_b64 s[20:21], 0
	s_waitcnt vmcnt(0)
	v_cmp_lt_i16_e32 vcc, s18, v1
	s_and_saveexec_b64 s[18:19], vcc
	s_xor_b64 s[18:19], exec, s[18:19]
	s_cbranch_execz .LBB15_1840
; %bb.1825:
	s_movk_i32 s20, 0x80
	v_cmp_ne_u16_e32 vcc, s20, v1
	s_and_b64 s[20:21], vcc, exec
	s_andn2_saveexec_b64 s[18:19], s[18:19]
	s_cbranch_execnz .LBB15_1841
.LBB15_1826:
	s_or_b64 exec, exec, s[18:19]
	v_mov_b32_e32 v21, 0
	s_and_saveexec_b64 s[18:19], s[20:21]
	s_cbranch_execz .LBB15_1828
.LBB15_1827:
	v_lshlrev_b32_e32 v3, 24, v1
	v_and_b32_e32 v1, 0xffff, v1
	v_and_b32_e32 v5, 7, v1
	v_ffbh_u32_e32 v10, v5
	v_min_u32_e32 v10, 32, v10
	v_subrev_u32_e32 v12, 28, v10
	v_bfe_u32 v8, v1, 3, 4
	v_lshlrev_b32_e32 v1, v12, v1
	v_sub_u32_e32 v10, 29, v10
	v_and_b32_e32 v1, 7, v1
	v_cmp_eq_u32_e32 vcc, 0, v8
	v_cndmask_b32_e32 v8, v8, v10, vcc
	v_cndmask_b32_e32 v1, v5, v1, vcc
	v_mov_b32_e32 v5, 0x3b800000
	v_lshlrev_b32_e32 v1, 20, v1
	v_and_b32_e32 v3, 0x80000000, v3
	v_lshl_add_u32 v5, v8, 23, v5
	v_or3_b32 v1, v3, v5, v1
	v_trunc_f32_e32 v1, v1
	s_mov_b32 s20, 0x2f800000
	v_mul_f32_e64 v3, |v1|, s20
	v_floor_f32_e32 v3, v3
	s_mov_b32 s20, 0xcf800000
	v_fma_f32 v3, v3, s20, |v1|
	v_cvt_u32_f32_e32 v3, v3
	v_ashrrev_i32_e32 v1, 31, v1
	v_xor_b32_e32 v3, v3, v1
	v_sub_u32_e32 v21, v3, v1
.LBB15_1828:
	s_or_b64 exec, exec, s[18:19]
.LBB15_1829:
	s_mov_b64 s[18:19], -1
.LBB15_1830:
	s_branch .LBB15_1861
.LBB15_1831:
	s_cmp_gt_i32 s24, 22
	s_cbranch_scc0 .LBB15_1839
; %bb.1832:
	s_cmp_lt_i32 s24, 24
	s_cbranch_scc1 .LBB15_1842
; %bb.1833:
	s_cmp_gt_i32 s24, 24
	s_cbranch_scc0 .LBB15_1843
; %bb.1834:
	global_load_ubyte v1, v[18:19], off
	s_movk_i32 s16, 0x7f
	s_mov_b64 s[18:19], 0
	s_waitcnt vmcnt(0)
	v_cmp_lt_i16_e32 vcc, s16, v1
	s_and_saveexec_b64 s[16:17], vcc
	s_xor_b64 s[16:17], exec, s[16:17]
	s_cbranch_execz .LBB15_1855
; %bb.1835:
	s_movk_i32 s18, 0x80
	v_cmp_ne_u16_e32 vcc, s18, v1
	s_and_b64 s[18:19], vcc, exec
	s_andn2_saveexec_b64 s[16:17], s[16:17]
	s_cbranch_execnz .LBB15_1856
.LBB15_1836:
	s_or_b64 exec, exec, s[16:17]
	v_mov_b32_e32 v21, 0
	s_and_saveexec_b64 s[16:17], s[18:19]
	s_cbranch_execz .LBB15_1838
.LBB15_1837:
	v_lshlrev_b32_e32 v3, 24, v1
	v_and_b32_e32 v1, 0xffff, v1
	v_and_b32_e32 v5, 3, v1
	v_ffbh_u32_e32 v10, v5
	v_min_u32_e32 v10, 32, v10
	v_subrev_u32_e32 v12, 29, v10
	v_bfe_u32 v8, v1, 2, 5
	v_lshlrev_b32_e32 v1, v12, v1
	v_sub_u32_e32 v10, 30, v10
	v_and_b32_e32 v1, 3, v1
	v_cmp_eq_u32_e32 vcc, 0, v8
	v_cndmask_b32_e32 v8, v8, v10, vcc
	v_cndmask_b32_e32 v1, v5, v1, vcc
	v_mov_b32_e32 v5, 0x37800000
	v_lshlrev_b32_e32 v1, 21, v1
	v_and_b32_e32 v3, 0x80000000, v3
	v_lshl_add_u32 v5, v8, 23, v5
	v_or3_b32 v1, v3, v5, v1
	v_trunc_f32_e32 v1, v1
	s_mov_b32 s18, 0x2f800000
	v_mul_f32_e64 v3, |v1|, s18
	v_floor_f32_e32 v3, v3
	s_mov_b32 s18, 0xcf800000
	v_fma_f32 v3, v3, s18, |v1|
	v_cvt_u32_f32_e32 v3, v3
	v_ashrrev_i32_e32 v1, 31, v1
	v_xor_b32_e32 v3, v3, v1
	v_sub_u32_e32 v21, v3, v1
.LBB15_1838:
	s_or_b64 exec, exec, s[16:17]
	s_mov_b64 s[16:17], 0
	s_branch .LBB15_1844
.LBB15_1839:
	s_mov_b64 s[16:17], -1
                                        ; implicit-def: $vgpr21
	s_branch .LBB15_1850
.LBB15_1840:
	s_andn2_saveexec_b64 s[18:19], s[18:19]
	s_cbranch_execz .LBB15_1826
.LBB15_1841:
	v_cmp_ne_u16_e32 vcc, 0, v1
	s_andn2_b64 s[20:21], s[20:21], exec
	s_and_b64 s[26:27], vcc, exec
	s_or_b64 s[20:21], s[20:21], s[26:27]
	s_or_b64 exec, exec, s[18:19]
	v_mov_b32_e32 v21, 0
	s_and_saveexec_b64 s[18:19], s[20:21]
	s_cbranch_execnz .LBB15_1827
	s_branch .LBB15_1828
.LBB15_1842:
	s_mov_b64 s[16:17], -1
                                        ; implicit-def: $vgpr21
	s_branch .LBB15_1847
.LBB15_1843:
	s_mov_b64 s[16:17], -1
                                        ; implicit-def: $vgpr21
.LBB15_1844:
	s_and_b64 vcc, exec, s[16:17]
	s_cbranch_vccz .LBB15_1846
; %bb.1845:
	global_load_ubyte v1, v[18:19], off
	s_mov_b32 s16, 0x7f800000
	s_brev_b32 s17, 1
	s_mov_b32 s18, 0x2f800000
	s_waitcnt vmcnt(0)
	v_lshlrev_b32_e32 v1, 24, v1
	v_and_b32_e32 v3, 0x7f000000, v1
	v_ffbh_u32_e32 v5, v3
	v_min_u32_e32 v5, 32, v5
	v_sub_u32_e64 v5, v5, 4 clamp
	v_lshlrev_b32_e32 v10, v5, v3
	v_lshlrev_b32_e32 v5, 23, v5
	v_lshrrev_b32_e32 v10, 4, v10
	v_add_u32_e32 v8, 0x1000000, v3
	v_sub_u32_e32 v5, v10, v5
	v_ashrrev_i32_e32 v8, 8, v8
	v_add_u32_e32 v5, 0x3c000000, v5
	v_and_or_b32 v5, v8, s16, v5
	v_cmp_ne_u32_e32 vcc, 0, v3
	v_cndmask_b32_e32 v3, 0, v5, vcc
	v_and_or_b32 v1, v1, s17, v3
	v_trunc_f32_e32 v1, v1
	v_mul_f32_e64 v3, |v1|, s18
	v_floor_f32_e32 v3, v3
	s_mov_b32 s16, 0xcf800000
	v_fma_f32 v3, v3, s16, |v1|
	v_cvt_u32_f32_e32 v3, v3
	v_ashrrev_i32_e32 v1, 31, v1
	v_xor_b32_e32 v3, v3, v1
	v_sub_u32_e32 v21, v3, v1
.LBB15_1846:
	s_mov_b64 s[16:17], 0
.LBB15_1847:
	s_andn2_b64 vcc, exec, s[16:17]
	s_cbranch_vccnz .LBB15_1849
; %bb.1848:
	global_load_ubyte v1, v[18:19], off
	s_movk_i32 s16, 0x7f00
	s_brev_b32 s17, 16
	s_brev_b32 s18, 1
	s_mov_b32 s19, 0x2f800000
	s_waitcnt vmcnt(0)
	v_lshlrev_b16_e32 v3, 8, v1
	v_lshlrev_b32_e32 v1, 25, v1
	v_lshrrev_b32_e32 v5, 4, v1
	v_and_or_b32 v8, v3, s16, 0.5
	v_or_b32_e32 v5, 0x70000000, v5
	v_add_f32_e32 v8, -0.5, v8
	v_mul_f32_e32 v5, 0x7800000, v5
	v_cmp_gt_u32_e32 vcc, s17, v1
	v_bfe_i32 v3, v3, 0, 16
	v_cndmask_b32_e32 v1, v5, v8, vcc
	v_and_or_b32 v1, v3, s18, v1
	v_trunc_f32_e32 v1, v1
	v_mul_f32_e64 v3, |v1|, s19
	v_floor_f32_e32 v3, v3
	s_mov_b32 s16, 0xcf800000
	v_fma_f32 v3, v3, s16, |v1|
	v_cvt_u32_f32_e32 v3, v3
	v_ashrrev_i32_e32 v1, 31, v1
	v_xor_b32_e32 v3, v3, v1
	v_sub_u32_e32 v21, v3, v1
.LBB15_1849:
	s_mov_b64 s[16:17], 0
	s_mov_b64 s[18:19], -1
.LBB15_1850:
	s_andn2_b64 vcc, exec, s[16:17]
	s_mov_b64 s[16:17], 0
	s_cbranch_vccnz .LBB15_1861
; %bb.1851:
	s_cmp_gt_i32 s24, 14
	s_cbranch_scc0 .LBB15_1854
; %bb.1852:
	s_cmp_eq_u32 s24, 15
	s_cbranch_scc0 .LBB15_1857
; %bb.1853:
	global_load_ushort v1, v[18:19], off
	s_mov_b32 s6, 0x2f800000
	s_mov_b32 s7, 0xcf800000
	s_mov_b64 s[18:19], -1
	s_waitcnt vmcnt(0)
	v_lshlrev_b32_e32 v1, 16, v1
	v_trunc_f32_e32 v1, v1
	v_mul_f32_e64 v3, |v1|, s6
	v_floor_f32_e32 v3, v3
	v_fma_f32 v3, v3, s7, |v1|
	v_cvt_u32_f32_e32 v3, v3
	v_ashrrev_i32_e32 v1, 31, v1
	s_mov_b64 s[6:7], 0
	v_xor_b32_e32 v3, v3, v1
	v_sub_u32_e32 v21, v3, v1
	s_branch .LBB15_1858
.LBB15_1854:
	s_mov_b64 s[20:21], -1
                                        ; implicit-def: $vgpr21
	s_branch .LBB15_1859
.LBB15_1855:
	s_andn2_saveexec_b64 s[16:17], s[16:17]
	s_cbranch_execz .LBB15_1836
.LBB15_1856:
	v_cmp_ne_u16_e32 vcc, 0, v1
	s_andn2_b64 s[18:19], s[18:19], exec
	s_and_b64 s[20:21], vcc, exec
	s_or_b64 s[18:19], s[18:19], s[20:21]
	s_or_b64 exec, exec, s[16:17]
	v_mov_b32_e32 v21, 0
	s_and_saveexec_b64 s[16:17], s[18:19]
	s_cbranch_execnz .LBB15_1837
	s_branch .LBB15_1838
.LBB15_1857:
	s_mov_b64 s[6:7], -1
                                        ; implicit-def: $vgpr21
.LBB15_1858:
	s_mov_b64 s[20:21], 0
.LBB15_1859:
	s_and_b64 vcc, exec, s[20:21]
	s_cbranch_vccz .LBB15_1861
; %bb.1860:
	s_cmp_lg_u32 s24, 11
	s_mov_b64 s[16:17], -1
	s_cselect_b64 s[6:7], -1, 0
.LBB15_1861:
	s_and_b64 vcc, exec, s[6:7]
	s_cbranch_vccnz .LBB15_1940
; %bb.1862:
	s_andn2_b64 vcc, exec, s[16:17]
	s_cbranch_vccnz .LBB15_1864
.LBB15_1863:
	global_load_ubyte v1, v[18:19], off
	s_mov_b64 s[18:19], -1
	s_waitcnt vmcnt(0)
	v_cmp_ne_u16_e32 vcc, 0, v1
	v_cndmask_b32_e64 v21, 0, 1, vcc
.LBB15_1864:
	s_branch .LBB15_1795
.LBB15_1865:
	s_and_b32 s16, 0xffff, s23
	s_cmp_lt_i32 s16, 5
	s_cbranch_scc1 .LBB15_1870
; %bb.1866:
	s_cmp_lt_i32 s16, 8
	s_cbranch_scc1 .LBB15_1871
; %bb.1867:
	;; [unrolled: 3-line block ×3, first 2 shown]
	s_cmp_gt_i32 s16, 9
	s_cbranch_scc0 .LBB15_1873
; %bb.1869:
	global_load_dwordx2 v[21:22], v[18:19], off
	s_movk_i32 s6, 0xffe0
	s_waitcnt vmcnt(0)
	v_trunc_f64_e32 v[21:22], v[21:22]
	v_ldexp_f64 v[23:24], v[21:22], s6
	s_mov_b32 s6, 0
	s_mov_b32 s7, 0xc1f00000
	v_floor_f64_e32 v[23:24], v[23:24]
	v_fma_f64 v[21:22], v[23:24], s[6:7], v[21:22]
	s_mov_b64 s[6:7], 0
	v_cvt_u32_f64_e32 v21, v[21:22]
	s_branch .LBB15_1874
.LBB15_1870:
                                        ; implicit-def: $vgpr21
	s_branch .LBB15_1892
.LBB15_1871:
	s_mov_b64 s[6:7], -1
                                        ; implicit-def: $vgpr21
	s_branch .LBB15_1880
.LBB15_1872:
	s_mov_b64 s[6:7], -1
                                        ; implicit-def: $vgpr21
	s_branch .LBB15_1877
.LBB15_1873:
	s_mov_b64 s[6:7], -1
                                        ; implicit-def: $vgpr21
.LBB15_1874:
	s_andn2_b64 vcc, exec, s[6:7]
	s_cbranch_vccnz .LBB15_1876
; %bb.1875:
	global_load_dword v1, v[18:19], off
	s_mov_b32 s6, 0x2f800000
	s_waitcnt vmcnt(0)
	v_trunc_f32_e32 v1, v1
	v_mul_f32_e64 v3, |v1|, s6
	v_floor_f32_e32 v3, v3
	s_mov_b32 s6, 0xcf800000
	v_fma_f32 v3, v3, s6, |v1|
	v_cvt_u32_f32_e32 v3, v3
	v_ashrrev_i32_e32 v1, 31, v1
	v_xor_b32_e32 v3, v3, v1
	v_sub_u32_e32 v21, v3, v1
.LBB15_1876:
	s_mov_b64 s[6:7], 0
.LBB15_1877:
	s_andn2_b64 vcc, exec, s[6:7]
	s_cbranch_vccnz .LBB15_1879
; %bb.1878:
	global_load_dword v1, v[18:19], off
	s_waitcnt vmcnt(0)
	v_cvt_f32_f16_e32 v1, v1
	v_cvt_i32_f32_e32 v21, v1
.LBB15_1879:
	s_mov_b64 s[6:7], 0
.LBB15_1880:
	s_andn2_b64 vcc, exec, s[6:7]
	s_cbranch_vccnz .LBB15_1891
; %bb.1881:
	s_cmp_lt_i32 s16, 6
	s_cbranch_scc1 .LBB15_1884
; %bb.1882:
	s_cmp_gt_i32 s16, 6
	s_cbranch_scc0 .LBB15_1885
; %bb.1883:
	global_load_dwordx2 v[21:22], v[18:19], off
	s_movk_i32 s6, 0xffe0
	s_waitcnt vmcnt(0)
	v_trunc_f64_e32 v[21:22], v[21:22]
	v_ldexp_f64 v[23:24], v[21:22], s6
	s_mov_b32 s6, 0
	s_mov_b32 s7, 0xc1f00000
	v_floor_f64_e32 v[23:24], v[23:24]
	v_fma_f64 v[21:22], v[23:24], s[6:7], v[21:22]
	s_mov_b64 s[6:7], 0
	v_cvt_u32_f64_e32 v21, v[21:22]
	s_branch .LBB15_1886
.LBB15_1884:
	s_mov_b64 s[6:7], -1
                                        ; implicit-def: $vgpr21
	s_branch .LBB15_1889
.LBB15_1885:
	s_mov_b64 s[6:7], -1
                                        ; implicit-def: $vgpr21
.LBB15_1886:
	s_andn2_b64 vcc, exec, s[6:7]
	s_cbranch_vccnz .LBB15_1888
; %bb.1887:
	global_load_dword v1, v[18:19], off
	s_mov_b32 s6, 0x2f800000
	s_waitcnt vmcnt(0)
	v_trunc_f32_e32 v1, v1
	v_mul_f32_e64 v3, |v1|, s6
	v_floor_f32_e32 v3, v3
	s_mov_b32 s6, 0xcf800000
	v_fma_f32 v3, v3, s6, |v1|
	v_cvt_u32_f32_e32 v3, v3
	v_ashrrev_i32_e32 v1, 31, v1
	v_xor_b32_e32 v3, v3, v1
	v_sub_u32_e32 v21, v3, v1
.LBB15_1888:
	s_mov_b64 s[6:7], 0
.LBB15_1889:
	s_andn2_b64 vcc, exec, s[6:7]
	s_cbranch_vccnz .LBB15_1891
; %bb.1890:
	global_load_ushort v1, v[18:19], off
	s_waitcnt vmcnt(0)
	v_cvt_f32_f16_e32 v1, v1
	v_cvt_i32_f32_e32 v21, v1
.LBB15_1891:
	s_cbranch_execnz .LBB15_1911
.LBB15_1892:
	s_cmp_lt_i32 s16, 2
	s_cbranch_scc1 .LBB15_1896
; %bb.1893:
	s_cmp_lt_i32 s16, 3
	s_cbranch_scc1 .LBB15_1897
; %bb.1894:
	s_cmp_gt_i32 s16, 3
	s_cbranch_scc0 .LBB15_1898
; %bb.1895:
	global_load_dwordx2 v[21:22], v[18:19], off
	s_mov_b64 s[6:7], 0
	s_branch .LBB15_1899
.LBB15_1896:
	s_mov_b64 s[6:7], -1
                                        ; implicit-def: $vgpr21
	s_branch .LBB15_1905
.LBB15_1897:
	s_mov_b64 s[6:7], -1
                                        ; implicit-def: $vgpr21
	s_branch .LBB15_1902
.LBB15_1898:
	s_mov_b64 s[6:7], -1
                                        ; implicit-def: $vgpr21
.LBB15_1899:
	s_andn2_b64 vcc, exec, s[6:7]
	s_cbranch_vccnz .LBB15_1901
; %bb.1900:
	global_load_dword v21, v[18:19], off
.LBB15_1901:
	s_mov_b64 s[6:7], 0
.LBB15_1902:
	s_andn2_b64 vcc, exec, s[6:7]
	s_cbranch_vccnz .LBB15_1904
; %bb.1903:
	global_load_ushort v21, v[18:19], off
.LBB15_1904:
	s_mov_b64 s[6:7], 0
.LBB15_1905:
	s_andn2_b64 vcc, exec, s[6:7]
	s_cbranch_vccnz .LBB15_1911
; %bb.1906:
	s_cmp_gt_i32 s16, 0
	s_cbranch_scc0 .LBB15_1908
; %bb.1907:
	global_load_ubyte v21, v[18:19], off
	s_mov_b64 s[6:7], 0
	s_branch .LBB15_1909
.LBB15_1908:
	s_mov_b64 s[6:7], -1
                                        ; implicit-def: $vgpr21
.LBB15_1909:
	s_andn2_b64 vcc, exec, s[6:7]
	s_cbranch_vccnz .LBB15_1911
; %bb.1910:
	global_load_ubyte v21, v[18:19], off
.LBB15_1911:
.LBB15_1912:
	s_load_dword s26, s[2:3], 0x1a0
	s_mov_b64 s[16:17], 0
	s_waitcnt lgkmcnt(0)
	s_cmp_lt_i32 s26, 1
	s_cbranch_scc1 .LBB15_1916
; %bb.1913:
	s_cmp_gt_i32 s26, 1
	s_cbranch_scc0 .LBB15_1917
; %bb.1914:
	s_cmp_eq_u32 s26, 2
	s_cbranch_scc0 .LBB15_1918
; %bb.1915:
	s_waitcnt vmcnt(0)
	v_cmp_le_u16_sdwa s[6:7], v20, v21 src0_sel:BYTE_0 src1_sel:BYTE_0
	s_mov_b64 s[18:19], 0
	s_branch .LBB15_1919
.LBB15_1916:
                                        ; implicit-def: $sgpr6_sgpr7
	s_mov_b64 s[18:19], 0
	s_cbranch_execnz .LBB15_1923
	s_branch .LBB15_1924
.LBB15_1917:
	s_mov_b64 s[20:21], -1
	s_mov_b64 s[18:19], 0
                                        ; implicit-def: $sgpr6_sgpr7
	s_branch .LBB15_1920
.LBB15_1918:
	s_mov_b64 s[18:19], -1
                                        ; implicit-def: $sgpr6_sgpr7
.LBB15_1919:
	s_mov_b64 s[20:21], 0
.LBB15_1920:
	s_and_b64 vcc, exec, s[20:21]
	s_cbranch_vccz .LBB15_1922
; %bb.1921:
	s_waitcnt vmcnt(0)
	v_cmp_gt_u16_sdwa s[20:21], v20, v21 src0_sel:BYTE_0 src1_sel:BYTE_0
	s_andn2_b64 s[6:7], s[6:7], exec
	s_and_b64 s[20:21], s[20:21], exec
	s_or_b64 s[6:7], s[6:7], s[20:21]
.LBB15_1922:
	s_branch .LBB15_1924
.LBB15_1923:
	s_cmp_lg_u32 s26, 0
	s_mov_b64 s[16:17], -1
	s_cselect_b64 s[18:19], -1, 0
.LBB15_1924:
	s_andn2_b64 vcc, exec, s[18:19]
	s_cbranch_vccnz .LBB15_1926
; %bb.1925:
	s_waitcnt vmcnt(0)
	v_cmp_lt_u16_sdwa s[18:19], v20, v21 src0_sel:BYTE_0 src1_sel:BYTE_0
	s_andn2_b64 s[6:7], s[6:7], exec
	s_and_b64 s[18:19], s[18:19], exec
	s_or_b64 s[6:7], s[6:7], s[18:19]
	s_cbranch_execz .LBB15_1927
	s_branch .LBB15_1928
.LBB15_1926:
	s_andn2_b64 vcc, exec, s[16:17]
	s_cbranch_vccnz .LBB15_1928
.LBB15_1927:
	s_waitcnt vmcnt(0)
	v_cmp_ge_u16_sdwa s[16:17], v20, v21 src0_sel:BYTE_0 src1_sel:BYTE_0
	s_andn2_b64 s[6:7], s[6:7], exec
	s_and_b64 s[16:17], s[16:17], exec
	s_or_b64 s[6:7], s[6:7], s[16:17]
.LBB15_1928:
	s_lshr_b32 s16, s22, 8
	s_lshr_b32 s24, s22, 16
	v_mov_b32_e32 v1, s11
	s_and_b32 s27, s16, 0xff
	v_add_co_u32_e32 v18, vcc, s10, v17
	s_cmp_lt_i32 s27, 11
	v_addc_co_u32_e32 v19, vcc, 0, v1, vcc
	s_cbranch_scc1 .LBB15_1935
; %bb.1929:
	s_and_b32 s25, 0xffff, s27
	s_cmp_gt_i32 s25, 25
	s_mov_b64 s[18:19], 0
	s_cbranch_scc0 .LBB15_1937
; %bb.1930:
	s_cmp_gt_i32 s25, 28
	s_cbranch_scc0 .LBB15_1938
; %bb.1931:
	s_cmp_gt_i32 s25, 43
	;; [unrolled: 3-line block ×3, first 2 shown]
	s_cbranch_scc0 .LBB15_1941
; %bb.1933:
	s_cmp_eq_u32 s25, 46
	s_mov_b64 s[22:23], 0
	s_cbranch_scc0 .LBB15_1942
; %bb.1934:
	global_load_dword v1, v[18:19], off
	s_mov_b32 s16, 0x2f800000
	s_mov_b32 s17, 0xcf800000
	s_mov_b64 s[20:21], -1
	s_waitcnt vmcnt(0)
	v_lshlrev_b32_e32 v1, 16, v1
	v_trunc_f32_e32 v1, v1
	v_mul_f32_e64 v3, |v1|, s16
	v_floor_f32_e32 v3, v3
	v_fma_f32 v3, v3, s17, |v1|
	v_cvt_u32_f32_e32 v3, v3
	v_ashrrev_i32_e32 v1, 31, v1
	s_mov_b64 s[16:17], 0
	v_xor_b32_e32 v3, v3, v1
	v_sub_u32_e32 v16, v3, v1
	s_branch .LBB15_1943
.LBB15_1935:
	s_mov_b64 s[20:21], 0
                                        ; implicit-def: $vgpr16
	s_cbranch_execnz .LBB15_2005
.LBB15_1936:
	s_andn2_b64 vcc, exec, s[20:21]
	s_cbranch_vccnz .LBB15_2723
	s_branch .LBB15_2053
.LBB15_1937:
	s_mov_b64 s[22:23], -1
	s_mov_b64 s[20:21], 0
	s_mov_b64 s[16:17], 0
                                        ; implicit-def: $vgpr16
	s_branch .LBB15_1970
.LBB15_1938:
	s_mov_b64 s[22:23], -1
	s_mov_b64 s[20:21], 0
	s_mov_b64 s[16:17], 0
                                        ; implicit-def: $vgpr16
	s_branch .LBB15_1953
.LBB15_1939:
	s_mov_b64 s[22:23], -1
	s_mov_b64 s[20:21], 0
	s_mov_b64 s[16:17], 0
                                        ; implicit-def: $vgpr16
	s_branch .LBB15_1948
.LBB15_1940:
	s_trap 2
	s_or_b64 s[4:5], s[4:5], exec
	s_cbranch_execz .LBB15_1863
	s_branch .LBB15_1864
.LBB15_1941:
	s_mov_b64 s[22:23], -1
	s_mov_b64 s[20:21], 0
	s_mov_b64 s[16:17], 0
                                        ; implicit-def: $vgpr16
	s_branch .LBB15_1943
.LBB15_1942:
	s_mov_b64 s[16:17], -1
                                        ; implicit-def: $vgpr16
	s_mov_b64 s[20:21], 0
.LBB15_1943:
	s_and_b64 vcc, exec, s[22:23]
	s_cbranch_vccz .LBB15_1947
; %bb.1944:
	s_cmp_eq_u32 s25, 44
	s_cbranch_scc0 .LBB15_1946
; %bb.1945:
	global_load_ubyte v1, v[18:19], off
	s_mov_b32 s16, 0x2f800000
	s_mov_b32 s17, 0xcf800000
	s_mov_b64 s[20:21], -1
	s_waitcnt vmcnt(0)
	v_lshlrev_b32_e32 v3, 23, v1
	v_trunc_f32_e32 v3, v3
	v_mul_f32_e64 v5, |v3|, s16
	v_floor_f32_e32 v5, v5
	v_fma_f32 v5, v5, s17, |v3|
	v_cvt_u32_f32_e32 v5, v5
	v_ashrrev_i32_e32 v3, 31, v3
	v_cmp_ne_u32_e32 vcc, 0, v1
	s_mov_b64 s[16:17], 0
	v_xor_b32_e32 v5, v5, v3
	v_sub_u32_e32 v3, v5, v3
	v_cndmask_b32_e32 v16, 0, v3, vcc
	s_branch .LBB15_1947
.LBB15_1946:
	s_mov_b64 s[16:17], -1
                                        ; implicit-def: $vgpr16
.LBB15_1947:
	s_mov_b64 s[22:23], 0
.LBB15_1948:
	s_and_b64 vcc, exec, s[22:23]
	s_cbranch_vccz .LBB15_1952
; %bb.1949:
	s_cmp_eq_u32 s25, 29
	s_cbranch_scc0 .LBB15_1951
; %bb.1950:
	global_load_dwordx2 v[16:17], v[18:19], off
	s_mov_b64 s[16:17], 0
	s_mov_b64 s[20:21], -1
	s_branch .LBB15_1952
.LBB15_1951:
	s_mov_b64 s[16:17], -1
                                        ; implicit-def: $vgpr16
.LBB15_1952:
	s_mov_b64 s[22:23], 0
.LBB15_1953:
	s_and_b64 vcc, exec, s[22:23]
	s_cbranch_vccz .LBB15_1969
; %bb.1954:
	s_cmp_lt_i32 s25, 27
	s_cbranch_scc1 .LBB15_1957
; %bb.1955:
	s_cmp_gt_i32 s25, 27
	s_cbranch_scc0 .LBB15_1958
; %bb.1956:
	global_load_dword v16, v[18:19], off
	s_mov_b64 s[20:21], 0
	s_branch .LBB15_1959
.LBB15_1957:
	s_mov_b64 s[20:21], -1
                                        ; implicit-def: $vgpr16
	s_branch .LBB15_1962
.LBB15_1958:
	s_mov_b64 s[20:21], -1
                                        ; implicit-def: $vgpr16
.LBB15_1959:
	s_andn2_b64 vcc, exec, s[20:21]
	s_cbranch_vccnz .LBB15_1961
; %bb.1960:
	global_load_ushort v16, v[18:19], off
.LBB15_1961:
	s_mov_b64 s[20:21], 0
.LBB15_1962:
	s_andn2_b64 vcc, exec, s[20:21]
	s_cbranch_vccnz .LBB15_1968
; %bb.1963:
	global_load_ubyte v1, v[18:19], off
	s_movk_i32 s20, 0x7f
	s_mov_b64 s[22:23], 0
	s_waitcnt vmcnt(0)
	v_cmp_lt_i16_e32 vcc, s20, v1
	s_and_saveexec_b64 s[20:21], vcc
	s_xor_b64 s[20:21], exec, s[20:21]
	s_cbranch_execz .LBB15_1980
; %bb.1964:
	s_movk_i32 s22, 0x80
	v_cmp_ne_u16_e32 vcc, s22, v1
	s_and_b64 s[22:23], vcc, exec
	s_andn2_saveexec_b64 s[20:21], s[20:21]
	s_cbranch_execnz .LBB15_1981
.LBB15_1965:
	s_or_b64 exec, exec, s[20:21]
	v_mov_b32_e32 v16, 0
	s_and_saveexec_b64 s[20:21], s[22:23]
	s_cbranch_execz .LBB15_1967
.LBB15_1966:
	v_lshlrev_b32_e32 v3, 24, v1
	v_and_b32_e32 v1, 0xffff, v1
	v_and_b32_e32 v5, 7, v1
	v_ffbh_u32_e32 v10, v5
	v_min_u32_e32 v10, 32, v10
	v_subrev_u32_e32 v12, 28, v10
	v_bfe_u32 v8, v1, 3, 4
	v_lshlrev_b32_e32 v1, v12, v1
	v_sub_u32_e32 v10, 29, v10
	v_and_b32_e32 v1, 7, v1
	v_cmp_eq_u32_e32 vcc, 0, v8
	v_cndmask_b32_e32 v8, v8, v10, vcc
	v_cndmask_b32_e32 v1, v5, v1, vcc
	v_mov_b32_e32 v5, 0x3b800000
	v_lshlrev_b32_e32 v1, 20, v1
	v_and_b32_e32 v3, 0x80000000, v3
	v_lshl_add_u32 v5, v8, 23, v5
	v_or3_b32 v1, v3, v5, v1
	v_trunc_f32_e32 v1, v1
	s_mov_b32 s22, 0x2f800000
	v_mul_f32_e64 v3, |v1|, s22
	v_floor_f32_e32 v3, v3
	s_mov_b32 s22, 0xcf800000
	v_fma_f32 v3, v3, s22, |v1|
	v_cvt_u32_f32_e32 v3, v3
	v_ashrrev_i32_e32 v1, 31, v1
	v_xor_b32_e32 v3, v3, v1
	v_sub_u32_e32 v16, v3, v1
.LBB15_1967:
	s_or_b64 exec, exec, s[20:21]
.LBB15_1968:
	s_mov_b64 s[20:21], -1
.LBB15_1969:
	s_mov_b64 s[22:23], 0
.LBB15_1970:
	s_and_b64 vcc, exec, s[22:23]
	s_cbranch_vccz .LBB15_2001
; %bb.1971:
	s_cmp_gt_i32 s25, 22
	s_cbranch_scc0 .LBB15_1979
; %bb.1972:
	s_cmp_lt_i32 s25, 24
	s_cbranch_scc1 .LBB15_1982
; %bb.1973:
	s_cmp_gt_i32 s25, 24
	s_cbranch_scc0 .LBB15_1983
; %bb.1974:
	global_load_ubyte v1, v[18:19], off
	s_movk_i32 s18, 0x7f
	s_mov_b64 s[20:21], 0
	s_waitcnt vmcnt(0)
	v_cmp_lt_i16_e32 vcc, s18, v1
	s_and_saveexec_b64 s[18:19], vcc
	s_xor_b64 s[18:19], exec, s[18:19]
	s_cbranch_execz .LBB15_1995
; %bb.1975:
	s_movk_i32 s20, 0x80
	v_cmp_ne_u16_e32 vcc, s20, v1
	s_and_b64 s[20:21], vcc, exec
	s_andn2_saveexec_b64 s[18:19], s[18:19]
	s_cbranch_execnz .LBB15_1996
.LBB15_1976:
	s_or_b64 exec, exec, s[18:19]
	v_mov_b32_e32 v16, 0
	s_and_saveexec_b64 s[18:19], s[20:21]
	s_cbranch_execz .LBB15_1978
.LBB15_1977:
	v_lshlrev_b32_e32 v3, 24, v1
	v_and_b32_e32 v1, 0xffff, v1
	v_and_b32_e32 v5, 3, v1
	v_ffbh_u32_e32 v10, v5
	v_min_u32_e32 v10, 32, v10
	v_subrev_u32_e32 v12, 29, v10
	v_bfe_u32 v8, v1, 2, 5
	v_lshlrev_b32_e32 v1, v12, v1
	v_sub_u32_e32 v10, 30, v10
	v_and_b32_e32 v1, 3, v1
	v_cmp_eq_u32_e32 vcc, 0, v8
	v_cndmask_b32_e32 v8, v8, v10, vcc
	v_cndmask_b32_e32 v1, v5, v1, vcc
	v_mov_b32_e32 v5, 0x37800000
	v_lshlrev_b32_e32 v1, 21, v1
	v_and_b32_e32 v3, 0x80000000, v3
	v_lshl_add_u32 v5, v8, 23, v5
	v_or3_b32 v1, v3, v5, v1
	v_trunc_f32_e32 v1, v1
	s_mov_b32 s20, 0x2f800000
	v_mul_f32_e64 v3, |v1|, s20
	v_floor_f32_e32 v3, v3
	s_mov_b32 s20, 0xcf800000
	v_fma_f32 v3, v3, s20, |v1|
	v_cvt_u32_f32_e32 v3, v3
	v_ashrrev_i32_e32 v1, 31, v1
	v_xor_b32_e32 v3, v3, v1
	v_sub_u32_e32 v16, v3, v1
.LBB15_1978:
	s_or_b64 exec, exec, s[18:19]
	s_mov_b64 s[18:19], 0
	s_branch .LBB15_1984
.LBB15_1979:
	s_mov_b64 s[18:19], -1
                                        ; implicit-def: $vgpr16
	s_branch .LBB15_1990
.LBB15_1980:
	s_andn2_saveexec_b64 s[20:21], s[20:21]
	s_cbranch_execz .LBB15_1965
.LBB15_1981:
	v_cmp_ne_u16_e32 vcc, 0, v1
	s_andn2_b64 s[22:23], s[22:23], exec
	s_and_b64 s[28:29], vcc, exec
	s_or_b64 s[22:23], s[22:23], s[28:29]
	s_or_b64 exec, exec, s[20:21]
	v_mov_b32_e32 v16, 0
	s_and_saveexec_b64 s[20:21], s[22:23]
	s_cbranch_execnz .LBB15_1966
	s_branch .LBB15_1967
.LBB15_1982:
	s_mov_b64 s[18:19], -1
                                        ; implicit-def: $vgpr16
	s_branch .LBB15_1987
.LBB15_1983:
	s_mov_b64 s[18:19], -1
                                        ; implicit-def: $vgpr16
.LBB15_1984:
	s_and_b64 vcc, exec, s[18:19]
	s_cbranch_vccz .LBB15_1986
; %bb.1985:
	global_load_ubyte v1, v[18:19], off
	s_mov_b32 s18, 0x7f800000
	s_brev_b32 s19, 1
	s_mov_b32 s20, 0x2f800000
	s_waitcnt vmcnt(0)
	v_lshlrev_b32_e32 v1, 24, v1
	v_and_b32_e32 v3, 0x7f000000, v1
	v_ffbh_u32_e32 v5, v3
	v_min_u32_e32 v5, 32, v5
	v_sub_u32_e64 v5, v5, 4 clamp
	v_lshlrev_b32_e32 v10, v5, v3
	v_lshlrev_b32_e32 v5, 23, v5
	v_lshrrev_b32_e32 v10, 4, v10
	v_add_u32_e32 v8, 0x1000000, v3
	v_sub_u32_e32 v5, v10, v5
	v_ashrrev_i32_e32 v8, 8, v8
	v_add_u32_e32 v5, 0x3c000000, v5
	v_and_or_b32 v5, v8, s18, v5
	v_cmp_ne_u32_e32 vcc, 0, v3
	v_cndmask_b32_e32 v3, 0, v5, vcc
	v_and_or_b32 v1, v1, s19, v3
	v_trunc_f32_e32 v1, v1
	v_mul_f32_e64 v3, |v1|, s20
	v_floor_f32_e32 v3, v3
	s_mov_b32 s18, 0xcf800000
	v_fma_f32 v3, v3, s18, |v1|
	v_cvt_u32_f32_e32 v3, v3
	v_ashrrev_i32_e32 v1, 31, v1
	v_xor_b32_e32 v3, v3, v1
	v_sub_u32_e32 v16, v3, v1
.LBB15_1986:
	s_mov_b64 s[18:19], 0
.LBB15_1987:
	s_andn2_b64 vcc, exec, s[18:19]
	s_cbranch_vccnz .LBB15_1989
; %bb.1988:
	global_load_ubyte v1, v[18:19], off
	s_movk_i32 s18, 0x7f00
	s_brev_b32 s19, 16
	s_brev_b32 s20, 1
	s_mov_b32 s21, 0x2f800000
	s_waitcnt vmcnt(0)
	v_lshlrev_b16_e32 v3, 8, v1
	v_lshlrev_b32_e32 v1, 25, v1
	v_lshrrev_b32_e32 v5, 4, v1
	v_and_or_b32 v8, v3, s18, 0.5
	v_or_b32_e32 v5, 0x70000000, v5
	v_add_f32_e32 v8, -0.5, v8
	v_mul_f32_e32 v5, 0x7800000, v5
	v_cmp_gt_u32_e32 vcc, s19, v1
	v_bfe_i32 v3, v3, 0, 16
	v_cndmask_b32_e32 v1, v5, v8, vcc
	v_and_or_b32 v1, v3, s20, v1
	v_trunc_f32_e32 v1, v1
	v_mul_f32_e64 v3, |v1|, s21
	v_floor_f32_e32 v3, v3
	s_mov_b32 s18, 0xcf800000
	v_fma_f32 v3, v3, s18, |v1|
	v_cvt_u32_f32_e32 v3, v3
	v_ashrrev_i32_e32 v1, 31, v1
	v_xor_b32_e32 v3, v3, v1
	v_sub_u32_e32 v16, v3, v1
.LBB15_1989:
	s_mov_b64 s[18:19], 0
	s_mov_b64 s[20:21], -1
.LBB15_1990:
	s_andn2_b64 vcc, exec, s[18:19]
	s_mov_b64 s[18:19], 0
	s_cbranch_vccnz .LBB15_2001
; %bb.1991:
	s_cmp_gt_i32 s25, 14
	s_cbranch_scc0 .LBB15_1994
; %bb.1992:
	s_cmp_eq_u32 s25, 15
	s_cbranch_scc0 .LBB15_1997
; %bb.1993:
	global_load_ushort v1, v[18:19], off
	s_mov_b32 s16, 0x2f800000
	s_mov_b32 s17, 0xcf800000
	s_mov_b64 s[20:21], -1
	s_waitcnt vmcnt(0)
	v_lshlrev_b32_e32 v1, 16, v1
	v_trunc_f32_e32 v1, v1
	v_mul_f32_e64 v3, |v1|, s16
	v_floor_f32_e32 v3, v3
	v_fma_f32 v3, v3, s17, |v1|
	v_cvt_u32_f32_e32 v3, v3
	v_ashrrev_i32_e32 v1, 31, v1
	s_mov_b64 s[16:17], 0
	v_xor_b32_e32 v3, v3, v1
	v_sub_u32_e32 v16, v3, v1
	s_branch .LBB15_1998
.LBB15_1994:
	s_mov_b64 s[22:23], -1
                                        ; implicit-def: $vgpr16
	s_branch .LBB15_1999
.LBB15_1995:
	s_andn2_saveexec_b64 s[18:19], s[18:19]
	s_cbranch_execz .LBB15_1976
.LBB15_1996:
	v_cmp_ne_u16_e32 vcc, 0, v1
	s_andn2_b64 s[20:21], s[20:21], exec
	s_and_b64 s[22:23], vcc, exec
	s_or_b64 s[20:21], s[20:21], s[22:23]
	s_or_b64 exec, exec, s[18:19]
	v_mov_b32_e32 v16, 0
	s_and_saveexec_b64 s[18:19], s[20:21]
	s_cbranch_execnz .LBB15_1977
	s_branch .LBB15_1978
.LBB15_1997:
	s_mov_b64 s[16:17], -1
                                        ; implicit-def: $vgpr16
.LBB15_1998:
	s_mov_b64 s[22:23], 0
.LBB15_1999:
	s_and_b64 vcc, exec, s[22:23]
	s_cbranch_vccz .LBB15_2001
; %bb.2000:
	s_cmp_lg_u32 s25, 11
	s_mov_b64 s[18:19], -1
	s_cselect_b64 s[16:17], -1, 0
.LBB15_2001:
	s_and_b64 vcc, exec, s[16:17]
	s_cbranch_vccnz .LBB15_2064
; %bb.2002:
	s_andn2_b64 vcc, exec, s[18:19]
	s_cbranch_vccnz .LBB15_2004
.LBB15_2003:
	global_load_ubyte v1, v[18:19], off
	s_mov_b64 s[20:21], -1
	s_waitcnt vmcnt(0)
	v_cmp_ne_u16_e32 vcc, 0, v1
	v_cndmask_b32_e64 v16, 0, 1, vcc
.LBB15_2004:
	s_branch .LBB15_1936
.LBB15_2005:
	s_and_b32 s18, 0xffff, s27
	s_cmp_lt_i32 s18, 5
	s_cbranch_scc1 .LBB15_2010
; %bb.2006:
	s_cmp_lt_i32 s18, 8
	s_cbranch_scc1 .LBB15_2011
; %bb.2007:
	;; [unrolled: 3-line block ×3, first 2 shown]
	s_cmp_gt_i32 s18, 9
	s_cbranch_scc0 .LBB15_2013
; %bb.2009:
	global_load_dwordx2 v[16:17], v[18:19], off
	s_movk_i32 s16, 0xffe0
	s_waitcnt vmcnt(0)
	v_trunc_f64_e32 v[16:17], v[16:17]
	v_ldexp_f64 v[20:21], v[16:17], s16
	s_mov_b32 s16, 0
	s_mov_b32 s17, 0xc1f00000
	v_floor_f64_e32 v[20:21], v[20:21]
	v_fma_f64 v[16:17], v[20:21], s[16:17], v[16:17]
	s_mov_b64 s[16:17], 0
	v_cvt_u32_f64_e32 v16, v[16:17]
	s_branch .LBB15_2014
.LBB15_2010:
	s_mov_b64 s[16:17], -1
                                        ; implicit-def: $vgpr16
	s_branch .LBB15_2032
.LBB15_2011:
	s_mov_b64 s[16:17], -1
                                        ; implicit-def: $vgpr16
	s_branch .LBB15_2020
.LBB15_2012:
	s_mov_b64 s[16:17], -1
                                        ; implicit-def: $vgpr16
	s_branch .LBB15_2017
.LBB15_2013:
	s_mov_b64 s[16:17], -1
                                        ; implicit-def: $vgpr16
.LBB15_2014:
	s_andn2_b64 vcc, exec, s[16:17]
	s_cbranch_vccnz .LBB15_2016
; %bb.2015:
	global_load_dword v1, v[18:19], off
	s_mov_b32 s16, 0x2f800000
	s_waitcnt vmcnt(0)
	v_trunc_f32_e32 v1, v1
	v_mul_f32_e64 v3, |v1|, s16
	v_floor_f32_e32 v3, v3
	s_mov_b32 s16, 0xcf800000
	v_fma_f32 v3, v3, s16, |v1|
	v_cvt_u32_f32_e32 v3, v3
	v_ashrrev_i32_e32 v1, 31, v1
	v_xor_b32_e32 v3, v3, v1
	v_sub_u32_e32 v16, v3, v1
.LBB15_2016:
	s_mov_b64 s[16:17], 0
.LBB15_2017:
	s_andn2_b64 vcc, exec, s[16:17]
	s_cbranch_vccnz .LBB15_2019
; %bb.2018:
	global_load_dword v1, v[18:19], off
	s_waitcnt vmcnt(0)
	v_cvt_f32_f16_e32 v1, v1
	v_cvt_i32_f32_e32 v16, v1
.LBB15_2019:
	s_mov_b64 s[16:17], 0
.LBB15_2020:
	s_andn2_b64 vcc, exec, s[16:17]
	s_cbranch_vccnz .LBB15_2031
; %bb.2021:
	s_cmp_lt_i32 s18, 6
	s_cbranch_scc1 .LBB15_2024
; %bb.2022:
	s_cmp_gt_i32 s18, 6
	s_cbranch_scc0 .LBB15_2025
; %bb.2023:
	global_load_dwordx2 v[16:17], v[18:19], off
	s_movk_i32 s16, 0xffe0
	s_waitcnt vmcnt(0)
	v_trunc_f64_e32 v[16:17], v[16:17]
	v_ldexp_f64 v[20:21], v[16:17], s16
	s_mov_b32 s16, 0
	s_mov_b32 s17, 0xc1f00000
	v_floor_f64_e32 v[20:21], v[20:21]
	v_fma_f64 v[16:17], v[20:21], s[16:17], v[16:17]
	s_mov_b64 s[16:17], 0
	v_cvt_u32_f64_e32 v16, v[16:17]
	s_branch .LBB15_2026
.LBB15_2024:
	s_mov_b64 s[16:17], -1
                                        ; implicit-def: $vgpr16
	s_branch .LBB15_2029
.LBB15_2025:
	s_mov_b64 s[16:17], -1
                                        ; implicit-def: $vgpr16
.LBB15_2026:
	s_andn2_b64 vcc, exec, s[16:17]
	s_cbranch_vccnz .LBB15_2028
; %bb.2027:
	global_load_dword v1, v[18:19], off
	s_mov_b32 s16, 0x2f800000
	s_waitcnt vmcnt(0)
	v_trunc_f32_e32 v1, v1
	v_mul_f32_e64 v3, |v1|, s16
	v_floor_f32_e32 v3, v3
	s_mov_b32 s16, 0xcf800000
	v_fma_f32 v3, v3, s16, |v1|
	v_cvt_u32_f32_e32 v3, v3
	v_ashrrev_i32_e32 v1, 31, v1
	v_xor_b32_e32 v3, v3, v1
	v_sub_u32_e32 v16, v3, v1
.LBB15_2028:
	s_mov_b64 s[16:17], 0
.LBB15_2029:
	s_andn2_b64 vcc, exec, s[16:17]
	s_cbranch_vccnz .LBB15_2031
; %bb.2030:
	global_load_ushort v1, v[18:19], off
	s_waitcnt vmcnt(0)
	v_cvt_f32_f16_e32 v1, v1
	v_cvt_i32_f32_e32 v16, v1
.LBB15_2031:
	s_mov_b64 s[16:17], 0
.LBB15_2032:
	s_andn2_b64 vcc, exec, s[16:17]
	s_cbranch_vccnz .LBB15_2052
; %bb.2033:
	s_cmp_lt_i32 s18, 2
	s_cbranch_scc1 .LBB15_2037
; %bb.2034:
	s_cmp_lt_i32 s18, 3
	s_cbranch_scc1 .LBB15_2038
; %bb.2035:
	s_cmp_gt_i32 s18, 3
	s_cbranch_scc0 .LBB15_2039
; %bb.2036:
	global_load_dwordx2 v[16:17], v[18:19], off
	s_mov_b64 s[16:17], 0
	s_branch .LBB15_2040
.LBB15_2037:
	s_mov_b64 s[16:17], -1
                                        ; implicit-def: $vgpr16
	s_branch .LBB15_2046
.LBB15_2038:
	s_mov_b64 s[16:17], -1
                                        ; implicit-def: $vgpr16
	s_branch .LBB15_2043
.LBB15_2039:
	s_mov_b64 s[16:17], -1
                                        ; implicit-def: $vgpr16
.LBB15_2040:
	s_andn2_b64 vcc, exec, s[16:17]
	s_cbranch_vccnz .LBB15_2042
; %bb.2041:
	global_load_dword v16, v[18:19], off
.LBB15_2042:
	s_mov_b64 s[16:17], 0
.LBB15_2043:
	s_andn2_b64 vcc, exec, s[16:17]
	s_cbranch_vccnz .LBB15_2045
; %bb.2044:
	global_load_ushort v16, v[18:19], off
.LBB15_2045:
	s_mov_b64 s[16:17], 0
.LBB15_2046:
	s_andn2_b64 vcc, exec, s[16:17]
	s_cbranch_vccnz .LBB15_2052
; %bb.2047:
	s_cmp_gt_i32 s18, 0
	s_cbranch_scc0 .LBB15_2049
; %bb.2048:
	global_load_ubyte v16, v[18:19], off
	s_mov_b64 s[16:17], 0
	s_branch .LBB15_2050
.LBB15_2049:
	s_mov_b64 s[16:17], -1
                                        ; implicit-def: $vgpr16
.LBB15_2050:
	s_andn2_b64 vcc, exec, s[16:17]
	s_cbranch_vccnz .LBB15_2052
; %bb.2051:
	global_load_ubyte v16, v[18:19], off
.LBB15_2052:
.LBB15_2053:
	v_mov_b32_e32 v1, s1
	s_and_b32 s28, s24, 0xff
	v_add_co_u32_e32 v14, vcc, s0, v15
	s_cmp_lt_i32 s28, 11
	v_addc_co_u32_e32 v15, vcc, 0, v1, vcc
	s_cbranch_scc1 .LBB15_2060
; %bb.2054:
	s_and_b32 s24, 0xffff, s28
	s_cmp_gt_i32 s24, 25
	s_mov_b64 s[18:19], 0
	s_cbranch_scc0 .LBB15_2061
; %bb.2055:
	s_cmp_gt_i32 s24, 28
	s_cbranch_scc0 .LBB15_2062
; %bb.2056:
	s_cmp_gt_i32 s24, 43
	;; [unrolled: 3-line block ×3, first 2 shown]
	s_cbranch_scc0 .LBB15_2065
; %bb.2058:
	s_cmp_eq_u32 s24, 46
	s_mov_b64 s[22:23], 0
	s_cbranch_scc0 .LBB15_2066
; %bb.2059:
	global_load_dword v1, v[14:15], off
	s_mov_b32 s16, 0x2f800000
	s_mov_b32 s17, 0xcf800000
	s_mov_b64 s[20:21], -1
	s_waitcnt vmcnt(0)
	v_lshlrev_b32_e32 v1, 16, v1
	v_trunc_f32_e32 v1, v1
	v_mul_f32_e64 v3, |v1|, s16
	v_floor_f32_e32 v3, v3
	v_fma_f32 v3, v3, s17, |v1|
	v_cvt_u32_f32_e32 v3, v3
	v_ashrrev_i32_e32 v1, 31, v1
	s_mov_b64 s[16:17], 0
	v_xor_b32_e32 v3, v3, v1
	v_sub_u32_e32 v17, v3, v1
	s_branch .LBB15_2067
.LBB15_2060:
	s_mov_b64 s[16:17], -1
	s_mov_b64 s[20:21], 0
                                        ; implicit-def: $vgpr17
	s_branch .LBB15_2129
.LBB15_2061:
	s_mov_b64 s[22:23], -1
	s_mov_b64 s[20:21], 0
	s_mov_b64 s[16:17], 0
                                        ; implicit-def: $vgpr17
	s_branch .LBB15_2094
.LBB15_2062:
	s_mov_b64 s[22:23], -1
	s_mov_b64 s[20:21], 0
	s_mov_b64 s[16:17], 0
                                        ; implicit-def: $vgpr17
	s_branch .LBB15_2077
.LBB15_2063:
	s_mov_b64 s[22:23], -1
	s_mov_b64 s[20:21], 0
	s_mov_b64 s[16:17], 0
                                        ; implicit-def: $vgpr17
	s_branch .LBB15_2072
.LBB15_2064:
	s_trap 2
	s_or_b64 s[4:5], s[4:5], exec
	s_cbranch_execz .LBB15_2003
	s_branch .LBB15_2004
.LBB15_2065:
	s_mov_b64 s[22:23], -1
	s_mov_b64 s[20:21], 0
	s_mov_b64 s[16:17], 0
                                        ; implicit-def: $vgpr17
	s_branch .LBB15_2067
.LBB15_2066:
	s_mov_b64 s[16:17], -1
                                        ; implicit-def: $vgpr17
	s_mov_b64 s[20:21], 0
.LBB15_2067:
	s_and_b64 vcc, exec, s[22:23]
	s_cbranch_vccz .LBB15_2071
; %bb.2068:
	s_cmp_eq_u32 s24, 44
	s_cbranch_scc0 .LBB15_2070
; %bb.2069:
	global_load_ubyte v1, v[14:15], off
	s_mov_b32 s16, 0x2f800000
	s_mov_b32 s17, 0xcf800000
	s_mov_b64 s[20:21], -1
	s_waitcnt vmcnt(0)
	v_lshlrev_b32_e32 v3, 23, v1
	v_trunc_f32_e32 v3, v3
	v_mul_f32_e64 v5, |v3|, s16
	v_floor_f32_e32 v5, v5
	v_fma_f32 v5, v5, s17, |v3|
	v_cvt_u32_f32_e32 v5, v5
	v_ashrrev_i32_e32 v3, 31, v3
	v_cmp_ne_u32_e32 vcc, 0, v1
	s_mov_b64 s[16:17], 0
	v_xor_b32_e32 v5, v5, v3
	v_sub_u32_e32 v3, v5, v3
	v_cndmask_b32_e32 v17, 0, v3, vcc
	s_branch .LBB15_2071
.LBB15_2070:
	s_mov_b64 s[16:17], -1
                                        ; implicit-def: $vgpr17
.LBB15_2071:
	s_mov_b64 s[22:23], 0
.LBB15_2072:
	s_and_b64 vcc, exec, s[22:23]
	s_cbranch_vccz .LBB15_2076
; %bb.2073:
	s_cmp_eq_u32 s24, 29
	s_cbranch_scc0 .LBB15_2075
; %bb.2074:
	global_load_dwordx2 v[17:18], v[14:15], off
	s_mov_b64 s[16:17], 0
	s_mov_b64 s[20:21], -1
	s_branch .LBB15_2076
.LBB15_2075:
	s_mov_b64 s[16:17], -1
                                        ; implicit-def: $vgpr17
.LBB15_2076:
	s_mov_b64 s[22:23], 0
.LBB15_2077:
	s_and_b64 vcc, exec, s[22:23]
	s_cbranch_vccz .LBB15_2093
; %bb.2078:
	s_cmp_lt_i32 s24, 27
	s_cbranch_scc1 .LBB15_2081
; %bb.2079:
	s_cmp_gt_i32 s24, 27
	s_cbranch_scc0 .LBB15_2082
; %bb.2080:
	global_load_dword v17, v[14:15], off
	s_mov_b64 s[20:21], 0
	s_branch .LBB15_2083
.LBB15_2081:
	s_mov_b64 s[20:21], -1
                                        ; implicit-def: $vgpr17
	s_branch .LBB15_2086
.LBB15_2082:
	s_mov_b64 s[20:21], -1
                                        ; implicit-def: $vgpr17
.LBB15_2083:
	s_andn2_b64 vcc, exec, s[20:21]
	s_cbranch_vccnz .LBB15_2085
; %bb.2084:
	global_load_ushort v17, v[14:15], off
.LBB15_2085:
	s_mov_b64 s[20:21], 0
.LBB15_2086:
	s_andn2_b64 vcc, exec, s[20:21]
	s_cbranch_vccnz .LBB15_2092
; %bb.2087:
	global_load_ubyte v1, v[14:15], off
	s_movk_i32 s20, 0x7f
	s_mov_b64 s[22:23], 0
	s_waitcnt vmcnt(0)
	v_cmp_lt_i16_e32 vcc, s20, v1
	s_and_saveexec_b64 s[20:21], vcc
	s_xor_b64 s[20:21], exec, s[20:21]
	s_cbranch_execz .LBB15_2104
; %bb.2088:
	s_movk_i32 s22, 0x80
	v_cmp_ne_u16_e32 vcc, s22, v1
	s_and_b64 s[22:23], vcc, exec
	s_andn2_saveexec_b64 s[20:21], s[20:21]
	s_cbranch_execnz .LBB15_2105
.LBB15_2089:
	s_or_b64 exec, exec, s[20:21]
	v_mov_b32_e32 v17, 0
	s_and_saveexec_b64 s[20:21], s[22:23]
	s_cbranch_execz .LBB15_2091
.LBB15_2090:
	v_lshlrev_b32_e32 v3, 24, v1
	v_and_b32_e32 v1, 0xffff, v1
	v_and_b32_e32 v5, 7, v1
	v_ffbh_u32_e32 v10, v5
	v_min_u32_e32 v10, 32, v10
	v_subrev_u32_e32 v12, 28, v10
	v_bfe_u32 v8, v1, 3, 4
	v_lshlrev_b32_e32 v1, v12, v1
	v_sub_u32_e32 v10, 29, v10
	v_and_b32_e32 v1, 7, v1
	v_cmp_eq_u32_e32 vcc, 0, v8
	v_cndmask_b32_e32 v8, v8, v10, vcc
	v_cndmask_b32_e32 v1, v5, v1, vcc
	v_mov_b32_e32 v5, 0x3b800000
	v_lshlrev_b32_e32 v1, 20, v1
	v_and_b32_e32 v3, 0x80000000, v3
	v_lshl_add_u32 v5, v8, 23, v5
	v_or3_b32 v1, v3, v5, v1
	v_trunc_f32_e32 v1, v1
	s_mov_b32 s22, 0x2f800000
	v_mul_f32_e64 v3, |v1|, s22
	v_floor_f32_e32 v3, v3
	s_mov_b32 s22, 0xcf800000
	v_fma_f32 v3, v3, s22, |v1|
	v_cvt_u32_f32_e32 v3, v3
	v_ashrrev_i32_e32 v1, 31, v1
	v_xor_b32_e32 v3, v3, v1
	v_sub_u32_e32 v17, v3, v1
.LBB15_2091:
	s_or_b64 exec, exec, s[20:21]
.LBB15_2092:
	s_mov_b64 s[20:21], -1
.LBB15_2093:
	s_mov_b64 s[22:23], 0
.LBB15_2094:
	s_and_b64 vcc, exec, s[22:23]
	s_cbranch_vccz .LBB15_2125
; %bb.2095:
	s_cmp_gt_i32 s24, 22
	s_cbranch_scc0 .LBB15_2103
; %bb.2096:
	s_cmp_lt_i32 s24, 24
	s_cbranch_scc1 .LBB15_2106
; %bb.2097:
	s_cmp_gt_i32 s24, 24
	s_cbranch_scc0 .LBB15_2107
; %bb.2098:
	global_load_ubyte v1, v[14:15], off
	s_movk_i32 s18, 0x7f
	s_mov_b64 s[20:21], 0
	s_waitcnt vmcnt(0)
	v_cmp_lt_i16_e32 vcc, s18, v1
	s_and_saveexec_b64 s[18:19], vcc
	s_xor_b64 s[18:19], exec, s[18:19]
	s_cbranch_execz .LBB15_2119
; %bb.2099:
	s_movk_i32 s20, 0x80
	v_cmp_ne_u16_e32 vcc, s20, v1
	s_and_b64 s[20:21], vcc, exec
	s_andn2_saveexec_b64 s[18:19], s[18:19]
	s_cbranch_execnz .LBB15_2120
.LBB15_2100:
	s_or_b64 exec, exec, s[18:19]
	v_mov_b32_e32 v17, 0
	s_and_saveexec_b64 s[18:19], s[20:21]
	s_cbranch_execz .LBB15_2102
.LBB15_2101:
	v_lshlrev_b32_e32 v3, 24, v1
	v_and_b32_e32 v1, 0xffff, v1
	v_and_b32_e32 v5, 3, v1
	v_ffbh_u32_e32 v10, v5
	v_min_u32_e32 v10, 32, v10
	v_subrev_u32_e32 v12, 29, v10
	v_bfe_u32 v8, v1, 2, 5
	v_lshlrev_b32_e32 v1, v12, v1
	v_sub_u32_e32 v10, 30, v10
	v_and_b32_e32 v1, 3, v1
	v_cmp_eq_u32_e32 vcc, 0, v8
	v_cndmask_b32_e32 v8, v8, v10, vcc
	v_cndmask_b32_e32 v1, v5, v1, vcc
	v_mov_b32_e32 v5, 0x37800000
	v_lshlrev_b32_e32 v1, 21, v1
	v_and_b32_e32 v3, 0x80000000, v3
	v_lshl_add_u32 v5, v8, 23, v5
	v_or3_b32 v1, v3, v5, v1
	v_trunc_f32_e32 v1, v1
	s_mov_b32 s20, 0x2f800000
	v_mul_f32_e64 v3, |v1|, s20
	v_floor_f32_e32 v3, v3
	s_mov_b32 s20, 0xcf800000
	v_fma_f32 v3, v3, s20, |v1|
	v_cvt_u32_f32_e32 v3, v3
	v_ashrrev_i32_e32 v1, 31, v1
	v_xor_b32_e32 v3, v3, v1
	v_sub_u32_e32 v17, v3, v1
.LBB15_2102:
	s_or_b64 exec, exec, s[18:19]
	s_mov_b64 s[18:19], 0
	s_branch .LBB15_2108
.LBB15_2103:
	s_mov_b64 s[18:19], -1
                                        ; implicit-def: $vgpr17
	s_branch .LBB15_2114
.LBB15_2104:
	s_andn2_saveexec_b64 s[20:21], s[20:21]
	s_cbranch_execz .LBB15_2089
.LBB15_2105:
	v_cmp_ne_u16_e32 vcc, 0, v1
	s_andn2_b64 s[22:23], s[22:23], exec
	s_and_b64 s[30:31], vcc, exec
	s_or_b64 s[22:23], s[22:23], s[30:31]
	s_or_b64 exec, exec, s[20:21]
	v_mov_b32_e32 v17, 0
	s_and_saveexec_b64 s[20:21], s[22:23]
	s_cbranch_execnz .LBB15_2090
	s_branch .LBB15_2091
.LBB15_2106:
	s_mov_b64 s[18:19], -1
                                        ; implicit-def: $vgpr17
	s_branch .LBB15_2111
.LBB15_2107:
	s_mov_b64 s[18:19], -1
                                        ; implicit-def: $vgpr17
.LBB15_2108:
	s_and_b64 vcc, exec, s[18:19]
	s_cbranch_vccz .LBB15_2110
; %bb.2109:
	global_load_ubyte v1, v[14:15], off
	s_mov_b32 s18, 0x7f800000
	s_brev_b32 s19, 1
	s_mov_b32 s20, 0x2f800000
	s_waitcnt vmcnt(0)
	v_lshlrev_b32_e32 v1, 24, v1
	v_and_b32_e32 v3, 0x7f000000, v1
	v_ffbh_u32_e32 v5, v3
	v_min_u32_e32 v5, 32, v5
	v_sub_u32_e64 v5, v5, 4 clamp
	v_lshlrev_b32_e32 v10, v5, v3
	v_lshlrev_b32_e32 v5, 23, v5
	v_lshrrev_b32_e32 v10, 4, v10
	v_add_u32_e32 v8, 0x1000000, v3
	v_sub_u32_e32 v5, v10, v5
	v_ashrrev_i32_e32 v8, 8, v8
	v_add_u32_e32 v5, 0x3c000000, v5
	v_and_or_b32 v5, v8, s18, v5
	v_cmp_ne_u32_e32 vcc, 0, v3
	v_cndmask_b32_e32 v3, 0, v5, vcc
	v_and_or_b32 v1, v1, s19, v3
	v_trunc_f32_e32 v1, v1
	v_mul_f32_e64 v3, |v1|, s20
	v_floor_f32_e32 v3, v3
	s_mov_b32 s18, 0xcf800000
	v_fma_f32 v3, v3, s18, |v1|
	v_cvt_u32_f32_e32 v3, v3
	v_ashrrev_i32_e32 v1, 31, v1
	v_xor_b32_e32 v3, v3, v1
	v_sub_u32_e32 v17, v3, v1
.LBB15_2110:
	s_mov_b64 s[18:19], 0
.LBB15_2111:
	s_andn2_b64 vcc, exec, s[18:19]
	s_cbranch_vccnz .LBB15_2113
; %bb.2112:
	global_load_ubyte v1, v[14:15], off
	s_movk_i32 s18, 0x7f00
	s_brev_b32 s19, 16
	s_brev_b32 s20, 1
	s_mov_b32 s21, 0x2f800000
	s_waitcnt vmcnt(0)
	v_lshlrev_b16_e32 v3, 8, v1
	v_lshlrev_b32_e32 v1, 25, v1
	v_lshrrev_b32_e32 v5, 4, v1
	v_and_or_b32 v8, v3, s18, 0.5
	v_or_b32_e32 v5, 0x70000000, v5
	v_add_f32_e32 v8, -0.5, v8
	v_mul_f32_e32 v5, 0x7800000, v5
	v_cmp_gt_u32_e32 vcc, s19, v1
	v_bfe_i32 v3, v3, 0, 16
	v_cndmask_b32_e32 v1, v5, v8, vcc
	v_and_or_b32 v1, v3, s20, v1
	v_trunc_f32_e32 v1, v1
	v_mul_f32_e64 v3, |v1|, s21
	v_floor_f32_e32 v3, v3
	s_mov_b32 s18, 0xcf800000
	v_fma_f32 v3, v3, s18, |v1|
	v_cvt_u32_f32_e32 v3, v3
	v_ashrrev_i32_e32 v1, 31, v1
	v_xor_b32_e32 v3, v3, v1
	v_sub_u32_e32 v17, v3, v1
.LBB15_2113:
	s_mov_b64 s[18:19], 0
	s_mov_b64 s[20:21], -1
.LBB15_2114:
	s_andn2_b64 vcc, exec, s[18:19]
	s_mov_b64 s[18:19], 0
	s_cbranch_vccnz .LBB15_2125
; %bb.2115:
	s_cmp_gt_i32 s24, 14
	s_cbranch_scc0 .LBB15_2118
; %bb.2116:
	s_cmp_eq_u32 s24, 15
	s_cbranch_scc0 .LBB15_2121
; %bb.2117:
	global_load_ushort v1, v[14:15], off
	s_mov_b32 s16, 0x2f800000
	s_mov_b32 s17, 0xcf800000
	s_mov_b64 s[20:21], -1
	s_waitcnt vmcnt(0)
	v_lshlrev_b32_e32 v1, 16, v1
	v_trunc_f32_e32 v1, v1
	v_mul_f32_e64 v3, |v1|, s16
	v_floor_f32_e32 v3, v3
	v_fma_f32 v3, v3, s17, |v1|
	v_cvt_u32_f32_e32 v3, v3
	v_ashrrev_i32_e32 v1, 31, v1
	s_mov_b64 s[16:17], 0
	v_xor_b32_e32 v3, v3, v1
	v_sub_u32_e32 v17, v3, v1
	s_branch .LBB15_2122
.LBB15_2118:
	s_mov_b64 s[22:23], -1
                                        ; implicit-def: $vgpr17
	s_branch .LBB15_2123
.LBB15_2119:
	s_andn2_saveexec_b64 s[18:19], s[18:19]
	s_cbranch_execz .LBB15_2100
.LBB15_2120:
	v_cmp_ne_u16_e32 vcc, 0, v1
	s_andn2_b64 s[20:21], s[20:21], exec
	s_and_b64 s[22:23], vcc, exec
	s_or_b64 s[20:21], s[20:21], s[22:23]
	s_or_b64 exec, exec, s[18:19]
	v_mov_b32_e32 v17, 0
	s_and_saveexec_b64 s[18:19], s[20:21]
	s_cbranch_execnz .LBB15_2101
	s_branch .LBB15_2102
.LBB15_2121:
	s_mov_b64 s[16:17], -1
                                        ; implicit-def: $vgpr17
.LBB15_2122:
	s_mov_b64 s[22:23], 0
.LBB15_2123:
	s_and_b64 vcc, exec, s[22:23]
	s_cbranch_vccz .LBB15_2125
; %bb.2124:
	s_cmp_lg_u32 s24, 11
	s_mov_b64 s[18:19], -1
	s_cselect_b64 s[16:17], -1, 0
.LBB15_2125:
	s_and_b64 vcc, exec, s[16:17]
	s_cbranch_vccnz .LBB15_2207
; %bb.2126:
	s_andn2_b64 vcc, exec, s[18:19]
	s_cbranch_vccnz .LBB15_2128
.LBB15_2127:
	global_load_ubyte v1, v[14:15], off
	s_mov_b64 s[20:21], -1
	s_waitcnt vmcnt(0)
	v_cmp_ne_u16_e32 vcc, 0, v1
	v_cndmask_b32_e64 v17, 0, 1, vcc
.LBB15_2128:
	s_mov_b64 s[16:17], 0
.LBB15_2129:
	s_and_b64 vcc, exec, s[16:17]
	s_cbranch_vccz .LBB15_2178
; %bb.2130:
	s_and_b32 s18, 0xffff, s28
	s_cmp_lt_i32 s18, 5
	s_cbranch_scc1 .LBB15_2135
; %bb.2131:
	s_cmp_lt_i32 s18, 8
	s_cbranch_scc1 .LBB15_2136
; %bb.2132:
	;; [unrolled: 3-line block ×3, first 2 shown]
	s_cmp_gt_i32 s18, 9
	s_cbranch_scc0 .LBB15_2138
; %bb.2134:
	global_load_dwordx2 v[17:18], v[14:15], off
	s_movk_i32 s16, 0xffe0
	s_waitcnt vmcnt(0)
	v_trunc_f64_e32 v[17:18], v[17:18]
	v_ldexp_f64 v[19:20], v[17:18], s16
	s_mov_b32 s16, 0
	s_mov_b32 s17, 0xc1f00000
	v_floor_f64_e32 v[19:20], v[19:20]
	v_fma_f64 v[17:18], v[19:20], s[16:17], v[17:18]
	s_mov_b64 s[16:17], 0
	v_cvt_u32_f64_e32 v17, v[17:18]
	s_branch .LBB15_2139
.LBB15_2135:
	s_mov_b64 s[16:17], -1
                                        ; implicit-def: $vgpr17
	s_branch .LBB15_2157
.LBB15_2136:
	s_mov_b64 s[16:17], -1
                                        ; implicit-def: $vgpr17
	s_branch .LBB15_2145
.LBB15_2137:
	s_mov_b64 s[16:17], -1
                                        ; implicit-def: $vgpr17
	s_branch .LBB15_2142
.LBB15_2138:
	s_mov_b64 s[16:17], -1
                                        ; implicit-def: $vgpr17
.LBB15_2139:
	s_andn2_b64 vcc, exec, s[16:17]
	s_cbranch_vccnz .LBB15_2141
; %bb.2140:
	global_load_dword v1, v[14:15], off
	s_mov_b32 s16, 0x2f800000
	s_waitcnt vmcnt(0)
	v_trunc_f32_e32 v1, v1
	v_mul_f32_e64 v3, |v1|, s16
	v_floor_f32_e32 v3, v3
	s_mov_b32 s16, 0xcf800000
	v_fma_f32 v3, v3, s16, |v1|
	v_cvt_u32_f32_e32 v3, v3
	v_ashrrev_i32_e32 v1, 31, v1
	v_xor_b32_e32 v3, v3, v1
	v_sub_u32_e32 v17, v3, v1
.LBB15_2141:
	s_mov_b64 s[16:17], 0
.LBB15_2142:
	s_andn2_b64 vcc, exec, s[16:17]
	s_cbranch_vccnz .LBB15_2144
; %bb.2143:
	global_load_dword v1, v[14:15], off
	s_waitcnt vmcnt(0)
	v_cvt_f32_f16_e32 v1, v1
	v_cvt_i32_f32_e32 v17, v1
.LBB15_2144:
	s_mov_b64 s[16:17], 0
.LBB15_2145:
	s_andn2_b64 vcc, exec, s[16:17]
	s_cbranch_vccnz .LBB15_2156
; %bb.2146:
	s_cmp_lt_i32 s18, 6
	s_cbranch_scc1 .LBB15_2149
; %bb.2147:
	s_cmp_gt_i32 s18, 6
	s_cbranch_scc0 .LBB15_2150
; %bb.2148:
	global_load_dwordx2 v[17:18], v[14:15], off
	s_movk_i32 s16, 0xffe0
	s_waitcnt vmcnt(0)
	v_trunc_f64_e32 v[17:18], v[17:18]
	v_ldexp_f64 v[19:20], v[17:18], s16
	s_mov_b32 s16, 0
	s_mov_b32 s17, 0xc1f00000
	v_floor_f64_e32 v[19:20], v[19:20]
	v_fma_f64 v[17:18], v[19:20], s[16:17], v[17:18]
	s_mov_b64 s[16:17], 0
	v_cvt_u32_f64_e32 v17, v[17:18]
	s_branch .LBB15_2151
.LBB15_2149:
	s_mov_b64 s[16:17], -1
                                        ; implicit-def: $vgpr17
	s_branch .LBB15_2154
.LBB15_2150:
	s_mov_b64 s[16:17], -1
                                        ; implicit-def: $vgpr17
.LBB15_2151:
	s_andn2_b64 vcc, exec, s[16:17]
	s_cbranch_vccnz .LBB15_2153
; %bb.2152:
	global_load_dword v1, v[14:15], off
	s_mov_b32 s16, 0x2f800000
	s_waitcnt vmcnt(0)
	v_trunc_f32_e32 v1, v1
	v_mul_f32_e64 v3, |v1|, s16
	v_floor_f32_e32 v3, v3
	s_mov_b32 s16, 0xcf800000
	v_fma_f32 v3, v3, s16, |v1|
	v_cvt_u32_f32_e32 v3, v3
	v_ashrrev_i32_e32 v1, 31, v1
	v_xor_b32_e32 v3, v3, v1
	v_sub_u32_e32 v17, v3, v1
.LBB15_2153:
	s_mov_b64 s[16:17], 0
.LBB15_2154:
	s_andn2_b64 vcc, exec, s[16:17]
	s_cbranch_vccnz .LBB15_2156
; %bb.2155:
	global_load_ushort v1, v[14:15], off
	s_waitcnt vmcnt(0)
	v_cvt_f32_f16_e32 v1, v1
	v_cvt_i32_f32_e32 v17, v1
.LBB15_2156:
	s_mov_b64 s[16:17], 0
.LBB15_2157:
	s_andn2_b64 vcc, exec, s[16:17]
	s_cbranch_vccnz .LBB15_2177
; %bb.2158:
	s_cmp_lt_i32 s18, 2
	s_cbranch_scc1 .LBB15_2162
; %bb.2159:
	s_cmp_lt_i32 s18, 3
	s_cbranch_scc1 .LBB15_2163
; %bb.2160:
	s_cmp_gt_i32 s18, 3
	s_cbranch_scc0 .LBB15_2164
; %bb.2161:
	global_load_dwordx2 v[17:18], v[14:15], off
	s_mov_b64 s[16:17], 0
	s_branch .LBB15_2165
.LBB15_2162:
	s_mov_b64 s[16:17], -1
                                        ; implicit-def: $vgpr17
	s_branch .LBB15_2171
.LBB15_2163:
	s_mov_b64 s[16:17], -1
                                        ; implicit-def: $vgpr17
	s_branch .LBB15_2168
.LBB15_2164:
	s_mov_b64 s[16:17], -1
                                        ; implicit-def: $vgpr17
.LBB15_2165:
	s_andn2_b64 vcc, exec, s[16:17]
	s_cbranch_vccnz .LBB15_2167
; %bb.2166:
	global_load_dword v17, v[14:15], off
.LBB15_2167:
	s_mov_b64 s[16:17], 0
.LBB15_2168:
	s_andn2_b64 vcc, exec, s[16:17]
	s_cbranch_vccnz .LBB15_2170
; %bb.2169:
	global_load_ushort v17, v[14:15], off
.LBB15_2170:
	s_mov_b64 s[16:17], 0
.LBB15_2171:
	s_andn2_b64 vcc, exec, s[16:17]
	s_cbranch_vccnz .LBB15_2177
; %bb.2172:
	s_cmp_gt_i32 s18, 0
	s_cbranch_scc0 .LBB15_2174
; %bb.2173:
	global_load_ubyte v17, v[14:15], off
	s_mov_b64 s[16:17], 0
	s_branch .LBB15_2175
.LBB15_2174:
	s_mov_b64 s[16:17], -1
                                        ; implicit-def: $vgpr17
.LBB15_2175:
	s_andn2_b64 vcc, exec, s[16:17]
	s_cbranch_vccnz .LBB15_2177
; %bb.2176:
	global_load_ubyte v17, v[14:15], off
.LBB15_2177:
	s_mov_b64 s[20:21], -1
.LBB15_2178:
	s_andn2_b64 vcc, exec, s[20:21]
	s_cbranch_vccnz .LBB15_2723
; %bb.2179:
	s_cmp_lt_i32 s26, 1
	s_mov_b64 s[18:19], 0
	s_cbranch_scc1 .LBB15_2183
; %bb.2180:
	s_cmp_gt_i32 s26, 1
	s_cbranch_scc0 .LBB15_2184
; %bb.2181:
	s_cmp_eq_u32 s26, 2
	s_cbranch_scc0 .LBB15_2185
; %bb.2182:
	s_waitcnt vmcnt(0)
	v_cmp_le_u16_sdwa s[16:17], v16, v17 src0_sel:BYTE_0 src1_sel:BYTE_0
	s_mov_b64 s[20:21], 0
	s_branch .LBB15_2186
.LBB15_2183:
	s_mov_b64 s[22:23], -1
                                        ; implicit-def: $sgpr16_sgpr17
	s_mov_b64 s[20:21], 0
	s_branch .LBB15_2190
.LBB15_2184:
	s_mov_b64 s[22:23], -1
	s_mov_b64 s[20:21], 0
                                        ; implicit-def: $sgpr16_sgpr17
	s_branch .LBB15_2187
.LBB15_2185:
	s_mov_b64 s[20:21], -1
                                        ; implicit-def: $sgpr16_sgpr17
.LBB15_2186:
	s_mov_b64 s[22:23], 0
.LBB15_2187:
	s_and_b64 vcc, exec, s[22:23]
	s_cbranch_vccz .LBB15_2189
; %bb.2188:
	s_waitcnt vmcnt(0)
	v_cmp_gt_u16_sdwa s[22:23], v16, v17 src0_sel:BYTE_0 src1_sel:BYTE_0
	s_andn2_b64 s[16:17], s[16:17], exec
	s_and_b64 s[22:23], s[22:23], exec
	s_or_b64 s[16:17], s[16:17], s[22:23]
.LBB15_2189:
	s_mov_b64 s[22:23], 0
.LBB15_2190:
	s_and_b64 vcc, exec, s[22:23]
	s_cbranch_vccz .LBB15_2201
; %bb.2191:
	s_cmp_lg_u32 s26, 0
	s_mov_b64 s[18:19], -1
	s_cselect_b64 s[20:21], -1, 0
	s_andn2_b64 vcc, exec, s[20:21]
	s_cbranch_vccz .LBB15_2202
.LBB15_2192:
	s_andn2_b64 vcc, exec, s[18:19]
	s_cbranch_vccnz .LBB15_2194
.LBB15_2193:
	s_waitcnt vmcnt(0)
	v_cmp_ge_u16_sdwa s[18:19], v16, v17 src0_sel:BYTE_0 src1_sel:BYTE_0
	s_andn2_b64 s[16:17], s[16:17], exec
	s_and_b64 s[18:19], s[18:19], exec
	s_or_b64 s[16:17], s[16:17], s[18:19]
.LBB15_2194:
	v_mov_b32_e32 v1, s11
	v_add_co_u32_e32 v14, vcc, s10, v13
	s_cmp_lt_i32 s27, 11
	v_addc_co_u32_e32 v15, vcc, 0, v1, vcc
	s_cbranch_scc1 .LBB15_2203
; %bb.2195:
	s_and_b32 s29, 0xffff, s27
	s_cmp_gt_i32 s29, 25
	s_mov_b64 s[20:21], 0
	s_cbranch_scc0 .LBB15_2204
; %bb.2196:
	s_cmp_gt_i32 s29, 28
	s_cbranch_scc0 .LBB15_2205
; %bb.2197:
	s_cmp_gt_i32 s29, 43
	;; [unrolled: 3-line block ×3, first 2 shown]
	s_cbranch_scc0 .LBB15_2208
; %bb.2199:
	s_cmp_eq_u32 s29, 46
	s_mov_b64 s[24:25], 0
	s_cbranch_scc0 .LBB15_2209
; %bb.2200:
	global_load_dword v1, v[14:15], off
	s_mov_b32 s18, 0x2f800000
	s_mov_b32 s19, 0xcf800000
	s_mov_b64 s[22:23], -1
	s_waitcnt vmcnt(0)
	v_lshlrev_b32_e32 v1, 16, v1
	v_trunc_f32_e32 v1, v1
	v_mul_f32_e64 v3, |v1|, s18
	v_floor_f32_e32 v3, v3
	v_fma_f32 v3, v3, s19, |v1|
	v_cvt_u32_f32_e32 v3, v3
	v_ashrrev_i32_e32 v1, 31, v1
	s_mov_b64 s[18:19], 0
	v_xor_b32_e32 v3, v3, v1
	v_sub_u32_e32 v12, v3, v1
	s_branch .LBB15_2210
.LBB15_2201:
	s_andn2_b64 vcc, exec, s[20:21]
	s_cbranch_vccnz .LBB15_2192
.LBB15_2202:
	s_waitcnt vmcnt(0)
	v_cmp_lt_u16_sdwa s[20:21], v16, v17 src0_sel:BYTE_0 src1_sel:BYTE_0
	s_andn2_b64 s[16:17], s[16:17], exec
	s_and_b64 s[20:21], s[20:21], exec
	s_or_b64 s[16:17], s[16:17], s[20:21]
	s_cbranch_execz .LBB15_2193
	s_branch .LBB15_2194
.LBB15_2203:
	s_mov_b64 s[18:19], -1
	s_mov_b64 s[22:23], 0
                                        ; implicit-def: $vgpr12
	s_branch .LBB15_2272
.LBB15_2204:
	s_mov_b64 s[24:25], -1
	s_mov_b64 s[22:23], 0
	s_mov_b64 s[18:19], 0
                                        ; implicit-def: $vgpr12
	s_branch .LBB15_2237
.LBB15_2205:
	s_mov_b64 s[24:25], -1
	s_mov_b64 s[22:23], 0
	s_mov_b64 s[18:19], 0
                                        ; implicit-def: $vgpr12
	s_branch .LBB15_2220
.LBB15_2206:
	s_mov_b64 s[24:25], -1
	s_mov_b64 s[22:23], 0
	s_mov_b64 s[18:19], 0
                                        ; implicit-def: $vgpr12
	s_branch .LBB15_2215
.LBB15_2207:
	s_trap 2
	s_or_b64 s[4:5], s[4:5], exec
	s_cbranch_execz .LBB15_2127
	s_branch .LBB15_2128
.LBB15_2208:
	s_mov_b64 s[24:25], -1
	s_mov_b64 s[22:23], 0
	s_mov_b64 s[18:19], 0
                                        ; implicit-def: $vgpr12
	s_branch .LBB15_2210
.LBB15_2209:
	s_mov_b64 s[18:19], -1
                                        ; implicit-def: $vgpr12
	s_mov_b64 s[22:23], 0
.LBB15_2210:
	s_and_b64 vcc, exec, s[24:25]
	s_cbranch_vccz .LBB15_2214
; %bb.2211:
	s_cmp_eq_u32 s29, 44
	s_cbranch_scc0 .LBB15_2213
; %bb.2212:
	global_load_ubyte v1, v[14:15], off
	s_mov_b32 s18, 0x2f800000
	s_mov_b32 s19, 0xcf800000
	s_mov_b64 s[22:23], -1
	s_waitcnt vmcnt(0)
	v_lshlrev_b32_e32 v3, 23, v1
	v_trunc_f32_e32 v3, v3
	v_mul_f32_e64 v5, |v3|, s18
	v_floor_f32_e32 v5, v5
	v_fma_f32 v5, v5, s19, |v3|
	v_cvt_u32_f32_e32 v5, v5
	v_ashrrev_i32_e32 v3, 31, v3
	v_cmp_ne_u32_e32 vcc, 0, v1
	s_mov_b64 s[18:19], 0
	v_xor_b32_e32 v5, v5, v3
	v_sub_u32_e32 v3, v5, v3
	v_cndmask_b32_e32 v12, 0, v3, vcc
	s_branch .LBB15_2214
.LBB15_2213:
	s_mov_b64 s[18:19], -1
                                        ; implicit-def: $vgpr12
.LBB15_2214:
	s_mov_b64 s[24:25], 0
.LBB15_2215:
	s_and_b64 vcc, exec, s[24:25]
	s_cbranch_vccz .LBB15_2219
; %bb.2216:
	s_cmp_eq_u32 s29, 29
	s_cbranch_scc0 .LBB15_2218
; %bb.2217:
	global_load_dwordx2 v[12:13], v[14:15], off
	s_mov_b64 s[18:19], 0
	s_mov_b64 s[22:23], -1
	s_branch .LBB15_2219
.LBB15_2218:
	s_mov_b64 s[18:19], -1
                                        ; implicit-def: $vgpr12
.LBB15_2219:
	s_mov_b64 s[24:25], 0
.LBB15_2220:
	s_and_b64 vcc, exec, s[24:25]
	s_cbranch_vccz .LBB15_2236
; %bb.2221:
	s_cmp_lt_i32 s29, 27
	s_cbranch_scc1 .LBB15_2224
; %bb.2222:
	s_cmp_gt_i32 s29, 27
	s_cbranch_scc0 .LBB15_2225
; %bb.2223:
	global_load_dword v12, v[14:15], off
	s_mov_b64 s[22:23], 0
	s_branch .LBB15_2226
.LBB15_2224:
	s_mov_b64 s[22:23], -1
                                        ; implicit-def: $vgpr12
	s_branch .LBB15_2229
.LBB15_2225:
	s_mov_b64 s[22:23], -1
                                        ; implicit-def: $vgpr12
.LBB15_2226:
	s_andn2_b64 vcc, exec, s[22:23]
	s_cbranch_vccnz .LBB15_2228
; %bb.2227:
	global_load_ushort v12, v[14:15], off
.LBB15_2228:
	s_mov_b64 s[22:23], 0
.LBB15_2229:
	s_andn2_b64 vcc, exec, s[22:23]
	s_cbranch_vccnz .LBB15_2235
; %bb.2230:
	global_load_ubyte v1, v[14:15], off
	s_movk_i32 s22, 0x7f
	s_mov_b64 s[24:25], 0
	s_waitcnt vmcnt(0)
	v_cmp_lt_i16_e32 vcc, s22, v1
	s_and_saveexec_b64 s[22:23], vcc
	s_xor_b64 s[22:23], exec, s[22:23]
	s_cbranch_execz .LBB15_2247
; %bb.2231:
	s_movk_i32 s24, 0x80
	v_cmp_ne_u16_e32 vcc, s24, v1
	s_and_b64 s[24:25], vcc, exec
	s_andn2_saveexec_b64 s[22:23], s[22:23]
	s_cbranch_execnz .LBB15_2248
.LBB15_2232:
	s_or_b64 exec, exec, s[22:23]
	v_mov_b32_e32 v12, 0
	s_and_saveexec_b64 s[22:23], s[24:25]
	s_cbranch_execz .LBB15_2234
.LBB15_2233:
	v_lshlrev_b32_e32 v3, 24, v1
	v_and_b32_e32 v1, 0xffff, v1
	v_and_b32_e32 v5, 7, v1
	v_ffbh_u32_e32 v10, v5
	v_min_u32_e32 v10, 32, v10
	v_subrev_u32_e32 v12, 28, v10
	v_bfe_u32 v8, v1, 3, 4
	v_lshlrev_b32_e32 v1, v12, v1
	v_sub_u32_e32 v10, 29, v10
	v_and_b32_e32 v1, 7, v1
	v_cmp_eq_u32_e32 vcc, 0, v8
	v_cndmask_b32_e32 v8, v8, v10, vcc
	v_cndmask_b32_e32 v1, v5, v1, vcc
	v_mov_b32_e32 v5, 0x3b800000
	v_lshlrev_b32_e32 v1, 20, v1
	v_and_b32_e32 v3, 0x80000000, v3
	v_lshl_add_u32 v5, v8, 23, v5
	v_or3_b32 v1, v3, v5, v1
	v_trunc_f32_e32 v1, v1
	s_mov_b32 s24, 0x2f800000
	v_mul_f32_e64 v3, |v1|, s24
	v_floor_f32_e32 v3, v3
	s_mov_b32 s24, 0xcf800000
	v_fma_f32 v3, v3, s24, |v1|
	v_cvt_u32_f32_e32 v3, v3
	v_ashrrev_i32_e32 v1, 31, v1
	v_xor_b32_e32 v3, v3, v1
	v_sub_u32_e32 v12, v3, v1
.LBB15_2234:
	s_or_b64 exec, exec, s[22:23]
.LBB15_2235:
	s_mov_b64 s[22:23], -1
.LBB15_2236:
	s_mov_b64 s[24:25], 0
.LBB15_2237:
	s_and_b64 vcc, exec, s[24:25]
	s_cbranch_vccz .LBB15_2268
; %bb.2238:
	s_cmp_gt_i32 s29, 22
	s_cbranch_scc0 .LBB15_2246
; %bb.2239:
	s_cmp_lt_i32 s29, 24
	s_cbranch_scc1 .LBB15_2249
; %bb.2240:
	s_cmp_gt_i32 s29, 24
	s_cbranch_scc0 .LBB15_2250
; %bb.2241:
	global_load_ubyte v1, v[14:15], off
	s_movk_i32 s20, 0x7f
	s_mov_b64 s[22:23], 0
	s_waitcnt vmcnt(0)
	v_cmp_lt_i16_e32 vcc, s20, v1
	s_and_saveexec_b64 s[20:21], vcc
	s_xor_b64 s[20:21], exec, s[20:21]
	s_cbranch_execz .LBB15_2262
; %bb.2242:
	s_movk_i32 s22, 0x80
	v_cmp_ne_u16_e32 vcc, s22, v1
	s_and_b64 s[22:23], vcc, exec
	s_andn2_saveexec_b64 s[20:21], s[20:21]
	s_cbranch_execnz .LBB15_2263
.LBB15_2243:
	s_or_b64 exec, exec, s[20:21]
	v_mov_b32_e32 v12, 0
	s_and_saveexec_b64 s[20:21], s[22:23]
	s_cbranch_execz .LBB15_2245
.LBB15_2244:
	v_lshlrev_b32_e32 v3, 24, v1
	v_and_b32_e32 v1, 0xffff, v1
	v_and_b32_e32 v5, 3, v1
	v_ffbh_u32_e32 v10, v5
	v_min_u32_e32 v10, 32, v10
	v_subrev_u32_e32 v12, 29, v10
	v_bfe_u32 v8, v1, 2, 5
	v_lshlrev_b32_e32 v1, v12, v1
	v_sub_u32_e32 v10, 30, v10
	v_and_b32_e32 v1, 3, v1
	v_cmp_eq_u32_e32 vcc, 0, v8
	v_cndmask_b32_e32 v8, v8, v10, vcc
	v_cndmask_b32_e32 v1, v5, v1, vcc
	v_mov_b32_e32 v5, 0x37800000
	v_lshlrev_b32_e32 v1, 21, v1
	v_and_b32_e32 v3, 0x80000000, v3
	v_lshl_add_u32 v5, v8, 23, v5
	v_or3_b32 v1, v3, v5, v1
	v_trunc_f32_e32 v1, v1
	s_mov_b32 s22, 0x2f800000
	v_mul_f32_e64 v3, |v1|, s22
	v_floor_f32_e32 v3, v3
	s_mov_b32 s22, 0xcf800000
	v_fma_f32 v3, v3, s22, |v1|
	v_cvt_u32_f32_e32 v3, v3
	v_ashrrev_i32_e32 v1, 31, v1
	v_xor_b32_e32 v3, v3, v1
	v_sub_u32_e32 v12, v3, v1
.LBB15_2245:
	s_or_b64 exec, exec, s[20:21]
	s_mov_b64 s[20:21], 0
	s_branch .LBB15_2251
.LBB15_2246:
	s_mov_b64 s[20:21], -1
                                        ; implicit-def: $vgpr12
	s_branch .LBB15_2257
.LBB15_2247:
	s_andn2_saveexec_b64 s[22:23], s[22:23]
	s_cbranch_execz .LBB15_2232
.LBB15_2248:
	v_cmp_ne_u16_e32 vcc, 0, v1
	s_andn2_b64 s[24:25], s[24:25], exec
	s_and_b64 s[30:31], vcc, exec
	s_or_b64 s[24:25], s[24:25], s[30:31]
	s_or_b64 exec, exec, s[22:23]
	v_mov_b32_e32 v12, 0
	s_and_saveexec_b64 s[22:23], s[24:25]
	s_cbranch_execnz .LBB15_2233
	s_branch .LBB15_2234
.LBB15_2249:
	s_mov_b64 s[20:21], -1
                                        ; implicit-def: $vgpr12
	s_branch .LBB15_2254
.LBB15_2250:
	s_mov_b64 s[20:21], -1
                                        ; implicit-def: $vgpr12
.LBB15_2251:
	s_and_b64 vcc, exec, s[20:21]
	s_cbranch_vccz .LBB15_2253
; %bb.2252:
	global_load_ubyte v1, v[14:15], off
	s_mov_b32 s20, 0x7f800000
	s_brev_b32 s21, 1
	s_mov_b32 s22, 0x2f800000
	s_waitcnt vmcnt(0)
	v_lshlrev_b32_e32 v1, 24, v1
	v_and_b32_e32 v3, 0x7f000000, v1
	v_ffbh_u32_e32 v5, v3
	v_min_u32_e32 v5, 32, v5
	v_sub_u32_e64 v5, v5, 4 clamp
	v_lshlrev_b32_e32 v10, v5, v3
	v_lshlrev_b32_e32 v5, 23, v5
	v_lshrrev_b32_e32 v10, 4, v10
	v_add_u32_e32 v8, 0x1000000, v3
	v_sub_u32_e32 v5, v10, v5
	v_ashrrev_i32_e32 v8, 8, v8
	v_add_u32_e32 v5, 0x3c000000, v5
	v_and_or_b32 v5, v8, s20, v5
	v_cmp_ne_u32_e32 vcc, 0, v3
	v_cndmask_b32_e32 v3, 0, v5, vcc
	v_and_or_b32 v1, v1, s21, v3
	v_trunc_f32_e32 v1, v1
	v_mul_f32_e64 v3, |v1|, s22
	v_floor_f32_e32 v3, v3
	s_mov_b32 s20, 0xcf800000
	v_fma_f32 v3, v3, s20, |v1|
	v_cvt_u32_f32_e32 v3, v3
	v_ashrrev_i32_e32 v1, 31, v1
	v_xor_b32_e32 v3, v3, v1
	v_sub_u32_e32 v12, v3, v1
.LBB15_2253:
	s_mov_b64 s[20:21], 0
.LBB15_2254:
	s_andn2_b64 vcc, exec, s[20:21]
	s_cbranch_vccnz .LBB15_2256
; %bb.2255:
	global_load_ubyte v1, v[14:15], off
	s_movk_i32 s20, 0x7f00
	s_brev_b32 s21, 16
	s_brev_b32 s22, 1
	s_mov_b32 s23, 0x2f800000
	s_waitcnt vmcnt(0)
	v_lshlrev_b16_e32 v3, 8, v1
	v_lshlrev_b32_e32 v1, 25, v1
	v_lshrrev_b32_e32 v5, 4, v1
	v_and_or_b32 v8, v3, s20, 0.5
	v_or_b32_e32 v5, 0x70000000, v5
	v_add_f32_e32 v8, -0.5, v8
	v_mul_f32_e32 v5, 0x7800000, v5
	v_cmp_gt_u32_e32 vcc, s21, v1
	v_bfe_i32 v3, v3, 0, 16
	v_cndmask_b32_e32 v1, v5, v8, vcc
	v_and_or_b32 v1, v3, s22, v1
	v_trunc_f32_e32 v1, v1
	v_mul_f32_e64 v3, |v1|, s23
	v_floor_f32_e32 v3, v3
	s_mov_b32 s20, 0xcf800000
	v_fma_f32 v3, v3, s20, |v1|
	v_cvt_u32_f32_e32 v3, v3
	v_ashrrev_i32_e32 v1, 31, v1
	v_xor_b32_e32 v3, v3, v1
	v_sub_u32_e32 v12, v3, v1
.LBB15_2256:
	s_mov_b64 s[20:21], 0
	s_mov_b64 s[22:23], -1
.LBB15_2257:
	s_andn2_b64 vcc, exec, s[20:21]
	s_mov_b64 s[20:21], 0
	s_cbranch_vccnz .LBB15_2268
; %bb.2258:
	s_cmp_gt_i32 s29, 14
	s_cbranch_scc0 .LBB15_2261
; %bb.2259:
	s_cmp_eq_u32 s29, 15
	s_cbranch_scc0 .LBB15_2264
; %bb.2260:
	global_load_ushort v1, v[14:15], off
	s_mov_b32 s18, 0x2f800000
	s_mov_b32 s19, 0xcf800000
	s_mov_b64 s[22:23], -1
	s_waitcnt vmcnt(0)
	v_lshlrev_b32_e32 v1, 16, v1
	v_trunc_f32_e32 v1, v1
	v_mul_f32_e64 v3, |v1|, s18
	v_floor_f32_e32 v3, v3
	v_fma_f32 v3, v3, s19, |v1|
	v_cvt_u32_f32_e32 v3, v3
	v_ashrrev_i32_e32 v1, 31, v1
	s_mov_b64 s[18:19], 0
	v_xor_b32_e32 v3, v3, v1
	v_sub_u32_e32 v12, v3, v1
	s_branch .LBB15_2265
.LBB15_2261:
	s_mov_b64 s[24:25], -1
                                        ; implicit-def: $vgpr12
	s_branch .LBB15_2266
.LBB15_2262:
	s_andn2_saveexec_b64 s[20:21], s[20:21]
	s_cbranch_execz .LBB15_2243
.LBB15_2263:
	v_cmp_ne_u16_e32 vcc, 0, v1
	s_andn2_b64 s[22:23], s[22:23], exec
	s_and_b64 s[24:25], vcc, exec
	s_or_b64 s[22:23], s[22:23], s[24:25]
	s_or_b64 exec, exec, s[20:21]
	v_mov_b32_e32 v12, 0
	s_and_saveexec_b64 s[20:21], s[22:23]
	s_cbranch_execnz .LBB15_2244
	s_branch .LBB15_2245
.LBB15_2264:
	s_mov_b64 s[18:19], -1
                                        ; implicit-def: $vgpr12
.LBB15_2265:
	s_mov_b64 s[24:25], 0
.LBB15_2266:
	s_and_b64 vcc, exec, s[24:25]
	s_cbranch_vccz .LBB15_2268
; %bb.2267:
	s_cmp_lg_u32 s29, 11
	s_mov_b64 s[20:21], -1
	s_cselect_b64 s[18:19], -1, 0
.LBB15_2268:
	s_and_b64 vcc, exec, s[18:19]
	s_cbranch_vccnz .LBB15_2333
; %bb.2269:
	s_andn2_b64 vcc, exec, s[20:21]
	s_cbranch_vccnz .LBB15_2271
.LBB15_2270:
	global_load_ubyte v1, v[14:15], off
	s_mov_b64 s[22:23], -1
	s_waitcnt vmcnt(0)
	v_cmp_ne_u16_e32 vcc, 0, v1
	v_cndmask_b32_e64 v12, 0, 1, vcc
.LBB15_2271:
	s_mov_b64 s[18:19], 0
.LBB15_2272:
	s_and_b64 vcc, exec, s[18:19]
	s_cbranch_vccz .LBB15_2321
; %bb.2273:
	s_and_b32 s20, 0xffff, s27
	s_cmp_lt_i32 s20, 5
	s_cbranch_scc1 .LBB15_2278
; %bb.2274:
	s_cmp_lt_i32 s20, 8
	s_cbranch_scc1 .LBB15_2279
; %bb.2275:
	;; [unrolled: 3-line block ×3, first 2 shown]
	s_cmp_gt_i32 s20, 9
	s_cbranch_scc0 .LBB15_2281
; %bb.2277:
	global_load_dwordx2 v[12:13], v[14:15], off
	s_movk_i32 s18, 0xffe0
	s_waitcnt vmcnt(0)
	v_trunc_f64_e32 v[12:13], v[12:13]
	v_ldexp_f64 v[16:17], v[12:13], s18
	s_mov_b32 s18, 0
	s_mov_b32 s19, 0xc1f00000
	v_floor_f64_e32 v[16:17], v[16:17]
	v_fma_f64 v[12:13], v[16:17], s[18:19], v[12:13]
	s_mov_b64 s[18:19], 0
	v_cvt_u32_f64_e32 v12, v[12:13]
	s_branch .LBB15_2282
.LBB15_2278:
	s_mov_b64 s[18:19], -1
                                        ; implicit-def: $vgpr12
	s_branch .LBB15_2300
.LBB15_2279:
	s_mov_b64 s[18:19], -1
                                        ; implicit-def: $vgpr12
	s_branch .LBB15_2288
.LBB15_2280:
	s_mov_b64 s[18:19], -1
                                        ; implicit-def: $vgpr12
	s_branch .LBB15_2285
.LBB15_2281:
	s_mov_b64 s[18:19], -1
                                        ; implicit-def: $vgpr12
.LBB15_2282:
	s_andn2_b64 vcc, exec, s[18:19]
	s_cbranch_vccnz .LBB15_2284
; %bb.2283:
	global_load_dword v1, v[14:15], off
	s_mov_b32 s18, 0x2f800000
	s_waitcnt vmcnt(0)
	v_trunc_f32_e32 v1, v1
	v_mul_f32_e64 v3, |v1|, s18
	v_floor_f32_e32 v3, v3
	s_mov_b32 s18, 0xcf800000
	v_fma_f32 v3, v3, s18, |v1|
	v_cvt_u32_f32_e32 v3, v3
	v_ashrrev_i32_e32 v1, 31, v1
	v_xor_b32_e32 v3, v3, v1
	v_sub_u32_e32 v12, v3, v1
.LBB15_2284:
	s_mov_b64 s[18:19], 0
.LBB15_2285:
	s_andn2_b64 vcc, exec, s[18:19]
	s_cbranch_vccnz .LBB15_2287
; %bb.2286:
	global_load_dword v1, v[14:15], off
	s_waitcnt vmcnt(0)
	v_cvt_f32_f16_e32 v1, v1
	v_cvt_i32_f32_e32 v12, v1
.LBB15_2287:
	s_mov_b64 s[18:19], 0
.LBB15_2288:
	s_andn2_b64 vcc, exec, s[18:19]
	s_cbranch_vccnz .LBB15_2299
; %bb.2289:
	s_cmp_lt_i32 s20, 6
	s_cbranch_scc1 .LBB15_2292
; %bb.2290:
	s_cmp_gt_i32 s20, 6
	s_cbranch_scc0 .LBB15_2293
; %bb.2291:
	global_load_dwordx2 v[12:13], v[14:15], off
	s_movk_i32 s18, 0xffe0
	s_waitcnt vmcnt(0)
	v_trunc_f64_e32 v[12:13], v[12:13]
	v_ldexp_f64 v[16:17], v[12:13], s18
	s_mov_b32 s18, 0
	s_mov_b32 s19, 0xc1f00000
	v_floor_f64_e32 v[16:17], v[16:17]
	v_fma_f64 v[12:13], v[16:17], s[18:19], v[12:13]
	s_mov_b64 s[18:19], 0
	v_cvt_u32_f64_e32 v12, v[12:13]
	s_branch .LBB15_2294
.LBB15_2292:
	s_mov_b64 s[18:19], -1
                                        ; implicit-def: $vgpr12
	s_branch .LBB15_2297
.LBB15_2293:
	s_mov_b64 s[18:19], -1
                                        ; implicit-def: $vgpr12
.LBB15_2294:
	s_andn2_b64 vcc, exec, s[18:19]
	s_cbranch_vccnz .LBB15_2296
; %bb.2295:
	global_load_dword v1, v[14:15], off
	s_mov_b32 s18, 0x2f800000
	s_waitcnt vmcnt(0)
	v_trunc_f32_e32 v1, v1
	v_mul_f32_e64 v3, |v1|, s18
	v_floor_f32_e32 v3, v3
	s_mov_b32 s18, 0xcf800000
	v_fma_f32 v3, v3, s18, |v1|
	v_cvt_u32_f32_e32 v3, v3
	v_ashrrev_i32_e32 v1, 31, v1
	v_xor_b32_e32 v3, v3, v1
	v_sub_u32_e32 v12, v3, v1
.LBB15_2296:
	s_mov_b64 s[18:19], 0
.LBB15_2297:
	s_andn2_b64 vcc, exec, s[18:19]
	s_cbranch_vccnz .LBB15_2299
; %bb.2298:
	global_load_ushort v1, v[14:15], off
	s_waitcnt vmcnt(0)
	v_cvt_f32_f16_e32 v1, v1
	v_cvt_i32_f32_e32 v12, v1
.LBB15_2299:
	s_mov_b64 s[18:19], 0
.LBB15_2300:
	s_andn2_b64 vcc, exec, s[18:19]
	s_cbranch_vccnz .LBB15_2320
; %bb.2301:
	s_cmp_lt_i32 s20, 2
	s_cbranch_scc1 .LBB15_2305
; %bb.2302:
	s_cmp_lt_i32 s20, 3
	s_cbranch_scc1 .LBB15_2306
; %bb.2303:
	s_cmp_gt_i32 s20, 3
	s_cbranch_scc0 .LBB15_2307
; %bb.2304:
	global_load_dwordx2 v[12:13], v[14:15], off
	s_mov_b64 s[18:19], 0
	s_branch .LBB15_2308
.LBB15_2305:
	s_mov_b64 s[18:19], -1
                                        ; implicit-def: $vgpr12
	s_branch .LBB15_2314
.LBB15_2306:
	s_mov_b64 s[18:19], -1
                                        ; implicit-def: $vgpr12
	s_branch .LBB15_2311
.LBB15_2307:
	s_mov_b64 s[18:19], -1
                                        ; implicit-def: $vgpr12
.LBB15_2308:
	s_andn2_b64 vcc, exec, s[18:19]
	s_cbranch_vccnz .LBB15_2310
; %bb.2309:
	global_load_dword v12, v[14:15], off
.LBB15_2310:
	s_mov_b64 s[18:19], 0
.LBB15_2311:
	s_andn2_b64 vcc, exec, s[18:19]
	s_cbranch_vccnz .LBB15_2313
; %bb.2312:
	global_load_ushort v12, v[14:15], off
.LBB15_2313:
	s_mov_b64 s[18:19], 0
.LBB15_2314:
	s_andn2_b64 vcc, exec, s[18:19]
	s_cbranch_vccnz .LBB15_2320
; %bb.2315:
	s_cmp_gt_i32 s20, 0
	s_cbranch_scc0 .LBB15_2317
; %bb.2316:
	global_load_ubyte v12, v[14:15], off
	s_mov_b64 s[18:19], 0
	s_branch .LBB15_2318
.LBB15_2317:
	s_mov_b64 s[18:19], -1
                                        ; implicit-def: $vgpr12
.LBB15_2318:
	s_andn2_b64 vcc, exec, s[18:19]
	s_cbranch_vccnz .LBB15_2320
; %bb.2319:
	global_load_ubyte v12, v[14:15], off
.LBB15_2320:
	s_mov_b64 s[22:23], -1
.LBB15_2321:
	s_andn2_b64 vcc, exec, s[22:23]
	s_cbranch_vccnz .LBB15_2723
; %bb.2322:
	v_mov_b32_e32 v1, s1
	v_add_co_u32_e32 v10, vcc, s0, v11
	s_cmp_lt_i32 s28, 11
	v_addc_co_u32_e32 v11, vcc, 0, v1, vcc
	s_cbranch_scc1 .LBB15_2329
; %bb.2323:
	s_and_b32 s29, 0xffff, s28
	s_cmp_gt_i32 s29, 25
	s_mov_b64 s[20:21], 0
	s_cbranch_scc0 .LBB15_2330
; %bb.2324:
	s_cmp_gt_i32 s29, 28
	s_cbranch_scc0 .LBB15_2331
; %bb.2325:
	s_cmp_gt_i32 s29, 43
	;; [unrolled: 3-line block ×3, first 2 shown]
	s_cbranch_scc0 .LBB15_2334
; %bb.2327:
	s_cmp_eq_u32 s29, 46
	s_mov_b64 s[24:25], 0
	s_cbranch_scc0 .LBB15_2337
; %bb.2328:
	global_load_dword v1, v[10:11], off
	s_mov_b32 s18, 0x2f800000
	s_mov_b32 s19, 0xcf800000
	s_mov_b64 s[22:23], -1
	s_waitcnt vmcnt(0)
	v_lshlrev_b32_e32 v1, 16, v1
	v_trunc_f32_e32 v1, v1
	v_mul_f32_e64 v3, |v1|, s18
	v_floor_f32_e32 v3, v3
	v_fma_f32 v3, v3, s19, |v1|
	v_cvt_u32_f32_e32 v3, v3
	v_ashrrev_i32_e32 v1, 31, v1
	s_mov_b64 s[18:19], 0
	v_xor_b32_e32 v3, v3, v1
	v_sub_u32_e32 v13, v3, v1
	s_branch .LBB15_2338
.LBB15_2329:
	s_mov_b64 s[18:19], -1
	s_mov_b64 s[22:23], 0
                                        ; implicit-def: $vgpr13
	s_branch .LBB15_2400
.LBB15_2330:
	s_mov_b64 s[24:25], -1
	s_mov_b64 s[22:23], 0
	s_mov_b64 s[18:19], 0
                                        ; implicit-def: $vgpr13
	s_branch .LBB15_2365
.LBB15_2331:
	s_mov_b64 s[24:25], -1
	s_mov_b64 s[22:23], 0
	s_mov_b64 s[18:19], 0
                                        ; implicit-def: $vgpr13
	s_branch .LBB15_2348
.LBB15_2332:
	s_mov_b64 s[24:25], -1
	s_mov_b64 s[22:23], 0
	s_mov_b64 s[18:19], 0
                                        ; implicit-def: $vgpr13
	s_branch .LBB15_2343
.LBB15_2333:
	s_trap 2
	s_or_b64 s[4:5], s[4:5], exec
	s_cbranch_execz .LBB15_2270
	s_branch .LBB15_2271
.LBB15_2334:
	s_mov_b64 s[24:25], -1
	s_mov_b64 s[22:23], 0
	s_mov_b64 s[18:19], 0
                                        ; implicit-def: $vgpr13
	s_branch .LBB15_2338
.LBB15_2335:
	s_andn2_saveexec_b64 s[66:67], s[66:67]
	s_cbranch_execz .LBB15_1145
.LBB15_2336:
	v_add_f32_e32 v2, 0x42800000, v3
	v_and_b32_e32 v2, 0xff, v2
	v_cmp_ne_u32_e32 vcc, 0, v2
	s_andn2_b64 s[64:65], s[64:65], exec
	s_and_b64 s[76:77], vcc, exec
	s_or_b64 s[64:65], s[64:65], s[76:77]
	s_or_b64 exec, exec, s[66:67]
	v_mov_b32_e32 v4, 0
	s_and_saveexec_b64 s[66:67], s[64:65]
	s_cbranch_execnz .LBB15_1146
	s_branch .LBB15_1147
.LBB15_2337:
	s_mov_b64 s[18:19], -1
                                        ; implicit-def: $vgpr13
	s_mov_b64 s[22:23], 0
.LBB15_2338:
	s_and_b64 vcc, exec, s[24:25]
	s_cbranch_vccz .LBB15_2342
; %bb.2339:
	s_cmp_eq_u32 s29, 44
	s_cbranch_scc0 .LBB15_2341
; %bb.2340:
	global_load_ubyte v1, v[10:11], off
	s_mov_b32 s18, 0x2f800000
	s_mov_b32 s19, 0xcf800000
	s_mov_b64 s[22:23], -1
	s_waitcnt vmcnt(0)
	v_lshlrev_b32_e32 v3, 23, v1
	v_trunc_f32_e32 v3, v3
	v_mul_f32_e64 v5, |v3|, s18
	v_floor_f32_e32 v5, v5
	v_fma_f32 v5, v5, s19, |v3|
	v_cvt_u32_f32_e32 v5, v5
	v_ashrrev_i32_e32 v3, 31, v3
	v_cmp_ne_u32_e32 vcc, 0, v1
	s_mov_b64 s[18:19], 0
	v_xor_b32_e32 v5, v5, v3
	v_sub_u32_e32 v3, v5, v3
	v_cndmask_b32_e32 v13, 0, v3, vcc
	s_branch .LBB15_2342
.LBB15_2341:
	s_mov_b64 s[18:19], -1
                                        ; implicit-def: $vgpr13
.LBB15_2342:
	s_mov_b64 s[24:25], 0
.LBB15_2343:
	s_and_b64 vcc, exec, s[24:25]
	s_cbranch_vccz .LBB15_2347
; %bb.2344:
	s_cmp_eq_u32 s29, 29
	s_cbranch_scc0 .LBB15_2346
; %bb.2345:
	global_load_dwordx2 v[13:14], v[10:11], off
	s_mov_b64 s[18:19], 0
	s_mov_b64 s[22:23], -1
	s_branch .LBB15_2347
.LBB15_2346:
	s_mov_b64 s[18:19], -1
                                        ; implicit-def: $vgpr13
.LBB15_2347:
	s_mov_b64 s[24:25], 0
.LBB15_2348:
	s_and_b64 vcc, exec, s[24:25]
	s_cbranch_vccz .LBB15_2364
; %bb.2349:
	s_cmp_lt_i32 s29, 27
	s_cbranch_scc1 .LBB15_2352
; %bb.2350:
	s_cmp_gt_i32 s29, 27
	s_cbranch_scc0 .LBB15_2353
; %bb.2351:
	global_load_dword v13, v[10:11], off
	s_mov_b64 s[22:23], 0
	s_branch .LBB15_2354
.LBB15_2352:
	s_mov_b64 s[22:23], -1
                                        ; implicit-def: $vgpr13
	s_branch .LBB15_2357
.LBB15_2353:
	s_mov_b64 s[22:23], -1
                                        ; implicit-def: $vgpr13
.LBB15_2354:
	s_andn2_b64 vcc, exec, s[22:23]
	s_cbranch_vccnz .LBB15_2356
; %bb.2355:
	global_load_ushort v13, v[10:11], off
.LBB15_2356:
	s_mov_b64 s[22:23], 0
.LBB15_2357:
	s_andn2_b64 vcc, exec, s[22:23]
	s_cbranch_vccnz .LBB15_2363
; %bb.2358:
	global_load_ubyte v1, v[10:11], off
	s_movk_i32 s22, 0x7f
	s_mov_b64 s[24:25], 0
	s_waitcnt vmcnt(0)
	v_cmp_lt_i16_e32 vcc, s22, v1
	s_and_saveexec_b64 s[22:23], vcc
	s_xor_b64 s[22:23], exec, s[22:23]
	s_cbranch_execz .LBB15_2375
; %bb.2359:
	s_movk_i32 s24, 0x80
	v_cmp_ne_u16_e32 vcc, s24, v1
	s_and_b64 s[24:25], vcc, exec
	s_andn2_saveexec_b64 s[22:23], s[22:23]
	s_cbranch_execnz .LBB15_2376
.LBB15_2360:
	s_or_b64 exec, exec, s[22:23]
	v_mov_b32_e32 v13, 0
	s_and_saveexec_b64 s[22:23], s[24:25]
	s_cbranch_execz .LBB15_2362
.LBB15_2361:
	v_lshlrev_b32_e32 v3, 24, v1
	v_and_b32_e32 v1, 0xffff, v1
	v_and_b32_e32 v5, 7, v1
	v_ffbh_u32_e32 v13, v5
	v_min_u32_e32 v13, 32, v13
	v_subrev_u32_e32 v14, 28, v13
	v_bfe_u32 v8, v1, 3, 4
	v_lshlrev_b32_e32 v1, v14, v1
	v_sub_u32_e32 v13, 29, v13
	v_and_b32_e32 v1, 7, v1
	v_cmp_eq_u32_e32 vcc, 0, v8
	v_cndmask_b32_e32 v8, v8, v13, vcc
	v_cndmask_b32_e32 v1, v5, v1, vcc
	v_mov_b32_e32 v5, 0x3b800000
	v_lshlrev_b32_e32 v1, 20, v1
	v_and_b32_e32 v3, 0x80000000, v3
	v_lshl_add_u32 v5, v8, 23, v5
	v_or3_b32 v1, v3, v5, v1
	v_trunc_f32_e32 v1, v1
	s_mov_b32 s24, 0x2f800000
	v_mul_f32_e64 v3, |v1|, s24
	v_floor_f32_e32 v3, v3
	s_mov_b32 s24, 0xcf800000
	v_fma_f32 v3, v3, s24, |v1|
	v_cvt_u32_f32_e32 v3, v3
	v_ashrrev_i32_e32 v1, 31, v1
	v_xor_b32_e32 v3, v3, v1
	v_sub_u32_e32 v13, v3, v1
.LBB15_2362:
	s_or_b64 exec, exec, s[22:23]
.LBB15_2363:
	s_mov_b64 s[22:23], -1
.LBB15_2364:
	s_mov_b64 s[24:25], 0
.LBB15_2365:
	s_and_b64 vcc, exec, s[24:25]
	s_cbranch_vccz .LBB15_2396
; %bb.2366:
	s_cmp_gt_i32 s29, 22
	s_cbranch_scc0 .LBB15_2374
; %bb.2367:
	s_cmp_lt_i32 s29, 24
	s_cbranch_scc1 .LBB15_2377
; %bb.2368:
	s_cmp_gt_i32 s29, 24
	s_cbranch_scc0 .LBB15_2378
; %bb.2369:
	global_load_ubyte v1, v[10:11], off
	s_movk_i32 s20, 0x7f
	s_mov_b64 s[22:23], 0
	s_waitcnt vmcnt(0)
	v_cmp_lt_i16_e32 vcc, s20, v1
	s_and_saveexec_b64 s[20:21], vcc
	s_xor_b64 s[20:21], exec, s[20:21]
	s_cbranch_execz .LBB15_2390
; %bb.2370:
	s_movk_i32 s22, 0x80
	v_cmp_ne_u16_e32 vcc, s22, v1
	s_and_b64 s[22:23], vcc, exec
	s_andn2_saveexec_b64 s[20:21], s[20:21]
	s_cbranch_execnz .LBB15_2391
.LBB15_2371:
	s_or_b64 exec, exec, s[20:21]
	v_mov_b32_e32 v13, 0
	s_and_saveexec_b64 s[20:21], s[22:23]
	s_cbranch_execz .LBB15_2373
.LBB15_2372:
	v_lshlrev_b32_e32 v3, 24, v1
	v_and_b32_e32 v1, 0xffff, v1
	v_and_b32_e32 v5, 3, v1
	v_ffbh_u32_e32 v13, v5
	v_min_u32_e32 v13, 32, v13
	v_subrev_u32_e32 v14, 29, v13
	v_bfe_u32 v8, v1, 2, 5
	v_lshlrev_b32_e32 v1, v14, v1
	v_sub_u32_e32 v13, 30, v13
	v_and_b32_e32 v1, 3, v1
	v_cmp_eq_u32_e32 vcc, 0, v8
	v_cndmask_b32_e32 v8, v8, v13, vcc
	v_cndmask_b32_e32 v1, v5, v1, vcc
	v_mov_b32_e32 v5, 0x37800000
	v_lshlrev_b32_e32 v1, 21, v1
	v_and_b32_e32 v3, 0x80000000, v3
	v_lshl_add_u32 v5, v8, 23, v5
	v_or3_b32 v1, v3, v5, v1
	v_trunc_f32_e32 v1, v1
	s_mov_b32 s22, 0x2f800000
	v_mul_f32_e64 v3, |v1|, s22
	v_floor_f32_e32 v3, v3
	s_mov_b32 s22, 0xcf800000
	v_fma_f32 v3, v3, s22, |v1|
	v_cvt_u32_f32_e32 v3, v3
	v_ashrrev_i32_e32 v1, 31, v1
	v_xor_b32_e32 v3, v3, v1
	v_sub_u32_e32 v13, v3, v1
.LBB15_2373:
	s_or_b64 exec, exec, s[20:21]
	s_mov_b64 s[20:21], 0
	s_branch .LBB15_2379
.LBB15_2374:
	s_mov_b64 s[20:21], -1
                                        ; implicit-def: $vgpr13
	s_branch .LBB15_2385
.LBB15_2375:
	s_andn2_saveexec_b64 s[22:23], s[22:23]
	s_cbranch_execz .LBB15_2360
.LBB15_2376:
	v_cmp_ne_u16_e32 vcc, 0, v1
	s_andn2_b64 s[24:25], s[24:25], exec
	s_and_b64 s[30:31], vcc, exec
	s_or_b64 s[24:25], s[24:25], s[30:31]
	s_or_b64 exec, exec, s[22:23]
	v_mov_b32_e32 v13, 0
	s_and_saveexec_b64 s[22:23], s[24:25]
	s_cbranch_execnz .LBB15_2361
	s_branch .LBB15_2362
.LBB15_2377:
	s_mov_b64 s[20:21], -1
                                        ; implicit-def: $vgpr13
	s_branch .LBB15_2382
.LBB15_2378:
	s_mov_b64 s[20:21], -1
                                        ; implicit-def: $vgpr13
.LBB15_2379:
	s_and_b64 vcc, exec, s[20:21]
	s_cbranch_vccz .LBB15_2381
; %bb.2380:
	global_load_ubyte v1, v[10:11], off
	s_mov_b32 s20, 0x7f800000
	s_brev_b32 s21, 1
	s_mov_b32 s22, 0x2f800000
	s_waitcnt vmcnt(0)
	v_lshlrev_b32_e32 v1, 24, v1
	v_and_b32_e32 v3, 0x7f000000, v1
	v_ffbh_u32_e32 v5, v3
	v_min_u32_e32 v5, 32, v5
	v_sub_u32_e64 v5, v5, 4 clamp
	v_lshlrev_b32_e32 v13, v5, v3
	v_lshlrev_b32_e32 v5, 23, v5
	v_lshrrev_b32_e32 v13, 4, v13
	v_add_u32_e32 v8, 0x1000000, v3
	v_sub_u32_e32 v5, v13, v5
	v_ashrrev_i32_e32 v8, 8, v8
	v_add_u32_e32 v5, 0x3c000000, v5
	v_and_or_b32 v5, v8, s20, v5
	v_cmp_ne_u32_e32 vcc, 0, v3
	v_cndmask_b32_e32 v3, 0, v5, vcc
	v_and_or_b32 v1, v1, s21, v3
	v_trunc_f32_e32 v1, v1
	v_mul_f32_e64 v3, |v1|, s22
	v_floor_f32_e32 v3, v3
	s_mov_b32 s20, 0xcf800000
	v_fma_f32 v3, v3, s20, |v1|
	v_cvt_u32_f32_e32 v3, v3
	v_ashrrev_i32_e32 v1, 31, v1
	v_xor_b32_e32 v3, v3, v1
	v_sub_u32_e32 v13, v3, v1
.LBB15_2381:
	s_mov_b64 s[20:21], 0
.LBB15_2382:
	s_andn2_b64 vcc, exec, s[20:21]
	s_cbranch_vccnz .LBB15_2384
; %bb.2383:
	global_load_ubyte v1, v[10:11], off
	s_movk_i32 s20, 0x7f00
	s_brev_b32 s21, 16
	s_brev_b32 s22, 1
	s_mov_b32 s23, 0x2f800000
	s_waitcnt vmcnt(0)
	v_lshlrev_b16_e32 v3, 8, v1
	v_lshlrev_b32_e32 v1, 25, v1
	v_lshrrev_b32_e32 v5, 4, v1
	v_and_or_b32 v8, v3, s20, 0.5
	v_or_b32_e32 v5, 0x70000000, v5
	v_add_f32_e32 v8, -0.5, v8
	v_mul_f32_e32 v5, 0x7800000, v5
	v_cmp_gt_u32_e32 vcc, s21, v1
	v_bfe_i32 v3, v3, 0, 16
	v_cndmask_b32_e32 v1, v5, v8, vcc
	v_and_or_b32 v1, v3, s22, v1
	v_trunc_f32_e32 v1, v1
	v_mul_f32_e64 v3, |v1|, s23
	v_floor_f32_e32 v3, v3
	s_mov_b32 s20, 0xcf800000
	v_fma_f32 v3, v3, s20, |v1|
	v_cvt_u32_f32_e32 v3, v3
	v_ashrrev_i32_e32 v1, 31, v1
	v_xor_b32_e32 v3, v3, v1
	v_sub_u32_e32 v13, v3, v1
.LBB15_2384:
	s_mov_b64 s[20:21], 0
	s_mov_b64 s[22:23], -1
.LBB15_2385:
	s_andn2_b64 vcc, exec, s[20:21]
	s_mov_b64 s[20:21], 0
	s_cbranch_vccnz .LBB15_2396
; %bb.2386:
	s_cmp_gt_i32 s29, 14
	s_cbranch_scc0 .LBB15_2389
; %bb.2387:
	s_cmp_eq_u32 s29, 15
	s_cbranch_scc0 .LBB15_2392
; %bb.2388:
	global_load_ushort v1, v[10:11], off
	s_mov_b32 s18, 0x2f800000
	s_mov_b32 s19, 0xcf800000
	s_mov_b64 s[22:23], -1
	s_waitcnt vmcnt(0)
	v_lshlrev_b32_e32 v1, 16, v1
	v_trunc_f32_e32 v1, v1
	v_mul_f32_e64 v3, |v1|, s18
	v_floor_f32_e32 v3, v3
	v_fma_f32 v3, v3, s19, |v1|
	v_cvt_u32_f32_e32 v3, v3
	v_ashrrev_i32_e32 v1, 31, v1
	s_mov_b64 s[18:19], 0
	v_xor_b32_e32 v3, v3, v1
	v_sub_u32_e32 v13, v3, v1
	s_branch .LBB15_2393
.LBB15_2389:
	s_mov_b64 s[24:25], -1
                                        ; implicit-def: $vgpr13
	s_branch .LBB15_2394
.LBB15_2390:
	s_andn2_saveexec_b64 s[20:21], s[20:21]
	s_cbranch_execz .LBB15_2371
.LBB15_2391:
	v_cmp_ne_u16_e32 vcc, 0, v1
	s_andn2_b64 s[22:23], s[22:23], exec
	s_and_b64 s[24:25], vcc, exec
	s_or_b64 s[22:23], s[22:23], s[24:25]
	s_or_b64 exec, exec, s[20:21]
	v_mov_b32_e32 v13, 0
	s_and_saveexec_b64 s[20:21], s[22:23]
	s_cbranch_execnz .LBB15_2372
	s_branch .LBB15_2373
.LBB15_2392:
	s_mov_b64 s[18:19], -1
                                        ; implicit-def: $vgpr13
.LBB15_2393:
	s_mov_b64 s[24:25], 0
.LBB15_2394:
	s_and_b64 vcc, exec, s[24:25]
	s_cbranch_vccz .LBB15_2396
; %bb.2395:
	s_cmp_lg_u32 s29, 11
	s_mov_b64 s[20:21], -1
	s_cselect_b64 s[18:19], -1, 0
.LBB15_2396:
	s_and_b64 vcc, exec, s[18:19]
	s_cbranch_vccnz .LBB15_2478
; %bb.2397:
	s_andn2_b64 vcc, exec, s[20:21]
	s_cbranch_vccnz .LBB15_2399
.LBB15_2398:
	global_load_ubyte v1, v[10:11], off
	s_mov_b64 s[22:23], -1
	s_waitcnt vmcnt(0)
	v_cmp_ne_u16_e32 vcc, 0, v1
	v_cndmask_b32_e64 v13, 0, 1, vcc
.LBB15_2399:
	s_mov_b64 s[18:19], 0
.LBB15_2400:
	s_and_b64 vcc, exec, s[18:19]
	s_cbranch_vccz .LBB15_2449
; %bb.2401:
	s_and_b32 s20, 0xffff, s28
	s_cmp_lt_i32 s20, 5
	s_cbranch_scc1 .LBB15_2406
; %bb.2402:
	s_cmp_lt_i32 s20, 8
	s_cbranch_scc1 .LBB15_2407
; %bb.2403:
	s_cmp_lt_i32 s20, 9
	s_cbranch_scc1 .LBB15_2408
; %bb.2404:
	s_cmp_gt_i32 s20, 9
	s_cbranch_scc0 .LBB15_2409
; %bb.2405:
	global_load_dwordx2 v[13:14], v[10:11], off
	s_movk_i32 s18, 0xffe0
	s_waitcnt vmcnt(0)
	v_trunc_f64_e32 v[13:14], v[13:14]
	v_ldexp_f64 v[15:16], v[13:14], s18
	s_mov_b32 s18, 0
	s_mov_b32 s19, 0xc1f00000
	v_floor_f64_e32 v[15:16], v[15:16]
	v_fma_f64 v[13:14], v[15:16], s[18:19], v[13:14]
	s_mov_b64 s[18:19], 0
	v_cvt_u32_f64_e32 v13, v[13:14]
	s_branch .LBB15_2410
.LBB15_2406:
	s_mov_b64 s[18:19], -1
                                        ; implicit-def: $vgpr13
	s_branch .LBB15_2428
.LBB15_2407:
	s_mov_b64 s[18:19], -1
                                        ; implicit-def: $vgpr13
	s_branch .LBB15_2416
.LBB15_2408:
	s_mov_b64 s[18:19], -1
                                        ; implicit-def: $vgpr13
	s_branch .LBB15_2413
.LBB15_2409:
	s_mov_b64 s[18:19], -1
                                        ; implicit-def: $vgpr13
.LBB15_2410:
	s_andn2_b64 vcc, exec, s[18:19]
	s_cbranch_vccnz .LBB15_2412
; %bb.2411:
	global_load_dword v1, v[10:11], off
	s_mov_b32 s18, 0x2f800000
	s_waitcnt vmcnt(0)
	v_trunc_f32_e32 v1, v1
	v_mul_f32_e64 v3, |v1|, s18
	v_floor_f32_e32 v3, v3
	s_mov_b32 s18, 0xcf800000
	v_fma_f32 v3, v3, s18, |v1|
	v_cvt_u32_f32_e32 v3, v3
	v_ashrrev_i32_e32 v1, 31, v1
	v_xor_b32_e32 v3, v3, v1
	v_sub_u32_e32 v13, v3, v1
.LBB15_2412:
	s_mov_b64 s[18:19], 0
.LBB15_2413:
	s_andn2_b64 vcc, exec, s[18:19]
	s_cbranch_vccnz .LBB15_2415
; %bb.2414:
	global_load_dword v1, v[10:11], off
	s_waitcnt vmcnt(0)
	v_cvt_f32_f16_e32 v1, v1
	v_cvt_i32_f32_e32 v13, v1
.LBB15_2415:
	s_mov_b64 s[18:19], 0
.LBB15_2416:
	s_andn2_b64 vcc, exec, s[18:19]
	s_cbranch_vccnz .LBB15_2427
; %bb.2417:
	s_cmp_lt_i32 s20, 6
	s_cbranch_scc1 .LBB15_2420
; %bb.2418:
	s_cmp_gt_i32 s20, 6
	s_cbranch_scc0 .LBB15_2421
; %bb.2419:
	global_load_dwordx2 v[13:14], v[10:11], off
	s_movk_i32 s18, 0xffe0
	s_waitcnt vmcnt(0)
	v_trunc_f64_e32 v[13:14], v[13:14]
	v_ldexp_f64 v[15:16], v[13:14], s18
	s_mov_b32 s18, 0
	s_mov_b32 s19, 0xc1f00000
	v_floor_f64_e32 v[15:16], v[15:16]
	v_fma_f64 v[13:14], v[15:16], s[18:19], v[13:14]
	s_mov_b64 s[18:19], 0
	v_cvt_u32_f64_e32 v13, v[13:14]
	s_branch .LBB15_2422
.LBB15_2420:
	s_mov_b64 s[18:19], -1
                                        ; implicit-def: $vgpr13
	s_branch .LBB15_2425
.LBB15_2421:
	s_mov_b64 s[18:19], -1
                                        ; implicit-def: $vgpr13
.LBB15_2422:
	s_andn2_b64 vcc, exec, s[18:19]
	s_cbranch_vccnz .LBB15_2424
; %bb.2423:
	global_load_dword v1, v[10:11], off
	s_mov_b32 s18, 0x2f800000
	s_waitcnt vmcnt(0)
	v_trunc_f32_e32 v1, v1
	v_mul_f32_e64 v3, |v1|, s18
	v_floor_f32_e32 v3, v3
	s_mov_b32 s18, 0xcf800000
	v_fma_f32 v3, v3, s18, |v1|
	v_cvt_u32_f32_e32 v3, v3
	v_ashrrev_i32_e32 v1, 31, v1
	v_xor_b32_e32 v3, v3, v1
	v_sub_u32_e32 v13, v3, v1
.LBB15_2424:
	s_mov_b64 s[18:19], 0
.LBB15_2425:
	s_andn2_b64 vcc, exec, s[18:19]
	s_cbranch_vccnz .LBB15_2427
; %bb.2426:
	global_load_ushort v1, v[10:11], off
	s_waitcnt vmcnt(0)
	v_cvt_f32_f16_e32 v1, v1
	v_cvt_i32_f32_e32 v13, v1
.LBB15_2427:
	s_mov_b64 s[18:19], 0
.LBB15_2428:
	s_andn2_b64 vcc, exec, s[18:19]
	s_cbranch_vccnz .LBB15_2448
; %bb.2429:
	s_cmp_lt_i32 s20, 2
	s_cbranch_scc1 .LBB15_2433
; %bb.2430:
	s_cmp_lt_i32 s20, 3
	s_cbranch_scc1 .LBB15_2434
; %bb.2431:
	s_cmp_gt_i32 s20, 3
	s_cbranch_scc0 .LBB15_2435
; %bb.2432:
	global_load_dwordx2 v[13:14], v[10:11], off
	s_mov_b64 s[18:19], 0
	s_branch .LBB15_2436
.LBB15_2433:
	s_mov_b64 s[18:19], -1
                                        ; implicit-def: $vgpr13
	s_branch .LBB15_2442
.LBB15_2434:
	s_mov_b64 s[18:19], -1
                                        ; implicit-def: $vgpr13
	s_branch .LBB15_2439
.LBB15_2435:
	s_mov_b64 s[18:19], -1
                                        ; implicit-def: $vgpr13
.LBB15_2436:
	s_andn2_b64 vcc, exec, s[18:19]
	s_cbranch_vccnz .LBB15_2438
; %bb.2437:
	global_load_dword v13, v[10:11], off
.LBB15_2438:
	s_mov_b64 s[18:19], 0
.LBB15_2439:
	s_andn2_b64 vcc, exec, s[18:19]
	s_cbranch_vccnz .LBB15_2441
; %bb.2440:
	global_load_ushort v13, v[10:11], off
.LBB15_2441:
	s_mov_b64 s[18:19], 0
.LBB15_2442:
	s_andn2_b64 vcc, exec, s[18:19]
	s_cbranch_vccnz .LBB15_2448
; %bb.2443:
	s_cmp_gt_i32 s20, 0
	s_cbranch_scc0 .LBB15_2445
; %bb.2444:
	global_load_ubyte v13, v[10:11], off
	s_mov_b64 s[18:19], 0
	s_branch .LBB15_2446
.LBB15_2445:
	s_mov_b64 s[18:19], -1
                                        ; implicit-def: $vgpr13
.LBB15_2446:
	s_andn2_b64 vcc, exec, s[18:19]
	s_cbranch_vccnz .LBB15_2448
; %bb.2447:
	global_load_ubyte v13, v[10:11], off
.LBB15_2448:
	s_mov_b64 s[22:23], -1
.LBB15_2449:
	s_andn2_b64 vcc, exec, s[22:23]
	s_cbranch_vccnz .LBB15_2723
; %bb.2450:
	s_cmp_lt_i32 s26, 1
	s_mov_b64 s[20:21], 0
	s_cbranch_scc1 .LBB15_2454
; %bb.2451:
	s_cmp_gt_i32 s26, 1
	s_cbranch_scc0 .LBB15_2455
; %bb.2452:
	s_cmp_eq_u32 s26, 2
	s_cbranch_scc0 .LBB15_2456
; %bb.2453:
	s_waitcnt vmcnt(0)
	v_cmp_le_u16_sdwa s[18:19], v12, v13 src0_sel:BYTE_0 src1_sel:BYTE_0
	s_mov_b64 s[22:23], 0
	s_branch .LBB15_2457
.LBB15_2454:
	s_mov_b64 s[24:25], -1
                                        ; implicit-def: $sgpr18_sgpr19
	s_mov_b64 s[22:23], 0
	s_branch .LBB15_2461
.LBB15_2455:
	s_mov_b64 s[24:25], -1
	s_mov_b64 s[22:23], 0
                                        ; implicit-def: $sgpr18_sgpr19
	s_branch .LBB15_2458
.LBB15_2456:
	s_mov_b64 s[22:23], -1
                                        ; implicit-def: $sgpr18_sgpr19
.LBB15_2457:
	s_mov_b64 s[24:25], 0
.LBB15_2458:
	s_and_b64 vcc, exec, s[24:25]
	s_cbranch_vccz .LBB15_2460
; %bb.2459:
	s_waitcnt vmcnt(0)
	v_cmp_gt_u16_sdwa s[24:25], v12, v13 src0_sel:BYTE_0 src1_sel:BYTE_0
	s_andn2_b64 s[18:19], s[18:19], exec
	s_and_b64 s[24:25], s[24:25], exec
	s_or_b64 s[18:19], s[18:19], s[24:25]
.LBB15_2460:
	s_mov_b64 s[24:25], 0
.LBB15_2461:
	s_and_b64 vcc, exec, s[24:25]
	s_cbranch_vccz .LBB15_2472
; %bb.2462:
	s_cmp_lg_u32 s26, 0
	s_mov_b64 s[20:21], -1
	s_cselect_b64 s[22:23], -1, 0
	s_andn2_b64 vcc, exec, s[22:23]
	s_cbranch_vccz .LBB15_2473
.LBB15_2463:
	s_andn2_b64 vcc, exec, s[20:21]
	s_cbranch_vccnz .LBB15_2465
.LBB15_2464:
	s_waitcnt vmcnt(0)
	v_cmp_ge_u16_sdwa s[20:21], v12, v13 src0_sel:BYTE_0 src1_sel:BYTE_0
	s_andn2_b64 s[18:19], s[18:19], exec
	s_and_b64 s[20:21], s[20:21], exec
	s_or_b64 s[18:19], s[18:19], s[20:21]
.LBB15_2465:
	v_mov_b32_e32 v1, s11
	v_add_co_u32_e32 v10, vcc, s10, v9
	s_cmp_lt_i32 s27, 11
	v_addc_co_u32_e32 v11, vcc, 0, v1, vcc
	s_cbranch_scc1 .LBB15_2474
; %bb.2466:
	s_and_b32 s29, 0xffff, s27
	s_cmp_gt_i32 s29, 25
	s_mov_b64 s[20:21], 0
	s_cbranch_scc0 .LBB15_2475
; %bb.2467:
	s_cmp_gt_i32 s29, 28
	s_cbranch_scc0 .LBB15_2476
; %bb.2468:
	s_cmp_gt_i32 s29, 43
	s_cbranch_scc0 .LBB15_2477
; %bb.2469:
	s_cmp_gt_i32 s29, 45
	s_cbranch_scc0 .LBB15_2479
; %bb.2470:
	s_cmp_eq_u32 s29, 46
	s_mov_b64 s[24:25], 0
	s_cbranch_scc0 .LBB15_2480
; %bb.2471:
	global_load_dword v1, v[10:11], off
	s_mov_b32 s10, 0x2f800000
	s_mov_b32 s11, 0xcf800000
	s_mov_b64 s[22:23], -1
	s_waitcnt vmcnt(0)
	v_lshlrev_b32_e32 v1, 16, v1
	v_trunc_f32_e32 v1, v1
	v_mul_f32_e64 v3, |v1|, s10
	v_floor_f32_e32 v3, v3
	v_fma_f32 v3, v3, s11, |v1|
	v_cvt_u32_f32_e32 v3, v3
	v_ashrrev_i32_e32 v1, 31, v1
	s_mov_b64 s[10:11], 0
	v_xor_b32_e32 v3, v3, v1
	v_sub_u32_e32 v8, v3, v1
	s_branch .LBB15_2481
.LBB15_2472:
	s_andn2_b64 vcc, exec, s[22:23]
	s_cbranch_vccnz .LBB15_2463
.LBB15_2473:
	s_waitcnt vmcnt(0)
	v_cmp_lt_u16_sdwa s[22:23], v12, v13 src0_sel:BYTE_0 src1_sel:BYTE_0
	s_andn2_b64 s[18:19], s[18:19], exec
	s_and_b64 s[22:23], s[22:23], exec
	s_or_b64 s[18:19], s[18:19], s[22:23]
	s_cbranch_execz .LBB15_2464
	s_branch .LBB15_2465
.LBB15_2474:
	s_mov_b64 s[10:11], -1
	s_mov_b64 s[22:23], 0
                                        ; implicit-def: $vgpr8
	s_branch .LBB15_2543
.LBB15_2475:
	s_mov_b64 s[24:25], -1
	s_mov_b64 s[22:23], 0
	s_mov_b64 s[10:11], 0
                                        ; implicit-def: $vgpr8
	s_branch .LBB15_2508
.LBB15_2476:
	s_mov_b64 s[24:25], -1
	s_mov_b64 s[22:23], 0
	s_mov_b64 s[10:11], 0
                                        ; implicit-def: $vgpr8
	s_branch .LBB15_2491
.LBB15_2477:
	s_mov_b64 s[24:25], -1
	s_mov_b64 s[22:23], 0
	s_mov_b64 s[10:11], 0
                                        ; implicit-def: $vgpr8
	s_branch .LBB15_2486
.LBB15_2478:
	s_trap 2
	s_or_b64 s[4:5], s[4:5], exec
	s_cbranch_execz .LBB15_2398
	s_branch .LBB15_2399
.LBB15_2479:
	s_mov_b64 s[24:25], -1
	s_mov_b64 s[22:23], 0
	s_mov_b64 s[10:11], 0
                                        ; implicit-def: $vgpr8
	s_branch .LBB15_2481
.LBB15_2480:
	s_mov_b64 s[10:11], -1
                                        ; implicit-def: $vgpr8
	s_mov_b64 s[22:23], 0
.LBB15_2481:
	s_and_b64 vcc, exec, s[24:25]
	s_cbranch_vccz .LBB15_2485
; %bb.2482:
	s_cmp_eq_u32 s29, 44
	s_cbranch_scc0 .LBB15_2484
; %bb.2483:
	global_load_ubyte v1, v[10:11], off
	s_mov_b32 s10, 0x2f800000
	s_mov_b32 s11, 0xcf800000
	s_mov_b64 s[22:23], -1
	s_waitcnt vmcnt(0)
	v_lshlrev_b32_e32 v3, 23, v1
	v_trunc_f32_e32 v3, v3
	v_mul_f32_e64 v5, |v3|, s10
	v_floor_f32_e32 v5, v5
	v_fma_f32 v5, v5, s11, |v3|
	v_cvt_u32_f32_e32 v5, v5
	v_ashrrev_i32_e32 v3, 31, v3
	v_cmp_ne_u32_e32 vcc, 0, v1
	s_mov_b64 s[10:11], 0
	v_xor_b32_e32 v5, v5, v3
	v_sub_u32_e32 v3, v5, v3
	v_cndmask_b32_e32 v8, 0, v3, vcc
	s_branch .LBB15_2485
.LBB15_2484:
	s_mov_b64 s[10:11], -1
                                        ; implicit-def: $vgpr8
.LBB15_2485:
	s_mov_b64 s[24:25], 0
.LBB15_2486:
	s_and_b64 vcc, exec, s[24:25]
	s_cbranch_vccz .LBB15_2490
; %bb.2487:
	s_cmp_eq_u32 s29, 29
	s_cbranch_scc0 .LBB15_2489
; %bb.2488:
	global_load_dwordx2 v[8:9], v[10:11], off
	s_mov_b64 s[10:11], 0
	s_mov_b64 s[22:23], -1
	s_branch .LBB15_2490
.LBB15_2489:
	s_mov_b64 s[10:11], -1
                                        ; implicit-def: $vgpr8
.LBB15_2490:
	s_mov_b64 s[24:25], 0
.LBB15_2491:
	s_and_b64 vcc, exec, s[24:25]
	s_cbranch_vccz .LBB15_2507
; %bb.2492:
	s_cmp_lt_i32 s29, 27
	s_cbranch_scc1 .LBB15_2495
; %bb.2493:
	s_cmp_gt_i32 s29, 27
	s_cbranch_scc0 .LBB15_2496
; %bb.2494:
	global_load_dword v8, v[10:11], off
	s_mov_b64 s[22:23], 0
	s_branch .LBB15_2497
.LBB15_2495:
	s_mov_b64 s[22:23], -1
                                        ; implicit-def: $vgpr8
	s_branch .LBB15_2500
.LBB15_2496:
	s_mov_b64 s[22:23], -1
                                        ; implicit-def: $vgpr8
.LBB15_2497:
	s_andn2_b64 vcc, exec, s[22:23]
	s_cbranch_vccnz .LBB15_2499
; %bb.2498:
	global_load_ushort v8, v[10:11], off
.LBB15_2499:
	s_mov_b64 s[22:23], 0
.LBB15_2500:
	s_andn2_b64 vcc, exec, s[22:23]
	s_cbranch_vccnz .LBB15_2506
; %bb.2501:
	global_load_ubyte v1, v[10:11], off
	s_movk_i32 s22, 0x7f
	s_mov_b64 s[24:25], 0
	s_waitcnt vmcnt(0)
	v_cmp_lt_i16_e32 vcc, s22, v1
	s_and_saveexec_b64 s[22:23], vcc
	s_xor_b64 s[22:23], exec, s[22:23]
	s_cbranch_execz .LBB15_2518
; %bb.2502:
	s_movk_i32 s24, 0x80
	v_cmp_ne_u16_e32 vcc, s24, v1
	s_and_b64 s[24:25], vcc, exec
	s_andn2_saveexec_b64 s[22:23], s[22:23]
	s_cbranch_execnz .LBB15_2519
.LBB15_2503:
	s_or_b64 exec, exec, s[22:23]
	v_mov_b32_e32 v8, 0
	s_and_saveexec_b64 s[22:23], s[24:25]
	s_cbranch_execz .LBB15_2505
.LBB15_2504:
	v_lshlrev_b32_e32 v3, 24, v1
	v_and_b32_e32 v1, 0xffff, v1
	v_and_b32_e32 v5, 7, v1
	v_ffbh_u32_e32 v9, v5
	v_min_u32_e32 v9, 32, v9
	v_subrev_u32_e32 v12, 28, v9
	v_bfe_u32 v8, v1, 3, 4
	v_lshlrev_b32_e32 v1, v12, v1
	v_sub_u32_e32 v9, 29, v9
	v_and_b32_e32 v1, 7, v1
	v_cmp_eq_u32_e32 vcc, 0, v8
	v_cndmask_b32_e32 v8, v8, v9, vcc
	v_cndmask_b32_e32 v1, v5, v1, vcc
	v_mov_b32_e32 v5, 0x3b800000
	v_lshlrev_b32_e32 v1, 20, v1
	v_and_b32_e32 v3, 0x80000000, v3
	v_lshl_add_u32 v5, v8, 23, v5
	v_or3_b32 v1, v3, v5, v1
	v_trunc_f32_e32 v1, v1
	s_mov_b32 s24, 0x2f800000
	v_mul_f32_e64 v3, |v1|, s24
	v_floor_f32_e32 v3, v3
	s_mov_b32 s24, 0xcf800000
	v_fma_f32 v3, v3, s24, |v1|
	v_cvt_u32_f32_e32 v3, v3
	v_ashrrev_i32_e32 v1, 31, v1
	v_xor_b32_e32 v3, v3, v1
	v_sub_u32_e32 v8, v3, v1
.LBB15_2505:
	s_or_b64 exec, exec, s[22:23]
.LBB15_2506:
	s_mov_b64 s[22:23], -1
.LBB15_2507:
	s_mov_b64 s[24:25], 0
.LBB15_2508:
	s_and_b64 vcc, exec, s[24:25]
	s_cbranch_vccz .LBB15_2539
; %bb.2509:
	s_cmp_gt_i32 s29, 22
	s_cbranch_scc0 .LBB15_2517
; %bb.2510:
	s_cmp_lt_i32 s29, 24
	s_cbranch_scc1 .LBB15_2520
; %bb.2511:
	s_cmp_gt_i32 s29, 24
	s_cbranch_scc0 .LBB15_2521
; %bb.2512:
	global_load_ubyte v1, v[10:11], off
	s_movk_i32 s20, 0x7f
	s_mov_b64 s[22:23], 0
	s_waitcnt vmcnt(0)
	v_cmp_lt_i16_e32 vcc, s20, v1
	s_and_saveexec_b64 s[20:21], vcc
	s_xor_b64 s[20:21], exec, s[20:21]
	s_cbranch_execz .LBB15_2533
; %bb.2513:
	s_movk_i32 s22, 0x80
	v_cmp_ne_u16_e32 vcc, s22, v1
	s_and_b64 s[22:23], vcc, exec
	s_andn2_saveexec_b64 s[20:21], s[20:21]
	s_cbranch_execnz .LBB15_2534
.LBB15_2514:
	s_or_b64 exec, exec, s[20:21]
	v_mov_b32_e32 v8, 0
	s_and_saveexec_b64 s[20:21], s[22:23]
	s_cbranch_execz .LBB15_2516
.LBB15_2515:
	v_lshlrev_b32_e32 v3, 24, v1
	v_and_b32_e32 v1, 0xffff, v1
	v_and_b32_e32 v5, 3, v1
	v_ffbh_u32_e32 v9, v5
	v_min_u32_e32 v9, 32, v9
	v_subrev_u32_e32 v12, 29, v9
	v_bfe_u32 v8, v1, 2, 5
	v_lshlrev_b32_e32 v1, v12, v1
	v_sub_u32_e32 v9, 30, v9
	v_and_b32_e32 v1, 3, v1
	v_cmp_eq_u32_e32 vcc, 0, v8
	v_cndmask_b32_e32 v8, v8, v9, vcc
	v_cndmask_b32_e32 v1, v5, v1, vcc
	v_mov_b32_e32 v5, 0x37800000
	v_lshlrev_b32_e32 v1, 21, v1
	v_and_b32_e32 v3, 0x80000000, v3
	v_lshl_add_u32 v5, v8, 23, v5
	v_or3_b32 v1, v3, v5, v1
	v_trunc_f32_e32 v1, v1
	s_mov_b32 s22, 0x2f800000
	v_mul_f32_e64 v3, |v1|, s22
	v_floor_f32_e32 v3, v3
	s_mov_b32 s22, 0xcf800000
	v_fma_f32 v3, v3, s22, |v1|
	v_cvt_u32_f32_e32 v3, v3
	v_ashrrev_i32_e32 v1, 31, v1
	v_xor_b32_e32 v3, v3, v1
	v_sub_u32_e32 v8, v3, v1
.LBB15_2516:
	s_or_b64 exec, exec, s[20:21]
	s_mov_b64 s[20:21], 0
	s_branch .LBB15_2522
.LBB15_2517:
	s_mov_b64 s[20:21], -1
                                        ; implicit-def: $vgpr8
	s_branch .LBB15_2528
.LBB15_2518:
	s_andn2_saveexec_b64 s[22:23], s[22:23]
	s_cbranch_execz .LBB15_2503
.LBB15_2519:
	v_cmp_ne_u16_e32 vcc, 0, v1
	s_andn2_b64 s[24:25], s[24:25], exec
	s_and_b64 s[30:31], vcc, exec
	s_or_b64 s[24:25], s[24:25], s[30:31]
	s_or_b64 exec, exec, s[22:23]
	v_mov_b32_e32 v8, 0
	s_and_saveexec_b64 s[22:23], s[24:25]
	s_cbranch_execnz .LBB15_2504
	s_branch .LBB15_2505
.LBB15_2520:
	s_mov_b64 s[20:21], -1
                                        ; implicit-def: $vgpr8
	s_branch .LBB15_2525
.LBB15_2521:
	s_mov_b64 s[20:21], -1
                                        ; implicit-def: $vgpr8
.LBB15_2522:
	s_and_b64 vcc, exec, s[20:21]
	s_cbranch_vccz .LBB15_2524
; %bb.2523:
	global_load_ubyte v1, v[10:11], off
	s_mov_b32 s20, 0x7f800000
	s_brev_b32 s21, 1
	s_mov_b32 s22, 0x2f800000
	s_waitcnt vmcnt(0)
	v_lshlrev_b32_e32 v1, 24, v1
	v_and_b32_e32 v3, 0x7f000000, v1
	v_ffbh_u32_e32 v5, v3
	v_min_u32_e32 v5, 32, v5
	v_sub_u32_e64 v5, v5, 4 clamp
	v_lshlrev_b32_e32 v9, v5, v3
	v_lshlrev_b32_e32 v5, 23, v5
	v_lshrrev_b32_e32 v9, 4, v9
	v_add_u32_e32 v8, 0x1000000, v3
	v_sub_u32_e32 v5, v9, v5
	v_ashrrev_i32_e32 v8, 8, v8
	v_add_u32_e32 v5, 0x3c000000, v5
	v_and_or_b32 v5, v8, s20, v5
	v_cmp_ne_u32_e32 vcc, 0, v3
	v_cndmask_b32_e32 v3, 0, v5, vcc
	v_and_or_b32 v1, v1, s21, v3
	v_trunc_f32_e32 v1, v1
	v_mul_f32_e64 v3, |v1|, s22
	v_floor_f32_e32 v3, v3
	s_mov_b32 s20, 0xcf800000
	v_fma_f32 v3, v3, s20, |v1|
	v_cvt_u32_f32_e32 v3, v3
	v_ashrrev_i32_e32 v1, 31, v1
	v_xor_b32_e32 v3, v3, v1
	v_sub_u32_e32 v8, v3, v1
.LBB15_2524:
	s_mov_b64 s[20:21], 0
.LBB15_2525:
	s_andn2_b64 vcc, exec, s[20:21]
	s_cbranch_vccnz .LBB15_2527
; %bb.2526:
	global_load_ubyte v1, v[10:11], off
	s_movk_i32 s20, 0x7f00
	s_brev_b32 s21, 16
	s_brev_b32 s22, 1
	s_mov_b32 s23, 0x2f800000
	s_waitcnt vmcnt(0)
	v_lshlrev_b16_e32 v3, 8, v1
	v_lshlrev_b32_e32 v1, 25, v1
	v_lshrrev_b32_e32 v5, 4, v1
	v_and_or_b32 v8, v3, s20, 0.5
	v_or_b32_e32 v5, 0x70000000, v5
	v_add_f32_e32 v8, -0.5, v8
	v_mul_f32_e32 v5, 0x7800000, v5
	v_cmp_gt_u32_e32 vcc, s21, v1
	v_bfe_i32 v3, v3, 0, 16
	v_cndmask_b32_e32 v1, v5, v8, vcc
	v_and_or_b32 v1, v3, s22, v1
	v_trunc_f32_e32 v1, v1
	v_mul_f32_e64 v3, |v1|, s23
	v_floor_f32_e32 v3, v3
	s_mov_b32 s20, 0xcf800000
	v_fma_f32 v3, v3, s20, |v1|
	v_cvt_u32_f32_e32 v3, v3
	v_ashrrev_i32_e32 v1, 31, v1
	v_xor_b32_e32 v3, v3, v1
	v_sub_u32_e32 v8, v3, v1
.LBB15_2527:
	s_mov_b64 s[20:21], 0
	s_mov_b64 s[22:23], -1
.LBB15_2528:
	s_andn2_b64 vcc, exec, s[20:21]
	s_mov_b64 s[20:21], 0
	s_cbranch_vccnz .LBB15_2539
; %bb.2529:
	s_cmp_gt_i32 s29, 14
	s_cbranch_scc0 .LBB15_2532
; %bb.2530:
	s_cmp_eq_u32 s29, 15
	s_cbranch_scc0 .LBB15_2535
; %bb.2531:
	global_load_ushort v1, v[10:11], off
	s_mov_b32 s10, 0x2f800000
	s_mov_b32 s11, 0xcf800000
	s_mov_b64 s[22:23], -1
	s_waitcnt vmcnt(0)
	v_lshlrev_b32_e32 v1, 16, v1
	v_trunc_f32_e32 v1, v1
	v_mul_f32_e64 v3, |v1|, s10
	v_floor_f32_e32 v3, v3
	v_fma_f32 v3, v3, s11, |v1|
	v_cvt_u32_f32_e32 v3, v3
	v_ashrrev_i32_e32 v1, 31, v1
	s_mov_b64 s[10:11], 0
	v_xor_b32_e32 v3, v3, v1
	v_sub_u32_e32 v8, v3, v1
	s_branch .LBB15_2536
.LBB15_2532:
	s_mov_b64 s[24:25], -1
                                        ; implicit-def: $vgpr8
	s_branch .LBB15_2537
.LBB15_2533:
	s_andn2_saveexec_b64 s[20:21], s[20:21]
	s_cbranch_execz .LBB15_2514
.LBB15_2534:
	v_cmp_ne_u16_e32 vcc, 0, v1
	s_andn2_b64 s[22:23], s[22:23], exec
	s_and_b64 s[24:25], vcc, exec
	s_or_b64 s[22:23], s[22:23], s[24:25]
	s_or_b64 exec, exec, s[20:21]
	v_mov_b32_e32 v8, 0
	s_and_saveexec_b64 s[20:21], s[22:23]
	s_cbranch_execnz .LBB15_2515
	s_branch .LBB15_2516
.LBB15_2535:
	s_mov_b64 s[10:11], -1
                                        ; implicit-def: $vgpr8
.LBB15_2536:
	s_mov_b64 s[24:25], 0
.LBB15_2537:
	s_and_b64 vcc, exec, s[24:25]
	s_cbranch_vccz .LBB15_2539
; %bb.2538:
	s_cmp_lg_u32 s29, 11
	s_mov_b64 s[20:21], -1
	s_cselect_b64 s[10:11], -1, 0
.LBB15_2539:
	s_and_b64 vcc, exec, s[10:11]
	s_cbranch_vccnz .LBB15_2604
; %bb.2540:
	s_andn2_b64 vcc, exec, s[20:21]
	s_cbranch_vccnz .LBB15_2542
.LBB15_2541:
	global_load_ubyte v1, v[10:11], off
	s_mov_b64 s[22:23], -1
	s_waitcnt vmcnt(0)
	v_cmp_ne_u16_e32 vcc, 0, v1
	v_cndmask_b32_e64 v8, 0, 1, vcc
.LBB15_2542:
	s_mov_b64 s[10:11], 0
.LBB15_2543:
	s_and_b64 vcc, exec, s[10:11]
	s_cbranch_vccz .LBB15_2592
; %bb.2544:
	s_and_b32 s20, 0xffff, s27
	s_cmp_lt_i32 s20, 5
	s_cbranch_scc1 .LBB15_2549
; %bb.2545:
	s_cmp_lt_i32 s20, 8
	s_cbranch_scc1 .LBB15_2550
; %bb.2546:
	;; [unrolled: 3-line block ×3, first 2 shown]
	s_cmp_gt_i32 s20, 9
	s_cbranch_scc0 .LBB15_2552
; %bb.2548:
	global_load_dwordx2 v[8:9], v[10:11], off
	s_movk_i32 s10, 0xffe0
	s_waitcnt vmcnt(0)
	v_trunc_f64_e32 v[8:9], v[8:9]
	v_ldexp_f64 v[12:13], v[8:9], s10
	s_mov_b32 s10, 0
	s_mov_b32 s11, 0xc1f00000
	v_floor_f64_e32 v[12:13], v[12:13]
	v_fma_f64 v[8:9], v[12:13], s[10:11], v[8:9]
	s_mov_b64 s[10:11], 0
	v_cvt_u32_f64_e32 v8, v[8:9]
	s_branch .LBB15_2553
.LBB15_2549:
	s_mov_b64 s[10:11], -1
                                        ; implicit-def: $vgpr8
	s_branch .LBB15_2571
.LBB15_2550:
	s_mov_b64 s[10:11], -1
                                        ; implicit-def: $vgpr8
	s_branch .LBB15_2559
.LBB15_2551:
	s_mov_b64 s[10:11], -1
                                        ; implicit-def: $vgpr8
	s_branch .LBB15_2556
.LBB15_2552:
	s_mov_b64 s[10:11], -1
                                        ; implicit-def: $vgpr8
.LBB15_2553:
	s_andn2_b64 vcc, exec, s[10:11]
	s_cbranch_vccnz .LBB15_2555
; %bb.2554:
	global_load_dword v1, v[10:11], off
	s_mov_b32 s10, 0x2f800000
	s_waitcnt vmcnt(0)
	v_trunc_f32_e32 v1, v1
	v_mul_f32_e64 v3, |v1|, s10
	v_floor_f32_e32 v3, v3
	s_mov_b32 s10, 0xcf800000
	v_fma_f32 v3, v3, s10, |v1|
	v_cvt_u32_f32_e32 v3, v3
	v_ashrrev_i32_e32 v1, 31, v1
	v_xor_b32_e32 v3, v3, v1
	v_sub_u32_e32 v8, v3, v1
.LBB15_2555:
	s_mov_b64 s[10:11], 0
.LBB15_2556:
	s_andn2_b64 vcc, exec, s[10:11]
	s_cbranch_vccnz .LBB15_2558
; %bb.2557:
	global_load_dword v1, v[10:11], off
	s_waitcnt vmcnt(0)
	v_cvt_f32_f16_e32 v1, v1
	v_cvt_i32_f32_e32 v8, v1
.LBB15_2558:
	s_mov_b64 s[10:11], 0
.LBB15_2559:
	s_andn2_b64 vcc, exec, s[10:11]
	s_cbranch_vccnz .LBB15_2570
; %bb.2560:
	s_cmp_lt_i32 s20, 6
	s_cbranch_scc1 .LBB15_2563
; %bb.2561:
	s_cmp_gt_i32 s20, 6
	s_cbranch_scc0 .LBB15_2564
; %bb.2562:
	global_load_dwordx2 v[8:9], v[10:11], off
	s_movk_i32 s10, 0xffe0
	s_waitcnt vmcnt(0)
	v_trunc_f64_e32 v[8:9], v[8:9]
	v_ldexp_f64 v[12:13], v[8:9], s10
	s_mov_b32 s10, 0
	s_mov_b32 s11, 0xc1f00000
	v_floor_f64_e32 v[12:13], v[12:13]
	v_fma_f64 v[8:9], v[12:13], s[10:11], v[8:9]
	s_mov_b64 s[10:11], 0
	v_cvt_u32_f64_e32 v8, v[8:9]
	s_branch .LBB15_2565
.LBB15_2563:
	s_mov_b64 s[10:11], -1
                                        ; implicit-def: $vgpr8
	s_branch .LBB15_2568
.LBB15_2564:
	s_mov_b64 s[10:11], -1
                                        ; implicit-def: $vgpr8
.LBB15_2565:
	s_andn2_b64 vcc, exec, s[10:11]
	s_cbranch_vccnz .LBB15_2567
; %bb.2566:
	global_load_dword v1, v[10:11], off
	s_mov_b32 s10, 0x2f800000
	s_waitcnt vmcnt(0)
	v_trunc_f32_e32 v1, v1
	v_mul_f32_e64 v3, |v1|, s10
	v_floor_f32_e32 v3, v3
	s_mov_b32 s10, 0xcf800000
	v_fma_f32 v3, v3, s10, |v1|
	v_cvt_u32_f32_e32 v3, v3
	v_ashrrev_i32_e32 v1, 31, v1
	v_xor_b32_e32 v3, v3, v1
	v_sub_u32_e32 v8, v3, v1
.LBB15_2567:
	s_mov_b64 s[10:11], 0
.LBB15_2568:
	s_andn2_b64 vcc, exec, s[10:11]
	s_cbranch_vccnz .LBB15_2570
; %bb.2569:
	global_load_ushort v1, v[10:11], off
	s_waitcnt vmcnt(0)
	v_cvt_f32_f16_e32 v1, v1
	v_cvt_i32_f32_e32 v8, v1
.LBB15_2570:
	s_mov_b64 s[10:11], 0
.LBB15_2571:
	s_andn2_b64 vcc, exec, s[10:11]
	s_cbranch_vccnz .LBB15_2591
; %bb.2572:
	s_cmp_lt_i32 s20, 2
	s_cbranch_scc1 .LBB15_2576
; %bb.2573:
	s_cmp_lt_i32 s20, 3
	s_cbranch_scc1 .LBB15_2577
; %bb.2574:
	s_cmp_gt_i32 s20, 3
	s_cbranch_scc0 .LBB15_2578
; %bb.2575:
	global_load_dwordx2 v[8:9], v[10:11], off
	s_mov_b64 s[10:11], 0
	s_branch .LBB15_2579
.LBB15_2576:
	s_mov_b64 s[10:11], -1
                                        ; implicit-def: $vgpr8
	s_branch .LBB15_2585
.LBB15_2577:
	s_mov_b64 s[10:11], -1
                                        ; implicit-def: $vgpr8
	s_branch .LBB15_2582
.LBB15_2578:
	s_mov_b64 s[10:11], -1
                                        ; implicit-def: $vgpr8
.LBB15_2579:
	s_andn2_b64 vcc, exec, s[10:11]
	s_cbranch_vccnz .LBB15_2581
; %bb.2580:
	global_load_dword v8, v[10:11], off
.LBB15_2581:
	s_mov_b64 s[10:11], 0
.LBB15_2582:
	s_andn2_b64 vcc, exec, s[10:11]
	s_cbranch_vccnz .LBB15_2584
; %bb.2583:
	global_load_ushort v8, v[10:11], off
.LBB15_2584:
	s_mov_b64 s[10:11], 0
.LBB15_2585:
	s_andn2_b64 vcc, exec, s[10:11]
	s_cbranch_vccnz .LBB15_2591
; %bb.2586:
	s_cmp_gt_i32 s20, 0
	s_cbranch_scc0 .LBB15_2588
; %bb.2587:
	global_load_ubyte v8, v[10:11], off
	s_mov_b64 s[10:11], 0
	s_branch .LBB15_2589
.LBB15_2588:
	s_mov_b64 s[10:11], -1
                                        ; implicit-def: $vgpr8
.LBB15_2589:
	s_andn2_b64 vcc, exec, s[10:11]
	s_cbranch_vccnz .LBB15_2591
; %bb.2590:
	global_load_ubyte v8, v[10:11], off
.LBB15_2591:
	s_mov_b64 s[22:23], -1
.LBB15_2592:
	s_andn2_b64 vcc, exec, s[22:23]
	s_cbranch_vccnz .LBB15_2723
; %bb.2593:
	v_mov_b32_e32 v1, s1
	s_waitcnt vmcnt(0)
	v_add_co_u32_e32 v9, vcc, s0, v7
	s_cmp_lt_i32 s28, 11
	v_addc_co_u32_e32 v10, vcc, 0, v1, vcc
	s_cbranch_scc1 .LBB15_2600
; %bb.2594:
	s_and_b32 s24, 0xffff, s28
	s_cmp_gt_i32 s24, 25
	s_mov_b64 s[10:11], 0
	s_cbranch_scc0 .LBB15_2601
; %bb.2595:
	s_cmp_gt_i32 s24, 28
	s_cbranch_scc0 .LBB15_2602
; %bb.2596:
	s_cmp_gt_i32 s24, 43
	s_cbranch_scc0 .LBB15_2603
; %bb.2597:
	s_cmp_gt_i32 s24, 45
	s_cbranch_scc0 .LBB15_2605
; %bb.2598:
	s_cmp_eq_u32 s24, 46
	s_mov_b64 s[22:23], 0
	s_cbranch_scc0 .LBB15_2606
; %bb.2599:
	global_load_dword v1, v[9:10], off
	s_mov_b32 s0, 0x2f800000
	s_mov_b32 s1, 0xcf800000
	s_mov_b64 s[20:21], -1
	s_waitcnt vmcnt(0)
	v_lshlrev_b32_e32 v1, 16, v1
	v_trunc_f32_e32 v1, v1
	v_mul_f32_e64 v3, |v1|, s0
	v_floor_f32_e32 v3, v3
	v_fma_f32 v3, v3, s1, |v1|
	v_cvt_u32_f32_e32 v3, v3
	v_ashrrev_i32_e32 v1, 31, v1
	s_mov_b64 s[0:1], 0
	v_xor_b32_e32 v3, v3, v1
	v_sub_u32_e32 v11, v3, v1
	s_branch .LBB15_2607
.LBB15_2600:
	s_mov_b64 s[0:1], -1
	s_mov_b64 s[20:21], 0
                                        ; implicit-def: $vgpr11
	s_branch .LBB15_2669
.LBB15_2601:
	s_mov_b64 s[22:23], -1
	s_mov_b64 s[20:21], 0
	s_mov_b64 s[0:1], 0
                                        ; implicit-def: $vgpr11
	s_branch .LBB15_2634
.LBB15_2602:
	s_mov_b64 s[22:23], -1
	s_mov_b64 s[20:21], 0
	s_mov_b64 s[0:1], 0
                                        ; implicit-def: $vgpr11
	s_branch .LBB15_2617
.LBB15_2603:
	s_mov_b64 s[22:23], -1
	s_mov_b64 s[20:21], 0
	s_mov_b64 s[0:1], 0
                                        ; implicit-def: $vgpr11
	s_branch .LBB15_2612
.LBB15_2604:
	s_trap 2
	s_or_b64 s[4:5], s[4:5], exec
	s_cbranch_execz .LBB15_2541
	s_branch .LBB15_2542
.LBB15_2605:
	s_mov_b64 s[22:23], -1
	s_mov_b64 s[20:21], 0
	s_mov_b64 s[0:1], 0
                                        ; implicit-def: $vgpr11
	s_branch .LBB15_2607
.LBB15_2606:
	s_mov_b64 s[0:1], -1
                                        ; implicit-def: $vgpr11
	s_mov_b64 s[20:21], 0
.LBB15_2607:
	s_and_b64 vcc, exec, s[22:23]
	s_cbranch_vccz .LBB15_2611
; %bb.2608:
	s_cmp_eq_u32 s24, 44
	s_cbranch_scc0 .LBB15_2610
; %bb.2609:
	global_load_ubyte v1, v[9:10], off
	s_mov_b32 s0, 0x2f800000
	s_mov_b32 s1, 0xcf800000
	s_mov_b64 s[20:21], -1
	s_waitcnt vmcnt(0)
	v_lshlrev_b32_e32 v3, 23, v1
	v_trunc_f32_e32 v3, v3
	v_mul_f32_e64 v5, |v3|, s0
	v_floor_f32_e32 v5, v5
	v_fma_f32 v5, v5, s1, |v3|
	v_cvt_u32_f32_e32 v5, v5
	v_ashrrev_i32_e32 v3, 31, v3
	v_cmp_ne_u32_e32 vcc, 0, v1
	s_mov_b64 s[0:1], 0
	v_xor_b32_e32 v5, v5, v3
	v_sub_u32_e32 v3, v5, v3
	v_cndmask_b32_e32 v11, 0, v3, vcc
	s_branch .LBB15_2611
.LBB15_2610:
	s_mov_b64 s[0:1], -1
                                        ; implicit-def: $vgpr11
.LBB15_2611:
	s_mov_b64 s[22:23], 0
.LBB15_2612:
	s_and_b64 vcc, exec, s[22:23]
	s_cbranch_vccz .LBB15_2616
; %bb.2613:
	s_cmp_eq_u32 s24, 29
	s_cbranch_scc0 .LBB15_2615
; %bb.2614:
	global_load_dwordx2 v[11:12], v[9:10], off
	s_mov_b64 s[0:1], 0
	s_mov_b64 s[20:21], -1
	s_branch .LBB15_2616
.LBB15_2615:
	s_mov_b64 s[0:1], -1
                                        ; implicit-def: $vgpr11
.LBB15_2616:
	s_mov_b64 s[22:23], 0
.LBB15_2617:
	s_and_b64 vcc, exec, s[22:23]
	s_cbranch_vccz .LBB15_2633
; %bb.2618:
	s_cmp_lt_i32 s24, 27
	s_cbranch_scc1 .LBB15_2621
; %bb.2619:
	s_cmp_gt_i32 s24, 27
	s_cbranch_scc0 .LBB15_2622
; %bb.2620:
	global_load_dword v11, v[9:10], off
	s_mov_b64 s[20:21], 0
	s_branch .LBB15_2623
.LBB15_2621:
	s_mov_b64 s[20:21], -1
                                        ; implicit-def: $vgpr11
	s_branch .LBB15_2626
.LBB15_2622:
	s_mov_b64 s[20:21], -1
                                        ; implicit-def: $vgpr11
.LBB15_2623:
	s_andn2_b64 vcc, exec, s[20:21]
	s_cbranch_vccnz .LBB15_2625
; %bb.2624:
	global_load_ushort v11, v[9:10], off
.LBB15_2625:
	s_mov_b64 s[20:21], 0
.LBB15_2626:
	s_andn2_b64 vcc, exec, s[20:21]
	s_cbranch_vccnz .LBB15_2632
; %bb.2627:
	global_load_ubyte v1, v[9:10], off
	s_movk_i32 s20, 0x7f
	s_mov_b64 s[22:23], 0
	s_waitcnt vmcnt(0)
	v_cmp_lt_i16_e32 vcc, s20, v1
	s_and_saveexec_b64 s[20:21], vcc
	s_xor_b64 s[20:21], exec, s[20:21]
	s_cbranch_execz .LBB15_2644
; %bb.2628:
	s_movk_i32 s22, 0x80
	v_cmp_ne_u16_e32 vcc, s22, v1
	s_and_b64 s[22:23], vcc, exec
	s_andn2_saveexec_b64 s[20:21], s[20:21]
	s_cbranch_execnz .LBB15_2645
.LBB15_2629:
	s_or_b64 exec, exec, s[20:21]
	v_mov_b32_e32 v11, 0
	s_and_saveexec_b64 s[20:21], s[22:23]
	s_cbranch_execz .LBB15_2631
.LBB15_2630:
	v_lshlrev_b32_e32 v3, 24, v1
	v_and_b32_e32 v1, 0xffff, v1
	v_and_b32_e32 v5, 7, v1
	v_ffbh_u32_e32 v11, v5
	v_min_u32_e32 v11, 32, v11
	v_subrev_u32_e32 v12, 28, v11
	v_bfe_u32 v7, v1, 3, 4
	v_lshlrev_b32_e32 v1, v12, v1
	v_sub_u32_e32 v11, 29, v11
	v_and_b32_e32 v1, 7, v1
	v_cmp_eq_u32_e32 vcc, 0, v7
	v_cndmask_b32_e32 v7, v7, v11, vcc
	v_cndmask_b32_e32 v1, v5, v1, vcc
	v_mov_b32_e32 v5, 0x3b800000
	v_lshlrev_b32_e32 v1, 20, v1
	v_and_b32_e32 v3, 0x80000000, v3
	v_lshl_add_u32 v5, v7, 23, v5
	v_or3_b32 v1, v3, v5, v1
	v_trunc_f32_e32 v1, v1
	s_mov_b32 s22, 0x2f800000
	v_mul_f32_e64 v3, |v1|, s22
	v_floor_f32_e32 v3, v3
	s_mov_b32 s22, 0xcf800000
	v_fma_f32 v3, v3, s22, |v1|
	v_cvt_u32_f32_e32 v3, v3
	v_ashrrev_i32_e32 v1, 31, v1
	v_xor_b32_e32 v3, v3, v1
	v_sub_u32_e32 v11, v3, v1
.LBB15_2631:
	s_or_b64 exec, exec, s[20:21]
.LBB15_2632:
	s_mov_b64 s[20:21], -1
.LBB15_2633:
	s_mov_b64 s[22:23], 0
.LBB15_2634:
	s_and_b64 vcc, exec, s[22:23]
	s_cbranch_vccz .LBB15_2665
; %bb.2635:
	s_cmp_gt_i32 s24, 22
	s_cbranch_scc0 .LBB15_2643
; %bb.2636:
	s_cmp_lt_i32 s24, 24
	s_cbranch_scc1 .LBB15_2646
; %bb.2637:
	s_cmp_gt_i32 s24, 24
	s_cbranch_scc0 .LBB15_2647
; %bb.2638:
	global_load_ubyte v1, v[9:10], off
	s_movk_i32 s10, 0x7f
	s_mov_b64 s[20:21], 0
	s_waitcnt vmcnt(0)
	v_cmp_lt_i16_e32 vcc, s10, v1
	s_and_saveexec_b64 s[10:11], vcc
	s_xor_b64 s[10:11], exec, s[10:11]
	s_cbranch_execz .LBB15_2659
; %bb.2639:
	s_movk_i32 s20, 0x80
	v_cmp_ne_u16_e32 vcc, s20, v1
	s_and_b64 s[20:21], vcc, exec
	s_andn2_saveexec_b64 s[10:11], s[10:11]
	s_cbranch_execnz .LBB15_2660
.LBB15_2640:
	s_or_b64 exec, exec, s[10:11]
	v_mov_b32_e32 v11, 0
	s_and_saveexec_b64 s[10:11], s[20:21]
	s_cbranch_execz .LBB15_2642
.LBB15_2641:
	v_lshlrev_b32_e32 v3, 24, v1
	v_and_b32_e32 v1, 0xffff, v1
	v_and_b32_e32 v5, 3, v1
	v_ffbh_u32_e32 v11, v5
	v_min_u32_e32 v11, 32, v11
	v_subrev_u32_e32 v12, 29, v11
	v_bfe_u32 v7, v1, 2, 5
	v_lshlrev_b32_e32 v1, v12, v1
	v_sub_u32_e32 v11, 30, v11
	v_and_b32_e32 v1, 3, v1
	v_cmp_eq_u32_e32 vcc, 0, v7
	v_cndmask_b32_e32 v7, v7, v11, vcc
	v_cndmask_b32_e32 v1, v5, v1, vcc
	v_mov_b32_e32 v5, 0x37800000
	v_lshlrev_b32_e32 v1, 21, v1
	v_and_b32_e32 v3, 0x80000000, v3
	v_lshl_add_u32 v5, v7, 23, v5
	v_or3_b32 v1, v3, v5, v1
	v_trunc_f32_e32 v1, v1
	s_mov_b32 s20, 0x2f800000
	v_mul_f32_e64 v3, |v1|, s20
	v_floor_f32_e32 v3, v3
	s_mov_b32 s20, 0xcf800000
	v_fma_f32 v3, v3, s20, |v1|
	v_cvt_u32_f32_e32 v3, v3
	v_ashrrev_i32_e32 v1, 31, v1
	v_xor_b32_e32 v3, v3, v1
	v_sub_u32_e32 v11, v3, v1
.LBB15_2642:
	s_or_b64 exec, exec, s[10:11]
	s_mov_b64 s[10:11], 0
	s_branch .LBB15_2648
.LBB15_2643:
	s_mov_b64 s[10:11], -1
                                        ; implicit-def: $vgpr11
	s_branch .LBB15_2654
.LBB15_2644:
	s_andn2_saveexec_b64 s[20:21], s[20:21]
	s_cbranch_execz .LBB15_2629
.LBB15_2645:
	v_cmp_ne_u16_e32 vcc, 0, v1
	s_andn2_b64 s[22:23], s[22:23], exec
	s_and_b64 s[30:31], vcc, exec
	s_or_b64 s[22:23], s[22:23], s[30:31]
	s_or_b64 exec, exec, s[20:21]
	v_mov_b32_e32 v11, 0
	s_and_saveexec_b64 s[20:21], s[22:23]
	s_cbranch_execnz .LBB15_2630
	s_branch .LBB15_2631
.LBB15_2646:
	s_mov_b64 s[10:11], -1
                                        ; implicit-def: $vgpr11
	s_branch .LBB15_2651
.LBB15_2647:
	s_mov_b64 s[10:11], -1
                                        ; implicit-def: $vgpr11
.LBB15_2648:
	s_and_b64 vcc, exec, s[10:11]
	s_cbranch_vccz .LBB15_2650
; %bb.2649:
	global_load_ubyte v1, v[9:10], off
	s_mov_b32 s10, 0x7f800000
	s_brev_b32 s11, 1
	s_mov_b32 s20, 0x2f800000
	s_waitcnt vmcnt(0)
	v_lshlrev_b32_e32 v1, 24, v1
	v_and_b32_e32 v3, 0x7f000000, v1
	v_ffbh_u32_e32 v5, v3
	v_min_u32_e32 v5, 32, v5
	v_sub_u32_e64 v5, v5, 4 clamp
	v_lshlrev_b32_e32 v11, v5, v3
	v_lshlrev_b32_e32 v5, 23, v5
	v_lshrrev_b32_e32 v11, 4, v11
	v_add_u32_e32 v7, 0x1000000, v3
	v_sub_u32_e32 v5, v11, v5
	v_ashrrev_i32_e32 v7, 8, v7
	v_add_u32_e32 v5, 0x3c000000, v5
	v_and_or_b32 v5, v7, s10, v5
	v_cmp_ne_u32_e32 vcc, 0, v3
	v_cndmask_b32_e32 v3, 0, v5, vcc
	v_and_or_b32 v1, v1, s11, v3
	v_trunc_f32_e32 v1, v1
	v_mul_f32_e64 v3, |v1|, s20
	v_floor_f32_e32 v3, v3
	s_mov_b32 s10, 0xcf800000
	v_fma_f32 v3, v3, s10, |v1|
	v_cvt_u32_f32_e32 v3, v3
	v_ashrrev_i32_e32 v1, 31, v1
	v_xor_b32_e32 v3, v3, v1
	v_sub_u32_e32 v11, v3, v1
.LBB15_2650:
	s_mov_b64 s[10:11], 0
.LBB15_2651:
	s_andn2_b64 vcc, exec, s[10:11]
	s_cbranch_vccnz .LBB15_2653
; %bb.2652:
	global_load_ubyte v1, v[9:10], off
	s_movk_i32 s10, 0x7f00
	s_brev_b32 s11, 16
	s_brev_b32 s20, 1
	s_mov_b32 s21, 0x2f800000
	s_waitcnt vmcnt(0)
	v_lshlrev_b16_e32 v3, 8, v1
	v_lshlrev_b32_e32 v1, 25, v1
	v_lshrrev_b32_e32 v5, 4, v1
	v_and_or_b32 v7, v3, s10, 0.5
	v_or_b32_e32 v5, 0x70000000, v5
	v_add_f32_e32 v7, -0.5, v7
	v_mul_f32_e32 v5, 0x7800000, v5
	v_cmp_gt_u32_e32 vcc, s11, v1
	v_bfe_i32 v3, v3, 0, 16
	v_cndmask_b32_e32 v1, v5, v7, vcc
	v_and_or_b32 v1, v3, s20, v1
	v_trunc_f32_e32 v1, v1
	v_mul_f32_e64 v3, |v1|, s21
	v_floor_f32_e32 v3, v3
	s_mov_b32 s10, 0xcf800000
	v_fma_f32 v3, v3, s10, |v1|
	v_cvt_u32_f32_e32 v3, v3
	v_ashrrev_i32_e32 v1, 31, v1
	v_xor_b32_e32 v3, v3, v1
	v_sub_u32_e32 v11, v3, v1
.LBB15_2653:
	s_mov_b64 s[10:11], 0
	s_mov_b64 s[20:21], -1
.LBB15_2654:
	s_andn2_b64 vcc, exec, s[10:11]
	s_mov_b64 s[10:11], 0
	s_cbranch_vccnz .LBB15_2665
; %bb.2655:
	s_cmp_gt_i32 s24, 14
	s_cbranch_scc0 .LBB15_2658
; %bb.2656:
	s_cmp_eq_u32 s24, 15
	s_cbranch_scc0 .LBB15_2661
; %bb.2657:
	global_load_ushort v1, v[9:10], off
	s_mov_b32 s0, 0x2f800000
	s_mov_b32 s1, 0xcf800000
	s_mov_b64 s[20:21], -1
	s_waitcnt vmcnt(0)
	v_lshlrev_b32_e32 v1, 16, v1
	v_trunc_f32_e32 v1, v1
	v_mul_f32_e64 v3, |v1|, s0
	v_floor_f32_e32 v3, v3
	v_fma_f32 v3, v3, s1, |v1|
	v_cvt_u32_f32_e32 v3, v3
	v_ashrrev_i32_e32 v1, 31, v1
	s_mov_b64 s[0:1], 0
	v_xor_b32_e32 v3, v3, v1
	v_sub_u32_e32 v11, v3, v1
	s_branch .LBB15_2662
.LBB15_2658:
	s_mov_b64 s[22:23], -1
                                        ; implicit-def: $vgpr11
	s_branch .LBB15_2663
.LBB15_2659:
	s_andn2_saveexec_b64 s[10:11], s[10:11]
	s_cbranch_execz .LBB15_2640
.LBB15_2660:
	v_cmp_ne_u16_e32 vcc, 0, v1
	s_andn2_b64 s[20:21], s[20:21], exec
	s_and_b64 s[22:23], vcc, exec
	s_or_b64 s[20:21], s[20:21], s[22:23]
	s_or_b64 exec, exec, s[10:11]
	v_mov_b32_e32 v11, 0
	s_and_saveexec_b64 s[10:11], s[20:21]
	s_cbranch_execnz .LBB15_2641
	s_branch .LBB15_2642
.LBB15_2661:
	s_mov_b64 s[0:1], -1
                                        ; implicit-def: $vgpr11
.LBB15_2662:
	s_mov_b64 s[22:23], 0
.LBB15_2663:
	s_and_b64 vcc, exec, s[22:23]
	s_cbranch_vccz .LBB15_2665
; %bb.2664:
	s_cmp_lg_u32 s24, 11
	s_mov_b64 s[10:11], -1
	s_cselect_b64 s[0:1], -1, 0
.LBB15_2665:
	s_and_b64 vcc, exec, s[0:1]
	s_cbranch_vccnz .LBB15_3217
; %bb.2666:
	s_andn2_b64 vcc, exec, s[10:11]
	s_cbranch_vccnz .LBB15_2668
.LBB15_2667:
	global_load_ubyte v1, v[9:10], off
	s_mov_b64 s[20:21], -1
	s_waitcnt vmcnt(0)
	v_cmp_ne_u16_e32 vcc, 0, v1
	v_cndmask_b32_e64 v11, 0, 1, vcc
.LBB15_2668:
	s_mov_b64 s[0:1], 0
.LBB15_2669:
	s_and_b64 vcc, exec, s[0:1]
	s_cbranch_vccz .LBB15_2718
; %bb.2670:
	s_and_b32 s10, 0xffff, s28
	s_cmp_lt_i32 s10, 5
	s_cbranch_scc1 .LBB15_2675
; %bb.2671:
	s_cmp_lt_i32 s10, 8
	s_cbranch_scc1 .LBB15_2676
; %bb.2672:
	;; [unrolled: 3-line block ×3, first 2 shown]
	s_cmp_gt_i32 s10, 9
	s_cbranch_scc0 .LBB15_2678
; %bb.2674:
	global_load_dwordx2 v[11:12], v[9:10], off
	s_movk_i32 s0, 0xffe0
	s_waitcnt vmcnt(0)
	v_trunc_f64_e32 v[11:12], v[11:12]
	v_ldexp_f64 v[13:14], v[11:12], s0
	s_mov_b32 s0, 0
	s_mov_b32 s1, 0xc1f00000
	v_floor_f64_e32 v[13:14], v[13:14]
	v_fma_f64 v[11:12], v[13:14], s[0:1], v[11:12]
	s_mov_b64 s[0:1], 0
	v_cvt_u32_f64_e32 v11, v[11:12]
	s_branch .LBB15_2679
.LBB15_2675:
	s_mov_b64 s[0:1], -1
                                        ; implicit-def: $vgpr11
	s_branch .LBB15_2697
.LBB15_2676:
	s_mov_b64 s[0:1], -1
                                        ; implicit-def: $vgpr11
	s_branch .LBB15_2685
.LBB15_2677:
	s_mov_b64 s[0:1], -1
                                        ; implicit-def: $vgpr11
	s_branch .LBB15_2682
.LBB15_2678:
	s_mov_b64 s[0:1], -1
                                        ; implicit-def: $vgpr11
.LBB15_2679:
	s_andn2_b64 vcc, exec, s[0:1]
	s_cbranch_vccnz .LBB15_2681
; %bb.2680:
	global_load_dword v1, v[9:10], off
	s_mov_b32 s0, 0x2f800000
	s_waitcnt vmcnt(0)
	v_trunc_f32_e32 v1, v1
	v_mul_f32_e64 v3, |v1|, s0
	v_floor_f32_e32 v3, v3
	s_mov_b32 s0, 0xcf800000
	v_fma_f32 v3, v3, s0, |v1|
	v_cvt_u32_f32_e32 v3, v3
	v_ashrrev_i32_e32 v1, 31, v1
	v_xor_b32_e32 v3, v3, v1
	v_sub_u32_e32 v11, v3, v1
.LBB15_2681:
	s_mov_b64 s[0:1], 0
.LBB15_2682:
	s_andn2_b64 vcc, exec, s[0:1]
	s_cbranch_vccnz .LBB15_2684
; %bb.2683:
	global_load_dword v1, v[9:10], off
	s_waitcnt vmcnt(0)
	v_cvt_f32_f16_e32 v1, v1
	v_cvt_i32_f32_e32 v11, v1
.LBB15_2684:
	s_mov_b64 s[0:1], 0
.LBB15_2685:
	s_andn2_b64 vcc, exec, s[0:1]
	s_cbranch_vccnz .LBB15_2696
; %bb.2686:
	s_cmp_lt_i32 s10, 6
	s_cbranch_scc1 .LBB15_2689
; %bb.2687:
	s_cmp_gt_i32 s10, 6
	s_cbranch_scc0 .LBB15_2690
; %bb.2688:
	global_load_dwordx2 v[11:12], v[9:10], off
	s_movk_i32 s0, 0xffe0
	s_waitcnt vmcnt(0)
	v_trunc_f64_e32 v[11:12], v[11:12]
	v_ldexp_f64 v[13:14], v[11:12], s0
	s_mov_b32 s0, 0
	s_mov_b32 s1, 0xc1f00000
	v_floor_f64_e32 v[13:14], v[13:14]
	v_fma_f64 v[11:12], v[13:14], s[0:1], v[11:12]
	s_mov_b64 s[0:1], 0
	v_cvt_u32_f64_e32 v11, v[11:12]
	s_branch .LBB15_2691
.LBB15_2689:
	s_mov_b64 s[0:1], -1
                                        ; implicit-def: $vgpr11
	s_branch .LBB15_2694
.LBB15_2690:
	s_mov_b64 s[0:1], -1
                                        ; implicit-def: $vgpr11
.LBB15_2691:
	s_andn2_b64 vcc, exec, s[0:1]
	s_cbranch_vccnz .LBB15_2693
; %bb.2692:
	global_load_dword v1, v[9:10], off
	s_mov_b32 s0, 0x2f800000
	s_waitcnt vmcnt(0)
	v_trunc_f32_e32 v1, v1
	v_mul_f32_e64 v3, |v1|, s0
	v_floor_f32_e32 v3, v3
	s_mov_b32 s0, 0xcf800000
	v_fma_f32 v3, v3, s0, |v1|
	v_cvt_u32_f32_e32 v3, v3
	v_ashrrev_i32_e32 v1, 31, v1
	v_xor_b32_e32 v3, v3, v1
	v_sub_u32_e32 v11, v3, v1
.LBB15_2693:
	s_mov_b64 s[0:1], 0
.LBB15_2694:
	s_andn2_b64 vcc, exec, s[0:1]
	s_cbranch_vccnz .LBB15_2696
; %bb.2695:
	global_load_ushort v1, v[9:10], off
	s_waitcnt vmcnt(0)
	v_cvt_f32_f16_e32 v1, v1
	v_cvt_i32_f32_e32 v11, v1
.LBB15_2696:
	s_mov_b64 s[0:1], 0
.LBB15_2697:
	s_andn2_b64 vcc, exec, s[0:1]
	s_cbranch_vccnz .LBB15_2717
; %bb.2698:
	s_cmp_lt_i32 s10, 2
	s_cbranch_scc1 .LBB15_2702
; %bb.2699:
	s_cmp_lt_i32 s10, 3
	s_cbranch_scc1 .LBB15_2703
; %bb.2700:
	s_cmp_gt_i32 s10, 3
	s_cbranch_scc0 .LBB15_2704
; %bb.2701:
	global_load_dwordx2 v[11:12], v[9:10], off
	s_mov_b64 s[0:1], 0
	s_branch .LBB15_2705
.LBB15_2702:
	s_mov_b64 s[0:1], -1
                                        ; implicit-def: $vgpr11
	s_branch .LBB15_2711
.LBB15_2703:
	s_mov_b64 s[0:1], -1
                                        ; implicit-def: $vgpr11
	s_branch .LBB15_2708
.LBB15_2704:
	s_mov_b64 s[0:1], -1
                                        ; implicit-def: $vgpr11
.LBB15_2705:
	s_andn2_b64 vcc, exec, s[0:1]
	s_cbranch_vccnz .LBB15_2707
; %bb.2706:
	global_load_dword v11, v[9:10], off
.LBB15_2707:
	s_mov_b64 s[0:1], 0
.LBB15_2708:
	s_andn2_b64 vcc, exec, s[0:1]
	s_cbranch_vccnz .LBB15_2710
; %bb.2709:
	global_load_ushort v11, v[9:10], off
.LBB15_2710:
	s_mov_b64 s[0:1], 0
.LBB15_2711:
	s_andn2_b64 vcc, exec, s[0:1]
	s_cbranch_vccnz .LBB15_2717
; %bb.2712:
	s_cmp_gt_i32 s10, 0
	s_cbranch_scc0 .LBB15_2714
; %bb.2713:
	global_load_ubyte v11, v[9:10], off
	s_mov_b64 s[0:1], 0
	s_branch .LBB15_2715
.LBB15_2714:
	s_mov_b64 s[0:1], -1
                                        ; implicit-def: $vgpr11
.LBB15_2715:
	s_andn2_b64 vcc, exec, s[0:1]
	s_cbranch_vccnz .LBB15_2717
; %bb.2716:
	global_load_ubyte v11, v[9:10], off
.LBB15_2717:
	s_mov_b64 s[20:21], -1
.LBB15_2718:
	s_andn2_b64 vcc, exec, s[20:21]
	s_cbranch_vccnz .LBB15_2723
; %bb.2719:
	s_cmp_lt_i32 s26, 1
	s_mov_b64 s[0:1], 0
	s_cbranch_scc1 .LBB15_2769
; %bb.2720:
	s_cmp_gt_i32 s26, 1
	s_cbranch_scc0 .LBB15_2770
; %bb.2721:
	s_cmp_eq_u32 s26, 2
	s_cbranch_scc0 .LBB15_2771
; %bb.2722:
	s_waitcnt vmcnt(0)
	v_cmp_le_u16_sdwa s[10:11], v8, v11 src0_sel:BYTE_0 src1_sel:BYTE_0
	s_mov_b64 s[20:21], 0
	s_branch .LBB15_2772
.LBB15_2723:
	s_mov_b64 s[0:1], 0
                                        ; implicit-def: $sgpr10_sgpr11
.LBB15_2724:
	s_mov_b64 s[2:3], 0
                                        ; implicit-def: $vgpr0_vgpr1
                                        ; implicit-def: $sgpr26
.LBB15_2725:
	s_and_b64 s[6:7], s[2:3], exec
	s_andn2_b64 s[2:3], s[12:13], exec
	s_and_b64 s[4:5], s[4:5], exec
	s_and_b64 s[0:1], s[0:1], exec
	s_or_b64 s[12:13], s[2:3], s[4:5]
.LBB15_2726:
	s_or_b64 exec, exec, s[14:15]
	s_and_saveexec_b64 s[2:3], s[12:13]
	s_cbranch_execz .LBB15_2729
; %bb.2727:
	; divergent unreachable
	s_or_b64 exec, exec, s[2:3]
	s_and_saveexec_b64 s[2:3], s[6:7]
	s_xor_b64 s[2:3], exec, s[2:3]
	s_cbranch_execnz .LBB15_2730
.LBB15_2728:
	s_or_b64 exec, exec, s[2:3]
	s_and_saveexec_b64 s[2:3], s[0:1]
	s_cbranch_execnz .LBB15_2731
	s_branch .LBB15_2768
.LBB15_2729:
	s_or_b64 exec, exec, s[2:3]
	s_and_saveexec_b64 s[2:3], s[6:7]
	s_xor_b64 s[2:3], exec, s[2:3]
	s_cbranch_execz .LBB15_2728
.LBB15_2730:
	s_waitcnt vmcnt(0)
	v_cndmask_b32_e64 v2, 0, 1, s[10:11]
	global_store_byte v[0:1], v2, off
	s_or_b64 exec, exec, s[2:3]
	s_and_saveexec_b64 s[2:3], s[0:1]
	s_cbranch_execz .LBB15_2768
.LBB15_2731:
	s_sext_i32_i16 s2, s26
	s_cmp_lt_i32 s2, 5
	s_mov_b64 s[0:1], -1
	s_cbranch_scc1 .LBB15_2752
; %bb.2732:
	s_cmp_lt_i32 s2, 8
	s_cbranch_scc1 .LBB15_2742
; %bb.2733:
	s_cmp_lt_i32 s2, 9
	s_cbranch_scc1 .LBB15_2739
; %bb.2734:
	s_cmp_gt_i32 s2, 9
	s_cbranch_scc0 .LBB15_2736
; %bb.2735:
	s_waitcnt vmcnt(0)
	v_cndmask_b32_e64 v2, 0, 1, s[10:11]
	v_cvt_f64_u32_e32 v[2:3], v2
	v_mov_b32_e32 v4, 0
	v_mov_b32_e32 v5, v4
	s_mov_b64 s[0:1], 0
	global_store_dwordx4 v[0:1], v[2:5], off
.LBB15_2736:
	s_andn2_b64 vcc, exec, s[0:1]
	s_cbranch_vccnz .LBB15_2738
; %bb.2737:
	s_waitcnt vmcnt(0)
	v_cndmask_b32_e64 v2, 0, 1.0, s[10:11]
	v_mov_b32_e32 v3, 0
	global_store_dwordx2 v[0:1], v[2:3], off
.LBB15_2738:
	s_mov_b64 s[0:1], 0
.LBB15_2739:
	s_andn2_b64 vcc, exec, s[0:1]
	s_cbranch_vccnz .LBB15_2741
; %bb.2740:
	s_waitcnt vmcnt(0)
	v_cndmask_b32_e64 v2, 0, 1.0, s[10:11]
	v_cvt_f16_f32_e32 v2, v2
	global_store_dword v[0:1], v2, off
.LBB15_2741:
	s_mov_b64 s[0:1], 0
.LBB15_2742:
	s_andn2_b64 vcc, exec, s[0:1]
	s_cbranch_vccnz .LBB15_2751
; %bb.2743:
	s_sext_i32_i16 s2, s26
	s_cmp_lt_i32 s2, 6
	s_mov_b64 s[0:1], -1
	s_cbranch_scc1 .LBB15_2749
; %bb.2744:
	s_cmp_gt_i32 s2, 6
	s_cbranch_scc0 .LBB15_2746
; %bb.2745:
	s_waitcnt vmcnt(0)
	v_cndmask_b32_e64 v2, 0, 1, s[10:11]
	v_cvt_f64_u32_e32 v[2:3], v2
	s_mov_b64 s[0:1], 0
	global_store_dwordx2 v[0:1], v[2:3], off
.LBB15_2746:
	s_andn2_b64 vcc, exec, s[0:1]
	s_cbranch_vccnz .LBB15_2748
; %bb.2747:
	s_waitcnt vmcnt(0)
	v_cndmask_b32_e64 v2, 0, 1.0, s[10:11]
	global_store_dword v[0:1], v2, off
.LBB15_2748:
	s_mov_b64 s[0:1], 0
.LBB15_2749:
	s_andn2_b64 vcc, exec, s[0:1]
	s_cbranch_vccnz .LBB15_2751
; %bb.2750:
	s_waitcnt vmcnt(0)
	v_cndmask_b32_e64 v2, 0, 1.0, s[10:11]
	v_cvt_f16_f32_e32 v2, v2
	global_store_short v[0:1], v2, off
.LBB15_2751:
	s_mov_b64 s[0:1], 0
.LBB15_2752:
	s_andn2_b64 vcc, exec, s[0:1]
	s_cbranch_vccnz .LBB15_2768
; %bb.2753:
	s_sext_i32_i16 s2, s26
	s_cmp_lt_i32 s2, 2
	s_mov_b64 s[0:1], -1
	s_cbranch_scc1 .LBB15_2763
; %bb.2754:
	s_cmp_lt_i32 s2, 3
	s_cbranch_scc1 .LBB15_2760
; %bb.2755:
	s_cmp_gt_i32 s2, 3
	s_cbranch_scc0 .LBB15_2757
; %bb.2756:
	s_mov_b32 s0, 0
	s_waitcnt vmcnt(0)
	v_cndmask_b32_e64 v2, 0, 1, s[10:11]
	v_mov_b32_e32 v3, s0
	global_store_dwordx2 v[0:1], v[2:3], off
	s_mov_b64 s[0:1], 0
.LBB15_2757:
	s_andn2_b64 vcc, exec, s[0:1]
	s_cbranch_vccnz .LBB15_2759
; %bb.2758:
	s_waitcnt vmcnt(0)
	v_cndmask_b32_e64 v2, 0, 1, s[10:11]
	global_store_dword v[0:1], v2, off
.LBB15_2759:
	s_mov_b64 s[0:1], 0
.LBB15_2760:
	s_andn2_b64 vcc, exec, s[0:1]
	s_cbranch_vccnz .LBB15_2762
; %bb.2761:
	s_waitcnt vmcnt(0)
	v_cndmask_b32_e64 v2, 0, 1, s[10:11]
	global_store_short v[0:1], v2, off
.LBB15_2762:
	s_mov_b64 s[0:1], 0
.LBB15_2763:
	s_andn2_b64 vcc, exec, s[0:1]
	s_cbranch_vccnz .LBB15_2768
; %bb.2764:
	s_sext_i32_i16 s0, s26
	s_cmp_gt_i32 s0, 0
	s_mov_b64 s[0:1], -1
	s_cbranch_scc0 .LBB15_2766
; %bb.2765:
	s_waitcnt vmcnt(0)
	v_cndmask_b32_e64 v2, 0, 1, s[10:11]
	global_store_byte v[0:1], v2, off
	s_mov_b64 s[0:1], 0
.LBB15_2766:
	s_andn2_b64 vcc, exec, s[0:1]
	s_cbranch_vccnz .LBB15_2768
; %bb.2767:
	s_waitcnt vmcnt(0)
	v_cndmask_b32_e64 v2, 0, 1, s[10:11]
	global_store_byte v[0:1], v2, off
	s_endpgm
.LBB15_2768:
	s_endpgm
.LBB15_2769:
	s_mov_b64 s[22:23], -1
                                        ; implicit-def: $sgpr10_sgpr11
	s_mov_b64 s[20:21], 0
	s_branch .LBB15_2776
.LBB15_2770:
	s_mov_b64 s[22:23], -1
	s_mov_b64 s[20:21], 0
                                        ; implicit-def: $sgpr10_sgpr11
	s_branch .LBB15_2773
.LBB15_2771:
	s_mov_b64 s[20:21], -1
                                        ; implicit-def: $sgpr10_sgpr11
.LBB15_2772:
	s_mov_b64 s[22:23], 0
.LBB15_2773:
	s_and_b64 vcc, exec, s[22:23]
	s_cbranch_vccz .LBB15_2775
; %bb.2774:
	s_waitcnt vmcnt(0)
	v_cmp_gt_u16_sdwa s[22:23], v8, v11 src0_sel:BYTE_0 src1_sel:BYTE_0
	s_andn2_b64 s[10:11], s[10:11], exec
	s_and_b64 s[22:23], s[22:23], exec
	s_or_b64 s[10:11], s[10:11], s[22:23]
.LBB15_2775:
	s_mov_b64 s[22:23], 0
.LBB15_2776:
	s_and_b64 vcc, exec, s[22:23]
	s_cbranch_vccz .LBB15_2858
; %bb.2777:
	s_cmp_lg_u32 s26, 0
	s_mov_b64 s[0:1], -1
	s_cselect_b64 s[20:21], -1, 0
	s_andn2_b64 vcc, exec, s[20:21]
	s_cbranch_vccz .LBB15_2859
.LBB15_2778:
	s_andn2_b64 vcc, exec, s[0:1]
	s_cbranch_vccnz .LBB15_2780
.LBB15_2779:
	s_waitcnt vmcnt(0)
	v_cmp_ge_u16_sdwa s[0:1], v8, v11 src0_sel:BYTE_0 src1_sel:BYTE_0
	s_andn2_b64 s[10:11], s[10:11], exec
	s_and_b64 s[0:1], s[0:1], exec
	s_or_b64 s[10:11], s[10:11], s[0:1]
.LBB15_2780:
	s_load_dword s0, s[2:3], 0x1a4
	v_mov_b32_e32 v1, s9
	v_add_co_u32_e32 v5, vcc, s8, v6
	v_addc_co_u32_e32 v6, vcc, 0, v1, vcc
	s_waitcnt lgkmcnt(0)
	s_and_b32 s26, s0, 0xff
	s_cmp_lt_i32 s26, 11
	s_cbranch_scc1 .LBB15_2860
; %bb.2781:
	s_and_b32 s27, 0xffff, s26
	s_mov_b64 s[22:23], -1
	s_mov_b64 s[2:3], 0
	s_cmp_gt_i32 s27, 25
	s_mov_b64 s[20:21], 0
	s_mov_b64 s[0:1], 0
	s_cbranch_scc0 .LBB15_2814
; %bb.2782:
	s_cmp_gt_i32 s27, 28
	s_cbranch_scc0 .LBB15_2797
; %bb.2783:
	s_cmp_gt_i32 s27, 43
	;; [unrolled: 3-line block ×3, first 2 shown]
	s_cbranch_scc0 .LBB15_2787
; %bb.2785:
	s_mov_b64 s[0:1], -1
	s_mov_b64 s[22:23], 0
	s_cmp_eq_u32 s27, 46
	s_cbranch_scc0 .LBB15_2787
; %bb.2786:
	v_cndmask_b32_e64 v1, 0, 1.0, s[6:7]
	v_bfe_u32 v3, v1, 16, 1
	s_movk_i32 s0, 0x7fff
	v_add3_u32 v1, v1, v3, s0
	v_lshrrev_b32_e32 v1, 16, v1
	global_store_dword v[5:6], v1, off
	s_mov_b64 s[0:1], 0
	s_mov_b64 s[20:21], -1
.LBB15_2787:
	s_and_b64 vcc, exec, s[22:23]
	s_cbranch_vccz .LBB15_2792
; %bb.2788:
	s_cmp_eq_u32 s27, 44
	s_mov_b64 s[0:1], -1
	s_cbranch_scc0 .LBB15_2792
; %bb.2789:
	v_cndmask_b32_e64 v3, 0, 1.0, s[6:7]
	v_lshrrev_b32_e32 v1, 23, v3
	s_movk_i32 s0, 0xff
	v_cmp_ne_u32_e32 vcc, s0, v1
	v_mov_b32_e32 v7, 0xff
	s_and_saveexec_b64 s[20:21], vcc
; %bb.2790:
	s_mov_b32 s0, 0x3fffff
	v_and_b32_e32 v7, 0x400000, v3
	v_and_or_b32 v3, v3, s0, v1
	v_cmp_ne_u32_e32 vcc, 0, v7
	v_cmp_ne_u32_e64 s[0:1], 0, v3
	s_and_b64 s[0:1], vcc, s[0:1]
	v_cndmask_b32_e64 v3, 0, 1, s[0:1]
	v_add_u32_e32 v7, v1, v3
; %bb.2791:
	s_or_b64 exec, exec, s[20:21]
	s_mov_b64 s[0:1], 0
	s_mov_b64 s[20:21], -1
	global_store_byte v[5:6], v7, off
.LBB15_2792:
	s_mov_b64 s[22:23], 0
.LBB15_2793:
	s_and_b64 vcc, exec, s[22:23]
	s_cbranch_vccz .LBB15_2796
; %bb.2794:
	s_cmp_eq_u32 s27, 29
	s_mov_b64 s[0:1], -1
	s_cbranch_scc0 .LBB15_2796
; %bb.2795:
	s_mov_b32 s0, 0
	v_cndmask_b32_e64 v7, 0, 1, s[6:7]
	v_mov_b32_e32 v8, s0
	global_store_dwordx2 v[5:6], v[7:8], off
	s_mov_b64 s[0:1], 0
	s_mov_b64 s[20:21], -1
.LBB15_2796:
	s_mov_b64 s[22:23], 0
.LBB15_2797:
	s_and_b64 vcc, exec, s[22:23]
	s_cbranch_vccz .LBB15_2813
; %bb.2798:
	s_cmp_lt_i32 s27, 27
	s_mov_b64 s[20:21], -1
	s_cbranch_scc1 .LBB15_2804
; %bb.2799:
	s_cmp_gt_i32 s27, 27
	s_cbranch_scc0 .LBB15_2801
; %bb.2800:
	v_cndmask_b32_e64 v1, 0, 1, s[6:7]
	s_mov_b64 s[20:21], 0
	global_store_dword v[5:6], v1, off
.LBB15_2801:
	s_andn2_b64 vcc, exec, s[20:21]
	s_cbranch_vccnz .LBB15_2803
; %bb.2802:
	v_cndmask_b32_e64 v1, 0, 1, s[6:7]
	global_store_short v[5:6], v1, off
.LBB15_2803:
	s_mov_b64 s[20:21], 0
.LBB15_2804:
	s_andn2_b64 vcc, exec, s[20:21]
	s_cbranch_vccnz .LBB15_2812
; %bb.2805:
	v_cndmask_b32_e64 v3, 0, 1.0, s[6:7]
	s_mov_b32 s20, 0x43800000
	v_cmp_gt_u32_e32 vcc, s20, v3
	v_mov_b32_e32 v7, 0x80
	s_and_saveexec_b64 s[20:21], vcc
	s_cbranch_execz .LBB15_2811
; %bb.2806:
	s_mov_b32 s22, 0x3bffffff
	v_cmp_lt_u32_e32 vcc, s22, v3
	s_mov_b64 s[22:23], 0
                                        ; implicit-def: $vgpr1
	s_and_saveexec_b64 s[24:25], vcc
	s_xor_b64 s[24:25], exec, s[24:25]
	s_cbranch_execz .LBB15_3218
; %bb.2807:
	v_bfe_u32 v1, v3, 20, 1
	s_mov_b32 s28, 0x487ffff
	v_add3_u32 v1, v3, v1, s28
	s_mov_b64 s[22:23], exec
	v_lshrrev_b32_e32 v1, 20, v1
                                        ; implicit-def: $vgpr3
	s_andn2_saveexec_b64 s[24:25], s[24:25]
	s_cbranch_execnz .LBB15_3219
.LBB15_2808:
	s_or_b64 exec, exec, s[24:25]
	v_mov_b32_e32 v7, 0
	s_and_saveexec_b64 s[24:25], s[22:23]
.LBB15_2809:
	v_mov_b32_e32 v7, v1
.LBB15_2810:
	s_or_b64 exec, exec, s[24:25]
.LBB15_2811:
	s_or_b64 exec, exec, s[20:21]
	global_store_byte v[5:6], v7, off
.LBB15_2812:
	s_mov_b64 s[20:21], -1
.LBB15_2813:
	s_mov_b64 s[22:23], 0
.LBB15_2814:
	s_and_b64 vcc, exec, s[22:23]
	s_cbranch_vccz .LBB15_2854
; %bb.2815:
	s_cmp_gt_i32 s27, 22
	s_mov_b64 s[2:3], -1
	s_cbranch_scc0 .LBB15_2847
; %bb.2816:
	s_cmp_lt_i32 s27, 24
	s_cbranch_scc1 .LBB15_2836
; %bb.2817:
	s_cmp_gt_i32 s27, 24
	s_cbranch_scc0 .LBB15_2825
; %bb.2818:
	v_cndmask_b32_e64 v3, 0, 1.0, s[6:7]
	s_mov_b32 s2, 0x47800000
	v_cmp_gt_u32_e32 vcc, s2, v3
	v_mov_b32_e32 v7, 0x80
	s_and_saveexec_b64 s[2:3], vcc
	s_cbranch_execz .LBB15_2824
; %bb.2819:
	s_mov_b32 s20, 0x37ffffff
	v_cmp_lt_u32_e32 vcc, s20, v3
	s_mov_b64 s[20:21], 0
                                        ; implicit-def: $vgpr1
	s_and_saveexec_b64 s[22:23], vcc
	s_xor_b64 s[22:23], exec, s[22:23]
	s_cbranch_execz .LBB15_3221
; %bb.2820:
	v_bfe_u32 v1, v3, 21, 1
	s_mov_b32 s24, 0x88fffff
	v_add3_u32 v1, v3, v1, s24
	s_mov_b64 s[20:21], exec
	v_lshrrev_b32_e32 v1, 21, v1
                                        ; implicit-def: $vgpr3
	s_andn2_saveexec_b64 s[22:23], s[22:23]
	s_cbranch_execnz .LBB15_3222
.LBB15_2821:
	s_or_b64 exec, exec, s[22:23]
	v_mov_b32_e32 v7, 0
	s_and_saveexec_b64 s[22:23], s[20:21]
.LBB15_2822:
	v_mov_b32_e32 v7, v1
.LBB15_2823:
	s_or_b64 exec, exec, s[22:23]
.LBB15_2824:
	s_or_b64 exec, exec, s[2:3]
	s_mov_b64 s[2:3], 0
	global_store_byte v[5:6], v7, off
.LBB15_2825:
	s_and_b64 vcc, exec, s[2:3]
	s_cbranch_vccz .LBB15_2835
; %bb.2826:
	v_cndmask_b32_e64 v1, 0, 1.0, s[6:7]
	s_mov_b32 s2, 0x43f00000
	v_cmp_gt_u32_e32 vcc, s2, v1
                                        ; implicit-def: $vgpr3
	s_and_saveexec_b64 s[2:3], vcc
	s_xor_b64 s[2:3], exec, s[2:3]
	s_cbranch_execz .LBB15_2832
; %bb.2827:
	s_mov_b32 s20, 0x3c7fffff
	v_cmp_lt_u32_e32 vcc, s20, v1
                                        ; implicit-def: $vgpr3
	s_and_saveexec_b64 s[20:21], vcc
	s_xor_b64 s[20:21], exec, s[20:21]
; %bb.2828:
	v_bfe_u32 v3, v1, 20, 1
	s_mov_b32 s22, 0x407ffff
	v_add3_u32 v1, v1, v3, s22
	v_lshrrev_b32_e32 v3, 20, v1
	v_and_b32_e32 v1, 0xff00000, v1
	s_mov_b32 s22, 0x7f00000
	v_mov_b32_e32 v7, 0x7e
	v_cmp_ne_u32_e32 vcc, s22, v1
	v_cndmask_b32_e32 v3, v7, v3, vcc
                                        ; implicit-def: $vgpr1
; %bb.2829:
	s_andn2_saveexec_b64 s[20:21], s[20:21]
; %bb.2830:
	v_add_f32_e32 v3, 0x46800000, v1
; %bb.2831:
	s_or_b64 exec, exec, s[20:21]
                                        ; implicit-def: $vgpr1
.LBB15_2832:
	s_andn2_saveexec_b64 s[2:3], s[2:3]
; %bb.2833:
	s_mov_b32 s20, 0x7f800000
	v_mov_b32_e32 v3, 0x7e
	v_mov_b32_e32 v7, 0x7f
	v_cmp_lt_u32_e32 vcc, s20, v1
	v_cndmask_b32_e32 v3, v3, v7, vcc
; %bb.2834:
	s_or_b64 exec, exec, s[2:3]
	global_store_byte v[5:6], v3, off
.LBB15_2835:
	s_mov_b64 s[2:3], 0
.LBB15_2836:
	s_andn2_b64 vcc, exec, s[2:3]
	s_cbranch_vccnz .LBB15_2846
; %bb.2837:
	v_cndmask_b32_e64 v1, 0, 1.0, s[6:7]
	s_mov_b32 s2, 0x47800000
	v_cmp_gt_u32_e32 vcc, s2, v1
                                        ; implicit-def: $vgpr3
	s_and_saveexec_b64 s[2:3], vcc
	s_xor_b64 s[2:3], exec, s[2:3]
	s_cbranch_execz .LBB15_2843
; %bb.2838:
	s_mov_b32 s20, 0x387fffff
	v_cmp_lt_u32_e32 vcc, s20, v1
                                        ; implicit-def: $vgpr3
	s_and_saveexec_b64 s[20:21], vcc
	s_xor_b64 s[20:21], exec, s[20:21]
; %bb.2839:
	v_bfe_u32 v3, v1, 21, 1
	s_mov_b32 s22, 0x80fffff
	v_add3_u32 v1, v1, v3, s22
	v_lshrrev_b32_e32 v3, 21, v1
                                        ; implicit-def: $vgpr1
; %bb.2840:
	s_andn2_saveexec_b64 s[20:21], s[20:21]
; %bb.2841:
	v_add_f32_e32 v3, 0x43000000, v1
; %bb.2842:
	s_or_b64 exec, exec, s[20:21]
                                        ; implicit-def: $vgpr1
.LBB15_2843:
	s_andn2_saveexec_b64 s[2:3], s[2:3]
; %bb.2844:
	s_mov_b32 s20, 0x7f800000
	v_mov_b32_e32 v3, 0x7c
	v_mov_b32_e32 v7, 0x7f
	v_cmp_lt_u32_e32 vcc, s20, v1
	v_cndmask_b32_e32 v3, v3, v7, vcc
; %bb.2845:
	s_or_b64 exec, exec, s[2:3]
	global_store_byte v[5:6], v3, off
.LBB15_2846:
	s_mov_b64 s[2:3], 0
	s_mov_b64 s[20:21], -1
.LBB15_2847:
	s_andn2_b64 vcc, exec, s[2:3]
	s_mov_b64 s[2:3], 0
	s_cbranch_vccnz .LBB15_2854
; %bb.2848:
	s_cmp_gt_i32 s27, 14
	s_mov_b64 s[22:23], -1
	s_cbranch_scc0 .LBB15_2852
; %bb.2849:
	s_cmp_eq_u32 s27, 15
	s_mov_b64 s[0:1], -1
	s_cbranch_scc0 .LBB15_2851
; %bb.2850:
	v_cndmask_b32_e64 v1, 0, 1.0, s[6:7]
	v_bfe_u32 v3, v1, 16, 1
	s_movk_i32 s0, 0x7fff
	v_add3_u32 v1, v1, v3, s0
	global_store_short_d16_hi v[5:6], v1, off
	s_mov_b64 s[0:1], 0
	s_mov_b64 s[20:21], -1
.LBB15_2851:
	s_mov_b64 s[22:23], 0
.LBB15_2852:
	s_and_b64 vcc, exec, s[22:23]
	s_cbranch_vccz .LBB15_2854
; %bb.2853:
	s_cmp_lg_u32 s27, 11
	s_mov_b64 s[2:3], -1
	s_cselect_b64 s[0:1], -1, 0
.LBB15_2854:
	s_and_b64 vcc, exec, s[0:1]
	s_cbranch_vccnz .LBB15_3220
; %bb.2855:
	s_andn2_b64 vcc, exec, s[2:3]
	s_cbranch_vccnz .LBB15_2857
.LBB15_2856:
	v_cndmask_b32_e64 v1, 0, 1, s[6:7]
	s_mov_b64 s[20:21], -1
	global_store_byte v[5:6], v1, off
.LBB15_2857:
	s_mov_b64 s[0:1], 0
	s_branch .LBB15_2861
.LBB15_2858:
	s_andn2_b64 vcc, exec, s[20:21]
	s_cbranch_vccnz .LBB15_2778
.LBB15_2859:
	s_waitcnt vmcnt(0)
	v_cmp_lt_u16_sdwa s[20:21], v8, v11 src0_sel:BYTE_0 src1_sel:BYTE_0
	s_andn2_b64 s[10:11], s[10:11], exec
	s_and_b64 s[20:21], s[20:21], exec
	s_or_b64 s[10:11], s[10:11], s[20:21]
	s_cbranch_execz .LBB15_2779
	s_branch .LBB15_2780
.LBB15_2860:
	s_mov_b64 s[0:1], -1
	s_mov_b64 s[20:21], 0
.LBB15_2861:
	s_and_b64 vcc, exec, s[0:1]
	s_cbranch_vccz .LBB15_2900
; %bb.2862:
	s_and_b32 s2, 0xffff, s26
	s_cmp_lt_i32 s2, 5
	s_mov_b64 s[0:1], -1
	s_cbranch_scc1 .LBB15_2883
; %bb.2863:
	s_cmp_lt_i32 s2, 8
	s_cbranch_scc1 .LBB15_2873
; %bb.2864:
	s_cmp_lt_i32 s2, 9
	s_cbranch_scc1 .LBB15_2870
; %bb.2865:
	s_cmp_gt_i32 s2, 9
	s_cbranch_scc0 .LBB15_2867
; %bb.2866:
	v_cndmask_b32_e64 v1, 0, 1, s[6:7]
	v_cvt_f64_u32_e32 v[7:8], v1
	v_mov_b32_e32 v9, 0
	v_mov_b32_e32 v10, v9
	s_mov_b64 s[0:1], 0
	global_store_dwordx4 v[5:6], v[7:10], off
.LBB15_2867:
	s_andn2_b64 vcc, exec, s[0:1]
	s_cbranch_vccnz .LBB15_2869
; %bb.2868:
	v_cndmask_b32_e64 v7, 0, 1.0, s[6:7]
	v_mov_b32_e32 v8, 0
	global_store_dwordx2 v[5:6], v[7:8], off
.LBB15_2869:
	s_mov_b64 s[0:1], 0
.LBB15_2870:
	s_andn2_b64 vcc, exec, s[0:1]
	s_cbranch_vccnz .LBB15_2872
; %bb.2871:
	v_cndmask_b32_e64 v1, 0, 1.0, s[6:7]
	v_cvt_f16_f32_e32 v1, v1
	global_store_dword v[5:6], v1, off
.LBB15_2872:
	s_mov_b64 s[0:1], 0
.LBB15_2873:
	s_andn2_b64 vcc, exec, s[0:1]
	s_cbranch_vccnz .LBB15_2882
; %bb.2874:
	s_cmp_lt_i32 s2, 6
	s_mov_b64 s[0:1], -1
	s_cbranch_scc1 .LBB15_2880
; %bb.2875:
	s_cmp_gt_i32 s2, 6
	s_cbranch_scc0 .LBB15_2877
; %bb.2876:
	v_cndmask_b32_e64 v1, 0, 1, s[6:7]
	v_cvt_f64_u32_e32 v[7:8], v1
	s_mov_b64 s[0:1], 0
	global_store_dwordx2 v[5:6], v[7:8], off
.LBB15_2877:
	s_andn2_b64 vcc, exec, s[0:1]
	s_cbranch_vccnz .LBB15_2879
; %bb.2878:
	v_cndmask_b32_e64 v1, 0, 1.0, s[6:7]
	global_store_dword v[5:6], v1, off
.LBB15_2879:
	s_mov_b64 s[0:1], 0
.LBB15_2880:
	s_andn2_b64 vcc, exec, s[0:1]
	s_cbranch_vccnz .LBB15_2882
; %bb.2881:
	v_cndmask_b32_e64 v1, 0, 1.0, s[6:7]
	v_cvt_f16_f32_e32 v1, v1
	global_store_short v[5:6], v1, off
.LBB15_2882:
	s_mov_b64 s[0:1], 0
.LBB15_2883:
	s_andn2_b64 vcc, exec, s[0:1]
	s_cbranch_vccnz .LBB15_2899
; %bb.2884:
	s_cmp_lt_i32 s2, 2
	s_mov_b64 s[0:1], -1
	s_cbranch_scc1 .LBB15_2894
; %bb.2885:
	s_cmp_lt_i32 s2, 3
	s_cbranch_scc1 .LBB15_2891
; %bb.2886:
	s_cmp_gt_i32 s2, 3
	s_cbranch_scc0 .LBB15_2888
; %bb.2887:
	s_mov_b32 s0, 0
	v_cndmask_b32_e64 v7, 0, 1, s[6:7]
	v_mov_b32_e32 v8, s0
	global_store_dwordx2 v[5:6], v[7:8], off
	s_mov_b64 s[0:1], 0
.LBB15_2888:
	s_andn2_b64 vcc, exec, s[0:1]
	s_cbranch_vccnz .LBB15_2890
; %bb.2889:
	v_cndmask_b32_e64 v1, 0, 1, s[6:7]
	global_store_dword v[5:6], v1, off
.LBB15_2890:
	s_mov_b64 s[0:1], 0
.LBB15_2891:
	s_andn2_b64 vcc, exec, s[0:1]
	s_cbranch_vccnz .LBB15_2893
; %bb.2892:
	v_cndmask_b32_e64 v1, 0, 1, s[6:7]
	global_store_short v[5:6], v1, off
.LBB15_2893:
	s_mov_b64 s[0:1], 0
.LBB15_2894:
	s_andn2_b64 vcc, exec, s[0:1]
	s_cbranch_vccnz .LBB15_2899
; %bb.2895:
	s_mov_b64 s[0:1], -1
	s_cmp_gt_i32 s2, 0
	v_cndmask_b32_e64 v1, 0, 1, s[6:7]
	s_cbranch_scc0 .LBB15_2897
; %bb.2896:
	global_store_byte v[5:6], v1, off
	s_mov_b64 s[0:1], 0
.LBB15_2897:
	s_andn2_b64 vcc, exec, s[0:1]
	s_cbranch_vccnz .LBB15_2899
; %bb.2898:
	global_store_byte v[5:6], v1, off
.LBB15_2899:
	s_mov_b64 s[20:21], -1
.LBB15_2900:
	s_andn2_b64 vcc, exec, s[20:21]
	s_cbranch_vccnz .LBB15_3215
; %bb.2901:
	v_mov_b32_e32 v1, s9
	s_and_b32 s24, 0xffff, s26
	v_add_co_u32_e32 v3, vcc, s8, v4
	s_cmp_lt_i32 s24, 11
	v_addc_co_u32_e32 v4, vcc, 0, v1, vcc
	s_cbranch_scc1 .LBB15_2979
; %bb.2902:
	s_mov_b64 s[20:21], -1
	s_mov_b64 s[2:3], 0
	s_cmp_gt_i32 s24, 25
	s_mov_b64 s[6:7], 0
	s_mov_b64 s[0:1], 0
	s_cbranch_scc0 .LBB15_2935
; %bb.2903:
	s_cmp_gt_i32 s24, 28
	s_cbranch_scc0 .LBB15_2918
; %bb.2904:
	s_cmp_gt_i32 s24, 43
	;; [unrolled: 3-line block ×3, first 2 shown]
	s_cbranch_scc0 .LBB15_2908
; %bb.2906:
	s_mov_b64 s[0:1], -1
	s_mov_b64 s[20:21], 0
	s_cmp_eq_u32 s24, 46
	s_cbranch_scc0 .LBB15_2908
; %bb.2907:
	v_cndmask_b32_e64 v1, 0, 1.0, s[16:17]
	v_bfe_u32 v5, v1, 16, 1
	s_movk_i32 s0, 0x7fff
	v_add3_u32 v1, v1, v5, s0
	v_lshrrev_b32_e32 v1, 16, v1
	global_store_dword v[3:4], v1, off
	s_mov_b64 s[0:1], 0
	s_mov_b64 s[6:7], -1
.LBB15_2908:
	s_and_b64 vcc, exec, s[20:21]
	s_cbranch_vccz .LBB15_2913
; %bb.2909:
	s_cmp_eq_u32 s24, 44
	s_mov_b64 s[0:1], -1
	s_cbranch_scc0 .LBB15_2913
; %bb.2910:
	v_cndmask_b32_e64 v5, 0, 1.0, s[16:17]
	v_lshrrev_b32_e32 v1, 23, v5
	s_movk_i32 s0, 0xff
	v_cmp_ne_u32_e32 vcc, s0, v1
	v_mov_b32_e32 v6, 0xff
	s_and_saveexec_b64 s[6:7], vcc
; %bb.2911:
	s_mov_b32 s0, 0x3fffff
	v_and_b32_e32 v6, 0x400000, v5
	v_and_or_b32 v5, v5, s0, v1
	v_cmp_ne_u32_e32 vcc, 0, v6
	v_cmp_ne_u32_e64 s[0:1], 0, v5
	s_and_b64 s[0:1], vcc, s[0:1]
	v_cndmask_b32_e64 v5, 0, 1, s[0:1]
	v_add_u32_e32 v6, v1, v5
; %bb.2912:
	s_or_b64 exec, exec, s[6:7]
	s_mov_b64 s[0:1], 0
	s_mov_b64 s[6:7], -1
	global_store_byte v[3:4], v6, off
.LBB15_2913:
	s_mov_b64 s[20:21], 0
.LBB15_2914:
	s_and_b64 vcc, exec, s[20:21]
	s_cbranch_vccz .LBB15_2917
; %bb.2915:
	s_cmp_eq_u32 s24, 29
	s_mov_b64 s[0:1], -1
	s_cbranch_scc0 .LBB15_2917
; %bb.2916:
	s_mov_b32 s0, 0
	v_cndmask_b32_e64 v5, 0, 1, s[16:17]
	v_mov_b32_e32 v6, s0
	global_store_dwordx2 v[3:4], v[5:6], off
	s_mov_b64 s[0:1], 0
	s_mov_b64 s[6:7], -1
.LBB15_2917:
	s_mov_b64 s[20:21], 0
.LBB15_2918:
	s_and_b64 vcc, exec, s[20:21]
	s_cbranch_vccz .LBB15_2934
; %bb.2919:
	s_cmp_lt_i32 s24, 27
	s_mov_b64 s[6:7], -1
	s_cbranch_scc1 .LBB15_2925
; %bb.2920:
	s_cmp_gt_i32 s24, 27
	s_cbranch_scc0 .LBB15_2922
; %bb.2921:
	v_cndmask_b32_e64 v1, 0, 1, s[16:17]
	s_mov_b64 s[6:7], 0
	global_store_dword v[3:4], v1, off
.LBB15_2922:
	s_andn2_b64 vcc, exec, s[6:7]
	s_cbranch_vccnz .LBB15_2924
; %bb.2923:
	v_cndmask_b32_e64 v1, 0, 1, s[16:17]
	global_store_short v[3:4], v1, off
.LBB15_2924:
	s_mov_b64 s[6:7], 0
.LBB15_2925:
	s_andn2_b64 vcc, exec, s[6:7]
	s_cbranch_vccnz .LBB15_2933
; %bb.2926:
	v_cndmask_b32_e64 v5, 0, 1.0, s[16:17]
	s_mov_b32 s6, 0x43800000
	v_cmp_gt_u32_e32 vcc, s6, v5
	v_mov_b32_e32 v6, 0x80
	s_and_saveexec_b64 s[6:7], vcc
	s_cbranch_execz .LBB15_2932
; %bb.2927:
	s_mov_b32 s20, 0x3bffffff
	v_cmp_lt_u32_e32 vcc, s20, v5
	s_mov_b64 s[20:21], 0
                                        ; implicit-def: $vgpr1
	s_and_saveexec_b64 s[22:23], vcc
	s_xor_b64 s[22:23], exec, s[22:23]
	s_cbranch_execz .LBB15_3223
; %bb.2928:
	v_bfe_u32 v1, v5, 20, 1
	s_mov_b32 s25, 0x487ffff
	v_add3_u32 v1, v5, v1, s25
	s_mov_b64 s[20:21], exec
	v_lshrrev_b32_e32 v1, 20, v1
                                        ; implicit-def: $vgpr5
	s_andn2_saveexec_b64 s[22:23], s[22:23]
	s_cbranch_execnz .LBB15_3224
.LBB15_2929:
	s_or_b64 exec, exec, s[22:23]
	v_mov_b32_e32 v6, 0
	s_and_saveexec_b64 s[22:23], s[20:21]
.LBB15_2930:
	v_mov_b32_e32 v6, v1
.LBB15_2931:
	s_or_b64 exec, exec, s[22:23]
.LBB15_2932:
	s_or_b64 exec, exec, s[6:7]
	global_store_byte v[3:4], v6, off
.LBB15_2933:
	s_mov_b64 s[6:7], -1
.LBB15_2934:
	s_mov_b64 s[20:21], 0
.LBB15_2935:
	s_and_b64 vcc, exec, s[20:21]
	s_cbranch_vccz .LBB15_2975
; %bb.2936:
	s_cmp_gt_i32 s24, 22
	s_mov_b64 s[2:3], -1
	s_cbranch_scc0 .LBB15_2968
; %bb.2937:
	s_cmp_lt_i32 s24, 24
	s_cbranch_scc1 .LBB15_2957
; %bb.2938:
	s_cmp_gt_i32 s24, 24
	s_cbranch_scc0 .LBB15_2946
; %bb.2939:
	v_cndmask_b32_e64 v5, 0, 1.0, s[16:17]
	s_mov_b32 s2, 0x47800000
	v_cmp_gt_u32_e32 vcc, s2, v5
	v_mov_b32_e32 v6, 0x80
	s_and_saveexec_b64 s[2:3], vcc
	s_cbranch_execz .LBB15_2945
; %bb.2940:
	s_mov_b32 s6, 0x37ffffff
	v_cmp_lt_u32_e32 vcc, s6, v5
	s_mov_b64 s[6:7], 0
                                        ; implicit-def: $vgpr1
	s_and_saveexec_b64 s[20:21], vcc
	s_xor_b64 s[20:21], exec, s[20:21]
	s_cbranch_execz .LBB15_3226
; %bb.2941:
	v_bfe_u32 v1, v5, 21, 1
	s_mov_b32 s22, 0x88fffff
	v_add3_u32 v1, v5, v1, s22
	s_mov_b64 s[6:7], exec
	v_lshrrev_b32_e32 v1, 21, v1
                                        ; implicit-def: $vgpr5
	s_andn2_saveexec_b64 s[20:21], s[20:21]
	s_cbranch_execnz .LBB15_3227
.LBB15_2942:
	s_or_b64 exec, exec, s[20:21]
	v_mov_b32_e32 v6, 0
	s_and_saveexec_b64 s[20:21], s[6:7]
.LBB15_2943:
	v_mov_b32_e32 v6, v1
.LBB15_2944:
	s_or_b64 exec, exec, s[20:21]
.LBB15_2945:
	s_or_b64 exec, exec, s[2:3]
	s_mov_b64 s[2:3], 0
	global_store_byte v[3:4], v6, off
.LBB15_2946:
	s_and_b64 vcc, exec, s[2:3]
	s_cbranch_vccz .LBB15_2956
; %bb.2947:
	v_cndmask_b32_e64 v1, 0, 1.0, s[16:17]
	s_mov_b32 s2, 0x43f00000
	v_cmp_gt_u32_e32 vcc, s2, v1
                                        ; implicit-def: $vgpr5
	s_and_saveexec_b64 s[2:3], vcc
	s_xor_b64 s[2:3], exec, s[2:3]
	s_cbranch_execz .LBB15_2953
; %bb.2948:
	s_mov_b32 s6, 0x3c7fffff
	v_cmp_lt_u32_e32 vcc, s6, v1
                                        ; implicit-def: $vgpr5
	s_and_saveexec_b64 s[6:7], vcc
	s_xor_b64 s[6:7], exec, s[6:7]
; %bb.2949:
	v_bfe_u32 v5, v1, 20, 1
	s_mov_b32 s20, 0x407ffff
	v_add3_u32 v1, v1, v5, s20
	v_lshrrev_b32_e32 v5, 20, v1
	v_and_b32_e32 v1, 0xff00000, v1
	s_mov_b32 s20, 0x7f00000
	v_mov_b32_e32 v6, 0x7e
	v_cmp_ne_u32_e32 vcc, s20, v1
	v_cndmask_b32_e32 v5, v6, v5, vcc
                                        ; implicit-def: $vgpr1
; %bb.2950:
	s_andn2_saveexec_b64 s[6:7], s[6:7]
; %bb.2951:
	v_add_f32_e32 v5, 0x46800000, v1
; %bb.2952:
	s_or_b64 exec, exec, s[6:7]
                                        ; implicit-def: $vgpr1
.LBB15_2953:
	s_andn2_saveexec_b64 s[2:3], s[2:3]
; %bb.2954:
	s_mov_b32 s6, 0x7f800000
	v_mov_b32_e32 v5, 0x7e
	v_mov_b32_e32 v6, 0x7f
	v_cmp_lt_u32_e32 vcc, s6, v1
	v_cndmask_b32_e32 v5, v5, v6, vcc
; %bb.2955:
	s_or_b64 exec, exec, s[2:3]
	global_store_byte v[3:4], v5, off
.LBB15_2956:
	s_mov_b64 s[2:3], 0
.LBB15_2957:
	s_andn2_b64 vcc, exec, s[2:3]
	s_cbranch_vccnz .LBB15_2967
; %bb.2958:
	v_cndmask_b32_e64 v1, 0, 1.0, s[16:17]
	s_mov_b32 s2, 0x47800000
	v_cmp_gt_u32_e32 vcc, s2, v1
                                        ; implicit-def: $vgpr5
	s_and_saveexec_b64 s[2:3], vcc
	s_xor_b64 s[2:3], exec, s[2:3]
	s_cbranch_execz .LBB15_2964
; %bb.2959:
	s_mov_b32 s6, 0x387fffff
	v_cmp_lt_u32_e32 vcc, s6, v1
                                        ; implicit-def: $vgpr5
	s_and_saveexec_b64 s[6:7], vcc
	s_xor_b64 s[6:7], exec, s[6:7]
; %bb.2960:
	v_bfe_u32 v5, v1, 21, 1
	s_mov_b32 s20, 0x80fffff
	v_add3_u32 v1, v1, v5, s20
	v_lshrrev_b32_e32 v5, 21, v1
                                        ; implicit-def: $vgpr1
; %bb.2961:
	s_andn2_saveexec_b64 s[6:7], s[6:7]
; %bb.2962:
	v_add_f32_e32 v5, 0x43000000, v1
; %bb.2963:
	s_or_b64 exec, exec, s[6:7]
                                        ; implicit-def: $vgpr1
.LBB15_2964:
	s_andn2_saveexec_b64 s[2:3], s[2:3]
; %bb.2965:
	s_mov_b32 s6, 0x7f800000
	v_mov_b32_e32 v5, 0x7c
	v_mov_b32_e32 v6, 0x7f
	v_cmp_lt_u32_e32 vcc, s6, v1
	v_cndmask_b32_e32 v5, v5, v6, vcc
; %bb.2966:
	s_or_b64 exec, exec, s[2:3]
	global_store_byte v[3:4], v5, off
.LBB15_2967:
	s_mov_b64 s[2:3], 0
	s_mov_b64 s[6:7], -1
.LBB15_2968:
	s_andn2_b64 vcc, exec, s[2:3]
	s_mov_b64 s[2:3], 0
	s_cbranch_vccnz .LBB15_2975
; %bb.2969:
	s_cmp_gt_i32 s24, 14
	s_mov_b64 s[20:21], -1
	s_cbranch_scc0 .LBB15_2973
; %bb.2970:
	s_cmp_eq_u32 s24, 15
	s_mov_b64 s[0:1], -1
	s_cbranch_scc0 .LBB15_2972
; %bb.2971:
	v_cndmask_b32_e64 v1, 0, 1.0, s[16:17]
	v_bfe_u32 v5, v1, 16, 1
	s_movk_i32 s0, 0x7fff
	v_add3_u32 v1, v1, v5, s0
	global_store_short_d16_hi v[3:4], v1, off
	s_mov_b64 s[0:1], 0
	s_mov_b64 s[6:7], -1
.LBB15_2972:
	s_mov_b64 s[20:21], 0
.LBB15_2973:
	s_and_b64 vcc, exec, s[20:21]
	s_cbranch_vccz .LBB15_2975
; %bb.2974:
	s_cmp_lg_u32 s24, 11
	s_mov_b64 s[2:3], -1
	s_cselect_b64 s[0:1], -1, 0
.LBB15_2975:
	s_and_b64 vcc, exec, s[0:1]
	s_cbranch_vccnz .LBB15_3225
; %bb.2976:
	s_andn2_b64 vcc, exec, s[2:3]
	s_cbranch_vccnz .LBB15_2978
.LBB15_2977:
	v_cndmask_b32_e64 v1, 0, 1, s[16:17]
	s_mov_b64 s[6:7], -1
	global_store_byte v[3:4], v1, off
.LBB15_2978:
	s_mov_b64 s[0:1], 0
	s_branch .LBB15_2980
.LBB15_2979:
	s_mov_b64 s[0:1], -1
	s_mov_b64 s[6:7], 0
.LBB15_2980:
	s_and_b64 vcc, exec, s[0:1]
	s_cbranch_vccz .LBB15_3019
; %bb.2981:
	s_cmp_lt_i32 s24, 5
	s_mov_b64 s[0:1], -1
	s_cbranch_scc1 .LBB15_3002
; %bb.2982:
	s_cmp_lt_i32 s24, 8
	s_cbranch_scc1 .LBB15_2992
; %bb.2983:
	s_cmp_lt_i32 s24, 9
	s_cbranch_scc1 .LBB15_2989
; %bb.2984:
	s_cmp_gt_i32 s24, 9
	s_cbranch_scc0 .LBB15_2986
; %bb.2985:
	v_cndmask_b32_e64 v1, 0, 1, s[16:17]
	v_cvt_f64_u32_e32 v[5:6], v1
	v_mov_b32_e32 v7, 0
	v_mov_b32_e32 v8, v7
	s_mov_b64 s[0:1], 0
	global_store_dwordx4 v[3:4], v[5:8], off
.LBB15_2986:
	s_andn2_b64 vcc, exec, s[0:1]
	s_cbranch_vccnz .LBB15_2988
; %bb.2987:
	v_cndmask_b32_e64 v5, 0, 1.0, s[16:17]
	v_mov_b32_e32 v6, 0
	global_store_dwordx2 v[3:4], v[5:6], off
.LBB15_2988:
	s_mov_b64 s[0:1], 0
.LBB15_2989:
	s_andn2_b64 vcc, exec, s[0:1]
	s_cbranch_vccnz .LBB15_2991
; %bb.2990:
	v_cndmask_b32_e64 v1, 0, 1.0, s[16:17]
	v_cvt_f16_f32_e32 v1, v1
	global_store_dword v[3:4], v1, off
.LBB15_2991:
	s_mov_b64 s[0:1], 0
.LBB15_2992:
	s_andn2_b64 vcc, exec, s[0:1]
	s_cbranch_vccnz .LBB15_3001
; %bb.2993:
	s_cmp_lt_i32 s24, 6
	s_mov_b64 s[0:1], -1
	s_cbranch_scc1 .LBB15_2999
; %bb.2994:
	s_cmp_gt_i32 s24, 6
	s_cbranch_scc0 .LBB15_2996
; %bb.2995:
	v_cndmask_b32_e64 v1, 0, 1, s[16:17]
	v_cvt_f64_u32_e32 v[5:6], v1
	s_mov_b64 s[0:1], 0
	global_store_dwordx2 v[3:4], v[5:6], off
.LBB15_2996:
	s_andn2_b64 vcc, exec, s[0:1]
	s_cbranch_vccnz .LBB15_2998
; %bb.2997:
	v_cndmask_b32_e64 v1, 0, 1.0, s[16:17]
	global_store_dword v[3:4], v1, off
.LBB15_2998:
	s_mov_b64 s[0:1], 0
.LBB15_2999:
	s_andn2_b64 vcc, exec, s[0:1]
	s_cbranch_vccnz .LBB15_3001
; %bb.3000:
	v_cndmask_b32_e64 v1, 0, 1.0, s[16:17]
	v_cvt_f16_f32_e32 v1, v1
	global_store_short v[3:4], v1, off
.LBB15_3001:
	s_mov_b64 s[0:1], 0
.LBB15_3002:
	s_andn2_b64 vcc, exec, s[0:1]
	s_cbranch_vccnz .LBB15_3018
; %bb.3003:
	s_cmp_lt_i32 s24, 2
	s_mov_b64 s[0:1], -1
	s_cbranch_scc1 .LBB15_3013
; %bb.3004:
	s_cmp_lt_i32 s24, 3
	s_cbranch_scc1 .LBB15_3010
; %bb.3005:
	s_cmp_gt_i32 s24, 3
	s_cbranch_scc0 .LBB15_3007
; %bb.3006:
	s_mov_b32 s0, 0
	v_cndmask_b32_e64 v5, 0, 1, s[16:17]
	v_mov_b32_e32 v6, s0
	global_store_dwordx2 v[3:4], v[5:6], off
	s_mov_b64 s[0:1], 0
.LBB15_3007:
	s_andn2_b64 vcc, exec, s[0:1]
	s_cbranch_vccnz .LBB15_3009
; %bb.3008:
	v_cndmask_b32_e64 v1, 0, 1, s[16:17]
	global_store_dword v[3:4], v1, off
.LBB15_3009:
	s_mov_b64 s[0:1], 0
.LBB15_3010:
	s_andn2_b64 vcc, exec, s[0:1]
	s_cbranch_vccnz .LBB15_3012
; %bb.3011:
	v_cndmask_b32_e64 v1, 0, 1, s[16:17]
	global_store_short v[3:4], v1, off
.LBB15_3012:
	s_mov_b64 s[0:1], 0
.LBB15_3013:
	s_andn2_b64 vcc, exec, s[0:1]
	s_cbranch_vccnz .LBB15_3018
; %bb.3014:
	s_mov_b64 s[0:1], -1
	s_cmp_gt_i32 s24, 0
	v_cndmask_b32_e64 v1, 0, 1, s[16:17]
	s_cbranch_scc0 .LBB15_3016
; %bb.3015:
	global_store_byte v[3:4], v1, off
	s_mov_b64 s[0:1], 0
.LBB15_3016:
	s_andn2_b64 vcc, exec, s[0:1]
	s_cbranch_vccnz .LBB15_3018
; %bb.3017:
	global_store_byte v[3:4], v1, off
.LBB15_3018:
	s_mov_b64 s[6:7], -1
.LBB15_3019:
	s_andn2_b64 vcc, exec, s[6:7]
	s_cbranch_vccnz .LBB15_3215
; %bb.3020:
	v_mov_b32_e32 v3, s9
	v_add_co_u32_e32 v1, vcc, s8, v2
	s_cmp_lt_i32 s24, 11
	v_addc_co_u32_e32 v2, vcc, 0, v3, vcc
	s_cbranch_scc1 .LBB15_3098
; %bb.3021:
	s_mov_b64 s[16:17], -1
	s_mov_b64 s[2:3], 0
	s_cmp_gt_i32 s24, 25
	s_mov_b64 s[6:7], 0
	s_mov_b64 s[0:1], 0
	s_cbranch_scc0 .LBB15_3054
; %bb.3022:
	s_cmp_gt_i32 s24, 28
	s_cbranch_scc0 .LBB15_3037
; %bb.3023:
	s_cmp_gt_i32 s24, 43
	;; [unrolled: 3-line block ×3, first 2 shown]
	s_cbranch_scc0 .LBB15_3027
; %bb.3025:
	s_mov_b64 s[0:1], -1
	s_mov_b64 s[16:17], 0
	s_cmp_eq_u32 s24, 46
	s_cbranch_scc0 .LBB15_3027
; %bb.3026:
	v_cndmask_b32_e64 v3, 0, 1.0, s[18:19]
	v_bfe_u32 v4, v3, 16, 1
	s_movk_i32 s0, 0x7fff
	v_add3_u32 v3, v3, v4, s0
	v_lshrrev_b32_e32 v3, 16, v3
	global_store_dword v[1:2], v3, off
	s_mov_b64 s[0:1], 0
	s_mov_b64 s[6:7], -1
.LBB15_3027:
	s_and_b64 vcc, exec, s[16:17]
	s_cbranch_vccz .LBB15_3032
; %bb.3028:
	s_cmp_eq_u32 s24, 44
	s_mov_b64 s[0:1], -1
	s_cbranch_scc0 .LBB15_3032
; %bb.3029:
	v_cndmask_b32_e64 v4, 0, 1.0, s[18:19]
	v_lshrrev_b32_e32 v3, 23, v4
	s_movk_i32 s0, 0xff
	v_cmp_ne_u32_e32 vcc, s0, v3
	v_mov_b32_e32 v5, 0xff
	s_and_saveexec_b64 s[6:7], vcc
; %bb.3030:
	s_mov_b32 s0, 0x3fffff
	v_and_b32_e32 v5, 0x400000, v4
	v_and_or_b32 v4, v4, s0, v3
	v_cmp_ne_u32_e32 vcc, 0, v5
	v_cmp_ne_u32_e64 s[0:1], 0, v4
	s_and_b64 s[0:1], vcc, s[0:1]
	v_cndmask_b32_e64 v4, 0, 1, s[0:1]
	v_add_u32_e32 v5, v3, v4
; %bb.3031:
	s_or_b64 exec, exec, s[6:7]
	s_mov_b64 s[0:1], 0
	s_mov_b64 s[6:7], -1
	global_store_byte v[1:2], v5, off
.LBB15_3032:
	s_mov_b64 s[16:17], 0
.LBB15_3033:
	s_and_b64 vcc, exec, s[16:17]
	s_cbranch_vccz .LBB15_3036
; %bb.3034:
	s_cmp_eq_u32 s24, 29
	s_mov_b64 s[0:1], -1
	s_cbranch_scc0 .LBB15_3036
; %bb.3035:
	s_mov_b32 s0, 0
	v_cndmask_b32_e64 v3, 0, 1, s[18:19]
	v_mov_b32_e32 v4, s0
	global_store_dwordx2 v[1:2], v[3:4], off
	s_mov_b64 s[0:1], 0
	s_mov_b64 s[6:7], -1
.LBB15_3036:
	s_mov_b64 s[16:17], 0
.LBB15_3037:
	s_and_b64 vcc, exec, s[16:17]
	s_cbranch_vccz .LBB15_3053
; %bb.3038:
	s_cmp_lt_i32 s24, 27
	s_mov_b64 s[6:7], -1
	s_cbranch_scc1 .LBB15_3044
; %bb.3039:
	s_cmp_gt_i32 s24, 27
	s_cbranch_scc0 .LBB15_3041
; %bb.3040:
	v_cndmask_b32_e64 v3, 0, 1, s[18:19]
	s_mov_b64 s[6:7], 0
	global_store_dword v[1:2], v3, off
.LBB15_3041:
	s_andn2_b64 vcc, exec, s[6:7]
	s_cbranch_vccnz .LBB15_3043
; %bb.3042:
	v_cndmask_b32_e64 v3, 0, 1, s[18:19]
	global_store_short v[1:2], v3, off
.LBB15_3043:
	s_mov_b64 s[6:7], 0
.LBB15_3044:
	s_andn2_b64 vcc, exec, s[6:7]
	s_cbranch_vccnz .LBB15_3052
; %bb.3045:
	v_cndmask_b32_e64 v4, 0, 1.0, s[18:19]
	s_mov_b32 s6, 0x43800000
	v_cmp_gt_u32_e32 vcc, s6, v4
	v_mov_b32_e32 v5, 0x80
	s_and_saveexec_b64 s[6:7], vcc
	s_cbranch_execz .LBB15_3051
; %bb.3046:
	s_mov_b32 s16, 0x3bffffff
	v_cmp_lt_u32_e32 vcc, s16, v4
	s_mov_b64 s[16:17], 0
                                        ; implicit-def: $vgpr3
	s_and_saveexec_b64 s[20:21], vcc
	s_xor_b64 s[20:21], exec, s[20:21]
	s_cbranch_execz .LBB15_3228
; %bb.3047:
	v_bfe_u32 v3, v4, 20, 1
	s_mov_b32 s22, 0x487ffff
	v_add3_u32 v3, v4, v3, s22
	s_mov_b64 s[16:17], exec
	v_lshrrev_b32_e32 v3, 20, v3
                                        ; implicit-def: $vgpr4
	s_andn2_saveexec_b64 s[20:21], s[20:21]
	s_cbranch_execnz .LBB15_3229
.LBB15_3048:
	s_or_b64 exec, exec, s[20:21]
	v_mov_b32_e32 v5, 0
	s_and_saveexec_b64 s[20:21], s[16:17]
.LBB15_3049:
	v_mov_b32_e32 v5, v3
.LBB15_3050:
	s_or_b64 exec, exec, s[20:21]
.LBB15_3051:
	s_or_b64 exec, exec, s[6:7]
	global_store_byte v[1:2], v5, off
.LBB15_3052:
	s_mov_b64 s[6:7], -1
.LBB15_3053:
	s_mov_b64 s[16:17], 0
.LBB15_3054:
	s_and_b64 vcc, exec, s[16:17]
	s_cbranch_vccz .LBB15_3094
; %bb.3055:
	s_cmp_gt_i32 s24, 22
	s_mov_b64 s[2:3], -1
	s_cbranch_scc0 .LBB15_3087
; %bb.3056:
	s_cmp_lt_i32 s24, 24
	s_cbranch_scc1 .LBB15_3076
; %bb.3057:
	s_cmp_gt_i32 s24, 24
	s_cbranch_scc0 .LBB15_3065
; %bb.3058:
	v_cndmask_b32_e64 v4, 0, 1.0, s[18:19]
	s_mov_b32 s2, 0x47800000
	v_cmp_gt_u32_e32 vcc, s2, v4
	v_mov_b32_e32 v5, 0x80
	s_and_saveexec_b64 s[2:3], vcc
	s_cbranch_execz .LBB15_3064
; %bb.3059:
	s_mov_b32 s6, 0x37ffffff
	v_cmp_lt_u32_e32 vcc, s6, v4
	s_mov_b64 s[6:7], 0
                                        ; implicit-def: $vgpr3
	s_and_saveexec_b64 s[16:17], vcc
	s_xor_b64 s[16:17], exec, s[16:17]
	s_cbranch_execz .LBB15_3231
; %bb.3060:
	v_bfe_u32 v3, v4, 21, 1
	s_mov_b32 s20, 0x88fffff
	v_add3_u32 v3, v4, v3, s20
	s_mov_b64 s[6:7], exec
	v_lshrrev_b32_e32 v3, 21, v3
                                        ; implicit-def: $vgpr4
	s_andn2_saveexec_b64 s[16:17], s[16:17]
	s_cbranch_execnz .LBB15_3232
.LBB15_3061:
	s_or_b64 exec, exec, s[16:17]
	v_mov_b32_e32 v5, 0
	s_and_saveexec_b64 s[16:17], s[6:7]
.LBB15_3062:
	v_mov_b32_e32 v5, v3
.LBB15_3063:
	s_or_b64 exec, exec, s[16:17]
.LBB15_3064:
	s_or_b64 exec, exec, s[2:3]
	s_mov_b64 s[2:3], 0
	global_store_byte v[1:2], v5, off
.LBB15_3065:
	s_and_b64 vcc, exec, s[2:3]
	s_cbranch_vccz .LBB15_3075
; %bb.3066:
	v_cndmask_b32_e64 v3, 0, 1.0, s[18:19]
	s_mov_b32 s2, 0x43f00000
	v_cmp_gt_u32_e32 vcc, s2, v3
                                        ; implicit-def: $vgpr4
	s_and_saveexec_b64 s[2:3], vcc
	s_xor_b64 s[2:3], exec, s[2:3]
	s_cbranch_execz .LBB15_3072
; %bb.3067:
	s_mov_b32 s6, 0x3c7fffff
	v_cmp_lt_u32_e32 vcc, s6, v3
                                        ; implicit-def: $vgpr4
	s_and_saveexec_b64 s[6:7], vcc
	s_xor_b64 s[6:7], exec, s[6:7]
; %bb.3068:
	v_bfe_u32 v4, v3, 20, 1
	s_mov_b32 s16, 0x407ffff
	v_add3_u32 v3, v3, v4, s16
	v_lshrrev_b32_e32 v4, 20, v3
	v_and_b32_e32 v3, 0xff00000, v3
	s_mov_b32 s16, 0x7f00000
	v_mov_b32_e32 v5, 0x7e
	v_cmp_ne_u32_e32 vcc, s16, v3
	v_cndmask_b32_e32 v4, v5, v4, vcc
                                        ; implicit-def: $vgpr3
; %bb.3069:
	s_andn2_saveexec_b64 s[6:7], s[6:7]
; %bb.3070:
	v_add_f32_e32 v4, 0x46800000, v3
; %bb.3071:
	s_or_b64 exec, exec, s[6:7]
                                        ; implicit-def: $vgpr3
.LBB15_3072:
	s_andn2_saveexec_b64 s[2:3], s[2:3]
; %bb.3073:
	s_mov_b32 s6, 0x7f800000
	v_mov_b32_e32 v4, 0x7e
	v_mov_b32_e32 v5, 0x7f
	v_cmp_lt_u32_e32 vcc, s6, v3
	v_cndmask_b32_e32 v4, v4, v5, vcc
; %bb.3074:
	s_or_b64 exec, exec, s[2:3]
	global_store_byte v[1:2], v4, off
.LBB15_3075:
	s_mov_b64 s[2:3], 0
.LBB15_3076:
	s_andn2_b64 vcc, exec, s[2:3]
	s_cbranch_vccnz .LBB15_3086
; %bb.3077:
	v_cndmask_b32_e64 v3, 0, 1.0, s[18:19]
	s_mov_b32 s2, 0x47800000
	v_cmp_gt_u32_e32 vcc, s2, v3
                                        ; implicit-def: $vgpr4
	s_and_saveexec_b64 s[2:3], vcc
	s_xor_b64 s[2:3], exec, s[2:3]
	s_cbranch_execz .LBB15_3083
; %bb.3078:
	s_mov_b32 s6, 0x387fffff
	v_cmp_lt_u32_e32 vcc, s6, v3
                                        ; implicit-def: $vgpr4
	s_and_saveexec_b64 s[6:7], vcc
	s_xor_b64 s[6:7], exec, s[6:7]
; %bb.3079:
	v_bfe_u32 v4, v3, 21, 1
	s_mov_b32 s16, 0x80fffff
	v_add3_u32 v3, v3, v4, s16
	v_lshrrev_b32_e32 v4, 21, v3
                                        ; implicit-def: $vgpr3
; %bb.3080:
	s_andn2_saveexec_b64 s[6:7], s[6:7]
; %bb.3081:
	v_add_f32_e32 v4, 0x43000000, v3
; %bb.3082:
	s_or_b64 exec, exec, s[6:7]
                                        ; implicit-def: $vgpr3
.LBB15_3083:
	s_andn2_saveexec_b64 s[2:3], s[2:3]
; %bb.3084:
	s_mov_b32 s6, 0x7f800000
	v_mov_b32_e32 v4, 0x7c
	v_mov_b32_e32 v5, 0x7f
	v_cmp_lt_u32_e32 vcc, s6, v3
	v_cndmask_b32_e32 v4, v4, v5, vcc
; %bb.3085:
	s_or_b64 exec, exec, s[2:3]
	global_store_byte v[1:2], v4, off
.LBB15_3086:
	s_mov_b64 s[2:3], 0
	s_mov_b64 s[6:7], -1
.LBB15_3087:
	s_andn2_b64 vcc, exec, s[2:3]
	s_mov_b64 s[2:3], 0
	s_cbranch_vccnz .LBB15_3094
; %bb.3088:
	s_cmp_gt_i32 s24, 14
	s_mov_b64 s[16:17], -1
	s_cbranch_scc0 .LBB15_3092
; %bb.3089:
	s_cmp_eq_u32 s24, 15
	s_mov_b64 s[0:1], -1
	s_cbranch_scc0 .LBB15_3091
; %bb.3090:
	v_cndmask_b32_e64 v3, 0, 1.0, s[18:19]
	v_bfe_u32 v4, v3, 16, 1
	s_movk_i32 s0, 0x7fff
	v_add3_u32 v3, v3, v4, s0
	global_store_short_d16_hi v[1:2], v3, off
	s_mov_b64 s[0:1], 0
	s_mov_b64 s[6:7], -1
.LBB15_3091:
	s_mov_b64 s[16:17], 0
.LBB15_3092:
	s_and_b64 vcc, exec, s[16:17]
	s_cbranch_vccz .LBB15_3094
; %bb.3093:
	s_cmp_lg_u32 s24, 11
	s_mov_b64 s[2:3], -1
	s_cselect_b64 s[0:1], -1, 0
.LBB15_3094:
	s_and_b64 vcc, exec, s[0:1]
	s_cbranch_vccnz .LBB15_3230
; %bb.3095:
	s_andn2_b64 vcc, exec, s[2:3]
	s_cbranch_vccnz .LBB15_3097
.LBB15_3096:
	v_cndmask_b32_e64 v3, 0, 1, s[18:19]
	s_mov_b64 s[6:7], -1
	global_store_byte v[1:2], v3, off
.LBB15_3097:
	s_mov_b64 s[0:1], 0
	s_branch .LBB15_3099
.LBB15_3098:
	s_mov_b64 s[0:1], -1
	s_mov_b64 s[6:7], 0
.LBB15_3099:
	s_and_b64 vcc, exec, s[0:1]
	s_cbranch_vccz .LBB15_3138
; %bb.3100:
	s_cmp_lt_i32 s24, 5
	s_mov_b64 s[0:1], -1
	s_cbranch_scc1 .LBB15_3121
; %bb.3101:
	s_cmp_lt_i32 s24, 8
	s_cbranch_scc1 .LBB15_3111
; %bb.3102:
	s_cmp_lt_i32 s24, 9
	s_cbranch_scc1 .LBB15_3108
; %bb.3103:
	s_cmp_gt_i32 s24, 9
	s_cbranch_scc0 .LBB15_3105
; %bb.3104:
	v_cndmask_b32_e64 v3, 0, 1, s[18:19]
	v_cvt_f64_u32_e32 v[3:4], v3
	v_mov_b32_e32 v5, 0
	v_mov_b32_e32 v6, v5
	s_mov_b64 s[0:1], 0
	global_store_dwordx4 v[1:2], v[3:6], off
.LBB15_3105:
	s_andn2_b64 vcc, exec, s[0:1]
	s_cbranch_vccnz .LBB15_3107
; %bb.3106:
	v_cndmask_b32_e64 v3, 0, 1.0, s[18:19]
	v_mov_b32_e32 v4, 0
	global_store_dwordx2 v[1:2], v[3:4], off
.LBB15_3107:
	s_mov_b64 s[0:1], 0
.LBB15_3108:
	s_andn2_b64 vcc, exec, s[0:1]
	s_cbranch_vccnz .LBB15_3110
; %bb.3109:
	v_cndmask_b32_e64 v3, 0, 1.0, s[18:19]
	v_cvt_f16_f32_e32 v3, v3
	global_store_dword v[1:2], v3, off
.LBB15_3110:
	s_mov_b64 s[0:1], 0
.LBB15_3111:
	s_andn2_b64 vcc, exec, s[0:1]
	s_cbranch_vccnz .LBB15_3120
; %bb.3112:
	s_cmp_lt_i32 s24, 6
	s_mov_b64 s[0:1], -1
	s_cbranch_scc1 .LBB15_3118
; %bb.3113:
	s_cmp_gt_i32 s24, 6
	s_cbranch_scc0 .LBB15_3115
; %bb.3114:
	v_cndmask_b32_e64 v3, 0, 1, s[18:19]
	v_cvt_f64_u32_e32 v[3:4], v3
	s_mov_b64 s[0:1], 0
	global_store_dwordx2 v[1:2], v[3:4], off
.LBB15_3115:
	s_andn2_b64 vcc, exec, s[0:1]
	s_cbranch_vccnz .LBB15_3117
; %bb.3116:
	v_cndmask_b32_e64 v3, 0, 1.0, s[18:19]
	global_store_dword v[1:2], v3, off
.LBB15_3117:
	s_mov_b64 s[0:1], 0
.LBB15_3118:
	s_andn2_b64 vcc, exec, s[0:1]
	s_cbranch_vccnz .LBB15_3120
; %bb.3119:
	v_cndmask_b32_e64 v3, 0, 1.0, s[18:19]
	v_cvt_f16_f32_e32 v3, v3
	global_store_short v[1:2], v3, off
.LBB15_3120:
	s_mov_b64 s[0:1], 0
.LBB15_3121:
	s_andn2_b64 vcc, exec, s[0:1]
	s_cbranch_vccnz .LBB15_3137
; %bb.3122:
	s_cmp_lt_i32 s24, 2
	s_mov_b64 s[0:1], -1
	s_cbranch_scc1 .LBB15_3132
; %bb.3123:
	s_cmp_lt_i32 s24, 3
	s_cbranch_scc1 .LBB15_3129
; %bb.3124:
	s_cmp_gt_i32 s24, 3
	s_cbranch_scc0 .LBB15_3126
; %bb.3125:
	s_mov_b32 s0, 0
	v_cndmask_b32_e64 v3, 0, 1, s[18:19]
	v_mov_b32_e32 v4, s0
	global_store_dwordx2 v[1:2], v[3:4], off
	s_mov_b64 s[0:1], 0
.LBB15_3126:
	s_andn2_b64 vcc, exec, s[0:1]
	s_cbranch_vccnz .LBB15_3128
; %bb.3127:
	v_cndmask_b32_e64 v3, 0, 1, s[18:19]
	global_store_dword v[1:2], v3, off
.LBB15_3128:
	s_mov_b64 s[0:1], 0
.LBB15_3129:
	s_andn2_b64 vcc, exec, s[0:1]
	s_cbranch_vccnz .LBB15_3131
; %bb.3130:
	v_cndmask_b32_e64 v3, 0, 1, s[18:19]
	global_store_short v[1:2], v3, off
.LBB15_3131:
	s_mov_b64 s[0:1], 0
.LBB15_3132:
	s_andn2_b64 vcc, exec, s[0:1]
	s_cbranch_vccnz .LBB15_3137
; %bb.3133:
	s_cmp_gt_i32 s24, 0
	s_mov_b64 s[0:1], -1
	s_cbranch_scc0 .LBB15_3135
; %bb.3134:
	v_cndmask_b32_e64 v3, 0, 1, s[18:19]
	global_store_byte v[1:2], v3, off
	s_mov_b64 s[0:1], 0
.LBB15_3135:
	s_andn2_b64 vcc, exec, s[0:1]
	s_cbranch_vccnz .LBB15_3137
; %bb.3136:
	v_cndmask_b32_e64 v3, 0, 1, s[18:19]
	global_store_byte v[1:2], v3, off
.LBB15_3137:
	s_mov_b64 s[6:7], -1
.LBB15_3138:
	s_andn2_b64 vcc, exec, s[6:7]
	s_cbranch_vccnz .LBB15_3215
; %bb.3139:
	v_mov_b32_e32 v1, s9
	v_add_co_u32_e32 v0, vcc, s8, v0
	s_cmp_lt_i32 s24, 11
	v_addc_co_u32_e32 v1, vcc, 0, v1, vcc
	s_cbranch_scc1 .LBB15_3216
; %bb.3140:
	s_mov_b64 s[6:7], -1
	s_mov_b64 s[2:3], 0
	s_cmp_gt_i32 s24, 25
	s_mov_b64 s[0:1], 0
	s_cbranch_scc0 .LBB15_3173
; %bb.3141:
	s_cmp_gt_i32 s24, 28
	s_cbranch_scc0 .LBB15_3157
; %bb.3142:
	s_cmp_gt_i32 s24, 43
	;; [unrolled: 3-line block ×3, first 2 shown]
	s_cbranch_scc0 .LBB15_3147
; %bb.3144:
	s_cmp_eq_u32 s24, 46
	s_mov_b64 s[0:1], -1
	s_cbranch_scc0 .LBB15_3146
; %bb.3145:
	v_cndmask_b32_e64 v2, 0, 1.0, s[10:11]
	v_bfe_u32 v3, v2, 16, 1
	s_movk_i32 s0, 0x7fff
	v_add3_u32 v2, v2, v3, s0
	v_lshrrev_b32_e32 v2, 16, v2
	global_store_dword v[0:1], v2, off
	s_mov_b64 s[0:1], 0
.LBB15_3146:
	s_mov_b64 s[6:7], 0
.LBB15_3147:
	s_and_b64 vcc, exec, s[6:7]
	s_cbranch_vccz .LBB15_3152
; %bb.3148:
	s_cmp_eq_u32 s24, 44
	s_mov_b64 s[0:1], -1
	s_cbranch_scc0 .LBB15_3152
; %bb.3149:
	v_cndmask_b32_e64 v3, 0, 1.0, s[10:11]
	v_lshrrev_b32_e32 v2, 23, v3
	s_movk_i32 s0, 0xff
	v_cmp_ne_u32_e32 vcc, s0, v2
	v_mov_b32_e32 v4, 0xff
	s_and_saveexec_b64 s[6:7], vcc
; %bb.3150:
	s_mov_b32 s0, 0x3fffff
	v_and_b32_e32 v4, 0x400000, v3
	v_and_or_b32 v3, v3, s0, v2
	v_cmp_ne_u32_e32 vcc, 0, v4
	v_cmp_ne_u32_e64 s[0:1], 0, v3
	s_and_b64 s[0:1], vcc, s[0:1]
	v_cndmask_b32_e64 v3, 0, 1, s[0:1]
	v_add_u32_e32 v4, v2, v3
; %bb.3151:
	s_or_b64 exec, exec, s[6:7]
	s_mov_b64 s[0:1], 0
	global_store_byte v[0:1], v4, off
.LBB15_3152:
	s_mov_b64 s[6:7], 0
.LBB15_3153:
	s_and_b64 vcc, exec, s[6:7]
	s_cbranch_vccz .LBB15_3156
; %bb.3154:
	s_cmp_eq_u32 s24, 29
	s_mov_b64 s[0:1], -1
	s_cbranch_scc0 .LBB15_3156
; %bb.3155:
	s_mov_b32 s0, 0
	v_cndmask_b32_e64 v2, 0, 1, s[10:11]
	v_mov_b32_e32 v3, s0
	global_store_dwordx2 v[0:1], v[2:3], off
	s_mov_b64 s[0:1], 0
.LBB15_3156:
	s_mov_b64 s[6:7], 0
.LBB15_3157:
	s_and_b64 vcc, exec, s[6:7]
	s_cbranch_vccz .LBB15_3172
; %bb.3158:
	s_cmp_lt_i32 s24, 27
	s_mov_b64 s[6:7], -1
	s_cbranch_scc1 .LBB15_3164
; %bb.3159:
	s_cmp_gt_i32 s24, 27
	v_cndmask_b32_e64 v2, 0, 1, s[10:11]
	s_cbranch_scc0 .LBB15_3161
; %bb.3160:
	global_store_dword v[0:1], v2, off
	s_mov_b64 s[6:7], 0
.LBB15_3161:
	s_andn2_b64 vcc, exec, s[6:7]
	s_cbranch_vccnz .LBB15_3163
; %bb.3162:
	global_store_short v[0:1], v2, off
.LBB15_3163:
	s_mov_b64 s[6:7], 0
.LBB15_3164:
	s_andn2_b64 vcc, exec, s[6:7]
	s_cbranch_vccnz .LBB15_3172
; %bb.3165:
	v_cndmask_b32_e64 v3, 0, 1.0, s[10:11]
	s_mov_b32 s6, 0x43800000
	v_cmp_gt_u32_e32 vcc, s6, v3
	v_mov_b32_e32 v4, 0x80
	s_and_saveexec_b64 s[6:7], vcc
	s_cbranch_execz .LBB15_3171
; %bb.3166:
	s_mov_b32 s8, 0x3bffffff
	v_cmp_lt_u32_e32 vcc, s8, v3
	s_mov_b64 s[8:9], 0
                                        ; implicit-def: $vgpr2
	s_and_saveexec_b64 s[16:17], vcc
	s_xor_b64 s[16:17], exec, s[16:17]
	s_cbranch_execz .LBB15_3233
; %bb.3167:
	v_bfe_u32 v2, v3, 20, 1
	s_mov_b32 s18, 0x487ffff
	v_add3_u32 v2, v3, v2, s18
	s_mov_b64 s[8:9], exec
	v_lshrrev_b32_e32 v2, 20, v2
                                        ; implicit-def: $vgpr3
	s_andn2_saveexec_b64 s[16:17], s[16:17]
	s_cbranch_execnz .LBB15_3234
.LBB15_3168:
	s_or_b64 exec, exec, s[16:17]
	v_mov_b32_e32 v4, 0
	s_and_saveexec_b64 s[16:17], s[8:9]
.LBB15_3169:
	v_mov_b32_e32 v4, v2
.LBB15_3170:
	s_or_b64 exec, exec, s[16:17]
.LBB15_3171:
	s_or_b64 exec, exec, s[6:7]
	global_store_byte v[0:1], v4, off
.LBB15_3172:
	s_mov_b64 s[6:7], 0
.LBB15_3173:
	s_and_b64 vcc, exec, s[6:7]
	s_cbranch_vccz .LBB15_3213
; %bb.3174:
	s_cmp_gt_i32 s24, 22
	s_mov_b64 s[2:3], -1
	s_cbranch_scc0 .LBB15_3206
; %bb.3175:
	s_cmp_lt_i32 s24, 24
	s_cbranch_scc1 .LBB15_3195
; %bb.3176:
	s_cmp_gt_i32 s24, 24
	s_cbranch_scc0 .LBB15_3184
; %bb.3177:
	v_cndmask_b32_e64 v3, 0, 1.0, s[10:11]
	s_mov_b32 s2, 0x47800000
	v_cmp_gt_u32_e32 vcc, s2, v3
	v_mov_b32_e32 v4, 0x80
	s_and_saveexec_b64 s[2:3], vcc
	s_cbranch_execz .LBB15_3183
; %bb.3178:
	s_mov_b32 s6, 0x37ffffff
	v_cmp_lt_u32_e32 vcc, s6, v3
	s_mov_b64 s[6:7], 0
                                        ; implicit-def: $vgpr2
	s_and_saveexec_b64 s[8:9], vcc
	s_xor_b64 s[8:9], exec, s[8:9]
	s_cbranch_execz .LBB15_3236
; %bb.3179:
	v_bfe_u32 v2, v3, 21, 1
	s_mov_b32 s16, 0x88fffff
	v_add3_u32 v2, v3, v2, s16
	s_mov_b64 s[6:7], exec
	v_lshrrev_b32_e32 v2, 21, v2
                                        ; implicit-def: $vgpr3
	s_andn2_saveexec_b64 s[8:9], s[8:9]
	s_cbranch_execnz .LBB15_3237
.LBB15_3180:
	s_or_b64 exec, exec, s[8:9]
	v_mov_b32_e32 v4, 0
	s_and_saveexec_b64 s[8:9], s[6:7]
.LBB15_3181:
	v_mov_b32_e32 v4, v2
.LBB15_3182:
	s_or_b64 exec, exec, s[8:9]
.LBB15_3183:
	s_or_b64 exec, exec, s[2:3]
	s_mov_b64 s[2:3], 0
	global_store_byte v[0:1], v4, off
.LBB15_3184:
	s_and_b64 vcc, exec, s[2:3]
	s_cbranch_vccz .LBB15_3194
; %bb.3185:
	v_cndmask_b32_e64 v2, 0, 1.0, s[10:11]
	s_mov_b32 s2, 0x43f00000
	v_cmp_gt_u32_e32 vcc, s2, v2
                                        ; implicit-def: $vgpr3
	s_and_saveexec_b64 s[2:3], vcc
	s_xor_b64 s[2:3], exec, s[2:3]
	s_cbranch_execz .LBB15_3191
; %bb.3186:
	s_mov_b32 s6, 0x3c7fffff
	v_cmp_lt_u32_e32 vcc, s6, v2
                                        ; implicit-def: $vgpr3
	s_and_saveexec_b64 s[6:7], vcc
	s_xor_b64 s[6:7], exec, s[6:7]
; %bb.3187:
	v_bfe_u32 v3, v2, 20, 1
	s_mov_b32 s8, 0x407ffff
	v_add3_u32 v2, v2, v3, s8
	v_lshrrev_b32_e32 v3, 20, v2
	v_and_b32_e32 v2, 0xff00000, v2
	s_mov_b32 s8, 0x7f00000
	v_mov_b32_e32 v4, 0x7e
	v_cmp_ne_u32_e32 vcc, s8, v2
	v_cndmask_b32_e32 v3, v4, v3, vcc
                                        ; implicit-def: $vgpr2
; %bb.3188:
	s_andn2_saveexec_b64 s[6:7], s[6:7]
; %bb.3189:
	v_add_f32_e32 v3, 0x46800000, v2
; %bb.3190:
	s_or_b64 exec, exec, s[6:7]
                                        ; implicit-def: $vgpr2
.LBB15_3191:
	s_andn2_saveexec_b64 s[2:3], s[2:3]
; %bb.3192:
	s_mov_b32 s6, 0x7f800000
	v_mov_b32_e32 v3, 0x7e
	v_mov_b32_e32 v4, 0x7f
	v_cmp_lt_u32_e32 vcc, s6, v2
	v_cndmask_b32_e32 v3, v3, v4, vcc
; %bb.3193:
	s_or_b64 exec, exec, s[2:3]
	global_store_byte v[0:1], v3, off
.LBB15_3194:
	s_mov_b64 s[2:3], 0
.LBB15_3195:
	s_andn2_b64 vcc, exec, s[2:3]
	s_cbranch_vccnz .LBB15_3205
; %bb.3196:
	v_cndmask_b32_e64 v2, 0, 1.0, s[10:11]
	s_mov_b32 s2, 0x47800000
	v_cmp_gt_u32_e32 vcc, s2, v2
                                        ; implicit-def: $vgpr3
	s_and_saveexec_b64 s[2:3], vcc
	s_xor_b64 s[2:3], exec, s[2:3]
	s_cbranch_execz .LBB15_3202
; %bb.3197:
	s_mov_b32 s6, 0x387fffff
	v_cmp_lt_u32_e32 vcc, s6, v2
                                        ; implicit-def: $vgpr3
	s_and_saveexec_b64 s[6:7], vcc
	s_xor_b64 s[6:7], exec, s[6:7]
; %bb.3198:
	v_bfe_u32 v3, v2, 21, 1
	s_mov_b32 s8, 0x80fffff
	v_add3_u32 v2, v2, v3, s8
	v_lshrrev_b32_e32 v3, 21, v2
                                        ; implicit-def: $vgpr2
; %bb.3199:
	s_andn2_saveexec_b64 s[6:7], s[6:7]
; %bb.3200:
	v_add_f32_e32 v3, 0x43000000, v2
; %bb.3201:
	s_or_b64 exec, exec, s[6:7]
                                        ; implicit-def: $vgpr2
.LBB15_3202:
	s_andn2_saveexec_b64 s[2:3], s[2:3]
; %bb.3203:
	s_mov_b32 s6, 0x7f800000
	v_mov_b32_e32 v3, 0x7c
	v_mov_b32_e32 v4, 0x7f
	v_cmp_lt_u32_e32 vcc, s6, v2
	v_cndmask_b32_e32 v3, v3, v4, vcc
; %bb.3204:
	s_or_b64 exec, exec, s[2:3]
	global_store_byte v[0:1], v3, off
.LBB15_3205:
	s_mov_b64 s[2:3], 0
.LBB15_3206:
	s_andn2_b64 vcc, exec, s[2:3]
	s_mov_b64 s[2:3], 0
	s_cbranch_vccnz .LBB15_3213
; %bb.3207:
	s_cmp_gt_i32 s24, 14
	s_mov_b64 s[6:7], -1
	s_cbranch_scc0 .LBB15_3211
; %bb.3208:
	s_cmp_eq_u32 s24, 15
	s_mov_b64 s[0:1], -1
	s_cbranch_scc0 .LBB15_3210
; %bb.3209:
	v_cndmask_b32_e64 v2, 0, 1.0, s[10:11]
	v_bfe_u32 v3, v2, 16, 1
	s_movk_i32 s0, 0x7fff
	v_add3_u32 v2, v2, v3, s0
	global_store_short_d16_hi v[0:1], v2, off
	s_mov_b64 s[0:1], 0
.LBB15_3210:
	s_mov_b64 s[6:7], 0
.LBB15_3211:
	s_and_b64 vcc, exec, s[6:7]
	s_cbranch_vccz .LBB15_3213
; %bb.3212:
	s_cmp_lg_u32 s24, 11
	s_mov_b64 s[2:3], -1
	s_cselect_b64 s[0:1], -1, 0
.LBB15_3213:
	s_and_b64 vcc, exec, s[0:1]
	s_cbranch_vccnz .LBB15_3235
.LBB15_3214:
	s_mov_b64 s[0:1], 0
	s_branch .LBB15_2725
.LBB15_3215:
	s_mov_b64 s[0:1], 0
	s_branch .LBB15_2724
.LBB15_3216:
	s_mov_b64 s[2:3], 0
	s_mov_b64 s[0:1], -1
	s_branch .LBB15_2725
.LBB15_3217:
	s_trap 2
	s_or_b64 s[4:5], s[4:5], exec
	s_cbranch_execz .LBB15_2667
	s_branch .LBB15_2668
.LBB15_3218:
	s_andn2_saveexec_b64 s[24:25], s[24:25]
	s_cbranch_execz .LBB15_2808
.LBB15_3219:
	v_add_f32_e32 v1, 0x46000000, v3
	v_and_b32_e32 v1, 0xff, v1
	v_cmp_ne_u32_e32 vcc, 0, v1
	s_andn2_b64 s[22:23], s[22:23], exec
	s_and_b64 s[28:29], vcc, exec
	s_or_b64 s[22:23], s[22:23], s[28:29]
	s_or_b64 exec, exec, s[24:25]
	v_mov_b32_e32 v7, 0
	s_and_saveexec_b64 s[24:25], s[22:23]
	s_cbranch_execnz .LBB15_2809
	s_branch .LBB15_2810
.LBB15_3220:
	s_trap 2
	s_or_b64 s[4:5], s[4:5], exec
	s_cbranch_execz .LBB15_2856
	s_branch .LBB15_2857
.LBB15_3221:
	s_andn2_saveexec_b64 s[22:23], s[22:23]
	s_cbranch_execz .LBB15_2821
.LBB15_3222:
	v_add_f32_e32 v1, 0x42800000, v3
	v_and_b32_e32 v1, 0xff, v1
	v_cmp_ne_u32_e32 vcc, 0, v1
	s_andn2_b64 s[20:21], s[20:21], exec
	s_and_b64 s[24:25], vcc, exec
	s_or_b64 s[20:21], s[20:21], s[24:25]
	s_or_b64 exec, exec, s[22:23]
	v_mov_b32_e32 v7, 0
	s_and_saveexec_b64 s[22:23], s[20:21]
	s_cbranch_execnz .LBB15_2822
	s_branch .LBB15_2823
.LBB15_3223:
	s_andn2_saveexec_b64 s[22:23], s[22:23]
	s_cbranch_execz .LBB15_2929
.LBB15_3224:
	v_add_f32_e32 v1, 0x46000000, v5
	v_and_b32_e32 v1, 0xff, v1
	v_cmp_ne_u32_e32 vcc, 0, v1
	s_andn2_b64 s[20:21], s[20:21], exec
	s_and_b64 s[28:29], vcc, exec
	s_or_b64 s[20:21], s[20:21], s[28:29]
	s_or_b64 exec, exec, s[22:23]
	v_mov_b32_e32 v6, 0
	s_and_saveexec_b64 s[22:23], s[20:21]
	s_cbranch_execnz .LBB15_2930
	s_branch .LBB15_2931
.LBB15_3225:
	s_trap 2
	s_or_b64 s[4:5], s[4:5], exec
	s_cbranch_execz .LBB15_2977
	s_branch .LBB15_2978
.LBB15_3226:
	s_andn2_saveexec_b64 s[20:21], s[20:21]
	s_cbranch_execz .LBB15_2942
.LBB15_3227:
	v_add_f32_e32 v1, 0x42800000, v5
	v_and_b32_e32 v1, 0xff, v1
	v_cmp_ne_u32_e32 vcc, 0, v1
	s_andn2_b64 s[6:7], s[6:7], exec
	s_and_b64 s[22:23], vcc, exec
	s_or_b64 s[6:7], s[6:7], s[22:23]
	s_or_b64 exec, exec, s[20:21]
	v_mov_b32_e32 v6, 0
	s_and_saveexec_b64 s[20:21], s[6:7]
	s_cbranch_execnz .LBB15_2943
	s_branch .LBB15_2944
.LBB15_3228:
	s_andn2_saveexec_b64 s[20:21], s[20:21]
	s_cbranch_execz .LBB15_3048
.LBB15_3229:
	v_add_f32_e32 v3, 0x46000000, v4
	v_and_b32_e32 v3, 0xff, v3
	v_cmp_ne_u32_e32 vcc, 0, v3
	s_andn2_b64 s[16:17], s[16:17], exec
	s_and_b64 s[22:23], vcc, exec
	s_or_b64 s[16:17], s[16:17], s[22:23]
	s_or_b64 exec, exec, s[20:21]
	v_mov_b32_e32 v5, 0
	s_and_saveexec_b64 s[20:21], s[16:17]
	s_cbranch_execnz .LBB15_3049
	s_branch .LBB15_3050
.LBB15_3230:
	s_trap 2
	s_or_b64 s[4:5], s[4:5], exec
	s_cbranch_execz .LBB15_3096
	s_branch .LBB15_3097
.LBB15_3231:
	s_andn2_saveexec_b64 s[16:17], s[16:17]
	s_cbranch_execz .LBB15_3061
.LBB15_3232:
	v_add_f32_e32 v3, 0x42800000, v4
	v_and_b32_e32 v3, 0xff, v3
	v_cmp_ne_u32_e32 vcc, 0, v3
	s_andn2_b64 s[6:7], s[6:7], exec
	s_and_b64 s[20:21], vcc, exec
	s_or_b64 s[6:7], s[6:7], s[20:21]
	s_or_b64 exec, exec, s[16:17]
	v_mov_b32_e32 v5, 0
	s_and_saveexec_b64 s[16:17], s[6:7]
	s_cbranch_execnz .LBB15_3062
	s_branch .LBB15_3063
.LBB15_3233:
	s_andn2_saveexec_b64 s[16:17], s[16:17]
	s_cbranch_execz .LBB15_3168
.LBB15_3234:
	v_add_f32_e32 v2, 0x46000000, v3
	v_and_b32_e32 v2, 0xff, v2
	v_cmp_ne_u32_e32 vcc, 0, v2
	s_andn2_b64 s[8:9], s[8:9], exec
	s_and_b64 s[18:19], vcc, exec
	s_or_b64 s[8:9], s[8:9], s[18:19]
	s_or_b64 exec, exec, s[16:17]
	v_mov_b32_e32 v4, 0
	s_and_saveexec_b64 s[16:17], s[8:9]
	s_cbranch_execnz .LBB15_3169
	s_branch .LBB15_3170
.LBB15_3235:
	s_mov_b64 s[2:3], 0
	s_or_b64 s[4:5], s[4:5], exec
	s_trap 2
	s_branch .LBB15_3214
.LBB15_3236:
	s_andn2_saveexec_b64 s[8:9], s[8:9]
	s_cbranch_execz .LBB15_3180
.LBB15_3237:
	v_add_f32_e32 v2, 0x42800000, v3
	v_and_b32_e32 v2, 0xff, v2
	v_cmp_ne_u32_e32 vcc, 0, v2
	s_andn2_b64 s[6:7], s[6:7], exec
	s_and_b64 s[16:17], vcc, exec
	s_or_b64 s[6:7], s[6:7], s[16:17]
	s_or_b64 exec, exec, s[8:9]
	v_mov_b32_e32 v4, 0
	s_and_saveexec_b64 s[8:9], s[6:7]
	s_cbranch_execnz .LBB15_3181
	s_branch .LBB15_3182
	.section	.rodata,"a",@progbits
	.p2align	6, 0x0
	.amdhsa_kernel _ZN2at6native32elementwise_kernel_manual_unrollILi128ELi4EZNS0_15gpu_kernel_implINS0_12_GLOBAL__N_114CompareFunctorIhEEEEvRNS_18TensorIteratorBaseERKT_EUlibE0_EEviT1_
		.amdhsa_group_segment_fixed_size 0
		.amdhsa_private_segment_fixed_size 0
		.amdhsa_kernarg_size 432
		.amdhsa_user_sgpr_count 6
		.amdhsa_user_sgpr_private_segment_buffer 1
		.amdhsa_user_sgpr_dispatch_ptr 0
		.amdhsa_user_sgpr_queue_ptr 0
		.amdhsa_user_sgpr_kernarg_segment_ptr 1
		.amdhsa_user_sgpr_dispatch_id 0
		.amdhsa_user_sgpr_flat_scratch_init 0
		.amdhsa_user_sgpr_private_segment_size 0
		.amdhsa_uses_dynamic_stack 0
		.amdhsa_system_sgpr_private_segment_wavefront_offset 0
		.amdhsa_system_sgpr_workgroup_id_x 1
		.amdhsa_system_sgpr_workgroup_id_y 0
		.amdhsa_system_sgpr_workgroup_id_z 0
		.amdhsa_system_sgpr_workgroup_info 0
		.amdhsa_system_vgpr_workitem_id 0
		.amdhsa_next_free_vgpr 26
		.amdhsa_next_free_sgpr 80
		.amdhsa_reserve_vcc 1
		.amdhsa_reserve_flat_scratch 0
		.amdhsa_float_round_mode_32 0
		.amdhsa_float_round_mode_16_64 0
		.amdhsa_float_denorm_mode_32 3
		.amdhsa_float_denorm_mode_16_64 3
		.amdhsa_dx10_clamp 1
		.amdhsa_ieee_mode 1
		.amdhsa_fp16_overflow 0
		.amdhsa_exception_fp_ieee_invalid_op 0
		.amdhsa_exception_fp_denorm_src 0
		.amdhsa_exception_fp_ieee_div_zero 0
		.amdhsa_exception_fp_ieee_overflow 0
		.amdhsa_exception_fp_ieee_underflow 0
		.amdhsa_exception_fp_ieee_inexact 0
		.amdhsa_exception_int_div_zero 0
	.end_amdhsa_kernel
	.section	.text._ZN2at6native32elementwise_kernel_manual_unrollILi128ELi4EZNS0_15gpu_kernel_implINS0_12_GLOBAL__N_114CompareFunctorIhEEEEvRNS_18TensorIteratorBaseERKT_EUlibE0_EEviT1_,"axG",@progbits,_ZN2at6native32elementwise_kernel_manual_unrollILi128ELi4EZNS0_15gpu_kernel_implINS0_12_GLOBAL__N_114CompareFunctorIhEEEEvRNS_18TensorIteratorBaseERKT_EUlibE0_EEviT1_,comdat
.Lfunc_end15:
	.size	_ZN2at6native32elementwise_kernel_manual_unrollILi128ELi4EZNS0_15gpu_kernel_implINS0_12_GLOBAL__N_114CompareFunctorIhEEEEvRNS_18TensorIteratorBaseERKT_EUlibE0_EEviT1_, .Lfunc_end15-_ZN2at6native32elementwise_kernel_manual_unrollILi128ELi4EZNS0_15gpu_kernel_implINS0_12_GLOBAL__N_114CompareFunctorIhEEEEvRNS_18TensorIteratorBaseERKT_EUlibE0_EEviT1_
                                        ; -- End function
	.set _ZN2at6native32elementwise_kernel_manual_unrollILi128ELi4EZNS0_15gpu_kernel_implINS0_12_GLOBAL__N_114CompareFunctorIhEEEEvRNS_18TensorIteratorBaseERKT_EUlibE0_EEviT1_.num_vgpr, 26
	.set _ZN2at6native32elementwise_kernel_manual_unrollILi128ELi4EZNS0_15gpu_kernel_implINS0_12_GLOBAL__N_114CompareFunctorIhEEEEvRNS_18TensorIteratorBaseERKT_EUlibE0_EEviT1_.num_agpr, 0
	.set _ZN2at6native32elementwise_kernel_manual_unrollILi128ELi4EZNS0_15gpu_kernel_implINS0_12_GLOBAL__N_114CompareFunctorIhEEEEvRNS_18TensorIteratorBaseERKT_EUlibE0_EEviT1_.numbered_sgpr, 80
	.set _ZN2at6native32elementwise_kernel_manual_unrollILi128ELi4EZNS0_15gpu_kernel_implINS0_12_GLOBAL__N_114CompareFunctorIhEEEEvRNS_18TensorIteratorBaseERKT_EUlibE0_EEviT1_.num_named_barrier, 0
	.set _ZN2at6native32elementwise_kernel_manual_unrollILi128ELi4EZNS0_15gpu_kernel_implINS0_12_GLOBAL__N_114CompareFunctorIhEEEEvRNS_18TensorIteratorBaseERKT_EUlibE0_EEviT1_.private_seg_size, 0
	.set _ZN2at6native32elementwise_kernel_manual_unrollILi128ELi4EZNS0_15gpu_kernel_implINS0_12_GLOBAL__N_114CompareFunctorIhEEEEvRNS_18TensorIteratorBaseERKT_EUlibE0_EEviT1_.uses_vcc, 1
	.set _ZN2at6native32elementwise_kernel_manual_unrollILi128ELi4EZNS0_15gpu_kernel_implINS0_12_GLOBAL__N_114CompareFunctorIhEEEEvRNS_18TensorIteratorBaseERKT_EUlibE0_EEviT1_.uses_flat_scratch, 0
	.set _ZN2at6native32elementwise_kernel_manual_unrollILi128ELi4EZNS0_15gpu_kernel_implINS0_12_GLOBAL__N_114CompareFunctorIhEEEEvRNS_18TensorIteratorBaseERKT_EUlibE0_EEviT1_.has_dyn_sized_stack, 0
	.set _ZN2at6native32elementwise_kernel_manual_unrollILi128ELi4EZNS0_15gpu_kernel_implINS0_12_GLOBAL__N_114CompareFunctorIhEEEEvRNS_18TensorIteratorBaseERKT_EUlibE0_EEviT1_.has_recursion, 0
	.set _ZN2at6native32elementwise_kernel_manual_unrollILi128ELi4EZNS0_15gpu_kernel_implINS0_12_GLOBAL__N_114CompareFunctorIhEEEEvRNS_18TensorIteratorBaseERKT_EUlibE0_EEviT1_.has_indirect_call, 0
	.section	.AMDGPU.csdata,"",@progbits
; Kernel info:
; codeLenInByte = 58208
; TotalNumSgprs: 84
; NumVgprs: 26
; ScratchSize: 0
; MemoryBound: 1
; FloatMode: 240
; IeeeMode: 1
; LDSByteSize: 0 bytes/workgroup (compile time only)
; SGPRBlocks: 10
; VGPRBlocks: 6
; NumSGPRsForWavesPerEU: 84
; NumVGPRsForWavesPerEU: 26
; Occupancy: 9
; WaveLimiterHint : 1
; COMPUTE_PGM_RSRC2:SCRATCH_EN: 0
; COMPUTE_PGM_RSRC2:USER_SGPR: 6
; COMPUTE_PGM_RSRC2:TRAP_HANDLER: 0
; COMPUTE_PGM_RSRC2:TGID_X_EN: 1
; COMPUTE_PGM_RSRC2:TGID_Y_EN: 0
; COMPUTE_PGM_RSRC2:TGID_Z_EN: 0
; COMPUTE_PGM_RSRC2:TIDIG_COMP_CNT: 0
	.section	.text._ZN2at6native29vectorized_elementwise_kernelILi16EZNS0_21compare_scalar_kernelIaEEvRNS_18TensorIteratorBaseENS0_12_GLOBAL__N_16OpTypeET_EUlaE_St5arrayIPcLm2EEEEviT0_T1_,"axG",@progbits,_ZN2at6native29vectorized_elementwise_kernelILi16EZNS0_21compare_scalar_kernelIaEEvRNS_18TensorIteratorBaseENS0_12_GLOBAL__N_16OpTypeET_EUlaE_St5arrayIPcLm2EEEEviT0_T1_,comdat
	.globl	_ZN2at6native29vectorized_elementwise_kernelILi16EZNS0_21compare_scalar_kernelIaEEvRNS_18TensorIteratorBaseENS0_12_GLOBAL__N_16OpTypeET_EUlaE_St5arrayIPcLm2EEEEviT0_T1_ ; -- Begin function _ZN2at6native29vectorized_elementwise_kernelILi16EZNS0_21compare_scalar_kernelIaEEvRNS_18TensorIteratorBaseENS0_12_GLOBAL__N_16OpTypeET_EUlaE_St5arrayIPcLm2EEEEviT0_T1_
	.p2align	8
	.type	_ZN2at6native29vectorized_elementwise_kernelILi16EZNS0_21compare_scalar_kernelIaEEvRNS_18TensorIteratorBaseENS0_12_GLOBAL__N_16OpTypeET_EUlaE_St5arrayIPcLm2EEEEviT0_T1_,@function
_ZN2at6native29vectorized_elementwise_kernelILi16EZNS0_21compare_scalar_kernelIaEEvRNS_18TensorIteratorBaseENS0_12_GLOBAL__N_16OpTypeET_EUlaE_St5arrayIPcLm2EEEEviT0_T1_: ; @_ZN2at6native29vectorized_elementwise_kernelILi16EZNS0_21compare_scalar_kernelIaEEvRNS_18TensorIteratorBaseENS0_12_GLOBAL__N_16OpTypeET_EUlaE_St5arrayIPcLm2EEEEviT0_T1_
; %bb.0:
	s_load_dwordx8 s[8:15], s[4:5], 0x0
	s_lshl_b32 s33, s6, 12
	s_mov_b64 s[0:1], -1
	s_waitcnt lgkmcnt(0)
	s_sub_i32 s8, s8, s33
	s_bfe_i32 s46, s10, 0x80000
	s_cmpk_gt_i32 s8, 0xfff
	s_cbranch_scc0 .LBB16_211
; %bb.1:
	s_ashr_i32 s47, s33, 31
	s_add_u32 s0, s14, s33
	s_addc_u32 s1, s15, s47
	v_lshlrev_b32_e32 v5, 4, v0
	global_load_dwordx4 v[1:4], v5, s[0:1]
	s_cmp_lt_i32 s9, 1
	s_mov_b64 s[2:3], 0
	s_cbranch_scc1 .LBB16_5
; %bb.2:
	s_cmp_gt_i32 s9, 1
	s_cbranch_scc0 .LBB16_6
; %bb.3:
	s_cmp_eq_u32 s9, 2
	s_cbranch_scc0 .LBB16_7
; %bb.4:
	s_waitcnt vmcnt(0)
	v_cmp_le_i16_sdwa s[0:1], sext(v1), s46 src0_sel:BYTE_0 src1_sel:DWORD
	s_mov_b64 s[4:5], 0
	s_branch .LBB16_8
.LBB16_5:
                                        ; implicit-def: $sgpr0_sgpr1
	s_mov_b64 s[4:5], 0
	s_cbranch_execnz .LBB16_11
	s_branch .LBB16_12
.LBB16_6:
	s_mov_b64 s[4:5], 0
                                        ; implicit-def: $sgpr0_sgpr1
	s_cbranch_execnz .LBB16_9
	s_branch .LBB16_10
.LBB16_7:
	s_mov_b64 s[4:5], -1
                                        ; implicit-def: $sgpr0_sgpr1
.LBB16_8:
	s_branch .LBB16_10
.LBB16_9:
	s_waitcnt vmcnt(0)
	v_cmp_gt_i16_sdwa s[6:7], sext(v1), s46 src0_sel:BYTE_0 src1_sel:DWORD
	s_andn2_b64 s[0:1], s[0:1], exec
	s_and_b64 s[6:7], s[6:7], exec
	s_or_b64 s[0:1], s[0:1], s[6:7]
.LBB16_10:
	s_branch .LBB16_12
.LBB16_11:
	s_cmp_lg_u32 s9, 0
	s_mov_b64 s[2:3], -1
	s_cselect_b64 s[4:5], -1, 0
.LBB16_12:
	s_andn2_b64 vcc, exec, s[4:5]
	s_cbranch_vccz .LBB16_19
; %bb.13:
	s_andn2_b64 vcc, exec, s[2:3]
	s_cbranch_vccnz .LBB16_15
.LBB16_14:
	s_waitcnt vmcnt(0)
	v_cmp_ge_i16_sdwa s[2:3], sext(v1), s46 src0_sel:BYTE_0 src1_sel:DWORD
	s_andn2_b64 s[0:1], s[0:1], exec
	s_and_b64 s[2:3], s[2:3], exec
	s_or_b64 s[0:1], s[0:1], s[2:3]
.LBB16_15:
	s_waitcnt vmcnt(0)
	v_lshrrev_b32_e32 v6, 24, v4
	v_lshrrev_b32_e32 v7, 16, v4
	;; [unrolled: 1-line block ×12, first 2 shown]
	s_cmp_lt_i32 s9, 1
	s_mov_b64 s[4:5], 0
	s_cbranch_scc1 .LBB16_20
; %bb.16:
	s_cmp_gt_i32 s9, 1
	s_cbranch_scc0 .LBB16_21
; %bb.17:
	s_cmp_eq_u32 s9, 2
	s_cbranch_scc0 .LBB16_251
; %bb.18:
	v_cmp_le_i16_sdwa s[2:3], sext(v1), s46 src0_sel:BYTE_0 src1_sel:DWORD
	s_mov_b64 s[6:7], 0
	s_branch .LBB16_23
.LBB16_19:
	s_waitcnt vmcnt(0)
	v_cmp_lt_i16_sdwa s[4:5], sext(v1), s46 src0_sel:BYTE_0 src1_sel:DWORD
	s_andn2_b64 s[0:1], s[0:1], exec
	s_and_b64 s[4:5], s[4:5], exec
	s_or_b64 s[0:1], s[0:1], s[4:5]
	s_cbranch_execz .LBB16_14
	s_branch .LBB16_15
.LBB16_20:
                                        ; implicit-def: $sgpr2_sgpr3
	s_mov_b64 s[6:7], 0
	s_cbranch_execnz .LBB16_24
	s_branch .LBB16_25
.LBB16_21:
	s_mov_b64 s[6:7], 0
                                        ; implicit-def: $sgpr2_sgpr3
	s_cbranch_execz .LBB16_23
; %bb.22:
	v_cmp_gt_i16_sdwa s[10:11], sext(v1), s46 src0_sel:BYTE_0 src1_sel:DWORD
	s_andn2_b64 s[2:3], s[2:3], exec
	s_and_b64 s[10:11], s[10:11], exec
	s_or_b64 s[2:3], s[2:3], s[10:11]
.LBB16_23:
	s_branch .LBB16_25
.LBB16_24:
	s_cmp_lg_u32 s9, 0
	s_mov_b64 s[4:5], -1
	s_cselect_b64 s[6:7], -1, 0
.LBB16_25:
	s_andn2_b64 vcc, exec, s[6:7]
	s_cbranch_vccz .LBB16_31
; %bb.26:
	s_andn2_b64 vcc, exec, s[4:5]
	s_cbranch_vccz .LBB16_32
.LBB16_27:
	s_cmp_lt_i32 s9, 1
	s_mov_b64 s[6:7], 0
	s_cbranch_scc1 .LBB16_33
.LBB16_28:
	s_cmp_gt_i32 s9, 1
	s_cbranch_scc0 .LBB16_34
; %bb.29:
	s_cmp_eq_u32 s9, 2
	s_cbranch_scc0 .LBB16_252
; %bb.30:
	v_cmp_le_i16_sdwa s[4:5], sext(v16), s46 src0_sel:BYTE_0 src1_sel:DWORD
	s_mov_b64 s[10:11], 0
	s_branch .LBB16_36
.LBB16_31:
	v_cmp_lt_i16_sdwa s[6:7], sext(v1), s46 src0_sel:BYTE_0 src1_sel:DWORD
	s_andn2_b64 s[2:3], s[2:3], exec
	s_and_b64 s[6:7], s[6:7], exec
	s_or_b64 s[2:3], s[2:3], s[6:7]
	s_cbranch_execnz .LBB16_27
.LBB16_32:
	v_cmp_ge_i16_sdwa s[4:5], sext(v1), s46 src0_sel:BYTE_0 src1_sel:DWORD
	s_andn2_b64 s[2:3], s[2:3], exec
	s_and_b64 s[4:5], s[4:5], exec
	s_or_b64 s[2:3], s[2:3], s[4:5]
	s_cmp_lt_i32 s9, 1
	s_mov_b64 s[6:7], 0
	s_cbranch_scc0 .LBB16_28
.LBB16_33:
                                        ; implicit-def: $sgpr4_sgpr5
	s_mov_b64 s[10:11], 0
	s_cbranch_execnz .LBB16_37
	s_branch .LBB16_38
.LBB16_34:
	s_mov_b64 s[10:11], 0
                                        ; implicit-def: $sgpr4_sgpr5
	s_cbranch_execz .LBB16_36
; %bb.35:
	v_cmp_gt_i16_sdwa s[16:17], sext(v16), s46 src0_sel:BYTE_0 src1_sel:DWORD
	s_andn2_b64 s[4:5], s[4:5], exec
	s_and_b64 s[16:17], s[16:17], exec
	s_or_b64 s[4:5], s[4:5], s[16:17]
.LBB16_36:
	s_branch .LBB16_38
.LBB16_37:
	s_cmp_lg_u32 s9, 0
	s_mov_b64 s[6:7], -1
	s_cselect_b64 s[10:11], -1, 0
.LBB16_38:
	s_andn2_b64 vcc, exec, s[10:11]
	s_cbranch_vccz .LBB16_44
; %bb.39:
	s_andn2_b64 vcc, exec, s[6:7]
	s_cbranch_vccz .LBB16_45
.LBB16_40:
	s_cmp_lt_i32 s9, 1
	s_mov_b64 s[10:11], 0
	s_cbranch_scc1 .LBB16_46
.LBB16_41:
	s_cmp_gt_i32 s9, 1
	s_cbranch_scc0 .LBB16_47
; %bb.42:
	s_cmp_eq_u32 s9, 2
	s_cbranch_scc0 .LBB16_253
; %bb.43:
	v_cmp_le_i16_sdwa s[6:7], sext(v15), s46 src0_sel:BYTE_0 src1_sel:DWORD
	s_mov_b64 s[16:17], 0
	s_branch .LBB16_49
.LBB16_44:
	v_cmp_lt_i16_sdwa s[10:11], sext(v16), s46 src0_sel:BYTE_0 src1_sel:DWORD
	s_andn2_b64 s[4:5], s[4:5], exec
	s_and_b64 s[10:11], s[10:11], exec
	s_or_b64 s[4:5], s[4:5], s[10:11]
	s_cbranch_execnz .LBB16_40
.LBB16_45:
	v_cmp_ge_i16_sdwa s[6:7], sext(v16), s46 src0_sel:BYTE_0 src1_sel:DWORD
	s_andn2_b64 s[4:5], s[4:5], exec
	s_and_b64 s[6:7], s[6:7], exec
	s_or_b64 s[4:5], s[4:5], s[6:7]
	s_cmp_lt_i32 s9, 1
	s_mov_b64 s[10:11], 0
	s_cbranch_scc0 .LBB16_41
.LBB16_46:
                                        ; implicit-def: $sgpr6_sgpr7
	s_mov_b64 s[16:17], 0
	s_cbranch_execnz .LBB16_50
	s_branch .LBB16_51
.LBB16_47:
	s_mov_b64 s[16:17], 0
                                        ; implicit-def: $sgpr6_sgpr7
	s_cbranch_execz .LBB16_49
; %bb.48:
	v_cmp_gt_i16_sdwa s[18:19], sext(v15), s46 src0_sel:BYTE_0 src1_sel:DWORD
	s_andn2_b64 s[6:7], s[6:7], exec
	s_and_b64 s[18:19], s[18:19], exec
	s_or_b64 s[6:7], s[6:7], s[18:19]
.LBB16_49:
	s_branch .LBB16_51
.LBB16_50:
	s_cmp_lg_u32 s9, 0
	s_mov_b64 s[10:11], -1
	s_cselect_b64 s[16:17], -1, 0
.LBB16_51:
	s_andn2_b64 vcc, exec, s[16:17]
	s_cbranch_vccz .LBB16_57
; %bb.52:
	s_andn2_b64 vcc, exec, s[10:11]
	s_cbranch_vccz .LBB16_58
.LBB16_53:
	s_cmp_lt_i32 s9, 1
	s_mov_b64 s[16:17], 0
	s_cbranch_scc1 .LBB16_59
.LBB16_54:
	s_cmp_gt_i32 s9, 1
	s_cbranch_scc0 .LBB16_60
; %bb.55:
	s_cmp_eq_u32 s9, 2
	s_cbranch_scc0 .LBB16_254
; %bb.56:
	v_cmp_le_i16_sdwa s[10:11], sext(v2), s46 src0_sel:BYTE_0 src1_sel:DWORD
	s_mov_b64 s[18:19], 0
	s_branch .LBB16_62
.LBB16_57:
	v_cmp_lt_i16_sdwa s[16:17], sext(v15), s46 src0_sel:BYTE_0 src1_sel:DWORD
	s_andn2_b64 s[6:7], s[6:7], exec
	s_and_b64 s[16:17], s[16:17], exec
	s_or_b64 s[6:7], s[6:7], s[16:17]
	s_cbranch_execnz .LBB16_53
.LBB16_58:
	v_cmp_ge_i16_sdwa s[10:11], sext(v15), s46 src0_sel:BYTE_0 src1_sel:DWORD
	s_andn2_b64 s[6:7], s[6:7], exec
	s_and_b64 s[10:11], s[10:11], exec
	s_or_b64 s[6:7], s[6:7], s[10:11]
	s_cmp_lt_i32 s9, 1
	s_mov_b64 s[16:17], 0
	s_cbranch_scc0 .LBB16_54
.LBB16_59:
                                        ; implicit-def: $sgpr10_sgpr11
	s_mov_b64 s[18:19], 0
	s_cbranch_execnz .LBB16_63
	s_branch .LBB16_64
.LBB16_60:
	s_mov_b64 s[18:19], 0
                                        ; implicit-def: $sgpr10_sgpr11
	s_cbranch_execz .LBB16_62
; %bb.61:
	v_cmp_gt_i16_sdwa s[20:21], sext(v2), s46 src0_sel:BYTE_0 src1_sel:DWORD
	s_andn2_b64 s[10:11], s[10:11], exec
	s_and_b64 s[20:21], s[20:21], exec
	s_or_b64 s[10:11], s[10:11], s[20:21]
.LBB16_62:
	s_branch .LBB16_64
.LBB16_63:
	s_cmp_lg_u32 s9, 0
	s_mov_b64 s[16:17], -1
	s_cselect_b64 s[18:19], -1, 0
.LBB16_64:
	s_andn2_b64 vcc, exec, s[18:19]
	s_cbranch_vccz .LBB16_70
; %bb.65:
	s_andn2_b64 vcc, exec, s[16:17]
	s_cbranch_vccz .LBB16_71
.LBB16_66:
	s_cmp_lt_i32 s9, 1
	s_mov_b64 s[18:19], 0
	s_cbranch_scc1 .LBB16_72
.LBB16_67:
	s_cmp_gt_i32 s9, 1
	s_cbranch_scc0 .LBB16_73
; %bb.68:
	s_cmp_eq_u32 s9, 2
	s_cbranch_scc0 .LBB16_255
; %bb.69:
	v_cmp_le_i16_sdwa s[16:17], sext(v14), s46 src0_sel:BYTE_0 src1_sel:DWORD
	s_mov_b64 s[20:21], 0
	s_branch .LBB16_75
.LBB16_70:
	v_cmp_lt_i16_sdwa s[18:19], sext(v2), s46 src0_sel:BYTE_0 src1_sel:DWORD
	s_andn2_b64 s[10:11], s[10:11], exec
	s_and_b64 s[18:19], s[18:19], exec
	s_or_b64 s[10:11], s[10:11], s[18:19]
	s_cbranch_execnz .LBB16_66
.LBB16_71:
	v_cmp_ge_i16_sdwa s[16:17], sext(v2), s46 src0_sel:BYTE_0 src1_sel:DWORD
	s_andn2_b64 s[10:11], s[10:11], exec
	s_and_b64 s[16:17], s[16:17], exec
	s_or_b64 s[10:11], s[10:11], s[16:17]
	s_cmp_lt_i32 s9, 1
	s_mov_b64 s[18:19], 0
	s_cbranch_scc0 .LBB16_67
.LBB16_72:
                                        ; implicit-def: $sgpr16_sgpr17
	s_mov_b64 s[20:21], 0
	s_cbranch_execnz .LBB16_76
	s_branch .LBB16_77
.LBB16_73:
	s_mov_b64 s[20:21], 0
                                        ; implicit-def: $sgpr16_sgpr17
	s_cbranch_execz .LBB16_75
; %bb.74:
	v_cmp_gt_i16_sdwa s[22:23], sext(v14), s46 src0_sel:BYTE_0 src1_sel:DWORD
	s_andn2_b64 s[16:17], s[16:17], exec
	s_and_b64 s[22:23], s[22:23], exec
	s_or_b64 s[16:17], s[16:17], s[22:23]
.LBB16_75:
	s_branch .LBB16_77
.LBB16_76:
	s_cmp_lg_u32 s9, 0
	s_mov_b64 s[18:19], -1
	s_cselect_b64 s[20:21], -1, 0
.LBB16_77:
	s_andn2_b64 vcc, exec, s[20:21]
	s_cbranch_vccz .LBB16_83
; %bb.78:
	s_andn2_b64 vcc, exec, s[18:19]
	s_cbranch_vccz .LBB16_84
.LBB16_79:
	s_cmp_lt_i32 s9, 1
	s_mov_b64 s[20:21], 0
	s_cbranch_scc1 .LBB16_85
.LBB16_80:
	s_cmp_gt_i32 s9, 1
	s_cbranch_scc0 .LBB16_86
; %bb.81:
	s_cmp_eq_u32 s9, 2
	s_cbranch_scc0 .LBB16_256
; %bb.82:
	v_cmp_le_i16_sdwa s[18:19], sext(v13), s46 src0_sel:BYTE_0 src1_sel:DWORD
	s_mov_b64 s[22:23], 0
	s_branch .LBB16_88
.LBB16_83:
	v_cmp_lt_i16_sdwa s[20:21], sext(v14), s46 src0_sel:BYTE_0 src1_sel:DWORD
	s_andn2_b64 s[16:17], s[16:17], exec
	s_and_b64 s[20:21], s[20:21], exec
	s_or_b64 s[16:17], s[16:17], s[20:21]
	s_cbranch_execnz .LBB16_79
.LBB16_84:
	v_cmp_ge_i16_sdwa s[18:19], sext(v14), s46 src0_sel:BYTE_0 src1_sel:DWORD
	s_andn2_b64 s[16:17], s[16:17], exec
	s_and_b64 s[18:19], s[18:19], exec
	s_or_b64 s[16:17], s[16:17], s[18:19]
	s_cmp_lt_i32 s9, 1
	s_mov_b64 s[20:21], 0
	s_cbranch_scc0 .LBB16_80
.LBB16_85:
                                        ; implicit-def: $sgpr18_sgpr19
	s_mov_b64 s[22:23], 0
	s_cbranch_execnz .LBB16_89
	s_branch .LBB16_90
.LBB16_86:
	s_mov_b64 s[22:23], 0
                                        ; implicit-def: $sgpr18_sgpr19
	s_cbranch_execz .LBB16_88
; %bb.87:
	v_cmp_gt_i16_sdwa s[24:25], sext(v13), s46 src0_sel:BYTE_0 src1_sel:DWORD
	s_andn2_b64 s[18:19], s[18:19], exec
	s_and_b64 s[24:25], s[24:25], exec
	s_or_b64 s[18:19], s[18:19], s[24:25]
.LBB16_88:
	s_branch .LBB16_90
.LBB16_89:
	s_cmp_lg_u32 s9, 0
	s_mov_b64 s[20:21], -1
	s_cselect_b64 s[22:23], -1, 0
.LBB16_90:
	s_andn2_b64 vcc, exec, s[22:23]
	s_cbranch_vccz .LBB16_96
; %bb.91:
	s_andn2_b64 vcc, exec, s[20:21]
	s_cbranch_vccz .LBB16_97
.LBB16_92:
	s_cmp_lt_i32 s9, 1
	s_mov_b64 s[22:23], 0
	s_cbranch_scc1 .LBB16_98
.LBB16_93:
	s_cmp_gt_i32 s9, 1
	s_cbranch_scc0 .LBB16_99
; %bb.94:
	s_cmp_eq_u32 s9, 2
	s_cbranch_scc0 .LBB16_257
; %bb.95:
	v_cmp_le_i16_sdwa s[20:21], sext(v12), s46 src0_sel:BYTE_0 src1_sel:DWORD
	s_mov_b64 s[24:25], 0
	s_branch .LBB16_101
.LBB16_96:
	v_cmp_lt_i16_sdwa s[22:23], sext(v13), s46 src0_sel:BYTE_0 src1_sel:DWORD
	s_andn2_b64 s[18:19], s[18:19], exec
	s_and_b64 s[22:23], s[22:23], exec
	s_or_b64 s[18:19], s[18:19], s[22:23]
	s_cbranch_execnz .LBB16_92
.LBB16_97:
	v_cmp_ge_i16_sdwa s[20:21], sext(v13), s46 src0_sel:BYTE_0 src1_sel:DWORD
	s_andn2_b64 s[18:19], s[18:19], exec
	s_and_b64 s[20:21], s[20:21], exec
	s_or_b64 s[18:19], s[18:19], s[20:21]
	s_cmp_lt_i32 s9, 1
	s_mov_b64 s[22:23], 0
	s_cbranch_scc0 .LBB16_93
.LBB16_98:
                                        ; implicit-def: $sgpr20_sgpr21
	s_mov_b64 s[24:25], 0
	s_cbranch_execnz .LBB16_102
	s_branch .LBB16_103
.LBB16_99:
	s_mov_b64 s[24:25], 0
                                        ; implicit-def: $sgpr20_sgpr21
	s_cbranch_execz .LBB16_101
; %bb.100:
	v_cmp_gt_i16_sdwa s[26:27], sext(v12), s46 src0_sel:BYTE_0 src1_sel:DWORD
	s_andn2_b64 s[20:21], s[20:21], exec
	s_and_b64 s[26:27], s[26:27], exec
	s_or_b64 s[20:21], s[20:21], s[26:27]
.LBB16_101:
	s_branch .LBB16_103
.LBB16_102:
	s_cmp_lg_u32 s9, 0
	s_mov_b64 s[22:23], -1
	s_cselect_b64 s[24:25], -1, 0
.LBB16_103:
	s_andn2_b64 vcc, exec, s[24:25]
	s_cbranch_vccz .LBB16_109
; %bb.104:
	s_andn2_b64 vcc, exec, s[22:23]
	s_cbranch_vccz .LBB16_110
.LBB16_105:
	s_cmp_lt_i32 s9, 1
	s_mov_b64 s[24:25], 0
	s_cbranch_scc1 .LBB16_111
.LBB16_106:
	s_cmp_gt_i32 s9, 1
	s_cbranch_scc0 .LBB16_112
; %bb.107:
	s_cmp_eq_u32 s9, 2
	s_cbranch_scc0 .LBB16_258
; %bb.108:
	v_cmp_le_i16_sdwa s[22:23], sext(v3), s46 src0_sel:BYTE_0 src1_sel:DWORD
	s_mov_b64 s[26:27], 0
	s_branch .LBB16_114
.LBB16_109:
	v_cmp_lt_i16_sdwa s[24:25], sext(v12), s46 src0_sel:BYTE_0 src1_sel:DWORD
	s_andn2_b64 s[20:21], s[20:21], exec
	s_and_b64 s[24:25], s[24:25], exec
	s_or_b64 s[20:21], s[20:21], s[24:25]
	s_cbranch_execnz .LBB16_105
.LBB16_110:
	v_cmp_ge_i16_sdwa s[22:23], sext(v12), s46 src0_sel:BYTE_0 src1_sel:DWORD
	s_andn2_b64 s[20:21], s[20:21], exec
	s_and_b64 s[22:23], s[22:23], exec
	s_or_b64 s[20:21], s[20:21], s[22:23]
	s_cmp_lt_i32 s9, 1
	s_mov_b64 s[24:25], 0
	s_cbranch_scc0 .LBB16_106
.LBB16_111:
                                        ; implicit-def: $sgpr22_sgpr23
	s_mov_b64 s[26:27], 0
	s_cbranch_execnz .LBB16_115
	s_branch .LBB16_116
.LBB16_112:
	s_mov_b64 s[26:27], 0
                                        ; implicit-def: $sgpr22_sgpr23
	s_cbranch_execz .LBB16_114
; %bb.113:
	v_cmp_gt_i16_sdwa s[28:29], sext(v3), s46 src0_sel:BYTE_0 src1_sel:DWORD
	s_andn2_b64 s[22:23], s[22:23], exec
	s_and_b64 s[28:29], s[28:29], exec
	s_or_b64 s[22:23], s[22:23], s[28:29]
.LBB16_114:
	s_branch .LBB16_116
.LBB16_115:
	s_cmp_lg_u32 s9, 0
	s_mov_b64 s[24:25], -1
	s_cselect_b64 s[26:27], -1, 0
.LBB16_116:
	s_andn2_b64 vcc, exec, s[26:27]
	s_cbranch_vccz .LBB16_122
; %bb.117:
	s_andn2_b64 vcc, exec, s[24:25]
	s_cbranch_vccz .LBB16_123
.LBB16_118:
	s_cmp_lt_i32 s9, 1
	s_mov_b64 s[26:27], 0
	s_cbranch_scc1 .LBB16_124
.LBB16_119:
	s_cmp_gt_i32 s9, 1
	s_cbranch_scc0 .LBB16_125
; %bb.120:
	s_cmp_eq_u32 s9, 2
	s_cbranch_scc0 .LBB16_259
; %bb.121:
	v_cmp_le_i16_sdwa s[24:25], sext(v11), s46 src0_sel:BYTE_0 src1_sel:DWORD
	s_mov_b64 s[28:29], 0
	s_branch .LBB16_127
.LBB16_122:
	v_cmp_lt_i16_sdwa s[26:27], sext(v3), s46 src0_sel:BYTE_0 src1_sel:DWORD
	s_andn2_b64 s[22:23], s[22:23], exec
	s_and_b64 s[26:27], s[26:27], exec
	s_or_b64 s[22:23], s[22:23], s[26:27]
	s_cbranch_execnz .LBB16_118
.LBB16_123:
	v_cmp_ge_i16_sdwa s[24:25], sext(v3), s46 src0_sel:BYTE_0 src1_sel:DWORD
	s_andn2_b64 s[22:23], s[22:23], exec
	s_and_b64 s[24:25], s[24:25], exec
	s_or_b64 s[22:23], s[22:23], s[24:25]
	s_cmp_lt_i32 s9, 1
	s_mov_b64 s[26:27], 0
	s_cbranch_scc0 .LBB16_119
.LBB16_124:
                                        ; implicit-def: $sgpr24_sgpr25
	s_mov_b64 s[28:29], 0
	s_cbranch_execnz .LBB16_128
	s_branch .LBB16_129
.LBB16_125:
	s_mov_b64 s[28:29], 0
                                        ; implicit-def: $sgpr24_sgpr25
	s_cbranch_execz .LBB16_127
; %bb.126:
	v_cmp_gt_i16_sdwa s[30:31], sext(v11), s46 src0_sel:BYTE_0 src1_sel:DWORD
	s_andn2_b64 s[24:25], s[24:25], exec
	s_and_b64 s[30:31], s[30:31], exec
	s_or_b64 s[24:25], s[24:25], s[30:31]
.LBB16_127:
	s_branch .LBB16_129
.LBB16_128:
	s_cmp_lg_u32 s9, 0
	s_mov_b64 s[26:27], -1
	s_cselect_b64 s[28:29], -1, 0
.LBB16_129:
	s_andn2_b64 vcc, exec, s[28:29]
	s_cbranch_vccz .LBB16_135
; %bb.130:
	s_andn2_b64 vcc, exec, s[26:27]
	s_cbranch_vccz .LBB16_136
.LBB16_131:
	s_cmp_lt_i32 s9, 1
	s_mov_b64 s[28:29], 0
	s_cbranch_scc1 .LBB16_137
.LBB16_132:
	s_cmp_gt_i32 s9, 1
	s_cbranch_scc0 .LBB16_138
; %bb.133:
	s_cmp_eq_u32 s9, 2
	s_cbranch_scc0 .LBB16_260
; %bb.134:
	v_cmp_le_i16_sdwa s[26:27], sext(v10), s46 src0_sel:BYTE_0 src1_sel:DWORD
	s_mov_b64 s[30:31], 0
	s_branch .LBB16_140
.LBB16_135:
	v_cmp_lt_i16_sdwa s[28:29], sext(v11), s46 src0_sel:BYTE_0 src1_sel:DWORD
	s_andn2_b64 s[24:25], s[24:25], exec
	s_and_b64 s[28:29], s[28:29], exec
	s_or_b64 s[24:25], s[24:25], s[28:29]
	s_cbranch_execnz .LBB16_131
.LBB16_136:
	v_cmp_ge_i16_sdwa s[26:27], sext(v11), s46 src0_sel:BYTE_0 src1_sel:DWORD
	s_andn2_b64 s[24:25], s[24:25], exec
	s_and_b64 s[26:27], s[26:27], exec
	s_or_b64 s[24:25], s[24:25], s[26:27]
	s_cmp_lt_i32 s9, 1
	s_mov_b64 s[28:29], 0
	s_cbranch_scc0 .LBB16_132
.LBB16_137:
                                        ; implicit-def: $sgpr26_sgpr27
	s_mov_b64 s[30:31], 0
	s_cbranch_execnz .LBB16_141
	s_branch .LBB16_142
.LBB16_138:
	s_mov_b64 s[30:31], 0
                                        ; implicit-def: $sgpr26_sgpr27
	s_cbranch_execz .LBB16_140
; %bb.139:
	v_cmp_gt_i16_sdwa s[34:35], sext(v10), s46 src0_sel:BYTE_0 src1_sel:DWORD
	s_andn2_b64 s[26:27], s[26:27], exec
	s_and_b64 s[34:35], s[34:35], exec
	s_or_b64 s[26:27], s[26:27], s[34:35]
.LBB16_140:
	s_branch .LBB16_142
.LBB16_141:
	s_cmp_lg_u32 s9, 0
	s_mov_b64 s[28:29], -1
	s_cselect_b64 s[30:31], -1, 0
.LBB16_142:
	s_andn2_b64 vcc, exec, s[30:31]
	s_cbranch_vccz .LBB16_148
; %bb.143:
	s_andn2_b64 vcc, exec, s[28:29]
	s_cbranch_vccz .LBB16_149
.LBB16_144:
	s_cmp_lt_i32 s9, 1
	s_mov_b64 s[30:31], 0
	s_cbranch_scc1 .LBB16_150
.LBB16_145:
	s_cmp_gt_i32 s9, 1
	s_cbranch_scc0 .LBB16_151
; %bb.146:
	s_cmp_eq_u32 s9, 2
	s_cbranch_scc0 .LBB16_261
; %bb.147:
	v_cmp_le_i16_sdwa s[28:29], sext(v9), s46 src0_sel:BYTE_0 src1_sel:DWORD
	s_mov_b64 s[34:35], 0
	s_branch .LBB16_153
.LBB16_148:
	v_cmp_lt_i16_sdwa s[30:31], sext(v10), s46 src0_sel:BYTE_0 src1_sel:DWORD
	s_andn2_b64 s[26:27], s[26:27], exec
	s_and_b64 s[30:31], s[30:31], exec
	s_or_b64 s[26:27], s[26:27], s[30:31]
	s_cbranch_execnz .LBB16_144
.LBB16_149:
	v_cmp_ge_i16_sdwa s[28:29], sext(v10), s46 src0_sel:BYTE_0 src1_sel:DWORD
	s_andn2_b64 s[26:27], s[26:27], exec
	s_and_b64 s[28:29], s[28:29], exec
	s_or_b64 s[26:27], s[26:27], s[28:29]
	s_cmp_lt_i32 s9, 1
	s_mov_b64 s[30:31], 0
	s_cbranch_scc0 .LBB16_145
.LBB16_150:
                                        ; implicit-def: $sgpr28_sgpr29
	s_mov_b64 s[34:35], 0
	s_cbranch_execnz .LBB16_154
	s_branch .LBB16_155
.LBB16_151:
	s_mov_b64 s[34:35], 0
                                        ; implicit-def: $sgpr28_sgpr29
	s_cbranch_execz .LBB16_153
; %bb.152:
	v_cmp_gt_i16_sdwa s[36:37], sext(v9), s46 src0_sel:BYTE_0 src1_sel:DWORD
	s_andn2_b64 s[28:29], s[28:29], exec
	s_and_b64 s[36:37], s[36:37], exec
	s_or_b64 s[28:29], s[28:29], s[36:37]
.LBB16_153:
	s_branch .LBB16_155
.LBB16_154:
	s_cmp_lg_u32 s9, 0
	s_mov_b64 s[30:31], -1
	s_cselect_b64 s[34:35], -1, 0
.LBB16_155:
	s_andn2_b64 vcc, exec, s[34:35]
	s_cbranch_vccz .LBB16_161
; %bb.156:
	s_andn2_b64 vcc, exec, s[30:31]
	s_cbranch_vccz .LBB16_162
.LBB16_157:
	s_cmp_lt_i32 s9, 1
	s_mov_b64 s[34:35], 0
	s_cbranch_scc1 .LBB16_163
.LBB16_158:
	s_cmp_gt_i32 s9, 1
	s_cbranch_scc0 .LBB16_164
; %bb.159:
	s_cmp_eq_u32 s9, 2
	s_cbranch_scc0 .LBB16_262
; %bb.160:
	v_cmp_le_i16_sdwa s[30:31], sext(v4), s46 src0_sel:BYTE_0 src1_sel:DWORD
	s_mov_b64 s[36:37], 0
	s_branch .LBB16_166
.LBB16_161:
	v_cmp_lt_i16_sdwa s[34:35], sext(v9), s46 src0_sel:BYTE_0 src1_sel:DWORD
	s_andn2_b64 s[28:29], s[28:29], exec
	s_and_b64 s[34:35], s[34:35], exec
	s_or_b64 s[28:29], s[28:29], s[34:35]
	s_cbranch_execnz .LBB16_157
.LBB16_162:
	v_cmp_ge_i16_sdwa s[30:31], sext(v9), s46 src0_sel:BYTE_0 src1_sel:DWORD
	s_andn2_b64 s[28:29], s[28:29], exec
	s_and_b64 s[30:31], s[30:31], exec
	s_or_b64 s[28:29], s[28:29], s[30:31]
	s_cmp_lt_i32 s9, 1
	s_mov_b64 s[34:35], 0
	s_cbranch_scc0 .LBB16_158
.LBB16_163:
                                        ; implicit-def: $sgpr30_sgpr31
	s_mov_b64 s[36:37], 0
	s_cbranch_execnz .LBB16_167
	s_branch .LBB16_168
.LBB16_164:
	s_mov_b64 s[36:37], 0
                                        ; implicit-def: $sgpr30_sgpr31
	s_cbranch_execz .LBB16_166
; %bb.165:
	v_cmp_gt_i16_sdwa s[38:39], sext(v4), s46 src0_sel:BYTE_0 src1_sel:DWORD
	s_andn2_b64 s[30:31], s[30:31], exec
	s_and_b64 s[38:39], s[38:39], exec
	s_or_b64 s[30:31], s[30:31], s[38:39]
.LBB16_166:
	s_branch .LBB16_168
.LBB16_167:
	s_cmp_lg_u32 s9, 0
	s_mov_b64 s[34:35], -1
	s_cselect_b64 s[36:37], -1, 0
.LBB16_168:
	s_andn2_b64 vcc, exec, s[36:37]
	s_cbranch_vccz .LBB16_174
; %bb.169:
	s_andn2_b64 vcc, exec, s[34:35]
	s_cbranch_vccz .LBB16_175
.LBB16_170:
	s_cmp_lt_i32 s9, 1
	s_mov_b64 s[36:37], 0
	s_cbranch_scc1 .LBB16_176
.LBB16_171:
	s_cmp_gt_i32 s9, 1
	s_cbranch_scc0 .LBB16_177
; %bb.172:
	s_cmp_eq_u32 s9, 2
	s_cbranch_scc0 .LBB16_263
; %bb.173:
	v_cmp_le_i16_sdwa s[34:35], sext(v8), s46 src0_sel:BYTE_0 src1_sel:DWORD
	s_mov_b64 s[38:39], 0
	s_branch .LBB16_179
.LBB16_174:
	v_cmp_lt_i16_sdwa s[36:37], sext(v4), s46 src0_sel:BYTE_0 src1_sel:DWORD
	s_andn2_b64 s[30:31], s[30:31], exec
	s_and_b64 s[36:37], s[36:37], exec
	s_or_b64 s[30:31], s[30:31], s[36:37]
	s_cbranch_execnz .LBB16_170
.LBB16_175:
	v_cmp_ge_i16_sdwa s[34:35], sext(v4), s46 src0_sel:BYTE_0 src1_sel:DWORD
	s_andn2_b64 s[30:31], s[30:31], exec
	s_and_b64 s[34:35], s[34:35], exec
	s_or_b64 s[30:31], s[30:31], s[34:35]
	s_cmp_lt_i32 s9, 1
	s_mov_b64 s[36:37], 0
	s_cbranch_scc0 .LBB16_171
.LBB16_176:
                                        ; implicit-def: $sgpr34_sgpr35
	s_mov_b64 s[38:39], 0
	s_cbranch_execnz .LBB16_180
	s_branch .LBB16_181
.LBB16_177:
	s_mov_b64 s[38:39], 0
                                        ; implicit-def: $sgpr34_sgpr35
	s_cbranch_execz .LBB16_179
; %bb.178:
	v_cmp_gt_i16_sdwa s[40:41], sext(v8), s46 src0_sel:BYTE_0 src1_sel:DWORD
	s_andn2_b64 s[34:35], s[34:35], exec
	s_and_b64 s[40:41], s[40:41], exec
	s_or_b64 s[34:35], s[34:35], s[40:41]
.LBB16_179:
	s_branch .LBB16_181
.LBB16_180:
	s_cmp_lg_u32 s9, 0
	s_mov_b64 s[36:37], -1
	s_cselect_b64 s[38:39], -1, 0
.LBB16_181:
	s_andn2_b64 vcc, exec, s[38:39]
	s_cbranch_vccz .LBB16_187
; %bb.182:
	s_andn2_b64 vcc, exec, s[36:37]
	s_cbranch_vccz .LBB16_188
.LBB16_183:
	s_cmp_lt_i32 s9, 1
	s_mov_b64 s[38:39], 0
	s_cbranch_scc1 .LBB16_189
.LBB16_184:
	s_cmp_gt_i32 s9, 1
	s_cbranch_scc0 .LBB16_190
; %bb.185:
	s_cmp_eq_u32 s9, 2
	s_cbranch_scc0 .LBB16_264
; %bb.186:
	v_cmp_le_i16_sdwa s[36:37], sext(v7), s46 src0_sel:BYTE_0 src1_sel:DWORD
	s_mov_b64 s[40:41], 0
	s_branch .LBB16_192
.LBB16_187:
	v_cmp_lt_i16_sdwa s[38:39], sext(v8), s46 src0_sel:BYTE_0 src1_sel:DWORD
	s_andn2_b64 s[34:35], s[34:35], exec
	s_and_b64 s[38:39], s[38:39], exec
	s_or_b64 s[34:35], s[34:35], s[38:39]
	s_cbranch_execnz .LBB16_183
.LBB16_188:
	v_cmp_ge_i16_sdwa s[36:37], sext(v8), s46 src0_sel:BYTE_0 src1_sel:DWORD
	s_andn2_b64 s[34:35], s[34:35], exec
	s_and_b64 s[36:37], s[36:37], exec
	s_or_b64 s[34:35], s[34:35], s[36:37]
	s_cmp_lt_i32 s9, 1
	s_mov_b64 s[38:39], 0
	s_cbranch_scc0 .LBB16_184
.LBB16_189:
                                        ; implicit-def: $sgpr36_sgpr37
	s_mov_b64 s[40:41], 0
	s_cbranch_execnz .LBB16_193
	s_branch .LBB16_194
.LBB16_190:
	s_mov_b64 s[40:41], 0
                                        ; implicit-def: $sgpr36_sgpr37
	s_cbranch_execz .LBB16_192
; %bb.191:
	v_cmp_gt_i16_sdwa s[42:43], sext(v7), s46 src0_sel:BYTE_0 src1_sel:DWORD
	s_andn2_b64 s[36:37], s[36:37], exec
	s_and_b64 s[42:43], s[42:43], exec
	s_or_b64 s[36:37], s[36:37], s[42:43]
.LBB16_192:
	s_branch .LBB16_194
.LBB16_193:
	s_cmp_lg_u32 s9, 0
	s_mov_b64 s[38:39], -1
	s_cselect_b64 s[40:41], -1, 0
.LBB16_194:
	s_andn2_b64 vcc, exec, s[40:41]
	s_cbranch_vccz .LBB16_200
; %bb.195:
	s_andn2_b64 vcc, exec, s[38:39]
	s_cbranch_vccz .LBB16_201
.LBB16_196:
	s_cmp_lt_i32 s9, 1
	s_mov_b64 s[40:41], 0
	s_cbranch_scc1 .LBB16_202
.LBB16_197:
	s_cmp_gt_i32 s9, 1
	s_cbranch_scc0 .LBB16_203
; %bb.198:
	s_cmp_eq_u32 s9, 2
	s_cbranch_scc0 .LBB16_265
; %bb.199:
	v_cmp_le_i16_sdwa s[38:39], sext(v6), s46 src0_sel:BYTE_0 src1_sel:DWORD
	s_mov_b64 s[42:43], 0
	s_branch .LBB16_205
.LBB16_200:
	v_cmp_lt_i16_sdwa s[40:41], sext(v7), s46 src0_sel:BYTE_0 src1_sel:DWORD
	s_andn2_b64 s[36:37], s[36:37], exec
	s_and_b64 s[40:41], s[40:41], exec
	s_or_b64 s[36:37], s[36:37], s[40:41]
	s_cbranch_execnz .LBB16_196
.LBB16_201:
	v_cmp_ge_i16_sdwa s[38:39], sext(v7), s46 src0_sel:BYTE_0 src1_sel:DWORD
	s_andn2_b64 s[36:37], s[36:37], exec
	s_and_b64 s[38:39], s[38:39], exec
	s_or_b64 s[36:37], s[36:37], s[38:39]
	s_cmp_lt_i32 s9, 1
	s_mov_b64 s[40:41], 0
	s_cbranch_scc0 .LBB16_197
.LBB16_202:
                                        ; implicit-def: $sgpr38_sgpr39
	s_mov_b64 s[42:43], 0
	s_cbranch_execnz .LBB16_206
	s_branch .LBB16_207
.LBB16_203:
	s_mov_b64 s[42:43], 0
                                        ; implicit-def: $sgpr38_sgpr39
	s_cbranch_execz .LBB16_205
; %bb.204:
	v_cmp_gt_i16_sdwa s[44:45], sext(v6), s46 src0_sel:BYTE_0 src1_sel:DWORD
	s_andn2_b64 s[38:39], s[38:39], exec
	s_and_b64 s[44:45], s[44:45], exec
	s_or_b64 s[38:39], s[38:39], s[44:45]
.LBB16_205:
	s_branch .LBB16_207
.LBB16_206:
	s_cmp_lg_u32 s9, 0
	s_mov_b64 s[40:41], -1
	s_cselect_b64 s[42:43], -1, 0
.LBB16_207:
	s_andn2_b64 vcc, exec, s[42:43]
	s_cbranch_vccz .LBB16_249
; %bb.208:
	s_andn2_b64 vcc, exec, s[40:41]
	s_cbranch_vccnz .LBB16_210
.LBB16_209:
	v_cmp_ge_i16_sdwa s[40:41], sext(v6), s46 src0_sel:BYTE_0 src1_sel:DWORD
	s_andn2_b64 s[38:39], s[38:39], exec
	s_and_b64 s[40:41], s[40:41], exec
	s_or_b64 s[38:39], s[38:39], s[40:41]
.LBB16_210:
	v_cndmask_b32_e64 v1, 0, 1, s[2:3]
	v_lshlrev_b16_e32 v1, 8, v1
	v_cndmask_b32_e64 v2, 0, 1, s[0:1]
	v_or_b32_e32 v1, v2, v1
	v_cndmask_b32_e64 v2, 0, 1, s[6:7]
	v_lshlrev_b16_e32 v2, 8, v2
	v_cndmask_b32_e64 v3, 0, 1, s[4:5]
	v_or_b32_sdwa v2, v3, v2 dst_sel:WORD_1 dst_unused:UNUSED_PAD src0_sel:DWORD src1_sel:DWORD
	v_or_b32_sdwa v1, v1, v2 dst_sel:DWORD dst_unused:UNUSED_PAD src0_sel:WORD_0 src1_sel:DWORD
	v_cndmask_b32_e64 v2, 0, 1, s[16:17]
	v_lshlrev_b16_e32 v2, 8, v2
	v_cndmask_b32_e64 v3, 0, 1, s[10:11]
	v_or_b32_e32 v2, v3, v2
	v_cndmask_b32_e64 v3, 0, 1, s[20:21]
	v_lshlrev_b16_e32 v3, 8, v3
	v_cndmask_b32_e64 v4, 0, 1, s[18:19]
	v_or_b32_sdwa v3, v4, v3 dst_sel:WORD_1 dst_unused:UNUSED_PAD src0_sel:DWORD src1_sel:DWORD
	v_or_b32_sdwa v2, v2, v3 dst_sel:DWORD dst_unused:UNUSED_PAD src0_sel:WORD_0 src1_sel:DWORD
	;; [unrolled: 9-line block ×3, first 2 shown]
	v_cndmask_b32_e64 v4, 0, 1, s[34:35]
	v_lshlrev_b16_e32 v4, 8, v4
	v_cndmask_b32_e64 v6, 0, 1, s[30:31]
	v_or_b32_e32 v4, v6, v4
	v_cndmask_b32_e64 v6, 0, 1, s[38:39]
	v_lshlrev_b16_e32 v6, 8, v6
	v_cndmask_b32_e64 v7, 0, 1, s[36:37]
	s_add_u32 s40, s12, s33
	v_or_b32_sdwa v6, v7, v6 dst_sel:WORD_1 dst_unused:UNUSED_PAD src0_sel:DWORD src1_sel:DWORD
	s_addc_u32 s41, s13, s47
	v_or_b32_sdwa v4, v4, v6 dst_sel:DWORD dst_unused:UNUSED_PAD src0_sel:WORD_0 src1_sel:DWORD
	global_store_dwordx4 v5, v[1:4], s[40:41]
	s_mov_b64 s[0:1], 0
.LBB16_211:
	s_and_b64 vcc, exec, s[0:1]
	s_cbranch_vccz .LBB16_519
; %bb.212:
	v_cmp_gt_i32_e64 s[0:1], s8, v0
	v_mov_b32_e32 v4, 0
	v_or_b32_e32 v3, s33, v0
	v_mov_b32_e32 v5, 0
	v_mov_b32_e32 v6, 0
	;; [unrolled: 1-line block ×16, first 2 shown]
	s_and_saveexec_b64 s[2:3], s[0:1]
	s_cbranch_execz .LBB16_244
; %bb.213:
	global_load_ubyte v10, v3, s[14:15]
	v_or_b32_e32 v1, 0x100, v0
	v_cmp_gt_u32_e32 vcc, s8, v1
	v_mov_b32_e32 v21, 0
	v_mov_b32_e32 v20, 0
	;; [unrolled: 1-line block ×15, first 2 shown]
	s_and_saveexec_b64 s[4:5], vcc
	s_cbranch_execz .LBB16_243
; %bb.214:
	v_add_u32_e32 v1, s33, v0
	global_load_ubyte v21, v1, s[14:15] offset:256
	v_or_b32_e32 v2, 0x200, v0
	v_mov_b32_e32 v20, 0
	v_cmp_gt_u32_e32 vcc, s8, v2
	v_mov_b32_e32 v19, 0
	v_mov_b32_e32 v18, 0
	;; [unrolled: 1-line block ×13, first 2 shown]
	s_and_saveexec_b64 s[6:7], vcc
	s_cbranch_execz .LBB16_242
; %bb.215:
	v_mov_b32_e32 v2, s15
	v_add_co_u32_e32 v1, vcc, s14, v1
	v_addc_co_u32_e32 v2, vcc, 0, v2, vcc
	global_load_ubyte v20, v[1:2], off offset:512
	v_or_b32_e32 v5, 0x300, v0
	v_cmp_gt_u32_e32 vcc, s8, v5
	v_mov_b32_e32 v19, 0
	v_mov_b32_e32 v18, 0
	v_mov_b32_e32 v17, 0
	v_mov_b32_e32 v16, 0
	v_mov_b32_e32 v15, 0
	v_mov_b32_e32 v14, 0
	v_mov_b32_e32 v13, 0
	v_mov_b32_e32 v12, 0
	v_mov_b32_e32 v11, 0
	v_mov_b32_e32 v9, 0
	v_mov_b32_e32 v7, 0
	v_mov_b32_e32 v6, 0
	v_mov_b32_e32 v5, 0
	s_and_saveexec_b64 s[10:11], vcc
	s_cbranch_execz .LBB16_241
; %bb.216:
	global_load_ubyte v19, v[1:2], off offset:768
	v_or_b32_e32 v5, 0x400, v0
	v_cmp_gt_u32_e32 vcc, s8, v5
	v_mov_b32_e32 v18, 0
	v_mov_b32_e32 v17, 0
	;; [unrolled: 1-line block ×12, first 2 shown]
	s_and_saveexec_b64 s[14:15], vcc
	s_cbranch_execz .LBB16_240
; %bb.217:
	global_load_ubyte v18, v[1:2], off offset:1024
	v_or_b32_e32 v5, 0x500, v0
	v_cmp_gt_u32_e32 vcc, s8, v5
	v_mov_b32_e32 v17, 0
	v_mov_b32_e32 v16, 0
	;; [unrolled: 1-line block ×11, first 2 shown]
	s_and_saveexec_b64 s[16:17], vcc
	s_cbranch_execz .LBB16_239
; %bb.218:
	global_load_ubyte v17, v[1:2], off offset:1280
	v_or_b32_e32 v5, 0x600, v0
	v_cmp_gt_u32_e32 vcc, s8, v5
	v_mov_b32_e32 v16, 0
	v_mov_b32_e32 v15, 0
	;; [unrolled: 1-line block ×10, first 2 shown]
	s_and_saveexec_b64 s[18:19], vcc
	s_cbranch_execz .LBB16_238
; %bb.219:
	global_load_ubyte v16, v[1:2], off offset:1536
	v_or_b32_e32 v5, 0x700, v0
	v_cmp_gt_u32_e32 vcc, s8, v5
	v_mov_b32_e32 v15, 0
	v_mov_b32_e32 v14, 0
	;; [unrolled: 1-line block ×9, first 2 shown]
	s_and_saveexec_b64 s[20:21], vcc
	s_cbranch_execz .LBB16_237
; %bb.220:
	global_load_ubyte v15, v[1:2], off offset:1792
	v_or_b32_e32 v5, 0x800, v0
	v_cmp_gt_u32_e32 vcc, s8, v5
	v_mov_b32_e32 v14, 0
	v_mov_b32_e32 v13, 0
	;; [unrolled: 1-line block ×8, first 2 shown]
	s_and_saveexec_b64 s[22:23], vcc
	s_cbranch_execz .LBB16_236
; %bb.221:
	global_load_ubyte v14, v[1:2], off offset:2048
	v_or_b32_e32 v5, 0x900, v0
	v_cmp_gt_u32_e32 vcc, s8, v5
	v_mov_b32_e32 v13, 0
	v_mov_b32_e32 v12, 0
	;; [unrolled: 1-line block ×7, first 2 shown]
	s_and_saveexec_b64 s[24:25], vcc
	s_cbranch_execz .LBB16_235
; %bb.222:
	global_load_ubyte v13, v[1:2], off offset:2304
	v_or_b32_e32 v5, 0xa00, v0
	v_cmp_gt_u32_e32 vcc, s8, v5
	v_mov_b32_e32 v12, 0
	v_mov_b32_e32 v11, 0
	;; [unrolled: 1-line block ×6, first 2 shown]
	s_and_saveexec_b64 s[26:27], vcc
	s_cbranch_execz .LBB16_234
; %bb.223:
	global_load_ubyte v12, v[1:2], off offset:2560
	v_or_b32_e32 v5, 0xb00, v0
	v_cmp_gt_u32_e32 vcc, s8, v5
	v_mov_b32_e32 v11, 0
	v_mov_b32_e32 v9, 0
	;; [unrolled: 1-line block ×5, first 2 shown]
	s_and_saveexec_b64 s[28:29], vcc
	s_cbranch_execz .LBB16_233
; %bb.224:
	global_load_ubyte v11, v[1:2], off offset:2816
	v_or_b32_e32 v5, 0xc00, v0
	v_cmp_gt_u32_e32 vcc, s8, v5
	v_mov_b32_e32 v9, 0
	v_mov_b32_e32 v7, 0
	;; [unrolled: 1-line block ×4, first 2 shown]
	s_and_saveexec_b64 s[30:31], vcc
	s_cbranch_execz .LBB16_232
; %bb.225:
	global_load_ubyte v9, v[1:2], off offset:3072
	v_or_b32_e32 v5, 0xd00, v0
	v_cmp_gt_u32_e32 vcc, s8, v5
	v_mov_b32_e32 v7, 0
	v_mov_b32_e32 v6, 0
	;; [unrolled: 1-line block ×3, first 2 shown]
	s_and_saveexec_b64 s[34:35], vcc
	s_cbranch_execz .LBB16_231
; %bb.226:
	global_load_ubyte v7, v[1:2], off offset:3328
	v_or_b32_e32 v5, 0xe00, v0
	v_cmp_gt_u32_e32 vcc, s8, v5
	v_mov_b32_e32 v6, 0
	v_mov_b32_e32 v5, 0
	s_and_saveexec_b64 s[36:37], vcc
	s_cbranch_execz .LBB16_230
; %bb.227:
	global_load_ubyte v6, v[1:2], off offset:3584
	v_or_b32_e32 v5, 0xf00, v0
	v_cmp_gt_u32_e32 vcc, s8, v5
	v_mov_b32_e32 v5, 0
	s_and_saveexec_b64 s[38:39], vcc
	s_cbranch_execz .LBB16_229
; %bb.228:
	global_load_ubyte v5, v[1:2], off offset:3840
.LBB16_229:
	s_or_b64 exec, exec, s[38:39]
.LBB16_230:
	s_or_b64 exec, exec, s[36:37]
.LBB16_231:
	s_or_b64 exec, exec, s[34:35]
.LBB16_232:
	s_or_b64 exec, exec, s[30:31]
.LBB16_233:
	s_or_b64 exec, exec, s[28:29]
.LBB16_234:
	s_or_b64 exec, exec, s[26:27]
.LBB16_235:
	s_or_b64 exec, exec, s[24:25]
.LBB16_236:
	s_or_b64 exec, exec, s[22:23]
.LBB16_237:
	s_or_b64 exec, exec, s[20:21]
.LBB16_238:
	s_or_b64 exec, exec, s[18:19]
.LBB16_239:
	s_or_b64 exec, exec, s[16:17]
.LBB16_240:
	s_or_b64 exec, exec, s[14:15]
.LBB16_241:
	s_or_b64 exec, exec, s[10:11]
.LBB16_242:
	s_or_b64 exec, exec, s[6:7]
.LBB16_243:
	s_or_b64 exec, exec, s[4:5]
.LBB16_244:
	s_or_b64 exec, exec, s[2:3]
	v_mov_b32_e32 v8, v4
	v_mov_b32_e32 v2, v4
	;; [unrolled: 1-line block ×3, first 2 shown]
	s_and_saveexec_b64 s[2:3], s[0:1]
	s_cbranch_execz .LBB16_276
; %bb.245:
	s_cmp_lt_i32 s9, 1
	s_mov_b64 s[4:5], 0
	s_cbranch_scc1 .LBB16_250
; %bb.246:
	s_cmp_gt_i32 s9, 1
	s_cbranch_scc0 .LBB16_266
; %bb.247:
	s_cmp_eq_u32 s9, 2
	s_cbranch_scc0 .LBB16_267
; %bb.248:
	s_waitcnt vmcnt(0)
	v_cmp_le_i16_sdwa s[6:7], sext(v10), s46 src0_sel:BYTE_0 src1_sel:DWORD
	s_mov_b64 s[10:11], 0
	s_branch .LBB16_268
.LBB16_249:
	v_cmp_lt_i16_sdwa s[42:43], sext(v6), s46 src0_sel:BYTE_0 src1_sel:DWORD
	s_andn2_b64 s[38:39], s[38:39], exec
	s_and_b64 s[42:43], s[42:43], exec
	s_or_b64 s[38:39], s[38:39], s[42:43]
	s_cbranch_execz .LBB16_209
	s_branch .LBB16_210
.LBB16_250:
                                        ; implicit-def: $sgpr6_sgpr7
	s_mov_b64 s[10:11], 0
	s_cbranch_execnz .LBB16_271
	s_branch .LBB16_272
.LBB16_251:
	s_mov_b64 s[6:7], -1
                                        ; implicit-def: $sgpr2_sgpr3
	s_branch .LBB16_23
.LBB16_252:
	s_mov_b64 s[10:11], -1
                                        ; implicit-def: $sgpr4_sgpr5
	s_branch .LBB16_36
.LBB16_253:
	s_mov_b64 s[16:17], -1
                                        ; implicit-def: $sgpr6_sgpr7
	s_branch .LBB16_49
.LBB16_254:
	s_mov_b64 s[18:19], -1
                                        ; implicit-def: $sgpr10_sgpr11
	s_branch .LBB16_62
.LBB16_255:
	s_mov_b64 s[20:21], -1
                                        ; implicit-def: $sgpr16_sgpr17
	s_branch .LBB16_75
.LBB16_256:
	s_mov_b64 s[22:23], -1
                                        ; implicit-def: $sgpr18_sgpr19
	s_branch .LBB16_88
.LBB16_257:
	s_mov_b64 s[24:25], -1
                                        ; implicit-def: $sgpr20_sgpr21
	s_branch .LBB16_101
.LBB16_258:
	s_mov_b64 s[26:27], -1
                                        ; implicit-def: $sgpr22_sgpr23
	s_branch .LBB16_114
.LBB16_259:
	s_mov_b64 s[28:29], -1
                                        ; implicit-def: $sgpr24_sgpr25
	s_branch .LBB16_127
.LBB16_260:
	s_mov_b64 s[30:31], -1
                                        ; implicit-def: $sgpr26_sgpr27
	s_branch .LBB16_140
.LBB16_261:
	s_mov_b64 s[34:35], -1
                                        ; implicit-def: $sgpr28_sgpr29
	s_branch .LBB16_153
.LBB16_262:
	s_mov_b64 s[36:37], -1
                                        ; implicit-def: $sgpr30_sgpr31
	s_branch .LBB16_166
.LBB16_263:
	s_mov_b64 s[38:39], -1
                                        ; implicit-def: $sgpr34_sgpr35
	s_branch .LBB16_179
.LBB16_264:
	s_mov_b64 s[40:41], -1
                                        ; implicit-def: $sgpr36_sgpr37
	s_branch .LBB16_192
.LBB16_265:
	s_mov_b64 s[42:43], -1
                                        ; implicit-def: $sgpr38_sgpr39
	s_branch .LBB16_205
.LBB16_266:
	s_mov_b64 s[10:11], 0
                                        ; implicit-def: $sgpr6_sgpr7
	s_cbranch_execnz .LBB16_269
	s_branch .LBB16_270
.LBB16_267:
	s_mov_b64 s[10:11], -1
                                        ; implicit-def: $sgpr6_sgpr7
.LBB16_268:
	s_branch .LBB16_270
.LBB16_269:
	s_waitcnt vmcnt(0)
	v_cmp_gt_i16_sdwa s[14:15], sext(v10), s46 src0_sel:BYTE_0 src1_sel:DWORD
	s_andn2_b64 s[6:7], s[6:7], exec
	s_and_b64 s[14:15], s[14:15], exec
	s_or_b64 s[6:7], s[6:7], s[14:15]
.LBB16_270:
	s_branch .LBB16_272
.LBB16_271:
	s_cmp_lg_u32 s9, 0
	s_mov_b64 s[4:5], -1
	s_cselect_b64 s[10:11], -1, 0
.LBB16_272:
	s_andn2_b64 vcc, exec, s[10:11]
	s_cbranch_vccz .LBB16_281
; %bb.273:
	s_andn2_b64 vcc, exec, s[4:5]
	s_cbranch_vccnz .LBB16_275
.LBB16_274:
	s_waitcnt vmcnt(0)
	v_cmp_ge_i16_sdwa s[4:5], sext(v10), s46 src0_sel:BYTE_0 src1_sel:DWORD
	s_andn2_b64 s[6:7], s[6:7], exec
	s_and_b64 s[4:5], s[4:5], exec
	s_or_b64 s[6:7], s[6:7], s[4:5]
.LBB16_275:
	v_cndmask_b32_e64 v1, 0, 1, s[6:7]
	v_mov_b32_e32 v8, 0
	v_and_b32_e32 v4, 0xffff, v1
	v_mov_b32_e32 v2, v8
	v_mov_b32_e32 v1, v8
.LBB16_276:
	s_or_b64 exec, exec, s[2:3]
	s_waitcnt vmcnt(0)
	v_or_b32_e32 v10, 0x100, v0
	v_cmp_gt_i32_e32 vcc, s8, v10
	s_and_saveexec_b64 s[2:3], vcc
	s_cbranch_execz .LBB16_291
; %bb.277:
	s_cmp_lt_i32 s9, 1
	s_mov_b64 s[4:5], 0
	s_cbranch_scc1 .LBB16_282
; %bb.278:
	s_cmp_gt_i32 s9, 1
	s_cbranch_scc0 .LBB16_283
; %bb.279:
	s_cmp_eq_u32 s9, 2
	s_cbranch_scc0 .LBB16_535
; %bb.280:
	v_cmp_le_i16_sdwa s[6:7], sext(v21), s46 src0_sel:BYTE_0 src1_sel:DWORD
	s_mov_b64 s[10:11], 0
	s_branch .LBB16_285
.LBB16_281:
	s_waitcnt vmcnt(0)
	v_cmp_lt_i16_sdwa s[10:11], sext(v10), s46 src0_sel:BYTE_0 src1_sel:DWORD
	s_andn2_b64 s[6:7], s[6:7], exec
	s_and_b64 s[10:11], s[10:11], exec
	s_or_b64 s[6:7], s[6:7], s[10:11]
	s_cbranch_execz .LBB16_274
	s_branch .LBB16_275
.LBB16_282:
                                        ; implicit-def: $sgpr6_sgpr7
	s_mov_b64 s[10:11], 0
	s_cbranch_execnz .LBB16_286
	s_branch .LBB16_287
.LBB16_283:
	s_mov_b64 s[10:11], 0
                                        ; implicit-def: $sgpr6_sgpr7
	s_cbranch_execz .LBB16_285
; %bb.284:
	v_cmp_gt_i16_sdwa s[14:15], sext(v21), s46 src0_sel:BYTE_0 src1_sel:DWORD
	s_andn2_b64 s[6:7], s[6:7], exec
	s_and_b64 s[14:15], s[14:15], exec
	s_or_b64 s[6:7], s[6:7], s[14:15]
.LBB16_285:
	s_branch .LBB16_287
.LBB16_286:
	s_cmp_lg_u32 s9, 0
	s_mov_b64 s[4:5], -1
	s_cselect_b64 s[10:11], -1, 0
.LBB16_287:
	s_andn2_b64 vcc, exec, s[10:11]
	s_cbranch_vccz .LBB16_296
; %bb.288:
	s_andn2_b64 vcc, exec, s[4:5]
	s_cbranch_vccnz .LBB16_290
.LBB16_289:
	v_cmp_ge_i16_sdwa s[4:5], sext(v21), s46 src0_sel:BYTE_0 src1_sel:DWORD
	s_andn2_b64 s[6:7], s[6:7], exec
	s_and_b64 s[4:5], s[4:5], exec
	s_or_b64 s[6:7], s[6:7], s[4:5]
.LBB16_290:
	v_cndmask_b32_e64 v21, 0, 1, s[6:7]
	v_lshlrev_b16_e32 v21, 8, v21
	v_or_b32_sdwa v21, v4, v21 dst_sel:DWORD dst_unused:UNUSED_PAD src0_sel:BYTE_0 src1_sel:DWORD
	v_and_b32_e32 v21, 0xffff, v21
	s_mov_b32 s4, 0xffff0000
	v_and_or_b32 v4, v4, s4, v21
.LBB16_291:
	s_or_b64 exec, exec, s[2:3]
	v_or_b32_e32 v21, 0x200, v0
	v_cmp_gt_i32_e32 vcc, s8, v21
	s_and_saveexec_b64 s[2:3], vcc
	s_cbranch_execz .LBB16_306
; %bb.292:
	s_cmp_lt_i32 s9, 1
	s_mov_b64 s[4:5], 0
	s_cbranch_scc1 .LBB16_297
; %bb.293:
	s_cmp_gt_i32 s9, 1
	s_cbranch_scc0 .LBB16_298
; %bb.294:
	s_cmp_eq_u32 s9, 2
	s_cbranch_scc0 .LBB16_536
; %bb.295:
	v_cmp_le_i16_sdwa s[6:7], sext(v20), s46 src0_sel:BYTE_0 src1_sel:DWORD
	s_mov_b64 s[10:11], 0
	s_branch .LBB16_300
.LBB16_296:
	v_cmp_lt_i16_sdwa s[10:11], sext(v21), s46 src0_sel:BYTE_0 src1_sel:DWORD
	s_andn2_b64 s[6:7], s[6:7], exec
	s_and_b64 s[10:11], s[10:11], exec
	s_or_b64 s[6:7], s[6:7], s[10:11]
	s_cbranch_execz .LBB16_289
	s_branch .LBB16_290
.LBB16_297:
                                        ; implicit-def: $sgpr6_sgpr7
	s_mov_b64 s[10:11], 0
	s_cbranch_execnz .LBB16_301
	s_branch .LBB16_302
.LBB16_298:
	s_mov_b64 s[10:11], 0
                                        ; implicit-def: $sgpr6_sgpr7
	s_cbranch_execz .LBB16_300
; %bb.299:
	v_cmp_gt_i16_sdwa s[14:15], sext(v20), s46 src0_sel:BYTE_0 src1_sel:DWORD
	s_andn2_b64 s[6:7], s[6:7], exec
	s_and_b64 s[14:15], s[14:15], exec
	s_or_b64 s[6:7], s[6:7], s[14:15]
.LBB16_300:
	s_branch .LBB16_302
.LBB16_301:
	s_cmp_lg_u32 s9, 0
	s_mov_b64 s[4:5], -1
	s_cselect_b64 s[10:11], -1, 0
.LBB16_302:
	s_andn2_b64 vcc, exec, s[10:11]
	s_cbranch_vccz .LBB16_311
; %bb.303:
	s_andn2_b64 vcc, exec, s[4:5]
	s_cbranch_vccnz .LBB16_305
.LBB16_304:
	v_cmp_ge_i16_sdwa s[4:5], sext(v20), s46 src0_sel:BYTE_0 src1_sel:DWORD
	s_andn2_b64 s[6:7], s[6:7], exec
	s_and_b64 s[4:5], s[4:5], exec
	s_or_b64 s[6:7], s[6:7], s[4:5]
.LBB16_305:
	s_movk_i32 s4, 0xff00
	v_and_b32_sdwa v20, v4, s4 dst_sel:DWORD dst_unused:UNUSED_PAD src0_sel:WORD_1 src1_sel:DWORD
	v_cndmask_b32_e64 v21, 0, 1, s[6:7]
	v_or_b32_sdwa v20, v21, v20 dst_sel:WORD_1 dst_unused:UNUSED_PAD src0_sel:DWORD src1_sel:DWORD
	s_mov_b32 s4, 0xffff
	v_and_or_b32 v4, v4, s4, v20
.LBB16_306:
	s_or_b64 exec, exec, s[2:3]
	v_or_b32_e32 v20, 0x300, v0
	v_cmp_gt_i32_e32 vcc, s8, v20
	s_and_saveexec_b64 s[2:3], vcc
	s_cbranch_execz .LBB16_321
; %bb.307:
	s_cmp_lt_i32 s9, 1
	s_mov_b64 s[4:5], 0
	s_cbranch_scc1 .LBB16_312
; %bb.308:
	s_cmp_gt_i32 s9, 1
	s_cbranch_scc0 .LBB16_313
; %bb.309:
	s_cmp_eq_u32 s9, 2
	s_cbranch_scc0 .LBB16_537
; %bb.310:
	v_cmp_le_i16_sdwa s[6:7], sext(v19), s46 src0_sel:BYTE_0 src1_sel:DWORD
	s_mov_b64 s[10:11], 0
	s_branch .LBB16_315
.LBB16_311:
	v_cmp_lt_i16_sdwa s[10:11], sext(v20), s46 src0_sel:BYTE_0 src1_sel:DWORD
	s_andn2_b64 s[6:7], s[6:7], exec
	s_and_b64 s[10:11], s[10:11], exec
	s_or_b64 s[6:7], s[6:7], s[10:11]
	s_cbranch_execz .LBB16_304
	s_branch .LBB16_305
.LBB16_312:
                                        ; implicit-def: $sgpr6_sgpr7
	s_mov_b64 s[10:11], 0
	s_cbranch_execnz .LBB16_316
	s_branch .LBB16_317
.LBB16_313:
	s_mov_b64 s[10:11], 0
                                        ; implicit-def: $sgpr6_sgpr7
	s_cbranch_execz .LBB16_315
; %bb.314:
	v_cmp_gt_i16_sdwa s[14:15], sext(v19), s46 src0_sel:BYTE_0 src1_sel:DWORD
	s_andn2_b64 s[6:7], s[6:7], exec
	s_and_b64 s[14:15], s[14:15], exec
	s_or_b64 s[6:7], s[6:7], s[14:15]
.LBB16_315:
	s_branch .LBB16_317
.LBB16_316:
	s_cmp_lg_u32 s9, 0
	s_mov_b64 s[4:5], -1
	s_cselect_b64 s[10:11], -1, 0
.LBB16_317:
	s_andn2_b64 vcc, exec, s[10:11]
	s_cbranch_vccz .LBB16_326
; %bb.318:
	s_andn2_b64 vcc, exec, s[4:5]
	s_cbranch_vccnz .LBB16_320
.LBB16_319:
	v_cmp_ge_i16_sdwa s[4:5], sext(v19), s46 src0_sel:BYTE_0 src1_sel:DWORD
	s_andn2_b64 s[6:7], s[6:7], exec
	s_and_b64 s[4:5], s[4:5], exec
	s_or_b64 s[6:7], s[6:7], s[4:5]
.LBB16_320:
	s_movk_i32 s4, 0xff
	v_cndmask_b32_e64 v20, 0, 1, s[6:7]
	v_and_b32_sdwa v19, v4, s4 dst_sel:DWORD dst_unused:UNUSED_PAD src0_sel:WORD_1 src1_sel:DWORD
	v_lshlrev_b16_e32 v20, 8, v20
	v_or_b32_sdwa v19, v19, v20 dst_sel:WORD_1 dst_unused:UNUSED_PAD src0_sel:DWORD src1_sel:DWORD
	s_mov_b32 s4, 0xffff
	v_and_or_b32 v4, v4, s4, v19
.LBB16_321:
	s_or_b64 exec, exec, s[2:3]
	v_or_b32_e32 v19, 0x400, v0
	v_cmp_gt_i32_e32 vcc, s8, v19
	s_and_saveexec_b64 s[2:3], vcc
	s_cbranch_execz .LBB16_336
; %bb.322:
	s_cmp_lt_i32 s9, 1
	s_mov_b64 s[4:5], 0
	s_cbranch_scc1 .LBB16_327
; %bb.323:
	s_cmp_gt_i32 s9, 1
	s_cbranch_scc0 .LBB16_328
; %bb.324:
	s_cmp_eq_u32 s9, 2
	s_cbranch_scc0 .LBB16_538
; %bb.325:
	v_cmp_le_i16_sdwa s[6:7], sext(v18), s46 src0_sel:BYTE_0 src1_sel:DWORD
	s_mov_b64 s[10:11], 0
	s_branch .LBB16_330
.LBB16_326:
	v_cmp_lt_i16_sdwa s[10:11], sext(v19), s46 src0_sel:BYTE_0 src1_sel:DWORD
	s_andn2_b64 s[6:7], s[6:7], exec
	s_and_b64 s[10:11], s[10:11], exec
	s_or_b64 s[6:7], s[6:7], s[10:11]
	s_cbranch_execz .LBB16_319
	s_branch .LBB16_320
.LBB16_327:
                                        ; implicit-def: $sgpr6_sgpr7
	s_mov_b64 s[10:11], 0
	s_cbranch_execnz .LBB16_331
	s_branch .LBB16_332
.LBB16_328:
	s_mov_b64 s[10:11], 0
                                        ; implicit-def: $sgpr6_sgpr7
	s_cbranch_execz .LBB16_330
; %bb.329:
	v_cmp_gt_i16_sdwa s[14:15], sext(v18), s46 src0_sel:BYTE_0 src1_sel:DWORD
	s_andn2_b64 s[6:7], s[6:7], exec
	s_and_b64 s[14:15], s[14:15], exec
	s_or_b64 s[6:7], s[6:7], s[14:15]
.LBB16_330:
	s_branch .LBB16_332
.LBB16_331:
	s_cmp_lg_u32 s9, 0
	s_mov_b64 s[4:5], -1
	s_cselect_b64 s[10:11], -1, 0
.LBB16_332:
	s_andn2_b64 vcc, exec, s[10:11]
	s_cbranch_vccz .LBB16_341
; %bb.333:
	s_andn2_b64 vcc, exec, s[4:5]
	s_cbranch_vccnz .LBB16_335
.LBB16_334:
	v_cmp_ge_i16_sdwa s[4:5], sext(v18), s46 src0_sel:BYTE_0 src1_sel:DWORD
	s_andn2_b64 s[6:7], s[6:7], exec
	s_and_b64 s[4:5], s[4:5], exec
	s_or_b64 s[6:7], s[6:7], s[4:5]
.LBB16_335:
	v_and_b32_e32 v18, 0xffffff00, v8
	v_cndmask_b32_e64 v19, 0, 1, s[6:7]
	v_or_b32_e32 v18, v19, v18
	v_and_b32_e32 v18, 0xffff, v18
	s_mov_b32 s4, 0xffff0000
	v_and_or_b32 v8, v8, s4, v18
.LBB16_336:
	s_or_b64 exec, exec, s[2:3]
	v_or_b32_e32 v18, 0x500, v0
	v_cmp_gt_i32_e32 vcc, s8, v18
	s_and_saveexec_b64 s[2:3], vcc
	s_cbranch_execz .LBB16_351
; %bb.337:
	s_cmp_lt_i32 s9, 1
	s_mov_b64 s[4:5], 0
	s_cbranch_scc1 .LBB16_342
; %bb.338:
	s_cmp_gt_i32 s9, 1
	s_cbranch_scc0 .LBB16_343
; %bb.339:
	s_cmp_eq_u32 s9, 2
	s_cbranch_scc0 .LBB16_539
; %bb.340:
	v_cmp_le_i16_sdwa s[6:7], sext(v17), s46 src0_sel:BYTE_0 src1_sel:DWORD
	s_mov_b64 s[10:11], 0
	s_branch .LBB16_345
.LBB16_341:
	v_cmp_lt_i16_sdwa s[10:11], sext(v18), s46 src0_sel:BYTE_0 src1_sel:DWORD
	s_andn2_b64 s[6:7], s[6:7], exec
	s_and_b64 s[10:11], s[10:11], exec
	s_or_b64 s[6:7], s[6:7], s[10:11]
	s_cbranch_execz .LBB16_334
	s_branch .LBB16_335
.LBB16_342:
                                        ; implicit-def: $sgpr6_sgpr7
	s_mov_b64 s[10:11], 0
	s_cbranch_execnz .LBB16_346
	s_branch .LBB16_347
.LBB16_343:
	s_mov_b64 s[10:11], 0
                                        ; implicit-def: $sgpr6_sgpr7
	s_cbranch_execz .LBB16_345
; %bb.344:
	v_cmp_gt_i16_sdwa s[14:15], sext(v17), s46 src0_sel:BYTE_0 src1_sel:DWORD
	s_andn2_b64 s[6:7], s[6:7], exec
	s_and_b64 s[14:15], s[14:15], exec
	s_or_b64 s[6:7], s[6:7], s[14:15]
.LBB16_345:
	s_branch .LBB16_347
.LBB16_346:
	s_cmp_lg_u32 s9, 0
	s_mov_b64 s[4:5], -1
	s_cselect_b64 s[10:11], -1, 0
.LBB16_347:
	s_andn2_b64 vcc, exec, s[10:11]
	s_cbranch_vccz .LBB16_356
; %bb.348:
	s_andn2_b64 vcc, exec, s[4:5]
	s_cbranch_vccnz .LBB16_350
.LBB16_349:
	v_cmp_ge_i16_sdwa s[4:5], sext(v17), s46 src0_sel:BYTE_0 src1_sel:DWORD
	s_andn2_b64 s[6:7], s[6:7], exec
	s_and_b64 s[4:5], s[4:5], exec
	s_or_b64 s[6:7], s[6:7], s[4:5]
.LBB16_350:
	v_cndmask_b32_e64 v17, 0, 1, s[6:7]
	v_lshlrev_b16_e32 v17, 8, v17
	v_or_b32_sdwa v17, v8, v17 dst_sel:DWORD dst_unused:UNUSED_PAD src0_sel:BYTE_0 src1_sel:DWORD
	v_and_b32_e32 v17, 0xffff, v17
	s_mov_b32 s4, 0xffff0000
	v_and_or_b32 v8, v8, s4, v17
.LBB16_351:
	s_or_b64 exec, exec, s[2:3]
	v_or_b32_e32 v17, 0x600, v0
	v_cmp_gt_i32_e32 vcc, s8, v17
	s_and_saveexec_b64 s[2:3], vcc
	s_cbranch_execz .LBB16_366
; %bb.352:
	s_cmp_lt_i32 s9, 1
	s_mov_b64 s[4:5], 0
	s_cbranch_scc1 .LBB16_357
; %bb.353:
	s_cmp_gt_i32 s9, 1
	s_cbranch_scc0 .LBB16_358
; %bb.354:
	s_cmp_eq_u32 s9, 2
	s_cbranch_scc0 .LBB16_540
; %bb.355:
	v_cmp_le_i16_sdwa s[6:7], sext(v16), s46 src0_sel:BYTE_0 src1_sel:DWORD
	s_mov_b64 s[10:11], 0
	s_branch .LBB16_360
.LBB16_356:
	v_cmp_lt_i16_sdwa s[10:11], sext(v17), s46 src0_sel:BYTE_0 src1_sel:DWORD
	s_andn2_b64 s[6:7], s[6:7], exec
	s_and_b64 s[10:11], s[10:11], exec
	s_or_b64 s[6:7], s[6:7], s[10:11]
	s_cbranch_execz .LBB16_349
	s_branch .LBB16_350
.LBB16_357:
                                        ; implicit-def: $sgpr6_sgpr7
	s_mov_b64 s[10:11], 0
	s_cbranch_execnz .LBB16_361
	s_branch .LBB16_362
.LBB16_358:
	s_mov_b64 s[10:11], 0
                                        ; implicit-def: $sgpr6_sgpr7
	s_cbranch_execz .LBB16_360
; %bb.359:
	v_cmp_gt_i16_sdwa s[14:15], sext(v16), s46 src0_sel:BYTE_0 src1_sel:DWORD
	s_andn2_b64 s[6:7], s[6:7], exec
	s_and_b64 s[14:15], s[14:15], exec
	s_or_b64 s[6:7], s[6:7], s[14:15]
.LBB16_360:
	s_branch .LBB16_362
.LBB16_361:
	s_cmp_lg_u32 s9, 0
	s_mov_b64 s[4:5], -1
	s_cselect_b64 s[10:11], -1, 0
.LBB16_362:
	s_andn2_b64 vcc, exec, s[10:11]
	s_cbranch_vccz .LBB16_371
; %bb.363:
	s_andn2_b64 vcc, exec, s[4:5]
	s_cbranch_vccnz .LBB16_365
.LBB16_364:
	v_cmp_ge_i16_sdwa s[4:5], sext(v16), s46 src0_sel:BYTE_0 src1_sel:DWORD
	s_andn2_b64 s[6:7], s[6:7], exec
	s_and_b64 s[4:5], s[4:5], exec
	s_or_b64 s[6:7], s[6:7], s[4:5]
.LBB16_365:
	s_movk_i32 s4, 0xff00
	v_and_b32_sdwa v16, v8, s4 dst_sel:DWORD dst_unused:UNUSED_PAD src0_sel:WORD_1 src1_sel:DWORD
	v_cndmask_b32_e64 v17, 0, 1, s[6:7]
	v_or_b32_sdwa v16, v17, v16 dst_sel:WORD_1 dst_unused:UNUSED_PAD src0_sel:DWORD src1_sel:DWORD
	s_mov_b32 s4, 0xffff
	v_and_or_b32 v8, v8, s4, v16
.LBB16_366:
	s_or_b64 exec, exec, s[2:3]
	v_or_b32_e32 v16, 0x700, v0
	v_cmp_gt_i32_e32 vcc, s8, v16
	s_and_saveexec_b64 s[2:3], vcc
	s_cbranch_execz .LBB16_381
; %bb.367:
	s_cmp_lt_i32 s9, 1
	s_mov_b64 s[4:5], 0
	s_cbranch_scc1 .LBB16_372
; %bb.368:
	s_cmp_gt_i32 s9, 1
	s_cbranch_scc0 .LBB16_373
; %bb.369:
	s_cmp_eq_u32 s9, 2
	s_cbranch_scc0 .LBB16_541
; %bb.370:
	v_cmp_le_i16_sdwa s[6:7], sext(v15), s46 src0_sel:BYTE_0 src1_sel:DWORD
	s_mov_b64 s[10:11], 0
	s_branch .LBB16_375
.LBB16_371:
	v_cmp_lt_i16_sdwa s[10:11], sext(v16), s46 src0_sel:BYTE_0 src1_sel:DWORD
	s_andn2_b64 s[6:7], s[6:7], exec
	s_and_b64 s[10:11], s[10:11], exec
	s_or_b64 s[6:7], s[6:7], s[10:11]
	s_cbranch_execz .LBB16_364
	s_branch .LBB16_365
.LBB16_372:
                                        ; implicit-def: $sgpr6_sgpr7
	s_mov_b64 s[10:11], 0
	s_cbranch_execnz .LBB16_376
	s_branch .LBB16_377
.LBB16_373:
	s_mov_b64 s[10:11], 0
                                        ; implicit-def: $sgpr6_sgpr7
	s_cbranch_execz .LBB16_375
; %bb.374:
	v_cmp_gt_i16_sdwa s[14:15], sext(v15), s46 src0_sel:BYTE_0 src1_sel:DWORD
	s_andn2_b64 s[6:7], s[6:7], exec
	s_and_b64 s[14:15], s[14:15], exec
	s_or_b64 s[6:7], s[6:7], s[14:15]
.LBB16_375:
	s_branch .LBB16_377
.LBB16_376:
	s_cmp_lg_u32 s9, 0
	s_mov_b64 s[4:5], -1
	s_cselect_b64 s[10:11], -1, 0
.LBB16_377:
	s_andn2_b64 vcc, exec, s[10:11]
	s_cbranch_vccz .LBB16_386
; %bb.378:
	s_andn2_b64 vcc, exec, s[4:5]
	s_cbranch_vccnz .LBB16_380
.LBB16_379:
	v_cmp_ge_i16_sdwa s[4:5], sext(v15), s46 src0_sel:BYTE_0 src1_sel:DWORD
	s_andn2_b64 s[6:7], s[6:7], exec
	s_and_b64 s[4:5], s[4:5], exec
	s_or_b64 s[6:7], s[6:7], s[4:5]
.LBB16_380:
	s_movk_i32 s4, 0xff
	v_cndmask_b32_e64 v16, 0, 1, s[6:7]
	v_and_b32_sdwa v15, v8, s4 dst_sel:DWORD dst_unused:UNUSED_PAD src0_sel:WORD_1 src1_sel:DWORD
	v_lshlrev_b16_e32 v16, 8, v16
	v_or_b32_sdwa v15, v15, v16 dst_sel:WORD_1 dst_unused:UNUSED_PAD src0_sel:DWORD src1_sel:DWORD
	s_mov_b32 s4, 0xffff
	v_and_or_b32 v8, v8, s4, v15
.LBB16_381:
	s_or_b64 exec, exec, s[2:3]
	v_or_b32_e32 v15, 0x800, v0
	v_cmp_gt_i32_e32 vcc, s8, v15
	s_and_saveexec_b64 s[2:3], vcc
	s_cbranch_execz .LBB16_396
; %bb.382:
	s_cmp_lt_i32 s9, 1
	s_mov_b64 s[4:5], 0
	s_cbranch_scc1 .LBB16_387
; %bb.383:
	s_cmp_gt_i32 s9, 1
	s_cbranch_scc0 .LBB16_388
; %bb.384:
	s_cmp_eq_u32 s9, 2
	s_cbranch_scc0 .LBB16_542
; %bb.385:
	v_cmp_le_i16_sdwa s[6:7], sext(v14), s46 src0_sel:BYTE_0 src1_sel:DWORD
	s_mov_b64 s[10:11], 0
	s_branch .LBB16_390
.LBB16_386:
	v_cmp_lt_i16_sdwa s[10:11], sext(v15), s46 src0_sel:BYTE_0 src1_sel:DWORD
	s_andn2_b64 s[6:7], s[6:7], exec
	s_and_b64 s[10:11], s[10:11], exec
	s_or_b64 s[6:7], s[6:7], s[10:11]
	s_cbranch_execz .LBB16_379
	s_branch .LBB16_380
.LBB16_387:
                                        ; implicit-def: $sgpr6_sgpr7
	s_mov_b64 s[10:11], 0
	s_cbranch_execnz .LBB16_391
	s_branch .LBB16_392
.LBB16_388:
	s_mov_b64 s[10:11], 0
                                        ; implicit-def: $sgpr6_sgpr7
	s_cbranch_execz .LBB16_390
; %bb.389:
	v_cmp_gt_i16_sdwa s[14:15], sext(v14), s46 src0_sel:BYTE_0 src1_sel:DWORD
	s_andn2_b64 s[6:7], s[6:7], exec
	s_and_b64 s[14:15], s[14:15], exec
	s_or_b64 s[6:7], s[6:7], s[14:15]
.LBB16_390:
	s_branch .LBB16_392
.LBB16_391:
	s_cmp_lg_u32 s9, 0
	s_mov_b64 s[4:5], -1
	s_cselect_b64 s[10:11], -1, 0
.LBB16_392:
	s_andn2_b64 vcc, exec, s[10:11]
	s_cbranch_vccz .LBB16_401
; %bb.393:
	s_andn2_b64 vcc, exec, s[4:5]
	s_cbranch_vccnz .LBB16_395
.LBB16_394:
	v_cmp_ge_i16_sdwa s[4:5], sext(v14), s46 src0_sel:BYTE_0 src1_sel:DWORD
	s_andn2_b64 s[6:7], s[6:7], exec
	s_and_b64 s[4:5], s[4:5], exec
	s_or_b64 s[6:7], s[6:7], s[4:5]
.LBB16_395:
	v_and_b32_e32 v14, 0xffffff00, v2
	v_cndmask_b32_e64 v15, 0, 1, s[6:7]
	v_or_b32_e32 v14, v15, v14
	v_and_b32_e32 v14, 0xffff, v14
	s_mov_b32 s4, 0xffff0000
	v_and_or_b32 v2, v2, s4, v14
.LBB16_396:
	s_or_b64 exec, exec, s[2:3]
	v_or_b32_e32 v14, 0x900, v0
	v_cmp_gt_i32_e32 vcc, s8, v14
	s_and_saveexec_b64 s[2:3], vcc
	s_cbranch_execz .LBB16_411
; %bb.397:
	s_cmp_lt_i32 s9, 1
	s_mov_b64 s[4:5], 0
	s_cbranch_scc1 .LBB16_402
; %bb.398:
	s_cmp_gt_i32 s9, 1
	s_cbranch_scc0 .LBB16_403
; %bb.399:
	s_cmp_eq_u32 s9, 2
	s_cbranch_scc0 .LBB16_543
; %bb.400:
	v_cmp_le_i16_sdwa s[6:7], sext(v13), s46 src0_sel:BYTE_0 src1_sel:DWORD
	s_mov_b64 s[10:11], 0
	s_branch .LBB16_405
.LBB16_401:
	v_cmp_lt_i16_sdwa s[10:11], sext(v14), s46 src0_sel:BYTE_0 src1_sel:DWORD
	s_andn2_b64 s[6:7], s[6:7], exec
	s_and_b64 s[10:11], s[10:11], exec
	s_or_b64 s[6:7], s[6:7], s[10:11]
	s_cbranch_execz .LBB16_394
	s_branch .LBB16_395
.LBB16_402:
                                        ; implicit-def: $sgpr6_sgpr7
	s_mov_b64 s[10:11], 0
	s_cbranch_execnz .LBB16_406
	s_branch .LBB16_407
.LBB16_403:
	s_mov_b64 s[10:11], 0
                                        ; implicit-def: $sgpr6_sgpr7
	s_cbranch_execz .LBB16_405
; %bb.404:
	v_cmp_gt_i16_sdwa s[14:15], sext(v13), s46 src0_sel:BYTE_0 src1_sel:DWORD
	s_andn2_b64 s[6:7], s[6:7], exec
	s_and_b64 s[14:15], s[14:15], exec
	s_or_b64 s[6:7], s[6:7], s[14:15]
.LBB16_405:
	s_branch .LBB16_407
.LBB16_406:
	s_cmp_lg_u32 s9, 0
	s_mov_b64 s[4:5], -1
	s_cselect_b64 s[10:11], -1, 0
.LBB16_407:
	s_andn2_b64 vcc, exec, s[10:11]
	s_cbranch_vccz .LBB16_416
; %bb.408:
	s_andn2_b64 vcc, exec, s[4:5]
	s_cbranch_vccnz .LBB16_410
.LBB16_409:
	v_cmp_ge_i16_sdwa s[4:5], sext(v13), s46 src0_sel:BYTE_0 src1_sel:DWORD
	s_andn2_b64 s[6:7], s[6:7], exec
	s_and_b64 s[4:5], s[4:5], exec
	s_or_b64 s[6:7], s[6:7], s[4:5]
.LBB16_410:
	v_cndmask_b32_e64 v13, 0, 1, s[6:7]
	v_lshlrev_b16_e32 v13, 8, v13
	v_or_b32_sdwa v13, v2, v13 dst_sel:DWORD dst_unused:UNUSED_PAD src0_sel:BYTE_0 src1_sel:DWORD
	v_and_b32_e32 v13, 0xffff, v13
	s_mov_b32 s4, 0xffff0000
	v_and_or_b32 v2, v2, s4, v13
.LBB16_411:
	s_or_b64 exec, exec, s[2:3]
	v_or_b32_e32 v13, 0xa00, v0
	v_cmp_gt_i32_e32 vcc, s8, v13
	s_and_saveexec_b64 s[2:3], vcc
	s_cbranch_execz .LBB16_426
; %bb.412:
	s_cmp_lt_i32 s9, 1
	s_mov_b64 s[4:5], 0
	s_cbranch_scc1 .LBB16_417
; %bb.413:
	s_cmp_gt_i32 s9, 1
	s_cbranch_scc0 .LBB16_418
; %bb.414:
	s_cmp_eq_u32 s9, 2
	s_cbranch_scc0 .LBB16_544
; %bb.415:
	v_cmp_le_i16_sdwa s[6:7], sext(v12), s46 src0_sel:BYTE_0 src1_sel:DWORD
	s_mov_b64 s[10:11], 0
	s_branch .LBB16_420
.LBB16_416:
	v_cmp_lt_i16_sdwa s[10:11], sext(v13), s46 src0_sel:BYTE_0 src1_sel:DWORD
	s_andn2_b64 s[6:7], s[6:7], exec
	s_and_b64 s[10:11], s[10:11], exec
	s_or_b64 s[6:7], s[6:7], s[10:11]
	s_cbranch_execz .LBB16_409
	s_branch .LBB16_410
.LBB16_417:
                                        ; implicit-def: $sgpr6_sgpr7
	s_mov_b64 s[10:11], 0
	s_cbranch_execnz .LBB16_421
	s_branch .LBB16_422
.LBB16_418:
	s_mov_b64 s[10:11], 0
                                        ; implicit-def: $sgpr6_sgpr7
	s_cbranch_execz .LBB16_420
; %bb.419:
	v_cmp_gt_i16_sdwa s[14:15], sext(v12), s46 src0_sel:BYTE_0 src1_sel:DWORD
	s_andn2_b64 s[6:7], s[6:7], exec
	s_and_b64 s[14:15], s[14:15], exec
	s_or_b64 s[6:7], s[6:7], s[14:15]
.LBB16_420:
	s_branch .LBB16_422
.LBB16_421:
	s_cmp_lg_u32 s9, 0
	s_mov_b64 s[4:5], -1
	s_cselect_b64 s[10:11], -1, 0
.LBB16_422:
	s_andn2_b64 vcc, exec, s[10:11]
	s_cbranch_vccz .LBB16_431
; %bb.423:
	s_andn2_b64 vcc, exec, s[4:5]
	s_cbranch_vccnz .LBB16_425
.LBB16_424:
	v_cmp_ge_i16_sdwa s[4:5], sext(v12), s46 src0_sel:BYTE_0 src1_sel:DWORD
	s_andn2_b64 s[6:7], s[6:7], exec
	s_and_b64 s[4:5], s[4:5], exec
	s_or_b64 s[6:7], s[6:7], s[4:5]
.LBB16_425:
	s_movk_i32 s4, 0xff00
	v_and_b32_sdwa v12, v2, s4 dst_sel:DWORD dst_unused:UNUSED_PAD src0_sel:WORD_1 src1_sel:DWORD
	v_cndmask_b32_e64 v13, 0, 1, s[6:7]
	v_or_b32_sdwa v12, v13, v12 dst_sel:WORD_1 dst_unused:UNUSED_PAD src0_sel:DWORD src1_sel:DWORD
	s_mov_b32 s4, 0xffff
	v_and_or_b32 v2, v2, s4, v12
.LBB16_426:
	s_or_b64 exec, exec, s[2:3]
	v_or_b32_e32 v12, 0xb00, v0
	v_cmp_gt_i32_e32 vcc, s8, v12
	s_and_saveexec_b64 s[2:3], vcc
	s_cbranch_execz .LBB16_441
; %bb.427:
	s_cmp_lt_i32 s9, 1
	s_mov_b64 s[4:5], 0
	s_cbranch_scc1 .LBB16_432
; %bb.428:
	s_cmp_gt_i32 s9, 1
	s_cbranch_scc0 .LBB16_433
; %bb.429:
	s_cmp_eq_u32 s9, 2
	s_cbranch_scc0 .LBB16_545
; %bb.430:
	v_cmp_le_i16_sdwa s[6:7], sext(v11), s46 src0_sel:BYTE_0 src1_sel:DWORD
	s_mov_b64 s[10:11], 0
	s_branch .LBB16_435
.LBB16_431:
	v_cmp_lt_i16_sdwa s[10:11], sext(v12), s46 src0_sel:BYTE_0 src1_sel:DWORD
	s_andn2_b64 s[6:7], s[6:7], exec
	s_and_b64 s[10:11], s[10:11], exec
	s_or_b64 s[6:7], s[6:7], s[10:11]
	s_cbranch_execz .LBB16_424
	s_branch .LBB16_425
.LBB16_432:
                                        ; implicit-def: $sgpr6_sgpr7
	s_mov_b64 s[10:11], 0
	s_cbranch_execnz .LBB16_436
	s_branch .LBB16_437
.LBB16_433:
	s_mov_b64 s[10:11], 0
                                        ; implicit-def: $sgpr6_sgpr7
	s_cbranch_execz .LBB16_435
; %bb.434:
	v_cmp_gt_i16_sdwa s[14:15], sext(v11), s46 src0_sel:BYTE_0 src1_sel:DWORD
	s_andn2_b64 s[6:7], s[6:7], exec
	s_and_b64 s[14:15], s[14:15], exec
	s_or_b64 s[6:7], s[6:7], s[14:15]
.LBB16_435:
	s_branch .LBB16_437
.LBB16_436:
	s_cmp_lg_u32 s9, 0
	s_mov_b64 s[4:5], -1
	s_cselect_b64 s[10:11], -1, 0
.LBB16_437:
	s_andn2_b64 vcc, exec, s[10:11]
	s_cbranch_vccz .LBB16_446
; %bb.438:
	s_andn2_b64 vcc, exec, s[4:5]
	s_cbranch_vccnz .LBB16_440
.LBB16_439:
	v_cmp_ge_i16_sdwa s[4:5], sext(v11), s46 src0_sel:BYTE_0 src1_sel:DWORD
	s_andn2_b64 s[6:7], s[6:7], exec
	s_and_b64 s[4:5], s[4:5], exec
	s_or_b64 s[6:7], s[6:7], s[4:5]
.LBB16_440:
	s_movk_i32 s4, 0xff
	v_cndmask_b32_e64 v12, 0, 1, s[6:7]
	v_and_b32_sdwa v11, v2, s4 dst_sel:DWORD dst_unused:UNUSED_PAD src0_sel:WORD_1 src1_sel:DWORD
	v_lshlrev_b16_e32 v12, 8, v12
	v_or_b32_sdwa v11, v11, v12 dst_sel:WORD_1 dst_unused:UNUSED_PAD src0_sel:DWORD src1_sel:DWORD
	s_mov_b32 s4, 0xffff
	v_and_or_b32 v2, v2, s4, v11
.LBB16_441:
	s_or_b64 exec, exec, s[2:3]
	v_or_b32_e32 v11, 0xc00, v0
	v_cmp_gt_i32_e32 vcc, s8, v11
	s_and_saveexec_b64 s[2:3], vcc
	s_cbranch_execz .LBB16_456
; %bb.442:
	s_cmp_lt_i32 s9, 1
	s_mov_b64 s[4:5], 0
	s_cbranch_scc1 .LBB16_447
; %bb.443:
	s_cmp_gt_i32 s9, 1
	s_cbranch_scc0 .LBB16_448
; %bb.444:
	s_cmp_eq_u32 s9, 2
	s_cbranch_scc0 .LBB16_546
; %bb.445:
	v_cmp_le_i16_sdwa s[6:7], sext(v9), s46 src0_sel:BYTE_0 src1_sel:DWORD
	s_mov_b64 s[10:11], 0
	s_branch .LBB16_450
.LBB16_446:
	v_cmp_lt_i16_sdwa s[10:11], sext(v11), s46 src0_sel:BYTE_0 src1_sel:DWORD
	s_andn2_b64 s[6:7], s[6:7], exec
	s_and_b64 s[10:11], s[10:11], exec
	s_or_b64 s[6:7], s[6:7], s[10:11]
	s_cbranch_execz .LBB16_439
	s_branch .LBB16_440
.LBB16_447:
                                        ; implicit-def: $sgpr6_sgpr7
	s_mov_b64 s[10:11], 0
	s_cbranch_execnz .LBB16_451
	s_branch .LBB16_452
.LBB16_448:
	s_mov_b64 s[10:11], 0
                                        ; implicit-def: $sgpr6_sgpr7
	s_cbranch_execz .LBB16_450
; %bb.449:
	v_cmp_gt_i16_sdwa s[14:15], sext(v9), s46 src0_sel:BYTE_0 src1_sel:DWORD
	s_andn2_b64 s[6:7], s[6:7], exec
	s_and_b64 s[14:15], s[14:15], exec
	s_or_b64 s[6:7], s[6:7], s[14:15]
.LBB16_450:
	s_branch .LBB16_452
.LBB16_451:
	s_cmp_lg_u32 s9, 0
	s_mov_b64 s[4:5], -1
	s_cselect_b64 s[10:11], -1, 0
.LBB16_452:
	s_andn2_b64 vcc, exec, s[10:11]
	s_cbranch_vccz .LBB16_461
; %bb.453:
	s_andn2_b64 vcc, exec, s[4:5]
	s_cbranch_vccnz .LBB16_455
.LBB16_454:
	v_cmp_ge_i16_sdwa s[4:5], sext(v9), s46 src0_sel:BYTE_0 src1_sel:DWORD
	s_andn2_b64 s[6:7], s[6:7], exec
	s_and_b64 s[4:5], s[4:5], exec
	s_or_b64 s[6:7], s[6:7], s[4:5]
.LBB16_455:
	v_and_b32_e32 v9, 0xffffff00, v1
	v_cndmask_b32_e64 v11, 0, 1, s[6:7]
	v_or_b32_e32 v9, v11, v9
	v_and_b32_e32 v9, 0xffff, v9
	s_mov_b32 s4, 0xffff0000
	v_and_or_b32 v1, v1, s4, v9
.LBB16_456:
	s_or_b64 exec, exec, s[2:3]
	v_or_b32_e32 v9, 0xd00, v0
	v_cmp_gt_i32_e32 vcc, s8, v9
	s_and_saveexec_b64 s[2:3], vcc
	s_cbranch_execz .LBB16_471
; %bb.457:
	s_cmp_lt_i32 s9, 1
	s_mov_b64 s[4:5], 0
	s_cbranch_scc1 .LBB16_462
; %bb.458:
	s_cmp_gt_i32 s9, 1
	s_cbranch_scc0 .LBB16_463
; %bb.459:
	s_cmp_eq_u32 s9, 2
	s_cbranch_scc0 .LBB16_547
; %bb.460:
	v_cmp_le_i16_sdwa s[6:7], sext(v7), s46 src0_sel:BYTE_0 src1_sel:DWORD
	s_mov_b64 s[10:11], 0
	s_branch .LBB16_465
.LBB16_461:
	v_cmp_lt_i16_sdwa s[10:11], sext(v9), s46 src0_sel:BYTE_0 src1_sel:DWORD
	s_andn2_b64 s[6:7], s[6:7], exec
	s_and_b64 s[10:11], s[10:11], exec
	s_or_b64 s[6:7], s[6:7], s[10:11]
	s_cbranch_execz .LBB16_454
	s_branch .LBB16_455
.LBB16_462:
                                        ; implicit-def: $sgpr6_sgpr7
	s_mov_b64 s[10:11], 0
	s_cbranch_execnz .LBB16_466
	s_branch .LBB16_467
.LBB16_463:
	s_mov_b64 s[10:11], 0
                                        ; implicit-def: $sgpr6_sgpr7
	s_cbranch_execz .LBB16_465
; %bb.464:
	v_cmp_gt_i16_sdwa s[14:15], sext(v7), s46 src0_sel:BYTE_0 src1_sel:DWORD
	s_andn2_b64 s[6:7], s[6:7], exec
	s_and_b64 s[14:15], s[14:15], exec
	s_or_b64 s[6:7], s[6:7], s[14:15]
.LBB16_465:
	s_branch .LBB16_467
.LBB16_466:
	s_cmp_lg_u32 s9, 0
	s_mov_b64 s[4:5], -1
	s_cselect_b64 s[10:11], -1, 0
.LBB16_467:
	s_andn2_b64 vcc, exec, s[10:11]
	s_cbranch_vccz .LBB16_476
; %bb.468:
	s_andn2_b64 vcc, exec, s[4:5]
	s_cbranch_vccnz .LBB16_470
.LBB16_469:
	v_cmp_ge_i16_sdwa s[4:5], sext(v7), s46 src0_sel:BYTE_0 src1_sel:DWORD
	s_andn2_b64 s[6:7], s[6:7], exec
	s_and_b64 s[4:5], s[4:5], exec
	s_or_b64 s[6:7], s[6:7], s[4:5]
.LBB16_470:
	v_cndmask_b32_e64 v7, 0, 1, s[6:7]
	v_lshlrev_b16_e32 v7, 8, v7
	v_or_b32_sdwa v7, v1, v7 dst_sel:DWORD dst_unused:UNUSED_PAD src0_sel:BYTE_0 src1_sel:DWORD
	v_and_b32_e32 v7, 0xffff, v7
	s_mov_b32 s4, 0xffff0000
	v_and_or_b32 v1, v1, s4, v7
.LBB16_471:
	s_or_b64 exec, exec, s[2:3]
	v_or_b32_e32 v7, 0xe00, v0
	v_cmp_gt_i32_e32 vcc, s8, v7
	s_and_saveexec_b64 s[2:3], vcc
	s_cbranch_execz .LBB16_486
; %bb.472:
	s_cmp_lt_i32 s9, 1
	s_mov_b64 s[4:5], 0
	s_cbranch_scc1 .LBB16_477
; %bb.473:
	s_cmp_gt_i32 s9, 1
	s_cbranch_scc0 .LBB16_478
; %bb.474:
	s_cmp_eq_u32 s9, 2
	s_cbranch_scc0 .LBB16_548
; %bb.475:
	v_cmp_le_i16_sdwa s[6:7], sext(v6), s46 src0_sel:BYTE_0 src1_sel:DWORD
	s_mov_b64 s[10:11], 0
	s_branch .LBB16_480
.LBB16_476:
	v_cmp_lt_i16_sdwa s[10:11], sext(v7), s46 src0_sel:BYTE_0 src1_sel:DWORD
	s_andn2_b64 s[6:7], s[6:7], exec
	s_and_b64 s[10:11], s[10:11], exec
	s_or_b64 s[6:7], s[6:7], s[10:11]
	s_cbranch_execz .LBB16_469
	s_branch .LBB16_470
.LBB16_477:
                                        ; implicit-def: $sgpr6_sgpr7
	s_mov_b64 s[10:11], 0
	s_cbranch_execnz .LBB16_481
	s_branch .LBB16_482
.LBB16_478:
	s_mov_b64 s[10:11], 0
                                        ; implicit-def: $sgpr6_sgpr7
	s_cbranch_execz .LBB16_480
; %bb.479:
	v_cmp_gt_i16_sdwa s[14:15], sext(v6), s46 src0_sel:BYTE_0 src1_sel:DWORD
	s_andn2_b64 s[6:7], s[6:7], exec
	s_and_b64 s[14:15], s[14:15], exec
	s_or_b64 s[6:7], s[6:7], s[14:15]
.LBB16_480:
	s_branch .LBB16_482
.LBB16_481:
	s_cmp_lg_u32 s9, 0
	s_mov_b64 s[4:5], -1
	s_cselect_b64 s[10:11], -1, 0
.LBB16_482:
	s_andn2_b64 vcc, exec, s[10:11]
	s_cbranch_vccz .LBB16_491
; %bb.483:
	s_andn2_b64 vcc, exec, s[4:5]
	s_cbranch_vccnz .LBB16_485
.LBB16_484:
	v_cmp_ge_i16_sdwa s[4:5], sext(v6), s46 src0_sel:BYTE_0 src1_sel:DWORD
	s_andn2_b64 s[6:7], s[6:7], exec
	s_and_b64 s[4:5], s[4:5], exec
	s_or_b64 s[6:7], s[6:7], s[4:5]
.LBB16_485:
	s_movk_i32 s4, 0xff00
	v_and_b32_sdwa v6, v1, s4 dst_sel:DWORD dst_unused:UNUSED_PAD src0_sel:WORD_1 src1_sel:DWORD
	v_cndmask_b32_e64 v7, 0, 1, s[6:7]
	v_or_b32_sdwa v6, v7, v6 dst_sel:WORD_1 dst_unused:UNUSED_PAD src0_sel:DWORD src1_sel:DWORD
	s_mov_b32 s4, 0xffff
	v_and_or_b32 v1, v1, s4, v6
.LBB16_486:
	s_or_b64 exec, exec, s[2:3]
	v_or_b32_e32 v6, 0xf00, v0
	v_cmp_gt_i32_e32 vcc, s8, v6
	s_and_saveexec_b64 s[2:3], vcc
	s_cbranch_execz .LBB16_501
; %bb.487:
	s_cmp_lt_i32 s9, 1
	s_mov_b64 s[4:5], 0
	s_cbranch_scc1 .LBB16_492
; %bb.488:
	s_cmp_gt_i32 s9, 1
	s_cbranch_scc0 .LBB16_493
; %bb.489:
	s_cmp_eq_u32 s9, 2
	s_cbranch_scc0 .LBB16_549
; %bb.490:
	v_cmp_le_i16_sdwa s[6:7], sext(v5), s46 src0_sel:BYTE_0 src1_sel:DWORD
	s_mov_b64 s[10:11], 0
	s_branch .LBB16_495
.LBB16_491:
	v_cmp_lt_i16_sdwa s[10:11], sext(v6), s46 src0_sel:BYTE_0 src1_sel:DWORD
	s_andn2_b64 s[6:7], s[6:7], exec
	s_and_b64 s[10:11], s[10:11], exec
	s_or_b64 s[6:7], s[6:7], s[10:11]
	s_cbranch_execz .LBB16_484
	s_branch .LBB16_485
.LBB16_492:
                                        ; implicit-def: $sgpr6_sgpr7
	s_mov_b64 s[10:11], 0
	s_cbranch_execnz .LBB16_496
	s_branch .LBB16_497
.LBB16_493:
	s_mov_b64 s[10:11], 0
                                        ; implicit-def: $sgpr6_sgpr7
	s_cbranch_execz .LBB16_495
; %bb.494:
	v_cmp_gt_i16_sdwa s[14:15], sext(v5), s46 src0_sel:BYTE_0 src1_sel:DWORD
	s_andn2_b64 s[6:7], s[6:7], exec
	s_and_b64 s[14:15], s[14:15], exec
	s_or_b64 s[6:7], s[6:7], s[14:15]
.LBB16_495:
	s_branch .LBB16_497
.LBB16_496:
	s_cmp_lg_u32 s9, 0
	s_mov_b64 s[4:5], -1
	s_cselect_b64 s[10:11], -1, 0
.LBB16_497:
	s_andn2_b64 vcc, exec, s[10:11]
	s_cbranch_vccz .LBB16_534
; %bb.498:
	s_andn2_b64 vcc, exec, s[4:5]
	s_cbranch_vccnz .LBB16_500
.LBB16_499:
	v_cmp_ge_i16_sdwa s[4:5], sext(v5), s46 src0_sel:BYTE_0 src1_sel:DWORD
	s_andn2_b64 s[6:7], s[6:7], exec
	s_and_b64 s[4:5], s[4:5], exec
	s_or_b64 s[6:7], s[6:7], s[4:5]
.LBB16_500:
	s_movk_i32 s4, 0xff
	v_cndmask_b32_e64 v6, 0, 1, s[6:7]
	v_and_b32_sdwa v5, v1, s4 dst_sel:DWORD dst_unused:UNUSED_PAD src0_sel:WORD_1 src1_sel:DWORD
	v_lshlrev_b16_e32 v6, 8, v6
	v_or_b32_sdwa v5, v5, v6 dst_sel:WORD_1 dst_unused:UNUSED_PAD src0_sel:DWORD src1_sel:DWORD
	s_mov_b32 s4, 0xffff
	v_and_or_b32 v1, v1, s4, v5
.LBB16_501:
	s_or_b64 exec, exec, s[2:3]
	s_and_saveexec_b64 s[2:3], s[0:1]
	s_xor_b64 s[0:1], exec, s[2:3]
	s_cbranch_execz .LBB16_503
; %bb.502:
	v_mov_b32_e32 v0, v10
	global_store_byte v3, v4, s[12:13]
.LBB16_503:
	s_or_b64 exec, exec, s[0:1]
	v_cmp_gt_i32_e32 vcc, s8, v0
	s_and_saveexec_b64 s[0:1], vcc
	s_cbranch_execnz .LBB16_520
; %bb.504:
	s_or_b64 exec, exec, s[0:1]
	v_cmp_gt_i32_e32 vcc, s8, v0
	s_and_saveexec_b64 s[0:1], vcc
	s_cbranch_execnz .LBB16_521
.LBB16_505:
	s_or_b64 exec, exec, s[0:1]
	v_cmp_gt_i32_e32 vcc, s8, v0
	s_and_saveexec_b64 s[0:1], vcc
	s_cbranch_execnz .LBB16_522
.LBB16_506:
	s_or_b64 exec, exec, s[0:1]
	v_cmp_gt_i32_e32 vcc, s8, v0
	s_and_saveexec_b64 s[0:1], vcc
	s_cbranch_execnz .LBB16_523
.LBB16_507:
	s_or_b64 exec, exec, s[0:1]
	v_cmp_gt_i32_e32 vcc, s8, v0
	s_and_saveexec_b64 s[0:1], vcc
	s_cbranch_execnz .LBB16_524
.LBB16_508:
	s_or_b64 exec, exec, s[0:1]
	v_cmp_gt_i32_e32 vcc, s8, v0
	s_and_saveexec_b64 s[0:1], vcc
	s_cbranch_execnz .LBB16_525
.LBB16_509:
	s_or_b64 exec, exec, s[0:1]
	v_cmp_gt_i32_e32 vcc, s8, v0
	s_and_saveexec_b64 s[0:1], vcc
	s_cbranch_execnz .LBB16_526
.LBB16_510:
	s_or_b64 exec, exec, s[0:1]
	v_cmp_gt_i32_e32 vcc, s8, v0
	s_and_saveexec_b64 s[0:1], vcc
	s_cbranch_execnz .LBB16_527
.LBB16_511:
	s_or_b64 exec, exec, s[0:1]
	v_cmp_gt_i32_e32 vcc, s8, v0
	s_and_saveexec_b64 s[0:1], vcc
	s_cbranch_execnz .LBB16_528
.LBB16_512:
	s_or_b64 exec, exec, s[0:1]
	v_cmp_gt_i32_e32 vcc, s8, v0
	s_and_saveexec_b64 s[0:1], vcc
	s_cbranch_execnz .LBB16_529
.LBB16_513:
	s_or_b64 exec, exec, s[0:1]
	v_cmp_gt_i32_e32 vcc, s8, v0
	s_and_saveexec_b64 s[0:1], vcc
	s_cbranch_execnz .LBB16_530
.LBB16_514:
	s_or_b64 exec, exec, s[0:1]
	v_cmp_gt_i32_e32 vcc, s8, v0
	s_and_saveexec_b64 s[0:1], vcc
	s_cbranch_execnz .LBB16_531
.LBB16_515:
	s_or_b64 exec, exec, s[0:1]
	v_cmp_gt_i32_e32 vcc, s8, v0
	s_and_saveexec_b64 s[0:1], vcc
	s_cbranch_execnz .LBB16_532
.LBB16_516:
	s_or_b64 exec, exec, s[0:1]
	v_cmp_gt_i32_e32 vcc, s8, v0
	s_and_saveexec_b64 s[0:1], vcc
	s_cbranch_execnz .LBB16_533
.LBB16_517:
	s_or_b64 exec, exec, s[0:1]
	v_cmp_gt_i32_e32 vcc, s8, v0
	s_and_saveexec_b64 s[0:1], vcc
	s_cbranch_execz .LBB16_519
.LBB16_518:
	v_lshrrev_b32_e32 v1, 24, v1
	v_add_u32_e32 v0, s33, v0
	global_store_byte v0, v1, s[12:13]
.LBB16_519:
	s_endpgm
.LBB16_520:
	v_lshrrev_b32_e32 v3, 8, v4
	v_add_u32_e32 v5, s33, v0
	v_add_u32_e32 v0, 0x100, v0
	global_store_byte v5, v3, s[12:13]
	s_or_b64 exec, exec, s[0:1]
	v_cmp_gt_i32_e32 vcc, s8, v0
	s_and_saveexec_b64 s[0:1], vcc
	s_cbranch_execz .LBB16_505
.LBB16_521:
	v_add_u32_e32 v3, s33, v0
	v_add_u32_e32 v0, 0x100, v0
	global_store_byte_d16_hi v3, v4, s[12:13]
	s_or_b64 exec, exec, s[0:1]
	v_cmp_gt_i32_e32 vcc, s8, v0
	s_and_saveexec_b64 s[0:1], vcc
	s_cbranch_execz .LBB16_506
.LBB16_522:
	v_lshrrev_b32_e32 v3, 24, v4
	v_add_u32_e32 v4, s33, v0
	v_add_u32_e32 v0, 0x100, v0
	global_store_byte v4, v3, s[12:13]
	s_or_b64 exec, exec, s[0:1]
	v_cmp_gt_i32_e32 vcc, s8, v0
	s_and_saveexec_b64 s[0:1], vcc
	s_cbranch_execz .LBB16_507
.LBB16_523:
	v_add_u32_e32 v3, s33, v0
	v_add_u32_e32 v0, 0x100, v0
	global_store_byte v3, v8, s[12:13]
	s_or_b64 exec, exec, s[0:1]
	v_cmp_gt_i32_e32 vcc, s8, v0
	s_and_saveexec_b64 s[0:1], vcc
	s_cbranch_execz .LBB16_508
.LBB16_524:
	v_lshrrev_b32_e32 v3, 8, v8
	v_add_u32_e32 v4, s33, v0
	v_add_u32_e32 v0, 0x100, v0
	global_store_byte v4, v3, s[12:13]
	s_or_b64 exec, exec, s[0:1]
	v_cmp_gt_i32_e32 vcc, s8, v0
	s_and_saveexec_b64 s[0:1], vcc
	s_cbranch_execz .LBB16_509
.LBB16_525:
	v_add_u32_e32 v3, s33, v0
	v_add_u32_e32 v0, 0x100, v0
	global_store_byte_d16_hi v3, v8, s[12:13]
	s_or_b64 exec, exec, s[0:1]
	v_cmp_gt_i32_e32 vcc, s8, v0
	s_and_saveexec_b64 s[0:1], vcc
	s_cbranch_execz .LBB16_510
.LBB16_526:
	v_lshrrev_b32_e32 v3, 24, v8
	v_add_u32_e32 v4, s33, v0
	v_add_u32_e32 v0, 0x100, v0
	global_store_byte v4, v3, s[12:13]
	s_or_b64 exec, exec, s[0:1]
	v_cmp_gt_i32_e32 vcc, s8, v0
	s_and_saveexec_b64 s[0:1], vcc
	s_cbranch_execz .LBB16_511
.LBB16_527:
	v_add_u32_e32 v3, s33, v0
	v_add_u32_e32 v0, 0x100, v0
	global_store_byte v3, v2, s[12:13]
	s_or_b64 exec, exec, s[0:1]
	v_cmp_gt_i32_e32 vcc, s8, v0
	s_and_saveexec_b64 s[0:1], vcc
	s_cbranch_execz .LBB16_512
.LBB16_528:
	v_lshrrev_b32_e32 v3, 8, v2
	v_add_u32_e32 v4, s33, v0
	v_add_u32_e32 v0, 0x100, v0
	global_store_byte v4, v3, s[12:13]
	s_or_b64 exec, exec, s[0:1]
	v_cmp_gt_i32_e32 vcc, s8, v0
	s_and_saveexec_b64 s[0:1], vcc
	s_cbranch_execz .LBB16_513
.LBB16_529:
	v_add_u32_e32 v3, s33, v0
	v_add_u32_e32 v0, 0x100, v0
	global_store_byte_d16_hi v3, v2, s[12:13]
	s_or_b64 exec, exec, s[0:1]
	v_cmp_gt_i32_e32 vcc, s8, v0
	s_and_saveexec_b64 s[0:1], vcc
	s_cbranch_execz .LBB16_514
.LBB16_530:
	v_lshrrev_b32_e32 v2, 24, v2
	v_add_u32_e32 v3, s33, v0
	v_add_u32_e32 v0, 0x100, v0
	global_store_byte v3, v2, s[12:13]
	s_or_b64 exec, exec, s[0:1]
	v_cmp_gt_i32_e32 vcc, s8, v0
	s_and_saveexec_b64 s[0:1], vcc
	s_cbranch_execz .LBB16_515
.LBB16_531:
	v_add_u32_e32 v2, s33, v0
	v_add_u32_e32 v0, 0x100, v0
	global_store_byte v2, v1, s[12:13]
	s_or_b64 exec, exec, s[0:1]
	v_cmp_gt_i32_e32 vcc, s8, v0
	s_and_saveexec_b64 s[0:1], vcc
	s_cbranch_execz .LBB16_516
.LBB16_532:
	v_lshrrev_b32_e32 v2, 8, v1
	v_add_u32_e32 v3, s33, v0
	v_add_u32_e32 v0, 0x100, v0
	global_store_byte v3, v2, s[12:13]
	s_or_b64 exec, exec, s[0:1]
	v_cmp_gt_i32_e32 vcc, s8, v0
	s_and_saveexec_b64 s[0:1], vcc
	s_cbranch_execz .LBB16_517
.LBB16_533:
	v_add_u32_e32 v2, s33, v0
	v_add_u32_e32 v0, 0x100, v0
	global_store_byte_d16_hi v2, v1, s[12:13]
	s_or_b64 exec, exec, s[0:1]
	v_cmp_gt_i32_e32 vcc, s8, v0
	s_and_saveexec_b64 s[0:1], vcc
	s_cbranch_execnz .LBB16_518
	s_branch .LBB16_519
.LBB16_534:
	v_cmp_lt_i16_sdwa s[10:11], sext(v5), s46 src0_sel:BYTE_0 src1_sel:DWORD
	s_andn2_b64 s[6:7], s[6:7], exec
	s_and_b64 s[10:11], s[10:11], exec
	s_or_b64 s[6:7], s[6:7], s[10:11]
	s_cbranch_execz .LBB16_499
	s_branch .LBB16_500
.LBB16_535:
	s_mov_b64 s[10:11], -1
                                        ; implicit-def: $sgpr6_sgpr7
	s_branch .LBB16_285
.LBB16_536:
	s_mov_b64 s[10:11], -1
                                        ; implicit-def: $sgpr6_sgpr7
	s_branch .LBB16_300
.LBB16_537:
	s_mov_b64 s[10:11], -1
                                        ; implicit-def: $sgpr6_sgpr7
	s_branch .LBB16_315
.LBB16_538:
	s_mov_b64 s[10:11], -1
                                        ; implicit-def: $sgpr6_sgpr7
	s_branch .LBB16_330
.LBB16_539:
	s_mov_b64 s[10:11], -1
                                        ; implicit-def: $sgpr6_sgpr7
	s_branch .LBB16_345
.LBB16_540:
	s_mov_b64 s[10:11], -1
                                        ; implicit-def: $sgpr6_sgpr7
	s_branch .LBB16_360
.LBB16_541:
	s_mov_b64 s[10:11], -1
                                        ; implicit-def: $sgpr6_sgpr7
	s_branch .LBB16_375
.LBB16_542:
	s_mov_b64 s[10:11], -1
                                        ; implicit-def: $sgpr6_sgpr7
	s_branch .LBB16_390
.LBB16_543:
	s_mov_b64 s[10:11], -1
                                        ; implicit-def: $sgpr6_sgpr7
	s_branch .LBB16_405
.LBB16_544:
	s_mov_b64 s[10:11], -1
                                        ; implicit-def: $sgpr6_sgpr7
	s_branch .LBB16_420
.LBB16_545:
	s_mov_b64 s[10:11], -1
                                        ; implicit-def: $sgpr6_sgpr7
	s_branch .LBB16_435
.LBB16_546:
	s_mov_b64 s[10:11], -1
                                        ; implicit-def: $sgpr6_sgpr7
	s_branch .LBB16_450
.LBB16_547:
	s_mov_b64 s[10:11], -1
                                        ; implicit-def: $sgpr6_sgpr7
	s_branch .LBB16_465
.LBB16_548:
	s_mov_b64 s[10:11], -1
                                        ; implicit-def: $sgpr6_sgpr7
	s_branch .LBB16_480
.LBB16_549:
	s_mov_b64 s[10:11], -1
                                        ; implicit-def: $sgpr6_sgpr7
	s_branch .LBB16_495
	.section	.rodata,"a",@progbits
	.p2align	6, 0x0
	.amdhsa_kernel _ZN2at6native29vectorized_elementwise_kernelILi16EZNS0_21compare_scalar_kernelIaEEvRNS_18TensorIteratorBaseENS0_12_GLOBAL__N_16OpTypeET_EUlaE_St5arrayIPcLm2EEEEviT0_T1_
		.amdhsa_group_segment_fixed_size 0
		.amdhsa_private_segment_fixed_size 0
		.amdhsa_kernarg_size 32
		.amdhsa_user_sgpr_count 6
		.amdhsa_user_sgpr_private_segment_buffer 1
		.amdhsa_user_sgpr_dispatch_ptr 0
		.amdhsa_user_sgpr_queue_ptr 0
		.amdhsa_user_sgpr_kernarg_segment_ptr 1
		.amdhsa_user_sgpr_dispatch_id 0
		.amdhsa_user_sgpr_flat_scratch_init 0
		.amdhsa_user_sgpr_private_segment_size 0
		.amdhsa_uses_dynamic_stack 0
		.amdhsa_system_sgpr_private_segment_wavefront_offset 0
		.amdhsa_system_sgpr_workgroup_id_x 1
		.amdhsa_system_sgpr_workgroup_id_y 0
		.amdhsa_system_sgpr_workgroup_id_z 0
		.amdhsa_system_sgpr_workgroup_info 0
		.amdhsa_system_vgpr_workitem_id 0
		.amdhsa_next_free_vgpr 22
		.amdhsa_next_free_sgpr 48
		.amdhsa_reserve_vcc 1
		.amdhsa_reserve_flat_scratch 0
		.amdhsa_float_round_mode_32 0
		.amdhsa_float_round_mode_16_64 0
		.amdhsa_float_denorm_mode_32 3
		.amdhsa_float_denorm_mode_16_64 3
		.amdhsa_dx10_clamp 1
		.amdhsa_ieee_mode 1
		.amdhsa_fp16_overflow 0
		.amdhsa_exception_fp_ieee_invalid_op 0
		.amdhsa_exception_fp_denorm_src 0
		.amdhsa_exception_fp_ieee_div_zero 0
		.amdhsa_exception_fp_ieee_overflow 0
		.amdhsa_exception_fp_ieee_underflow 0
		.amdhsa_exception_fp_ieee_inexact 0
		.amdhsa_exception_int_div_zero 0
	.end_amdhsa_kernel
	.section	.text._ZN2at6native29vectorized_elementwise_kernelILi16EZNS0_21compare_scalar_kernelIaEEvRNS_18TensorIteratorBaseENS0_12_GLOBAL__N_16OpTypeET_EUlaE_St5arrayIPcLm2EEEEviT0_T1_,"axG",@progbits,_ZN2at6native29vectorized_elementwise_kernelILi16EZNS0_21compare_scalar_kernelIaEEvRNS_18TensorIteratorBaseENS0_12_GLOBAL__N_16OpTypeET_EUlaE_St5arrayIPcLm2EEEEviT0_T1_,comdat
.Lfunc_end16:
	.size	_ZN2at6native29vectorized_elementwise_kernelILi16EZNS0_21compare_scalar_kernelIaEEvRNS_18TensorIteratorBaseENS0_12_GLOBAL__N_16OpTypeET_EUlaE_St5arrayIPcLm2EEEEviT0_T1_, .Lfunc_end16-_ZN2at6native29vectorized_elementwise_kernelILi16EZNS0_21compare_scalar_kernelIaEEvRNS_18TensorIteratorBaseENS0_12_GLOBAL__N_16OpTypeET_EUlaE_St5arrayIPcLm2EEEEviT0_T1_
                                        ; -- End function
	.set _ZN2at6native29vectorized_elementwise_kernelILi16EZNS0_21compare_scalar_kernelIaEEvRNS_18TensorIteratorBaseENS0_12_GLOBAL__N_16OpTypeET_EUlaE_St5arrayIPcLm2EEEEviT0_T1_.num_vgpr, 22
	.set _ZN2at6native29vectorized_elementwise_kernelILi16EZNS0_21compare_scalar_kernelIaEEvRNS_18TensorIteratorBaseENS0_12_GLOBAL__N_16OpTypeET_EUlaE_St5arrayIPcLm2EEEEviT0_T1_.num_agpr, 0
	.set _ZN2at6native29vectorized_elementwise_kernelILi16EZNS0_21compare_scalar_kernelIaEEvRNS_18TensorIteratorBaseENS0_12_GLOBAL__N_16OpTypeET_EUlaE_St5arrayIPcLm2EEEEviT0_T1_.numbered_sgpr, 48
	.set _ZN2at6native29vectorized_elementwise_kernelILi16EZNS0_21compare_scalar_kernelIaEEvRNS_18TensorIteratorBaseENS0_12_GLOBAL__N_16OpTypeET_EUlaE_St5arrayIPcLm2EEEEviT0_T1_.num_named_barrier, 0
	.set _ZN2at6native29vectorized_elementwise_kernelILi16EZNS0_21compare_scalar_kernelIaEEvRNS_18TensorIteratorBaseENS0_12_GLOBAL__N_16OpTypeET_EUlaE_St5arrayIPcLm2EEEEviT0_T1_.private_seg_size, 0
	.set _ZN2at6native29vectorized_elementwise_kernelILi16EZNS0_21compare_scalar_kernelIaEEvRNS_18TensorIteratorBaseENS0_12_GLOBAL__N_16OpTypeET_EUlaE_St5arrayIPcLm2EEEEviT0_T1_.uses_vcc, 1
	.set _ZN2at6native29vectorized_elementwise_kernelILi16EZNS0_21compare_scalar_kernelIaEEvRNS_18TensorIteratorBaseENS0_12_GLOBAL__N_16OpTypeET_EUlaE_St5arrayIPcLm2EEEEviT0_T1_.uses_flat_scratch, 0
	.set _ZN2at6native29vectorized_elementwise_kernelILi16EZNS0_21compare_scalar_kernelIaEEvRNS_18TensorIteratorBaseENS0_12_GLOBAL__N_16OpTypeET_EUlaE_St5arrayIPcLm2EEEEviT0_T1_.has_dyn_sized_stack, 0
	.set _ZN2at6native29vectorized_elementwise_kernelILi16EZNS0_21compare_scalar_kernelIaEEvRNS_18TensorIteratorBaseENS0_12_GLOBAL__N_16OpTypeET_EUlaE_St5arrayIPcLm2EEEEviT0_T1_.has_recursion, 0
	.set _ZN2at6native29vectorized_elementwise_kernelILi16EZNS0_21compare_scalar_kernelIaEEvRNS_18TensorIteratorBaseENS0_12_GLOBAL__N_16OpTypeET_EUlaE_St5arrayIPcLm2EEEEviT0_T1_.has_indirect_call, 0
	.section	.AMDGPU.csdata,"",@progbits
; Kernel info:
; codeLenInByte = 9028
; TotalNumSgprs: 52
; NumVgprs: 22
; ScratchSize: 0
; MemoryBound: 0
; FloatMode: 240
; IeeeMode: 1
; LDSByteSize: 0 bytes/workgroup (compile time only)
; SGPRBlocks: 6
; VGPRBlocks: 5
; NumSGPRsForWavesPerEU: 52
; NumVGPRsForWavesPerEU: 22
; Occupancy: 10
; WaveLimiterHint : 0
; COMPUTE_PGM_RSRC2:SCRATCH_EN: 0
; COMPUTE_PGM_RSRC2:USER_SGPR: 6
; COMPUTE_PGM_RSRC2:TRAP_HANDLER: 0
; COMPUTE_PGM_RSRC2:TGID_X_EN: 1
; COMPUTE_PGM_RSRC2:TGID_Y_EN: 0
; COMPUTE_PGM_RSRC2:TGID_Z_EN: 0
; COMPUTE_PGM_RSRC2:TIDIG_COMP_CNT: 0
	.section	.text._ZN2at6native29vectorized_elementwise_kernelILi8EZNS0_21compare_scalar_kernelIaEEvRNS_18TensorIteratorBaseENS0_12_GLOBAL__N_16OpTypeET_EUlaE_St5arrayIPcLm2EEEEviT0_T1_,"axG",@progbits,_ZN2at6native29vectorized_elementwise_kernelILi8EZNS0_21compare_scalar_kernelIaEEvRNS_18TensorIteratorBaseENS0_12_GLOBAL__N_16OpTypeET_EUlaE_St5arrayIPcLm2EEEEviT0_T1_,comdat
	.globl	_ZN2at6native29vectorized_elementwise_kernelILi8EZNS0_21compare_scalar_kernelIaEEvRNS_18TensorIteratorBaseENS0_12_GLOBAL__N_16OpTypeET_EUlaE_St5arrayIPcLm2EEEEviT0_T1_ ; -- Begin function _ZN2at6native29vectorized_elementwise_kernelILi8EZNS0_21compare_scalar_kernelIaEEvRNS_18TensorIteratorBaseENS0_12_GLOBAL__N_16OpTypeET_EUlaE_St5arrayIPcLm2EEEEviT0_T1_
	.p2align	8
	.type	_ZN2at6native29vectorized_elementwise_kernelILi8EZNS0_21compare_scalar_kernelIaEEvRNS_18TensorIteratorBaseENS0_12_GLOBAL__N_16OpTypeET_EUlaE_St5arrayIPcLm2EEEEviT0_T1_,@function
_ZN2at6native29vectorized_elementwise_kernelILi8EZNS0_21compare_scalar_kernelIaEEvRNS_18TensorIteratorBaseENS0_12_GLOBAL__N_16OpTypeET_EUlaE_St5arrayIPcLm2EEEEviT0_T1_: ; @_ZN2at6native29vectorized_elementwise_kernelILi8EZNS0_21compare_scalar_kernelIaEEvRNS_18TensorIteratorBaseENS0_12_GLOBAL__N_16OpTypeET_EUlaE_St5arrayIPcLm2EEEEviT0_T1_
; %bb.0:
	s_load_dwordx8 s[8:15], s[4:5], 0x0
	s_lshl_b32 s33, s6, 12
	s_mov_b64 s[0:1], -1
	s_waitcnt lgkmcnt(0)
	s_sub_i32 s8, s8, s33
	s_bfe_i32 s46, s10, 0x80000
	s_cmpk_gt_i32 s8, 0xfff
	s_cbranch_scc0 .LBB17_211
; %bb.1:
	s_ashr_i32 s47, s33, 31
	s_add_u32 s0, s14, s33
	s_addc_u32 s1, s15, s47
	v_lshlrev_b32_e32 v5, 3, v0
	global_load_dwordx2 v[3:4], v5, s[0:1]
	global_load_dwordx2 v[1:2], v5, s[0:1] offset:2048
	s_cmp_lt_i32 s9, 1
	s_mov_b64 s[2:3], 0
	s_cbranch_scc1 .LBB17_5
; %bb.2:
	s_cmp_gt_i32 s9, 1
	s_cbranch_scc0 .LBB17_6
; %bb.3:
	s_cmp_eq_u32 s9, 2
	s_cbranch_scc0 .LBB17_7
; %bb.4:
	s_waitcnt vmcnt(1)
	v_cmp_le_i16_sdwa s[0:1], sext(v3), s46 src0_sel:BYTE_0 src1_sel:DWORD
	s_mov_b64 s[4:5], 0
	s_branch .LBB17_8
.LBB17_5:
                                        ; implicit-def: $sgpr0_sgpr1
	s_mov_b64 s[4:5], 0
	s_cbranch_execnz .LBB17_11
	s_branch .LBB17_12
.LBB17_6:
	s_mov_b64 s[4:5], 0
                                        ; implicit-def: $sgpr0_sgpr1
	s_cbranch_execnz .LBB17_9
	s_branch .LBB17_10
.LBB17_7:
	s_mov_b64 s[4:5], -1
                                        ; implicit-def: $sgpr0_sgpr1
.LBB17_8:
	s_branch .LBB17_10
.LBB17_9:
	s_waitcnt vmcnt(1)
	v_cmp_gt_i16_sdwa s[6:7], sext(v3), s46 src0_sel:BYTE_0 src1_sel:DWORD
	s_andn2_b64 s[0:1], s[0:1], exec
	s_and_b64 s[6:7], s[6:7], exec
	s_or_b64 s[0:1], s[0:1], s[6:7]
.LBB17_10:
	s_branch .LBB17_12
.LBB17_11:
	s_cmp_lg_u32 s9, 0
	s_mov_b64 s[2:3], -1
	s_cselect_b64 s[4:5], -1, 0
.LBB17_12:
	s_andn2_b64 vcc, exec, s[4:5]
	s_cbranch_vccz .LBB17_18
; %bb.13:
	s_andn2_b64 vcc, exec, s[2:3]
	s_cbranch_vccz .LBB17_19
.LBB17_14:
	s_cmp_lt_i32 s9, 1
	s_mov_b64 s[4:5], 0
	s_cbranch_scc1 .LBB17_20
.LBB17_15:
	s_cmp_gt_i32 s9, 1
	s_cbranch_scc0 .LBB17_21
; %bb.16:
	s_cmp_eq_u32 s9, 2
	s_cbranch_scc0 .LBB17_251
; %bb.17:
	s_waitcnt vmcnt(1)
	v_lshrrev_b32_e32 v6, 8, v3
	v_cmp_le_i16_sdwa s[2:3], sext(v6), s46 src0_sel:BYTE_0 src1_sel:DWORD
	s_mov_b64 s[6:7], 0
	s_branch .LBB17_23
.LBB17_18:
	s_waitcnt vmcnt(1)
	v_cmp_lt_i16_sdwa s[4:5], sext(v3), s46 src0_sel:BYTE_0 src1_sel:DWORD
	s_andn2_b64 s[0:1], s[0:1], exec
	s_and_b64 s[4:5], s[4:5], exec
	s_or_b64 s[0:1], s[0:1], s[4:5]
	s_cbranch_execnz .LBB17_14
.LBB17_19:
	s_waitcnt vmcnt(1)
	v_cmp_ge_i16_sdwa s[2:3], sext(v3), s46 src0_sel:BYTE_0 src1_sel:DWORD
	s_andn2_b64 s[0:1], s[0:1], exec
	s_and_b64 s[2:3], s[2:3], exec
	s_or_b64 s[0:1], s[0:1], s[2:3]
	s_cmp_lt_i32 s9, 1
	s_mov_b64 s[4:5], 0
	s_cbranch_scc0 .LBB17_15
.LBB17_20:
                                        ; implicit-def: $sgpr2_sgpr3
	s_mov_b64 s[6:7], 0
	s_cbranch_execnz .LBB17_24
	s_branch .LBB17_25
.LBB17_21:
	s_mov_b64 s[6:7], 0
                                        ; implicit-def: $sgpr2_sgpr3
	s_cbranch_execz .LBB17_23
; %bb.22:
	s_waitcnt vmcnt(1)
	v_lshrrev_b32_e32 v6, 8, v3
	v_cmp_gt_i16_sdwa s[10:11], sext(v6), s46 src0_sel:BYTE_0 src1_sel:DWORD
	s_andn2_b64 s[2:3], s[2:3], exec
	s_and_b64 s[10:11], s[10:11], exec
	s_or_b64 s[2:3], s[2:3], s[10:11]
.LBB17_23:
	s_branch .LBB17_25
.LBB17_24:
	s_cmp_lg_u32 s9, 0
	s_mov_b64 s[4:5], -1
	s_cselect_b64 s[6:7], -1, 0
.LBB17_25:
	s_andn2_b64 vcc, exec, s[6:7]
	s_waitcnt vmcnt(1)
	v_lshrrev_b32_e32 v6, 8, v3
	s_cbranch_vccz .LBB17_31
; %bb.26:
	s_andn2_b64 vcc, exec, s[4:5]
	s_cbranch_vccz .LBB17_32
.LBB17_27:
	s_cmp_lt_i32 s9, 1
	s_mov_b64 s[6:7], 0
	s_cbranch_scc1 .LBB17_33
.LBB17_28:
	s_cmp_gt_i32 s9, 1
	s_cbranch_scc0 .LBB17_34
; %bb.29:
	s_cmp_eq_u32 s9, 2
	s_cbranch_scc0 .LBB17_252
; %bb.30:
	v_lshrrev_b32_e32 v6, 16, v3
	v_cmp_le_i16_sdwa s[4:5], sext(v6), s46 src0_sel:BYTE_0 src1_sel:DWORD
	s_mov_b64 s[10:11], 0
	s_branch .LBB17_36
.LBB17_31:
	v_cmp_lt_i16_sdwa s[6:7], sext(v6), s46 src0_sel:BYTE_0 src1_sel:DWORD
	s_andn2_b64 s[2:3], s[2:3], exec
	s_and_b64 s[6:7], s[6:7], exec
	s_or_b64 s[2:3], s[2:3], s[6:7]
	s_cbranch_execnz .LBB17_27
.LBB17_32:
	v_cmp_ge_i16_sdwa s[4:5], sext(v6), s46 src0_sel:BYTE_0 src1_sel:DWORD
	s_andn2_b64 s[2:3], s[2:3], exec
	s_and_b64 s[4:5], s[4:5], exec
	s_or_b64 s[2:3], s[2:3], s[4:5]
	s_cmp_lt_i32 s9, 1
	s_mov_b64 s[6:7], 0
	s_cbranch_scc0 .LBB17_28
.LBB17_33:
                                        ; implicit-def: $sgpr4_sgpr5
	s_mov_b64 s[10:11], 0
	s_cbranch_execnz .LBB17_37
	s_branch .LBB17_38
.LBB17_34:
	s_mov_b64 s[10:11], 0
                                        ; implicit-def: $sgpr4_sgpr5
	s_cbranch_execz .LBB17_36
; %bb.35:
	v_lshrrev_b32_e32 v6, 16, v3
	v_cmp_gt_i16_sdwa s[16:17], sext(v6), s46 src0_sel:BYTE_0 src1_sel:DWORD
	s_andn2_b64 s[4:5], s[4:5], exec
	s_and_b64 s[16:17], s[16:17], exec
	s_or_b64 s[4:5], s[4:5], s[16:17]
.LBB17_36:
	s_branch .LBB17_38
.LBB17_37:
	s_cmp_lg_u32 s9, 0
	s_mov_b64 s[6:7], -1
	s_cselect_b64 s[10:11], -1, 0
.LBB17_38:
	s_andn2_b64 vcc, exec, s[10:11]
	v_lshrrev_b32_e32 v6, 16, v3
	s_cbranch_vccz .LBB17_44
; %bb.39:
	s_andn2_b64 vcc, exec, s[6:7]
	s_cbranch_vccz .LBB17_45
.LBB17_40:
	s_cmp_lt_i32 s9, 1
	s_mov_b64 s[10:11], 0
	s_cbranch_scc1 .LBB17_46
.LBB17_41:
	s_cmp_gt_i32 s9, 1
	s_cbranch_scc0 .LBB17_47
; %bb.42:
	s_cmp_eq_u32 s9, 2
	s_cbranch_scc0 .LBB17_253
; %bb.43:
	v_lshrrev_b32_e32 v6, 24, v3
	v_cmp_le_i16_sdwa s[6:7], sext(v6), s46 src0_sel:BYTE_0 src1_sel:DWORD
	s_mov_b64 s[16:17], 0
	s_branch .LBB17_49
.LBB17_44:
	v_cmp_lt_i16_sdwa s[10:11], sext(v6), s46 src0_sel:BYTE_0 src1_sel:DWORD
	s_andn2_b64 s[4:5], s[4:5], exec
	s_and_b64 s[10:11], s[10:11], exec
	s_or_b64 s[4:5], s[4:5], s[10:11]
	s_cbranch_execnz .LBB17_40
.LBB17_45:
	v_cmp_ge_i16_sdwa s[6:7], sext(v6), s46 src0_sel:BYTE_0 src1_sel:DWORD
	s_andn2_b64 s[4:5], s[4:5], exec
	s_and_b64 s[6:7], s[6:7], exec
	s_or_b64 s[4:5], s[4:5], s[6:7]
	s_cmp_lt_i32 s9, 1
	s_mov_b64 s[10:11], 0
	s_cbranch_scc0 .LBB17_41
.LBB17_46:
                                        ; implicit-def: $sgpr6_sgpr7
	s_mov_b64 s[16:17], 0
	s_cbranch_execnz .LBB17_50
	s_branch .LBB17_51
.LBB17_47:
	s_mov_b64 s[16:17], 0
                                        ; implicit-def: $sgpr6_sgpr7
	s_cbranch_execz .LBB17_49
; %bb.48:
	v_lshrrev_b32_e32 v6, 24, v3
	v_cmp_gt_i16_sdwa s[18:19], sext(v6), s46 src0_sel:BYTE_0 src1_sel:DWORD
	s_andn2_b64 s[6:7], s[6:7], exec
	s_and_b64 s[18:19], s[18:19], exec
	s_or_b64 s[6:7], s[6:7], s[18:19]
.LBB17_49:
	s_branch .LBB17_51
.LBB17_50:
	s_cmp_lg_u32 s9, 0
	s_mov_b64 s[10:11], -1
	s_cselect_b64 s[16:17], -1, 0
.LBB17_51:
	s_andn2_b64 vcc, exec, s[16:17]
	v_lshrrev_b32_e32 v3, 24, v3
	s_cbranch_vccz .LBB17_57
; %bb.52:
	s_andn2_b64 vcc, exec, s[10:11]
	s_cbranch_vccz .LBB17_58
.LBB17_53:
	s_cmp_lt_i32 s9, 1
	s_mov_b64 s[16:17], 0
	s_cbranch_scc1 .LBB17_59
.LBB17_54:
	s_cmp_gt_i32 s9, 1
	s_cbranch_scc0 .LBB17_60
; %bb.55:
	s_cmp_eq_u32 s9, 2
	s_cbranch_scc0 .LBB17_254
; %bb.56:
	v_cmp_le_i16_sdwa s[10:11], sext(v4), s46 src0_sel:BYTE_0 src1_sel:DWORD
	s_mov_b64 s[18:19], 0
	s_branch .LBB17_62
.LBB17_57:
	v_cmp_lt_i16_sdwa s[16:17], sext(v3), s46 src0_sel:BYTE_0 src1_sel:DWORD
	s_andn2_b64 s[6:7], s[6:7], exec
	s_and_b64 s[16:17], s[16:17], exec
	s_or_b64 s[6:7], s[6:7], s[16:17]
	s_cbranch_execnz .LBB17_53
.LBB17_58:
	v_cmp_ge_i16_sdwa s[10:11], sext(v3), s46 src0_sel:BYTE_0 src1_sel:DWORD
	s_andn2_b64 s[6:7], s[6:7], exec
	s_and_b64 s[10:11], s[10:11], exec
	s_or_b64 s[6:7], s[6:7], s[10:11]
	s_cmp_lt_i32 s9, 1
	s_mov_b64 s[16:17], 0
	s_cbranch_scc0 .LBB17_54
.LBB17_59:
                                        ; implicit-def: $sgpr10_sgpr11
	s_mov_b64 s[18:19], 0
	s_cbranch_execnz .LBB17_63
	s_branch .LBB17_64
.LBB17_60:
	s_mov_b64 s[18:19], 0
                                        ; implicit-def: $sgpr10_sgpr11
	s_cbranch_execz .LBB17_62
; %bb.61:
	v_cmp_gt_i16_sdwa s[20:21], sext(v4), s46 src0_sel:BYTE_0 src1_sel:DWORD
	s_andn2_b64 s[10:11], s[10:11], exec
	s_and_b64 s[20:21], s[20:21], exec
	s_or_b64 s[10:11], s[10:11], s[20:21]
.LBB17_62:
	s_branch .LBB17_64
.LBB17_63:
	s_cmp_lg_u32 s9, 0
	s_mov_b64 s[16:17], -1
	s_cselect_b64 s[18:19], -1, 0
.LBB17_64:
	s_andn2_b64 vcc, exec, s[18:19]
	s_cbranch_vccz .LBB17_70
; %bb.65:
	s_andn2_b64 vcc, exec, s[16:17]
	s_cbranch_vccz .LBB17_71
.LBB17_66:
	s_cmp_lt_i32 s9, 1
	s_mov_b64 s[18:19], 0
	s_cbranch_scc1 .LBB17_72
.LBB17_67:
	s_cmp_gt_i32 s9, 1
	s_cbranch_scc0 .LBB17_73
; %bb.68:
	s_cmp_eq_u32 s9, 2
	s_cbranch_scc0 .LBB17_255
; %bb.69:
	v_lshrrev_b32_e32 v3, 8, v4
	v_cmp_le_i16_sdwa s[16:17], sext(v3), s46 src0_sel:BYTE_0 src1_sel:DWORD
	s_mov_b64 s[20:21], 0
	s_branch .LBB17_75
.LBB17_70:
	v_cmp_lt_i16_sdwa s[18:19], sext(v4), s46 src0_sel:BYTE_0 src1_sel:DWORD
	s_andn2_b64 s[10:11], s[10:11], exec
	s_and_b64 s[18:19], s[18:19], exec
	s_or_b64 s[10:11], s[10:11], s[18:19]
	s_cbranch_execnz .LBB17_66
.LBB17_71:
	v_cmp_ge_i16_sdwa s[16:17], sext(v4), s46 src0_sel:BYTE_0 src1_sel:DWORD
	s_andn2_b64 s[10:11], s[10:11], exec
	s_and_b64 s[16:17], s[16:17], exec
	s_or_b64 s[10:11], s[10:11], s[16:17]
	s_cmp_lt_i32 s9, 1
	s_mov_b64 s[18:19], 0
	s_cbranch_scc0 .LBB17_67
.LBB17_72:
                                        ; implicit-def: $sgpr16_sgpr17
	s_mov_b64 s[20:21], 0
	s_cbranch_execnz .LBB17_76
	s_branch .LBB17_77
.LBB17_73:
	s_mov_b64 s[20:21], 0
                                        ; implicit-def: $sgpr16_sgpr17
	s_cbranch_execz .LBB17_75
; %bb.74:
	v_lshrrev_b32_e32 v3, 8, v4
	v_cmp_gt_i16_sdwa s[22:23], sext(v3), s46 src0_sel:BYTE_0 src1_sel:DWORD
	s_andn2_b64 s[16:17], s[16:17], exec
	s_and_b64 s[22:23], s[22:23], exec
	s_or_b64 s[16:17], s[16:17], s[22:23]
.LBB17_75:
	s_branch .LBB17_77
.LBB17_76:
	s_cmp_lg_u32 s9, 0
	s_mov_b64 s[18:19], -1
	s_cselect_b64 s[20:21], -1, 0
.LBB17_77:
	s_andn2_b64 vcc, exec, s[20:21]
	v_lshrrev_b32_e32 v3, 8, v4
	s_cbranch_vccz .LBB17_83
; %bb.78:
	s_andn2_b64 vcc, exec, s[18:19]
	s_cbranch_vccz .LBB17_84
.LBB17_79:
	s_cmp_lt_i32 s9, 1
	s_mov_b64 s[20:21], 0
	s_cbranch_scc1 .LBB17_85
.LBB17_80:
	s_cmp_gt_i32 s9, 1
	s_cbranch_scc0 .LBB17_86
; %bb.81:
	s_cmp_eq_u32 s9, 2
	s_cbranch_scc0 .LBB17_256
; %bb.82:
	v_lshrrev_b32_e32 v3, 16, v4
	v_cmp_le_i16_sdwa s[18:19], sext(v3), s46 src0_sel:BYTE_0 src1_sel:DWORD
	s_mov_b64 s[22:23], 0
	s_branch .LBB17_88
.LBB17_83:
	v_cmp_lt_i16_sdwa s[20:21], sext(v3), s46 src0_sel:BYTE_0 src1_sel:DWORD
	s_andn2_b64 s[16:17], s[16:17], exec
	s_and_b64 s[20:21], s[20:21], exec
	s_or_b64 s[16:17], s[16:17], s[20:21]
	s_cbranch_execnz .LBB17_79
.LBB17_84:
	v_cmp_ge_i16_sdwa s[18:19], sext(v3), s46 src0_sel:BYTE_0 src1_sel:DWORD
	s_andn2_b64 s[16:17], s[16:17], exec
	s_and_b64 s[18:19], s[18:19], exec
	s_or_b64 s[16:17], s[16:17], s[18:19]
	s_cmp_lt_i32 s9, 1
	s_mov_b64 s[20:21], 0
	s_cbranch_scc0 .LBB17_80
.LBB17_85:
                                        ; implicit-def: $sgpr18_sgpr19
	s_mov_b64 s[22:23], 0
	s_cbranch_execnz .LBB17_89
	s_branch .LBB17_90
.LBB17_86:
	s_mov_b64 s[22:23], 0
                                        ; implicit-def: $sgpr18_sgpr19
	s_cbranch_execz .LBB17_88
; %bb.87:
	v_lshrrev_b32_e32 v3, 16, v4
	v_cmp_gt_i16_sdwa s[24:25], sext(v3), s46 src0_sel:BYTE_0 src1_sel:DWORD
	s_andn2_b64 s[18:19], s[18:19], exec
	s_and_b64 s[24:25], s[24:25], exec
	s_or_b64 s[18:19], s[18:19], s[24:25]
.LBB17_88:
	s_branch .LBB17_90
.LBB17_89:
	s_cmp_lg_u32 s9, 0
	s_mov_b64 s[20:21], -1
	s_cselect_b64 s[22:23], -1, 0
.LBB17_90:
	s_andn2_b64 vcc, exec, s[22:23]
	v_lshrrev_b32_e32 v3, 16, v4
	s_cbranch_vccz .LBB17_96
; %bb.91:
	s_andn2_b64 vcc, exec, s[20:21]
	s_cbranch_vccz .LBB17_97
.LBB17_92:
	s_cmp_lt_i32 s9, 1
	s_mov_b64 s[22:23], 0
	s_cbranch_scc1 .LBB17_98
.LBB17_93:
	s_cmp_gt_i32 s9, 1
	s_cbranch_scc0 .LBB17_99
; %bb.94:
	s_cmp_eq_u32 s9, 2
	s_cbranch_scc0 .LBB17_257
; %bb.95:
	v_lshrrev_b32_e32 v3, 24, v4
	v_cmp_le_i16_sdwa s[20:21], sext(v3), s46 src0_sel:BYTE_0 src1_sel:DWORD
	s_mov_b64 s[24:25], 0
	s_branch .LBB17_101
.LBB17_96:
	v_cmp_lt_i16_sdwa s[22:23], sext(v3), s46 src0_sel:BYTE_0 src1_sel:DWORD
	s_andn2_b64 s[18:19], s[18:19], exec
	s_and_b64 s[22:23], s[22:23], exec
	s_or_b64 s[18:19], s[18:19], s[22:23]
	s_cbranch_execnz .LBB17_92
.LBB17_97:
	v_cmp_ge_i16_sdwa s[20:21], sext(v3), s46 src0_sel:BYTE_0 src1_sel:DWORD
	s_andn2_b64 s[18:19], s[18:19], exec
	s_and_b64 s[20:21], s[20:21], exec
	s_or_b64 s[18:19], s[18:19], s[20:21]
	s_cmp_lt_i32 s9, 1
	s_mov_b64 s[22:23], 0
	s_cbranch_scc0 .LBB17_93
.LBB17_98:
                                        ; implicit-def: $sgpr20_sgpr21
	s_mov_b64 s[24:25], 0
	s_cbranch_execnz .LBB17_102
	s_branch .LBB17_103
.LBB17_99:
	s_mov_b64 s[24:25], 0
                                        ; implicit-def: $sgpr20_sgpr21
	s_cbranch_execz .LBB17_101
; %bb.100:
	v_lshrrev_b32_e32 v3, 24, v4
	v_cmp_gt_i16_sdwa s[26:27], sext(v3), s46 src0_sel:BYTE_0 src1_sel:DWORD
	s_andn2_b64 s[20:21], s[20:21], exec
	s_and_b64 s[26:27], s[26:27], exec
	s_or_b64 s[20:21], s[20:21], s[26:27]
.LBB17_101:
	s_branch .LBB17_103
.LBB17_102:
	s_cmp_lg_u32 s9, 0
	s_mov_b64 s[22:23], -1
	s_cselect_b64 s[24:25], -1, 0
.LBB17_103:
	s_andn2_b64 vcc, exec, s[24:25]
	v_lshrrev_b32_e32 v3, 24, v4
	s_cbranch_vccz .LBB17_109
; %bb.104:
	s_andn2_b64 vcc, exec, s[22:23]
	s_cbranch_vccz .LBB17_110
.LBB17_105:
	s_cmp_lt_i32 s9, 1
	s_mov_b64 s[24:25], 0
	s_cbranch_scc1 .LBB17_111
.LBB17_106:
	s_cmp_gt_i32 s9, 1
	s_cbranch_scc0 .LBB17_112
; %bb.107:
	s_cmp_eq_u32 s9, 2
	s_cbranch_scc0 .LBB17_258
; %bb.108:
	s_waitcnt vmcnt(0)
	v_cmp_le_i16_sdwa s[22:23], sext(v1), s46 src0_sel:BYTE_0 src1_sel:DWORD
	s_mov_b64 s[26:27], 0
	s_branch .LBB17_114
.LBB17_109:
	v_cmp_lt_i16_sdwa s[24:25], sext(v3), s46 src0_sel:BYTE_0 src1_sel:DWORD
	s_andn2_b64 s[20:21], s[20:21], exec
	s_and_b64 s[24:25], s[24:25], exec
	s_or_b64 s[20:21], s[20:21], s[24:25]
	s_cbranch_execnz .LBB17_105
.LBB17_110:
	v_cmp_ge_i16_sdwa s[22:23], sext(v3), s46 src0_sel:BYTE_0 src1_sel:DWORD
	s_andn2_b64 s[20:21], s[20:21], exec
	s_and_b64 s[22:23], s[22:23], exec
	s_or_b64 s[20:21], s[20:21], s[22:23]
	s_cmp_lt_i32 s9, 1
	s_mov_b64 s[24:25], 0
	s_cbranch_scc0 .LBB17_106
.LBB17_111:
                                        ; implicit-def: $sgpr22_sgpr23
	s_mov_b64 s[26:27], 0
	s_cbranch_execnz .LBB17_115
	s_branch .LBB17_116
.LBB17_112:
	s_mov_b64 s[26:27], 0
                                        ; implicit-def: $sgpr22_sgpr23
	s_cbranch_execz .LBB17_114
; %bb.113:
	s_waitcnt vmcnt(0)
	v_cmp_gt_i16_sdwa s[28:29], sext(v1), s46 src0_sel:BYTE_0 src1_sel:DWORD
	s_andn2_b64 s[22:23], s[22:23], exec
	s_and_b64 s[28:29], s[28:29], exec
	s_or_b64 s[22:23], s[22:23], s[28:29]
.LBB17_114:
	s_branch .LBB17_116
.LBB17_115:
	s_cmp_lg_u32 s9, 0
	s_mov_b64 s[24:25], -1
	s_cselect_b64 s[26:27], -1, 0
.LBB17_116:
	s_andn2_b64 vcc, exec, s[26:27]
	s_cbranch_vccz .LBB17_122
; %bb.117:
	s_andn2_b64 vcc, exec, s[24:25]
	s_cbranch_vccz .LBB17_123
.LBB17_118:
	s_cmp_lt_i32 s9, 1
	s_mov_b64 s[26:27], 0
	s_cbranch_scc1 .LBB17_124
.LBB17_119:
	s_cmp_gt_i32 s9, 1
	s_cbranch_scc0 .LBB17_125
; %bb.120:
	s_cmp_eq_u32 s9, 2
	s_cbranch_scc0 .LBB17_259
; %bb.121:
	s_waitcnt vmcnt(0)
	v_lshrrev_b32_e32 v3, 8, v1
	v_cmp_le_i16_sdwa s[24:25], sext(v3), s46 src0_sel:BYTE_0 src1_sel:DWORD
	s_mov_b64 s[28:29], 0
	s_branch .LBB17_127
.LBB17_122:
	s_waitcnt vmcnt(0)
	v_cmp_lt_i16_sdwa s[26:27], sext(v1), s46 src0_sel:BYTE_0 src1_sel:DWORD
	s_andn2_b64 s[22:23], s[22:23], exec
	s_and_b64 s[26:27], s[26:27], exec
	s_or_b64 s[22:23], s[22:23], s[26:27]
	s_cbranch_execnz .LBB17_118
.LBB17_123:
	s_waitcnt vmcnt(0)
	v_cmp_ge_i16_sdwa s[24:25], sext(v1), s46 src0_sel:BYTE_0 src1_sel:DWORD
	s_andn2_b64 s[22:23], s[22:23], exec
	s_and_b64 s[24:25], s[24:25], exec
	s_or_b64 s[22:23], s[22:23], s[24:25]
	s_cmp_lt_i32 s9, 1
	s_mov_b64 s[26:27], 0
	s_cbranch_scc0 .LBB17_119
.LBB17_124:
                                        ; implicit-def: $sgpr24_sgpr25
	s_mov_b64 s[28:29], 0
	s_cbranch_execnz .LBB17_128
	s_branch .LBB17_129
.LBB17_125:
	s_mov_b64 s[28:29], 0
                                        ; implicit-def: $sgpr24_sgpr25
	s_cbranch_execz .LBB17_127
; %bb.126:
	s_waitcnt vmcnt(0)
	v_lshrrev_b32_e32 v3, 8, v1
	v_cmp_gt_i16_sdwa s[30:31], sext(v3), s46 src0_sel:BYTE_0 src1_sel:DWORD
	s_andn2_b64 s[24:25], s[24:25], exec
	s_and_b64 s[30:31], s[30:31], exec
	s_or_b64 s[24:25], s[24:25], s[30:31]
.LBB17_127:
	s_branch .LBB17_129
.LBB17_128:
	s_cmp_lg_u32 s9, 0
	s_mov_b64 s[26:27], -1
	s_cselect_b64 s[28:29], -1, 0
.LBB17_129:
	s_andn2_b64 vcc, exec, s[28:29]
	s_waitcnt vmcnt(0)
	v_lshrrev_b32_e32 v3, 8, v1
	s_cbranch_vccz .LBB17_135
; %bb.130:
	s_andn2_b64 vcc, exec, s[26:27]
	s_cbranch_vccz .LBB17_136
.LBB17_131:
	s_cmp_lt_i32 s9, 1
	s_mov_b64 s[28:29], 0
	s_cbranch_scc1 .LBB17_137
.LBB17_132:
	s_cmp_gt_i32 s9, 1
	s_cbranch_scc0 .LBB17_138
; %bb.133:
	s_cmp_eq_u32 s9, 2
	s_cbranch_scc0 .LBB17_260
; %bb.134:
	v_lshrrev_b32_e32 v3, 16, v1
	v_cmp_le_i16_sdwa s[26:27], sext(v3), s46 src0_sel:BYTE_0 src1_sel:DWORD
	s_mov_b64 s[30:31], 0
	s_branch .LBB17_140
.LBB17_135:
	v_cmp_lt_i16_sdwa s[28:29], sext(v3), s46 src0_sel:BYTE_0 src1_sel:DWORD
	s_andn2_b64 s[24:25], s[24:25], exec
	s_and_b64 s[28:29], s[28:29], exec
	s_or_b64 s[24:25], s[24:25], s[28:29]
	s_cbranch_execnz .LBB17_131
.LBB17_136:
	v_cmp_ge_i16_sdwa s[26:27], sext(v3), s46 src0_sel:BYTE_0 src1_sel:DWORD
	s_andn2_b64 s[24:25], s[24:25], exec
	s_and_b64 s[26:27], s[26:27], exec
	s_or_b64 s[24:25], s[24:25], s[26:27]
	s_cmp_lt_i32 s9, 1
	s_mov_b64 s[28:29], 0
	s_cbranch_scc0 .LBB17_132
.LBB17_137:
                                        ; implicit-def: $sgpr26_sgpr27
	s_mov_b64 s[30:31], 0
	s_cbranch_execnz .LBB17_141
	s_branch .LBB17_142
.LBB17_138:
	s_mov_b64 s[30:31], 0
                                        ; implicit-def: $sgpr26_sgpr27
	s_cbranch_execz .LBB17_140
; %bb.139:
	v_lshrrev_b32_e32 v3, 16, v1
	v_cmp_gt_i16_sdwa s[34:35], sext(v3), s46 src0_sel:BYTE_0 src1_sel:DWORD
	s_andn2_b64 s[26:27], s[26:27], exec
	s_and_b64 s[34:35], s[34:35], exec
	s_or_b64 s[26:27], s[26:27], s[34:35]
.LBB17_140:
	s_branch .LBB17_142
.LBB17_141:
	s_cmp_lg_u32 s9, 0
	s_mov_b64 s[28:29], -1
	s_cselect_b64 s[30:31], -1, 0
.LBB17_142:
	s_andn2_b64 vcc, exec, s[30:31]
	v_lshrrev_b32_e32 v3, 16, v1
	s_cbranch_vccz .LBB17_148
; %bb.143:
	s_andn2_b64 vcc, exec, s[28:29]
	s_cbranch_vccz .LBB17_149
.LBB17_144:
	s_cmp_lt_i32 s9, 1
	s_mov_b64 s[30:31], 0
	s_cbranch_scc1 .LBB17_150
.LBB17_145:
	s_cmp_gt_i32 s9, 1
	s_cbranch_scc0 .LBB17_151
; %bb.146:
	s_cmp_eq_u32 s9, 2
	s_cbranch_scc0 .LBB17_261
; %bb.147:
	v_lshrrev_b32_e32 v3, 24, v1
	v_cmp_le_i16_sdwa s[28:29], sext(v3), s46 src0_sel:BYTE_0 src1_sel:DWORD
	s_mov_b64 s[34:35], 0
	s_branch .LBB17_153
.LBB17_148:
	v_cmp_lt_i16_sdwa s[30:31], sext(v3), s46 src0_sel:BYTE_0 src1_sel:DWORD
	s_andn2_b64 s[26:27], s[26:27], exec
	s_and_b64 s[30:31], s[30:31], exec
	s_or_b64 s[26:27], s[26:27], s[30:31]
	s_cbranch_execnz .LBB17_144
.LBB17_149:
	v_cmp_ge_i16_sdwa s[28:29], sext(v3), s46 src0_sel:BYTE_0 src1_sel:DWORD
	s_andn2_b64 s[26:27], s[26:27], exec
	s_and_b64 s[28:29], s[28:29], exec
	s_or_b64 s[26:27], s[26:27], s[28:29]
	s_cmp_lt_i32 s9, 1
	s_mov_b64 s[30:31], 0
	s_cbranch_scc0 .LBB17_145
.LBB17_150:
                                        ; implicit-def: $sgpr28_sgpr29
	s_mov_b64 s[34:35], 0
	s_cbranch_execnz .LBB17_154
	s_branch .LBB17_155
.LBB17_151:
	s_mov_b64 s[34:35], 0
                                        ; implicit-def: $sgpr28_sgpr29
	s_cbranch_execz .LBB17_153
; %bb.152:
	v_lshrrev_b32_e32 v3, 24, v1
	v_cmp_gt_i16_sdwa s[36:37], sext(v3), s46 src0_sel:BYTE_0 src1_sel:DWORD
	s_andn2_b64 s[28:29], s[28:29], exec
	s_and_b64 s[36:37], s[36:37], exec
	s_or_b64 s[28:29], s[28:29], s[36:37]
.LBB17_153:
	s_branch .LBB17_155
.LBB17_154:
	s_cmp_lg_u32 s9, 0
	s_mov_b64 s[30:31], -1
	s_cselect_b64 s[34:35], -1, 0
.LBB17_155:
	s_andn2_b64 vcc, exec, s[34:35]
	v_lshrrev_b32_e32 v1, 24, v1
	s_cbranch_vccz .LBB17_161
; %bb.156:
	s_andn2_b64 vcc, exec, s[30:31]
	s_cbranch_vccz .LBB17_162
.LBB17_157:
	s_cmp_lt_i32 s9, 1
	s_mov_b64 s[34:35], 0
	s_cbranch_scc1 .LBB17_163
.LBB17_158:
	s_cmp_gt_i32 s9, 1
	s_cbranch_scc0 .LBB17_164
; %bb.159:
	s_cmp_eq_u32 s9, 2
	s_cbranch_scc0 .LBB17_262
; %bb.160:
	v_cmp_le_i16_sdwa s[30:31], sext(v2), s46 src0_sel:BYTE_0 src1_sel:DWORD
	s_mov_b64 s[36:37], 0
	s_branch .LBB17_166
.LBB17_161:
	v_cmp_lt_i16_sdwa s[34:35], sext(v1), s46 src0_sel:BYTE_0 src1_sel:DWORD
	s_andn2_b64 s[28:29], s[28:29], exec
	s_and_b64 s[34:35], s[34:35], exec
	s_or_b64 s[28:29], s[28:29], s[34:35]
	s_cbranch_execnz .LBB17_157
.LBB17_162:
	v_cmp_ge_i16_sdwa s[30:31], sext(v1), s46 src0_sel:BYTE_0 src1_sel:DWORD
	s_andn2_b64 s[28:29], s[28:29], exec
	s_and_b64 s[30:31], s[30:31], exec
	s_or_b64 s[28:29], s[28:29], s[30:31]
	s_cmp_lt_i32 s9, 1
	s_mov_b64 s[34:35], 0
	s_cbranch_scc0 .LBB17_158
.LBB17_163:
                                        ; implicit-def: $sgpr30_sgpr31
	s_mov_b64 s[36:37], 0
	s_cbranch_execnz .LBB17_167
	s_branch .LBB17_168
.LBB17_164:
	s_mov_b64 s[36:37], 0
                                        ; implicit-def: $sgpr30_sgpr31
	s_cbranch_execz .LBB17_166
; %bb.165:
	v_cmp_gt_i16_sdwa s[38:39], sext(v2), s46 src0_sel:BYTE_0 src1_sel:DWORD
	s_andn2_b64 s[30:31], s[30:31], exec
	s_and_b64 s[38:39], s[38:39], exec
	s_or_b64 s[30:31], s[30:31], s[38:39]
.LBB17_166:
	s_branch .LBB17_168
.LBB17_167:
	s_cmp_lg_u32 s9, 0
	s_mov_b64 s[34:35], -1
	s_cselect_b64 s[36:37], -1, 0
.LBB17_168:
	s_andn2_b64 vcc, exec, s[36:37]
	s_cbranch_vccz .LBB17_174
; %bb.169:
	s_andn2_b64 vcc, exec, s[34:35]
	s_cbranch_vccz .LBB17_175
.LBB17_170:
	s_cmp_lt_i32 s9, 1
	s_mov_b64 s[36:37], 0
	s_cbranch_scc1 .LBB17_176
.LBB17_171:
	s_cmp_gt_i32 s9, 1
	s_cbranch_scc0 .LBB17_177
; %bb.172:
	s_cmp_eq_u32 s9, 2
	s_cbranch_scc0 .LBB17_263
; %bb.173:
	v_lshrrev_b32_e32 v1, 8, v2
	v_cmp_le_i16_sdwa s[34:35], sext(v1), s46 src0_sel:BYTE_0 src1_sel:DWORD
	s_mov_b64 s[38:39], 0
	s_branch .LBB17_179
.LBB17_174:
	v_cmp_lt_i16_sdwa s[36:37], sext(v2), s46 src0_sel:BYTE_0 src1_sel:DWORD
	s_andn2_b64 s[30:31], s[30:31], exec
	s_and_b64 s[36:37], s[36:37], exec
	s_or_b64 s[30:31], s[30:31], s[36:37]
	s_cbranch_execnz .LBB17_170
.LBB17_175:
	v_cmp_ge_i16_sdwa s[34:35], sext(v2), s46 src0_sel:BYTE_0 src1_sel:DWORD
	s_andn2_b64 s[30:31], s[30:31], exec
	s_and_b64 s[34:35], s[34:35], exec
	s_or_b64 s[30:31], s[30:31], s[34:35]
	s_cmp_lt_i32 s9, 1
	s_mov_b64 s[36:37], 0
	s_cbranch_scc0 .LBB17_171
.LBB17_176:
                                        ; implicit-def: $sgpr34_sgpr35
	s_mov_b64 s[38:39], 0
	s_cbranch_execnz .LBB17_180
	s_branch .LBB17_181
.LBB17_177:
	s_mov_b64 s[38:39], 0
                                        ; implicit-def: $sgpr34_sgpr35
	s_cbranch_execz .LBB17_179
; %bb.178:
	v_lshrrev_b32_e32 v1, 8, v2
	v_cmp_gt_i16_sdwa s[40:41], sext(v1), s46 src0_sel:BYTE_0 src1_sel:DWORD
	s_andn2_b64 s[34:35], s[34:35], exec
	s_and_b64 s[40:41], s[40:41], exec
	s_or_b64 s[34:35], s[34:35], s[40:41]
.LBB17_179:
	s_branch .LBB17_181
.LBB17_180:
	s_cmp_lg_u32 s9, 0
	s_mov_b64 s[36:37], -1
	s_cselect_b64 s[38:39], -1, 0
.LBB17_181:
	s_andn2_b64 vcc, exec, s[38:39]
	v_lshrrev_b32_e32 v1, 8, v2
	s_cbranch_vccz .LBB17_187
; %bb.182:
	s_andn2_b64 vcc, exec, s[36:37]
	s_cbranch_vccz .LBB17_188
.LBB17_183:
	s_cmp_lt_i32 s9, 1
	s_mov_b64 s[38:39], 0
	s_cbranch_scc1 .LBB17_189
.LBB17_184:
	s_cmp_gt_i32 s9, 1
	s_cbranch_scc0 .LBB17_190
; %bb.185:
	s_cmp_eq_u32 s9, 2
	s_cbranch_scc0 .LBB17_264
; %bb.186:
	v_lshrrev_b32_e32 v1, 16, v2
	v_cmp_le_i16_sdwa s[36:37], sext(v1), s46 src0_sel:BYTE_0 src1_sel:DWORD
	s_mov_b64 s[40:41], 0
	s_branch .LBB17_192
.LBB17_187:
	v_cmp_lt_i16_sdwa s[38:39], sext(v1), s46 src0_sel:BYTE_0 src1_sel:DWORD
	s_andn2_b64 s[34:35], s[34:35], exec
	s_and_b64 s[38:39], s[38:39], exec
	s_or_b64 s[34:35], s[34:35], s[38:39]
	s_cbranch_execnz .LBB17_183
.LBB17_188:
	v_cmp_ge_i16_sdwa s[36:37], sext(v1), s46 src0_sel:BYTE_0 src1_sel:DWORD
	s_andn2_b64 s[34:35], s[34:35], exec
	s_and_b64 s[36:37], s[36:37], exec
	s_or_b64 s[34:35], s[34:35], s[36:37]
	s_cmp_lt_i32 s9, 1
	s_mov_b64 s[38:39], 0
	s_cbranch_scc0 .LBB17_184
.LBB17_189:
                                        ; implicit-def: $sgpr36_sgpr37
	s_mov_b64 s[40:41], 0
	s_cbranch_execnz .LBB17_193
	s_branch .LBB17_194
.LBB17_190:
	s_mov_b64 s[40:41], 0
                                        ; implicit-def: $sgpr36_sgpr37
	s_cbranch_execz .LBB17_192
; %bb.191:
	v_lshrrev_b32_e32 v1, 16, v2
	v_cmp_gt_i16_sdwa s[42:43], sext(v1), s46 src0_sel:BYTE_0 src1_sel:DWORD
	s_andn2_b64 s[36:37], s[36:37], exec
	s_and_b64 s[42:43], s[42:43], exec
	s_or_b64 s[36:37], s[36:37], s[42:43]
.LBB17_192:
	s_branch .LBB17_194
.LBB17_193:
	s_cmp_lg_u32 s9, 0
	s_mov_b64 s[38:39], -1
	s_cselect_b64 s[40:41], -1, 0
.LBB17_194:
	s_andn2_b64 vcc, exec, s[40:41]
	v_lshrrev_b32_e32 v1, 16, v2
	s_cbranch_vccz .LBB17_200
; %bb.195:
	s_andn2_b64 vcc, exec, s[38:39]
	s_cbranch_vccz .LBB17_201
.LBB17_196:
	s_cmp_lt_i32 s9, 1
	s_mov_b64 s[40:41], 0
	s_cbranch_scc1 .LBB17_202
.LBB17_197:
	s_cmp_gt_i32 s9, 1
	s_cbranch_scc0 .LBB17_203
; %bb.198:
	s_cmp_eq_u32 s9, 2
	s_cbranch_scc0 .LBB17_265
; %bb.199:
	v_lshrrev_b32_e32 v1, 24, v2
	v_cmp_le_i16_sdwa s[38:39], sext(v1), s46 src0_sel:BYTE_0 src1_sel:DWORD
	s_mov_b64 s[42:43], 0
	s_branch .LBB17_205
.LBB17_200:
	v_cmp_lt_i16_sdwa s[40:41], sext(v1), s46 src0_sel:BYTE_0 src1_sel:DWORD
	s_andn2_b64 s[36:37], s[36:37], exec
	s_and_b64 s[40:41], s[40:41], exec
	s_or_b64 s[36:37], s[36:37], s[40:41]
	s_cbranch_execnz .LBB17_196
.LBB17_201:
	v_cmp_ge_i16_sdwa s[38:39], sext(v1), s46 src0_sel:BYTE_0 src1_sel:DWORD
	s_andn2_b64 s[36:37], s[36:37], exec
	s_and_b64 s[38:39], s[38:39], exec
	s_or_b64 s[36:37], s[36:37], s[38:39]
	s_cmp_lt_i32 s9, 1
	s_mov_b64 s[40:41], 0
	s_cbranch_scc0 .LBB17_197
.LBB17_202:
                                        ; implicit-def: $sgpr38_sgpr39
	s_mov_b64 s[42:43], 0
	s_cbranch_execnz .LBB17_206
	s_branch .LBB17_207
.LBB17_203:
	s_mov_b64 s[42:43], 0
                                        ; implicit-def: $sgpr38_sgpr39
	s_cbranch_execz .LBB17_205
; %bb.204:
	v_lshrrev_b32_e32 v1, 24, v2
	v_cmp_gt_i16_sdwa s[44:45], sext(v1), s46 src0_sel:BYTE_0 src1_sel:DWORD
	s_andn2_b64 s[38:39], s[38:39], exec
	s_and_b64 s[44:45], s[44:45], exec
	s_or_b64 s[38:39], s[38:39], s[44:45]
.LBB17_205:
	s_branch .LBB17_207
.LBB17_206:
	s_cmp_lg_u32 s9, 0
	s_mov_b64 s[40:41], -1
	s_cselect_b64 s[42:43], -1, 0
.LBB17_207:
	s_andn2_b64 vcc, exec, s[42:43]
	v_lshrrev_b32_e32 v1, 24, v2
	s_cbranch_vccz .LBB17_249
; %bb.208:
	s_andn2_b64 vcc, exec, s[40:41]
	s_cbranch_vccnz .LBB17_210
.LBB17_209:
	v_cmp_ge_i16_sdwa s[40:41], sext(v1), s46 src0_sel:BYTE_0 src1_sel:DWORD
	s_andn2_b64 s[38:39], s[38:39], exec
	s_and_b64 s[40:41], s[40:41], exec
	s_or_b64 s[38:39], s[38:39], s[40:41]
.LBB17_210:
	v_cndmask_b32_e64 v1, 0, 1, s[2:3]
	v_lshlrev_b16_e32 v1, 8, v1
	v_cndmask_b32_e64 v2, 0, 1, s[0:1]
	v_or_b32_e32 v1, v2, v1
	v_cndmask_b32_e64 v2, 0, 1, s[6:7]
	v_lshlrev_b16_e32 v2, 8, v2
	v_cndmask_b32_e64 v3, 0, 1, s[4:5]
	v_or_b32_sdwa v2, v3, v2 dst_sel:WORD_1 dst_unused:UNUSED_PAD src0_sel:DWORD src1_sel:DWORD
	v_or_b32_sdwa v1, v1, v2 dst_sel:DWORD dst_unused:UNUSED_PAD src0_sel:WORD_0 src1_sel:DWORD
	v_cndmask_b32_e64 v2, 0, 1, s[16:17]
	v_lshlrev_b16_e32 v2, 8, v2
	v_cndmask_b32_e64 v3, 0, 1, s[10:11]
	v_or_b32_e32 v2, v3, v2
	v_cndmask_b32_e64 v3, 0, 1, s[20:21]
	v_lshlrev_b16_e32 v3, 8, v3
	v_cndmask_b32_e64 v4, 0, 1, s[18:19]
	v_or_b32_sdwa v3, v4, v3 dst_sel:WORD_1 dst_unused:UNUSED_PAD src0_sel:DWORD src1_sel:DWORD
	v_or_b32_sdwa v2, v2, v3 dst_sel:DWORD dst_unused:UNUSED_PAD src0_sel:WORD_0 src1_sel:DWORD
	;; [unrolled: 9-line block ×3, first 2 shown]
	v_cndmask_b32_e64 v4, 0, 1, s[34:35]
	v_lshlrev_b16_e32 v4, 8, v4
	v_cndmask_b32_e64 v6, 0, 1, s[30:31]
	v_or_b32_e32 v4, v6, v4
	v_cndmask_b32_e64 v6, 0, 1, s[38:39]
	v_lshlrev_b16_e32 v6, 8, v6
	v_cndmask_b32_e64 v7, 0, 1, s[36:37]
	s_add_u32 s0, s12, s33
	v_or_b32_sdwa v6, v7, v6 dst_sel:WORD_1 dst_unused:UNUSED_PAD src0_sel:DWORD src1_sel:DWORD
	s_addc_u32 s1, s13, s47
	v_or_b32_sdwa v4, v4, v6 dst_sel:DWORD dst_unused:UNUSED_PAD src0_sel:WORD_0 src1_sel:DWORD
	global_store_dwordx2 v5, v[1:2], s[0:1]
	global_store_dwordx2 v5, v[3:4], s[0:1] offset:2048
	s_mov_b64 s[0:1], 0
.LBB17_211:
	s_and_b64 vcc, exec, s[0:1]
	s_cbranch_vccz .LBB17_519
; %bb.212:
	v_cmp_gt_i32_e64 s[0:1], s8, v0
	v_mov_b32_e32 v4, 0
	v_or_b32_e32 v3, s33, v0
	v_mov_b32_e32 v5, 0
	v_mov_b32_e32 v6, 0
	;; [unrolled: 1-line block ×16, first 2 shown]
	s_and_saveexec_b64 s[2:3], s[0:1]
	s_cbranch_execz .LBB17_244
; %bb.213:
	global_load_ubyte v10, v3, s[14:15]
	v_or_b32_e32 v1, 0x100, v0
	v_cmp_gt_u32_e32 vcc, s8, v1
	v_mov_b32_e32 v21, 0
	v_mov_b32_e32 v20, 0
	v_mov_b32_e32 v19, 0
	v_mov_b32_e32 v18, 0
	v_mov_b32_e32 v17, 0
	v_mov_b32_e32 v16, 0
	v_mov_b32_e32 v15, 0
	v_mov_b32_e32 v14, 0
	v_mov_b32_e32 v13, 0
	v_mov_b32_e32 v12, 0
	v_mov_b32_e32 v11, 0
	v_mov_b32_e32 v9, 0
	v_mov_b32_e32 v7, 0
	v_mov_b32_e32 v6, 0
	v_mov_b32_e32 v5, 0
	s_and_saveexec_b64 s[4:5], vcc
	s_cbranch_execz .LBB17_243
; %bb.214:
	v_add_u32_e32 v1, s33, v0
	global_load_ubyte v21, v1, s[14:15] offset:256
	v_or_b32_e32 v2, 0x200, v0
	v_mov_b32_e32 v20, 0
	v_cmp_gt_u32_e32 vcc, s8, v2
	v_mov_b32_e32 v19, 0
	v_mov_b32_e32 v18, 0
	v_mov_b32_e32 v17, 0
	v_mov_b32_e32 v16, 0
	v_mov_b32_e32 v15, 0
	v_mov_b32_e32 v14, 0
	v_mov_b32_e32 v13, 0
	v_mov_b32_e32 v12, 0
	v_mov_b32_e32 v11, 0
	v_mov_b32_e32 v9, 0
	v_mov_b32_e32 v7, 0
	v_mov_b32_e32 v6, 0
	v_mov_b32_e32 v5, 0
	s_and_saveexec_b64 s[6:7], vcc
	s_cbranch_execz .LBB17_242
; %bb.215:
	v_mov_b32_e32 v2, s15
	v_add_co_u32_e32 v1, vcc, s14, v1
	v_addc_co_u32_e32 v2, vcc, 0, v2, vcc
	global_load_ubyte v20, v[1:2], off offset:512
	v_or_b32_e32 v5, 0x300, v0
	v_cmp_gt_u32_e32 vcc, s8, v5
	v_mov_b32_e32 v19, 0
	v_mov_b32_e32 v18, 0
	;; [unrolled: 1-line block ×13, first 2 shown]
	s_and_saveexec_b64 s[10:11], vcc
	s_cbranch_execz .LBB17_241
; %bb.216:
	global_load_ubyte v19, v[1:2], off offset:768
	v_or_b32_e32 v5, 0x400, v0
	v_cmp_gt_u32_e32 vcc, s8, v5
	v_mov_b32_e32 v18, 0
	v_mov_b32_e32 v17, 0
	;; [unrolled: 1-line block ×12, first 2 shown]
	s_and_saveexec_b64 s[14:15], vcc
	s_cbranch_execz .LBB17_240
; %bb.217:
	global_load_ubyte v18, v[1:2], off offset:1024
	v_or_b32_e32 v5, 0x500, v0
	v_cmp_gt_u32_e32 vcc, s8, v5
	v_mov_b32_e32 v17, 0
	v_mov_b32_e32 v16, 0
	;; [unrolled: 1-line block ×11, first 2 shown]
	s_and_saveexec_b64 s[16:17], vcc
	s_cbranch_execz .LBB17_239
; %bb.218:
	global_load_ubyte v17, v[1:2], off offset:1280
	v_or_b32_e32 v5, 0x600, v0
	v_cmp_gt_u32_e32 vcc, s8, v5
	v_mov_b32_e32 v16, 0
	v_mov_b32_e32 v15, 0
	;; [unrolled: 1-line block ×10, first 2 shown]
	s_and_saveexec_b64 s[18:19], vcc
	s_cbranch_execz .LBB17_238
; %bb.219:
	global_load_ubyte v16, v[1:2], off offset:1536
	v_or_b32_e32 v5, 0x700, v0
	v_cmp_gt_u32_e32 vcc, s8, v5
	v_mov_b32_e32 v15, 0
	v_mov_b32_e32 v14, 0
	;; [unrolled: 1-line block ×9, first 2 shown]
	s_and_saveexec_b64 s[20:21], vcc
	s_cbranch_execz .LBB17_237
; %bb.220:
	global_load_ubyte v15, v[1:2], off offset:1792
	v_or_b32_e32 v5, 0x800, v0
	v_cmp_gt_u32_e32 vcc, s8, v5
	v_mov_b32_e32 v14, 0
	v_mov_b32_e32 v13, 0
	;; [unrolled: 1-line block ×8, first 2 shown]
	s_and_saveexec_b64 s[22:23], vcc
	s_cbranch_execz .LBB17_236
; %bb.221:
	global_load_ubyte v14, v[1:2], off offset:2048
	v_or_b32_e32 v5, 0x900, v0
	v_cmp_gt_u32_e32 vcc, s8, v5
	v_mov_b32_e32 v13, 0
	v_mov_b32_e32 v12, 0
	;; [unrolled: 1-line block ×7, first 2 shown]
	s_and_saveexec_b64 s[24:25], vcc
	s_cbranch_execz .LBB17_235
; %bb.222:
	global_load_ubyte v13, v[1:2], off offset:2304
	v_or_b32_e32 v5, 0xa00, v0
	v_cmp_gt_u32_e32 vcc, s8, v5
	v_mov_b32_e32 v12, 0
	v_mov_b32_e32 v11, 0
	;; [unrolled: 1-line block ×6, first 2 shown]
	s_and_saveexec_b64 s[26:27], vcc
	s_cbranch_execz .LBB17_234
; %bb.223:
	global_load_ubyte v12, v[1:2], off offset:2560
	v_or_b32_e32 v5, 0xb00, v0
	v_cmp_gt_u32_e32 vcc, s8, v5
	v_mov_b32_e32 v11, 0
	v_mov_b32_e32 v9, 0
	;; [unrolled: 1-line block ×5, first 2 shown]
	s_and_saveexec_b64 s[28:29], vcc
	s_cbranch_execz .LBB17_233
; %bb.224:
	global_load_ubyte v11, v[1:2], off offset:2816
	v_or_b32_e32 v5, 0xc00, v0
	v_cmp_gt_u32_e32 vcc, s8, v5
	v_mov_b32_e32 v9, 0
	v_mov_b32_e32 v7, 0
	;; [unrolled: 1-line block ×4, first 2 shown]
	s_and_saveexec_b64 s[30:31], vcc
	s_cbranch_execz .LBB17_232
; %bb.225:
	global_load_ubyte v9, v[1:2], off offset:3072
	v_or_b32_e32 v5, 0xd00, v0
	v_cmp_gt_u32_e32 vcc, s8, v5
	v_mov_b32_e32 v7, 0
	v_mov_b32_e32 v6, 0
	;; [unrolled: 1-line block ×3, first 2 shown]
	s_and_saveexec_b64 s[34:35], vcc
	s_cbranch_execz .LBB17_231
; %bb.226:
	global_load_ubyte v7, v[1:2], off offset:3328
	v_or_b32_e32 v5, 0xe00, v0
	v_cmp_gt_u32_e32 vcc, s8, v5
	v_mov_b32_e32 v6, 0
	v_mov_b32_e32 v5, 0
	s_and_saveexec_b64 s[36:37], vcc
	s_cbranch_execz .LBB17_230
; %bb.227:
	global_load_ubyte v6, v[1:2], off offset:3584
	v_or_b32_e32 v5, 0xf00, v0
	v_cmp_gt_u32_e32 vcc, s8, v5
	v_mov_b32_e32 v5, 0
	s_and_saveexec_b64 s[38:39], vcc
	s_cbranch_execz .LBB17_229
; %bb.228:
	global_load_ubyte v5, v[1:2], off offset:3840
.LBB17_229:
	s_or_b64 exec, exec, s[38:39]
.LBB17_230:
	s_or_b64 exec, exec, s[36:37]
.LBB17_231:
	s_or_b64 exec, exec, s[34:35]
.LBB17_232:
	s_or_b64 exec, exec, s[30:31]
.LBB17_233:
	s_or_b64 exec, exec, s[28:29]
.LBB17_234:
	s_or_b64 exec, exec, s[26:27]
.LBB17_235:
	s_or_b64 exec, exec, s[24:25]
.LBB17_236:
	s_or_b64 exec, exec, s[22:23]
.LBB17_237:
	s_or_b64 exec, exec, s[20:21]
.LBB17_238:
	s_or_b64 exec, exec, s[18:19]
.LBB17_239:
	s_or_b64 exec, exec, s[16:17]
.LBB17_240:
	s_or_b64 exec, exec, s[14:15]
.LBB17_241:
	s_or_b64 exec, exec, s[10:11]
.LBB17_242:
	s_or_b64 exec, exec, s[6:7]
.LBB17_243:
	s_or_b64 exec, exec, s[4:5]
.LBB17_244:
	s_or_b64 exec, exec, s[2:3]
	v_mov_b32_e32 v8, v4
	v_mov_b32_e32 v2, v4
	v_mov_b32_e32 v1, v4
	s_and_saveexec_b64 s[2:3], s[0:1]
	s_cbranch_execz .LBB17_276
; %bb.245:
	s_cmp_lt_i32 s9, 1
	s_mov_b64 s[4:5], 0
	s_cbranch_scc1 .LBB17_250
; %bb.246:
	s_cmp_gt_i32 s9, 1
	s_cbranch_scc0 .LBB17_266
; %bb.247:
	s_cmp_eq_u32 s9, 2
	s_cbranch_scc0 .LBB17_267
; %bb.248:
	s_waitcnt vmcnt(0)
	v_cmp_le_i16_sdwa s[6:7], sext(v10), s46 src0_sel:BYTE_0 src1_sel:DWORD
	s_mov_b64 s[10:11], 0
	s_branch .LBB17_268
.LBB17_249:
	v_cmp_lt_i16_sdwa s[42:43], sext(v1), s46 src0_sel:BYTE_0 src1_sel:DWORD
	s_andn2_b64 s[38:39], s[38:39], exec
	s_and_b64 s[42:43], s[42:43], exec
	s_or_b64 s[38:39], s[38:39], s[42:43]
	s_cbranch_execz .LBB17_209
	s_branch .LBB17_210
.LBB17_250:
                                        ; implicit-def: $sgpr6_sgpr7
	s_mov_b64 s[10:11], 0
	s_cbranch_execnz .LBB17_271
	s_branch .LBB17_272
.LBB17_251:
	s_mov_b64 s[6:7], -1
                                        ; implicit-def: $sgpr2_sgpr3
	s_branch .LBB17_23
.LBB17_252:
	s_mov_b64 s[10:11], -1
                                        ; implicit-def: $sgpr4_sgpr5
	s_branch .LBB17_36
.LBB17_253:
	s_mov_b64 s[16:17], -1
                                        ; implicit-def: $sgpr6_sgpr7
	s_branch .LBB17_49
.LBB17_254:
	s_mov_b64 s[18:19], -1
                                        ; implicit-def: $sgpr10_sgpr11
	s_branch .LBB17_62
.LBB17_255:
	s_mov_b64 s[20:21], -1
                                        ; implicit-def: $sgpr16_sgpr17
	s_branch .LBB17_75
.LBB17_256:
	s_mov_b64 s[22:23], -1
                                        ; implicit-def: $sgpr18_sgpr19
	s_branch .LBB17_88
.LBB17_257:
	s_mov_b64 s[24:25], -1
                                        ; implicit-def: $sgpr20_sgpr21
	s_branch .LBB17_101
.LBB17_258:
	s_mov_b64 s[26:27], -1
                                        ; implicit-def: $sgpr22_sgpr23
	s_branch .LBB17_114
.LBB17_259:
	s_mov_b64 s[28:29], -1
                                        ; implicit-def: $sgpr24_sgpr25
	s_branch .LBB17_127
.LBB17_260:
	s_mov_b64 s[30:31], -1
                                        ; implicit-def: $sgpr26_sgpr27
	s_branch .LBB17_140
.LBB17_261:
	s_mov_b64 s[34:35], -1
                                        ; implicit-def: $sgpr28_sgpr29
	s_branch .LBB17_153
.LBB17_262:
	s_mov_b64 s[36:37], -1
                                        ; implicit-def: $sgpr30_sgpr31
	s_branch .LBB17_166
.LBB17_263:
	s_mov_b64 s[38:39], -1
                                        ; implicit-def: $sgpr34_sgpr35
	s_branch .LBB17_179
.LBB17_264:
	s_mov_b64 s[40:41], -1
                                        ; implicit-def: $sgpr36_sgpr37
	s_branch .LBB17_192
.LBB17_265:
	s_mov_b64 s[42:43], -1
                                        ; implicit-def: $sgpr38_sgpr39
	s_branch .LBB17_205
.LBB17_266:
	s_mov_b64 s[10:11], 0
                                        ; implicit-def: $sgpr6_sgpr7
	s_cbranch_execnz .LBB17_269
	s_branch .LBB17_270
.LBB17_267:
	s_mov_b64 s[10:11], -1
                                        ; implicit-def: $sgpr6_sgpr7
.LBB17_268:
	s_branch .LBB17_270
.LBB17_269:
	s_waitcnt vmcnt(0)
	v_cmp_gt_i16_sdwa s[14:15], sext(v10), s46 src0_sel:BYTE_0 src1_sel:DWORD
	s_andn2_b64 s[6:7], s[6:7], exec
	s_and_b64 s[14:15], s[14:15], exec
	s_or_b64 s[6:7], s[6:7], s[14:15]
.LBB17_270:
	s_branch .LBB17_272
.LBB17_271:
	s_cmp_lg_u32 s9, 0
	s_mov_b64 s[4:5], -1
	s_cselect_b64 s[10:11], -1, 0
.LBB17_272:
	s_andn2_b64 vcc, exec, s[10:11]
	s_cbranch_vccz .LBB17_281
; %bb.273:
	s_andn2_b64 vcc, exec, s[4:5]
	s_cbranch_vccnz .LBB17_275
.LBB17_274:
	s_waitcnt vmcnt(0)
	v_cmp_ge_i16_sdwa s[4:5], sext(v10), s46 src0_sel:BYTE_0 src1_sel:DWORD
	s_andn2_b64 s[6:7], s[6:7], exec
	s_and_b64 s[4:5], s[4:5], exec
	s_or_b64 s[6:7], s[6:7], s[4:5]
.LBB17_275:
	v_cndmask_b32_e64 v1, 0, 1, s[6:7]
	v_mov_b32_e32 v8, 0
	v_and_b32_e32 v4, 0xffff, v1
	v_mov_b32_e32 v2, v8
	v_mov_b32_e32 v1, v8
.LBB17_276:
	s_or_b64 exec, exec, s[2:3]
	s_waitcnt vmcnt(0)
	v_or_b32_e32 v10, 0x100, v0
	v_cmp_gt_i32_e32 vcc, s8, v10
	s_and_saveexec_b64 s[2:3], vcc
	s_cbranch_execz .LBB17_291
; %bb.277:
	s_cmp_lt_i32 s9, 1
	s_mov_b64 s[4:5], 0
	s_cbranch_scc1 .LBB17_282
; %bb.278:
	s_cmp_gt_i32 s9, 1
	s_cbranch_scc0 .LBB17_283
; %bb.279:
	s_cmp_eq_u32 s9, 2
	s_cbranch_scc0 .LBB17_535
; %bb.280:
	v_cmp_le_i16_sdwa s[6:7], sext(v21), s46 src0_sel:BYTE_0 src1_sel:DWORD
	s_mov_b64 s[10:11], 0
	s_branch .LBB17_285
.LBB17_281:
	s_waitcnt vmcnt(0)
	v_cmp_lt_i16_sdwa s[10:11], sext(v10), s46 src0_sel:BYTE_0 src1_sel:DWORD
	s_andn2_b64 s[6:7], s[6:7], exec
	s_and_b64 s[10:11], s[10:11], exec
	s_or_b64 s[6:7], s[6:7], s[10:11]
	s_cbranch_execz .LBB17_274
	s_branch .LBB17_275
.LBB17_282:
                                        ; implicit-def: $sgpr6_sgpr7
	s_mov_b64 s[10:11], 0
	s_cbranch_execnz .LBB17_286
	s_branch .LBB17_287
.LBB17_283:
	s_mov_b64 s[10:11], 0
                                        ; implicit-def: $sgpr6_sgpr7
	s_cbranch_execz .LBB17_285
; %bb.284:
	v_cmp_gt_i16_sdwa s[14:15], sext(v21), s46 src0_sel:BYTE_0 src1_sel:DWORD
	s_andn2_b64 s[6:7], s[6:7], exec
	s_and_b64 s[14:15], s[14:15], exec
	s_or_b64 s[6:7], s[6:7], s[14:15]
.LBB17_285:
	s_branch .LBB17_287
.LBB17_286:
	s_cmp_lg_u32 s9, 0
	s_mov_b64 s[4:5], -1
	s_cselect_b64 s[10:11], -1, 0
.LBB17_287:
	s_andn2_b64 vcc, exec, s[10:11]
	s_cbranch_vccz .LBB17_296
; %bb.288:
	s_andn2_b64 vcc, exec, s[4:5]
	s_cbranch_vccnz .LBB17_290
.LBB17_289:
	v_cmp_ge_i16_sdwa s[4:5], sext(v21), s46 src0_sel:BYTE_0 src1_sel:DWORD
	s_andn2_b64 s[6:7], s[6:7], exec
	s_and_b64 s[4:5], s[4:5], exec
	s_or_b64 s[6:7], s[6:7], s[4:5]
.LBB17_290:
	v_cndmask_b32_e64 v21, 0, 1, s[6:7]
	v_lshlrev_b16_e32 v21, 8, v21
	v_or_b32_sdwa v21, v4, v21 dst_sel:DWORD dst_unused:UNUSED_PAD src0_sel:BYTE_0 src1_sel:DWORD
	v_and_b32_e32 v21, 0xffff, v21
	s_mov_b32 s4, 0xffff0000
	v_and_or_b32 v4, v4, s4, v21
.LBB17_291:
	s_or_b64 exec, exec, s[2:3]
	v_or_b32_e32 v21, 0x200, v0
	v_cmp_gt_i32_e32 vcc, s8, v21
	s_and_saveexec_b64 s[2:3], vcc
	s_cbranch_execz .LBB17_306
; %bb.292:
	s_cmp_lt_i32 s9, 1
	s_mov_b64 s[4:5], 0
	s_cbranch_scc1 .LBB17_297
; %bb.293:
	s_cmp_gt_i32 s9, 1
	s_cbranch_scc0 .LBB17_298
; %bb.294:
	s_cmp_eq_u32 s9, 2
	s_cbranch_scc0 .LBB17_536
; %bb.295:
	v_cmp_le_i16_sdwa s[6:7], sext(v20), s46 src0_sel:BYTE_0 src1_sel:DWORD
	s_mov_b64 s[10:11], 0
	s_branch .LBB17_300
.LBB17_296:
	v_cmp_lt_i16_sdwa s[10:11], sext(v21), s46 src0_sel:BYTE_0 src1_sel:DWORD
	s_andn2_b64 s[6:7], s[6:7], exec
	s_and_b64 s[10:11], s[10:11], exec
	s_or_b64 s[6:7], s[6:7], s[10:11]
	s_cbranch_execz .LBB17_289
	s_branch .LBB17_290
.LBB17_297:
                                        ; implicit-def: $sgpr6_sgpr7
	s_mov_b64 s[10:11], 0
	s_cbranch_execnz .LBB17_301
	s_branch .LBB17_302
.LBB17_298:
	s_mov_b64 s[10:11], 0
                                        ; implicit-def: $sgpr6_sgpr7
	s_cbranch_execz .LBB17_300
; %bb.299:
	v_cmp_gt_i16_sdwa s[14:15], sext(v20), s46 src0_sel:BYTE_0 src1_sel:DWORD
	s_andn2_b64 s[6:7], s[6:7], exec
	s_and_b64 s[14:15], s[14:15], exec
	s_or_b64 s[6:7], s[6:7], s[14:15]
.LBB17_300:
	s_branch .LBB17_302
.LBB17_301:
	s_cmp_lg_u32 s9, 0
	s_mov_b64 s[4:5], -1
	s_cselect_b64 s[10:11], -1, 0
.LBB17_302:
	s_andn2_b64 vcc, exec, s[10:11]
	s_cbranch_vccz .LBB17_311
; %bb.303:
	s_andn2_b64 vcc, exec, s[4:5]
	s_cbranch_vccnz .LBB17_305
.LBB17_304:
	v_cmp_ge_i16_sdwa s[4:5], sext(v20), s46 src0_sel:BYTE_0 src1_sel:DWORD
	s_andn2_b64 s[6:7], s[6:7], exec
	s_and_b64 s[4:5], s[4:5], exec
	s_or_b64 s[6:7], s[6:7], s[4:5]
.LBB17_305:
	s_movk_i32 s4, 0xff00
	v_and_b32_sdwa v20, v4, s4 dst_sel:DWORD dst_unused:UNUSED_PAD src0_sel:WORD_1 src1_sel:DWORD
	v_cndmask_b32_e64 v21, 0, 1, s[6:7]
	v_or_b32_sdwa v20, v21, v20 dst_sel:WORD_1 dst_unused:UNUSED_PAD src0_sel:DWORD src1_sel:DWORD
	s_mov_b32 s4, 0xffff
	v_and_or_b32 v4, v4, s4, v20
.LBB17_306:
	s_or_b64 exec, exec, s[2:3]
	v_or_b32_e32 v20, 0x300, v0
	v_cmp_gt_i32_e32 vcc, s8, v20
	s_and_saveexec_b64 s[2:3], vcc
	s_cbranch_execz .LBB17_321
; %bb.307:
	s_cmp_lt_i32 s9, 1
	s_mov_b64 s[4:5], 0
	s_cbranch_scc1 .LBB17_312
; %bb.308:
	s_cmp_gt_i32 s9, 1
	s_cbranch_scc0 .LBB17_313
; %bb.309:
	s_cmp_eq_u32 s9, 2
	s_cbranch_scc0 .LBB17_537
; %bb.310:
	v_cmp_le_i16_sdwa s[6:7], sext(v19), s46 src0_sel:BYTE_0 src1_sel:DWORD
	s_mov_b64 s[10:11], 0
	s_branch .LBB17_315
.LBB17_311:
	v_cmp_lt_i16_sdwa s[10:11], sext(v20), s46 src0_sel:BYTE_0 src1_sel:DWORD
	s_andn2_b64 s[6:7], s[6:7], exec
	s_and_b64 s[10:11], s[10:11], exec
	s_or_b64 s[6:7], s[6:7], s[10:11]
	s_cbranch_execz .LBB17_304
	s_branch .LBB17_305
.LBB17_312:
                                        ; implicit-def: $sgpr6_sgpr7
	s_mov_b64 s[10:11], 0
	s_cbranch_execnz .LBB17_316
	s_branch .LBB17_317
.LBB17_313:
	s_mov_b64 s[10:11], 0
                                        ; implicit-def: $sgpr6_sgpr7
	s_cbranch_execz .LBB17_315
; %bb.314:
	v_cmp_gt_i16_sdwa s[14:15], sext(v19), s46 src0_sel:BYTE_0 src1_sel:DWORD
	s_andn2_b64 s[6:7], s[6:7], exec
	s_and_b64 s[14:15], s[14:15], exec
	s_or_b64 s[6:7], s[6:7], s[14:15]
.LBB17_315:
	s_branch .LBB17_317
.LBB17_316:
	s_cmp_lg_u32 s9, 0
	s_mov_b64 s[4:5], -1
	s_cselect_b64 s[10:11], -1, 0
.LBB17_317:
	s_andn2_b64 vcc, exec, s[10:11]
	s_cbranch_vccz .LBB17_326
; %bb.318:
	s_andn2_b64 vcc, exec, s[4:5]
	s_cbranch_vccnz .LBB17_320
.LBB17_319:
	v_cmp_ge_i16_sdwa s[4:5], sext(v19), s46 src0_sel:BYTE_0 src1_sel:DWORD
	s_andn2_b64 s[6:7], s[6:7], exec
	s_and_b64 s[4:5], s[4:5], exec
	s_or_b64 s[6:7], s[6:7], s[4:5]
.LBB17_320:
	s_movk_i32 s4, 0xff
	v_cndmask_b32_e64 v20, 0, 1, s[6:7]
	v_and_b32_sdwa v19, v4, s4 dst_sel:DWORD dst_unused:UNUSED_PAD src0_sel:WORD_1 src1_sel:DWORD
	v_lshlrev_b16_e32 v20, 8, v20
	v_or_b32_sdwa v19, v19, v20 dst_sel:WORD_1 dst_unused:UNUSED_PAD src0_sel:DWORD src1_sel:DWORD
	s_mov_b32 s4, 0xffff
	v_and_or_b32 v4, v4, s4, v19
.LBB17_321:
	s_or_b64 exec, exec, s[2:3]
	v_or_b32_e32 v19, 0x400, v0
	v_cmp_gt_i32_e32 vcc, s8, v19
	s_and_saveexec_b64 s[2:3], vcc
	s_cbranch_execz .LBB17_336
; %bb.322:
	s_cmp_lt_i32 s9, 1
	s_mov_b64 s[4:5], 0
	s_cbranch_scc1 .LBB17_327
; %bb.323:
	s_cmp_gt_i32 s9, 1
	s_cbranch_scc0 .LBB17_328
; %bb.324:
	s_cmp_eq_u32 s9, 2
	s_cbranch_scc0 .LBB17_538
; %bb.325:
	v_cmp_le_i16_sdwa s[6:7], sext(v18), s46 src0_sel:BYTE_0 src1_sel:DWORD
	s_mov_b64 s[10:11], 0
	s_branch .LBB17_330
.LBB17_326:
	v_cmp_lt_i16_sdwa s[10:11], sext(v19), s46 src0_sel:BYTE_0 src1_sel:DWORD
	s_andn2_b64 s[6:7], s[6:7], exec
	s_and_b64 s[10:11], s[10:11], exec
	s_or_b64 s[6:7], s[6:7], s[10:11]
	s_cbranch_execz .LBB17_319
	s_branch .LBB17_320
.LBB17_327:
                                        ; implicit-def: $sgpr6_sgpr7
	s_mov_b64 s[10:11], 0
	s_cbranch_execnz .LBB17_331
	s_branch .LBB17_332
.LBB17_328:
	s_mov_b64 s[10:11], 0
                                        ; implicit-def: $sgpr6_sgpr7
	s_cbranch_execz .LBB17_330
; %bb.329:
	v_cmp_gt_i16_sdwa s[14:15], sext(v18), s46 src0_sel:BYTE_0 src1_sel:DWORD
	s_andn2_b64 s[6:7], s[6:7], exec
	s_and_b64 s[14:15], s[14:15], exec
	s_or_b64 s[6:7], s[6:7], s[14:15]
.LBB17_330:
	s_branch .LBB17_332
.LBB17_331:
	s_cmp_lg_u32 s9, 0
	s_mov_b64 s[4:5], -1
	s_cselect_b64 s[10:11], -1, 0
.LBB17_332:
	s_andn2_b64 vcc, exec, s[10:11]
	s_cbranch_vccz .LBB17_341
; %bb.333:
	s_andn2_b64 vcc, exec, s[4:5]
	s_cbranch_vccnz .LBB17_335
.LBB17_334:
	v_cmp_ge_i16_sdwa s[4:5], sext(v18), s46 src0_sel:BYTE_0 src1_sel:DWORD
	s_andn2_b64 s[6:7], s[6:7], exec
	s_and_b64 s[4:5], s[4:5], exec
	s_or_b64 s[6:7], s[6:7], s[4:5]
.LBB17_335:
	v_and_b32_e32 v18, 0xffffff00, v8
	v_cndmask_b32_e64 v19, 0, 1, s[6:7]
	v_or_b32_e32 v18, v19, v18
	v_and_b32_e32 v18, 0xffff, v18
	s_mov_b32 s4, 0xffff0000
	v_and_or_b32 v8, v8, s4, v18
.LBB17_336:
	s_or_b64 exec, exec, s[2:3]
	v_or_b32_e32 v18, 0x500, v0
	v_cmp_gt_i32_e32 vcc, s8, v18
	s_and_saveexec_b64 s[2:3], vcc
	s_cbranch_execz .LBB17_351
; %bb.337:
	s_cmp_lt_i32 s9, 1
	s_mov_b64 s[4:5], 0
	s_cbranch_scc1 .LBB17_342
; %bb.338:
	s_cmp_gt_i32 s9, 1
	s_cbranch_scc0 .LBB17_343
; %bb.339:
	s_cmp_eq_u32 s9, 2
	s_cbranch_scc0 .LBB17_539
; %bb.340:
	v_cmp_le_i16_sdwa s[6:7], sext(v17), s46 src0_sel:BYTE_0 src1_sel:DWORD
	s_mov_b64 s[10:11], 0
	s_branch .LBB17_345
.LBB17_341:
	v_cmp_lt_i16_sdwa s[10:11], sext(v18), s46 src0_sel:BYTE_0 src1_sel:DWORD
	s_andn2_b64 s[6:7], s[6:7], exec
	s_and_b64 s[10:11], s[10:11], exec
	s_or_b64 s[6:7], s[6:7], s[10:11]
	s_cbranch_execz .LBB17_334
	s_branch .LBB17_335
.LBB17_342:
                                        ; implicit-def: $sgpr6_sgpr7
	s_mov_b64 s[10:11], 0
	s_cbranch_execnz .LBB17_346
	s_branch .LBB17_347
.LBB17_343:
	s_mov_b64 s[10:11], 0
                                        ; implicit-def: $sgpr6_sgpr7
	s_cbranch_execz .LBB17_345
; %bb.344:
	v_cmp_gt_i16_sdwa s[14:15], sext(v17), s46 src0_sel:BYTE_0 src1_sel:DWORD
	s_andn2_b64 s[6:7], s[6:7], exec
	s_and_b64 s[14:15], s[14:15], exec
	s_or_b64 s[6:7], s[6:7], s[14:15]
.LBB17_345:
	s_branch .LBB17_347
.LBB17_346:
	s_cmp_lg_u32 s9, 0
	s_mov_b64 s[4:5], -1
	s_cselect_b64 s[10:11], -1, 0
.LBB17_347:
	s_andn2_b64 vcc, exec, s[10:11]
	s_cbranch_vccz .LBB17_356
; %bb.348:
	s_andn2_b64 vcc, exec, s[4:5]
	s_cbranch_vccnz .LBB17_350
.LBB17_349:
	v_cmp_ge_i16_sdwa s[4:5], sext(v17), s46 src0_sel:BYTE_0 src1_sel:DWORD
	s_andn2_b64 s[6:7], s[6:7], exec
	s_and_b64 s[4:5], s[4:5], exec
	s_or_b64 s[6:7], s[6:7], s[4:5]
.LBB17_350:
	v_cndmask_b32_e64 v17, 0, 1, s[6:7]
	v_lshlrev_b16_e32 v17, 8, v17
	v_or_b32_sdwa v17, v8, v17 dst_sel:DWORD dst_unused:UNUSED_PAD src0_sel:BYTE_0 src1_sel:DWORD
	v_and_b32_e32 v17, 0xffff, v17
	s_mov_b32 s4, 0xffff0000
	v_and_or_b32 v8, v8, s4, v17
.LBB17_351:
	s_or_b64 exec, exec, s[2:3]
	v_or_b32_e32 v17, 0x600, v0
	v_cmp_gt_i32_e32 vcc, s8, v17
	s_and_saveexec_b64 s[2:3], vcc
	s_cbranch_execz .LBB17_366
; %bb.352:
	s_cmp_lt_i32 s9, 1
	s_mov_b64 s[4:5], 0
	s_cbranch_scc1 .LBB17_357
; %bb.353:
	s_cmp_gt_i32 s9, 1
	s_cbranch_scc0 .LBB17_358
; %bb.354:
	s_cmp_eq_u32 s9, 2
	s_cbranch_scc0 .LBB17_540
; %bb.355:
	v_cmp_le_i16_sdwa s[6:7], sext(v16), s46 src0_sel:BYTE_0 src1_sel:DWORD
	s_mov_b64 s[10:11], 0
	s_branch .LBB17_360
.LBB17_356:
	v_cmp_lt_i16_sdwa s[10:11], sext(v17), s46 src0_sel:BYTE_0 src1_sel:DWORD
	s_andn2_b64 s[6:7], s[6:7], exec
	s_and_b64 s[10:11], s[10:11], exec
	s_or_b64 s[6:7], s[6:7], s[10:11]
	s_cbranch_execz .LBB17_349
	s_branch .LBB17_350
.LBB17_357:
                                        ; implicit-def: $sgpr6_sgpr7
	s_mov_b64 s[10:11], 0
	s_cbranch_execnz .LBB17_361
	s_branch .LBB17_362
.LBB17_358:
	s_mov_b64 s[10:11], 0
                                        ; implicit-def: $sgpr6_sgpr7
	s_cbranch_execz .LBB17_360
; %bb.359:
	v_cmp_gt_i16_sdwa s[14:15], sext(v16), s46 src0_sel:BYTE_0 src1_sel:DWORD
	s_andn2_b64 s[6:7], s[6:7], exec
	s_and_b64 s[14:15], s[14:15], exec
	s_or_b64 s[6:7], s[6:7], s[14:15]
.LBB17_360:
	s_branch .LBB17_362
.LBB17_361:
	s_cmp_lg_u32 s9, 0
	s_mov_b64 s[4:5], -1
	s_cselect_b64 s[10:11], -1, 0
.LBB17_362:
	s_andn2_b64 vcc, exec, s[10:11]
	s_cbranch_vccz .LBB17_371
; %bb.363:
	s_andn2_b64 vcc, exec, s[4:5]
	s_cbranch_vccnz .LBB17_365
.LBB17_364:
	v_cmp_ge_i16_sdwa s[4:5], sext(v16), s46 src0_sel:BYTE_0 src1_sel:DWORD
	s_andn2_b64 s[6:7], s[6:7], exec
	s_and_b64 s[4:5], s[4:5], exec
	s_or_b64 s[6:7], s[6:7], s[4:5]
.LBB17_365:
	s_movk_i32 s4, 0xff00
	v_and_b32_sdwa v16, v8, s4 dst_sel:DWORD dst_unused:UNUSED_PAD src0_sel:WORD_1 src1_sel:DWORD
	v_cndmask_b32_e64 v17, 0, 1, s[6:7]
	v_or_b32_sdwa v16, v17, v16 dst_sel:WORD_1 dst_unused:UNUSED_PAD src0_sel:DWORD src1_sel:DWORD
	s_mov_b32 s4, 0xffff
	v_and_or_b32 v8, v8, s4, v16
.LBB17_366:
	s_or_b64 exec, exec, s[2:3]
	v_or_b32_e32 v16, 0x700, v0
	v_cmp_gt_i32_e32 vcc, s8, v16
	s_and_saveexec_b64 s[2:3], vcc
	s_cbranch_execz .LBB17_381
; %bb.367:
	s_cmp_lt_i32 s9, 1
	s_mov_b64 s[4:5], 0
	s_cbranch_scc1 .LBB17_372
; %bb.368:
	s_cmp_gt_i32 s9, 1
	s_cbranch_scc0 .LBB17_373
; %bb.369:
	s_cmp_eq_u32 s9, 2
	s_cbranch_scc0 .LBB17_541
; %bb.370:
	v_cmp_le_i16_sdwa s[6:7], sext(v15), s46 src0_sel:BYTE_0 src1_sel:DWORD
	s_mov_b64 s[10:11], 0
	s_branch .LBB17_375
.LBB17_371:
	v_cmp_lt_i16_sdwa s[10:11], sext(v16), s46 src0_sel:BYTE_0 src1_sel:DWORD
	s_andn2_b64 s[6:7], s[6:7], exec
	s_and_b64 s[10:11], s[10:11], exec
	s_or_b64 s[6:7], s[6:7], s[10:11]
	s_cbranch_execz .LBB17_364
	s_branch .LBB17_365
.LBB17_372:
                                        ; implicit-def: $sgpr6_sgpr7
	s_mov_b64 s[10:11], 0
	s_cbranch_execnz .LBB17_376
	s_branch .LBB17_377
.LBB17_373:
	s_mov_b64 s[10:11], 0
                                        ; implicit-def: $sgpr6_sgpr7
	s_cbranch_execz .LBB17_375
; %bb.374:
	v_cmp_gt_i16_sdwa s[14:15], sext(v15), s46 src0_sel:BYTE_0 src1_sel:DWORD
	s_andn2_b64 s[6:7], s[6:7], exec
	s_and_b64 s[14:15], s[14:15], exec
	s_or_b64 s[6:7], s[6:7], s[14:15]
.LBB17_375:
	s_branch .LBB17_377
.LBB17_376:
	s_cmp_lg_u32 s9, 0
	s_mov_b64 s[4:5], -1
	s_cselect_b64 s[10:11], -1, 0
.LBB17_377:
	s_andn2_b64 vcc, exec, s[10:11]
	s_cbranch_vccz .LBB17_386
; %bb.378:
	s_andn2_b64 vcc, exec, s[4:5]
	s_cbranch_vccnz .LBB17_380
.LBB17_379:
	v_cmp_ge_i16_sdwa s[4:5], sext(v15), s46 src0_sel:BYTE_0 src1_sel:DWORD
	s_andn2_b64 s[6:7], s[6:7], exec
	s_and_b64 s[4:5], s[4:5], exec
	s_or_b64 s[6:7], s[6:7], s[4:5]
.LBB17_380:
	s_movk_i32 s4, 0xff
	v_cndmask_b32_e64 v16, 0, 1, s[6:7]
	v_and_b32_sdwa v15, v8, s4 dst_sel:DWORD dst_unused:UNUSED_PAD src0_sel:WORD_1 src1_sel:DWORD
	v_lshlrev_b16_e32 v16, 8, v16
	v_or_b32_sdwa v15, v15, v16 dst_sel:WORD_1 dst_unused:UNUSED_PAD src0_sel:DWORD src1_sel:DWORD
	s_mov_b32 s4, 0xffff
	v_and_or_b32 v8, v8, s4, v15
.LBB17_381:
	s_or_b64 exec, exec, s[2:3]
	v_or_b32_e32 v15, 0x800, v0
	v_cmp_gt_i32_e32 vcc, s8, v15
	s_and_saveexec_b64 s[2:3], vcc
	s_cbranch_execz .LBB17_396
; %bb.382:
	s_cmp_lt_i32 s9, 1
	s_mov_b64 s[4:5], 0
	s_cbranch_scc1 .LBB17_387
; %bb.383:
	s_cmp_gt_i32 s9, 1
	s_cbranch_scc0 .LBB17_388
; %bb.384:
	s_cmp_eq_u32 s9, 2
	s_cbranch_scc0 .LBB17_542
; %bb.385:
	v_cmp_le_i16_sdwa s[6:7], sext(v14), s46 src0_sel:BYTE_0 src1_sel:DWORD
	s_mov_b64 s[10:11], 0
	s_branch .LBB17_390
.LBB17_386:
	v_cmp_lt_i16_sdwa s[10:11], sext(v15), s46 src0_sel:BYTE_0 src1_sel:DWORD
	s_andn2_b64 s[6:7], s[6:7], exec
	s_and_b64 s[10:11], s[10:11], exec
	s_or_b64 s[6:7], s[6:7], s[10:11]
	s_cbranch_execz .LBB17_379
	s_branch .LBB17_380
.LBB17_387:
                                        ; implicit-def: $sgpr6_sgpr7
	s_mov_b64 s[10:11], 0
	s_cbranch_execnz .LBB17_391
	s_branch .LBB17_392
.LBB17_388:
	s_mov_b64 s[10:11], 0
                                        ; implicit-def: $sgpr6_sgpr7
	s_cbranch_execz .LBB17_390
; %bb.389:
	v_cmp_gt_i16_sdwa s[14:15], sext(v14), s46 src0_sel:BYTE_0 src1_sel:DWORD
	s_andn2_b64 s[6:7], s[6:7], exec
	s_and_b64 s[14:15], s[14:15], exec
	s_or_b64 s[6:7], s[6:7], s[14:15]
.LBB17_390:
	s_branch .LBB17_392
.LBB17_391:
	s_cmp_lg_u32 s9, 0
	s_mov_b64 s[4:5], -1
	s_cselect_b64 s[10:11], -1, 0
.LBB17_392:
	s_andn2_b64 vcc, exec, s[10:11]
	s_cbranch_vccz .LBB17_401
; %bb.393:
	s_andn2_b64 vcc, exec, s[4:5]
	s_cbranch_vccnz .LBB17_395
.LBB17_394:
	v_cmp_ge_i16_sdwa s[4:5], sext(v14), s46 src0_sel:BYTE_0 src1_sel:DWORD
	s_andn2_b64 s[6:7], s[6:7], exec
	s_and_b64 s[4:5], s[4:5], exec
	s_or_b64 s[6:7], s[6:7], s[4:5]
.LBB17_395:
	v_and_b32_e32 v14, 0xffffff00, v2
	v_cndmask_b32_e64 v15, 0, 1, s[6:7]
	v_or_b32_e32 v14, v15, v14
	v_and_b32_e32 v14, 0xffff, v14
	s_mov_b32 s4, 0xffff0000
	v_and_or_b32 v2, v2, s4, v14
.LBB17_396:
	s_or_b64 exec, exec, s[2:3]
	v_or_b32_e32 v14, 0x900, v0
	v_cmp_gt_i32_e32 vcc, s8, v14
	s_and_saveexec_b64 s[2:3], vcc
	s_cbranch_execz .LBB17_411
; %bb.397:
	s_cmp_lt_i32 s9, 1
	s_mov_b64 s[4:5], 0
	s_cbranch_scc1 .LBB17_402
; %bb.398:
	s_cmp_gt_i32 s9, 1
	s_cbranch_scc0 .LBB17_403
; %bb.399:
	s_cmp_eq_u32 s9, 2
	s_cbranch_scc0 .LBB17_543
; %bb.400:
	v_cmp_le_i16_sdwa s[6:7], sext(v13), s46 src0_sel:BYTE_0 src1_sel:DWORD
	s_mov_b64 s[10:11], 0
	s_branch .LBB17_405
.LBB17_401:
	v_cmp_lt_i16_sdwa s[10:11], sext(v14), s46 src0_sel:BYTE_0 src1_sel:DWORD
	s_andn2_b64 s[6:7], s[6:7], exec
	s_and_b64 s[10:11], s[10:11], exec
	s_or_b64 s[6:7], s[6:7], s[10:11]
	s_cbranch_execz .LBB17_394
	s_branch .LBB17_395
.LBB17_402:
                                        ; implicit-def: $sgpr6_sgpr7
	s_mov_b64 s[10:11], 0
	s_cbranch_execnz .LBB17_406
	s_branch .LBB17_407
.LBB17_403:
	s_mov_b64 s[10:11], 0
                                        ; implicit-def: $sgpr6_sgpr7
	s_cbranch_execz .LBB17_405
; %bb.404:
	v_cmp_gt_i16_sdwa s[14:15], sext(v13), s46 src0_sel:BYTE_0 src1_sel:DWORD
	s_andn2_b64 s[6:7], s[6:7], exec
	s_and_b64 s[14:15], s[14:15], exec
	s_or_b64 s[6:7], s[6:7], s[14:15]
.LBB17_405:
	s_branch .LBB17_407
.LBB17_406:
	s_cmp_lg_u32 s9, 0
	s_mov_b64 s[4:5], -1
	s_cselect_b64 s[10:11], -1, 0
.LBB17_407:
	s_andn2_b64 vcc, exec, s[10:11]
	s_cbranch_vccz .LBB17_416
; %bb.408:
	s_andn2_b64 vcc, exec, s[4:5]
	s_cbranch_vccnz .LBB17_410
.LBB17_409:
	v_cmp_ge_i16_sdwa s[4:5], sext(v13), s46 src0_sel:BYTE_0 src1_sel:DWORD
	s_andn2_b64 s[6:7], s[6:7], exec
	s_and_b64 s[4:5], s[4:5], exec
	s_or_b64 s[6:7], s[6:7], s[4:5]
.LBB17_410:
	v_cndmask_b32_e64 v13, 0, 1, s[6:7]
	v_lshlrev_b16_e32 v13, 8, v13
	v_or_b32_sdwa v13, v2, v13 dst_sel:DWORD dst_unused:UNUSED_PAD src0_sel:BYTE_0 src1_sel:DWORD
	v_and_b32_e32 v13, 0xffff, v13
	s_mov_b32 s4, 0xffff0000
	v_and_or_b32 v2, v2, s4, v13
.LBB17_411:
	s_or_b64 exec, exec, s[2:3]
	v_or_b32_e32 v13, 0xa00, v0
	v_cmp_gt_i32_e32 vcc, s8, v13
	s_and_saveexec_b64 s[2:3], vcc
	s_cbranch_execz .LBB17_426
; %bb.412:
	s_cmp_lt_i32 s9, 1
	s_mov_b64 s[4:5], 0
	s_cbranch_scc1 .LBB17_417
; %bb.413:
	s_cmp_gt_i32 s9, 1
	s_cbranch_scc0 .LBB17_418
; %bb.414:
	s_cmp_eq_u32 s9, 2
	s_cbranch_scc0 .LBB17_544
; %bb.415:
	v_cmp_le_i16_sdwa s[6:7], sext(v12), s46 src0_sel:BYTE_0 src1_sel:DWORD
	s_mov_b64 s[10:11], 0
	s_branch .LBB17_420
.LBB17_416:
	v_cmp_lt_i16_sdwa s[10:11], sext(v13), s46 src0_sel:BYTE_0 src1_sel:DWORD
	s_andn2_b64 s[6:7], s[6:7], exec
	s_and_b64 s[10:11], s[10:11], exec
	s_or_b64 s[6:7], s[6:7], s[10:11]
	s_cbranch_execz .LBB17_409
	s_branch .LBB17_410
.LBB17_417:
                                        ; implicit-def: $sgpr6_sgpr7
	s_mov_b64 s[10:11], 0
	s_cbranch_execnz .LBB17_421
	s_branch .LBB17_422
.LBB17_418:
	s_mov_b64 s[10:11], 0
                                        ; implicit-def: $sgpr6_sgpr7
	s_cbranch_execz .LBB17_420
; %bb.419:
	v_cmp_gt_i16_sdwa s[14:15], sext(v12), s46 src0_sel:BYTE_0 src1_sel:DWORD
	s_andn2_b64 s[6:7], s[6:7], exec
	s_and_b64 s[14:15], s[14:15], exec
	s_or_b64 s[6:7], s[6:7], s[14:15]
.LBB17_420:
	s_branch .LBB17_422
.LBB17_421:
	s_cmp_lg_u32 s9, 0
	s_mov_b64 s[4:5], -1
	s_cselect_b64 s[10:11], -1, 0
.LBB17_422:
	s_andn2_b64 vcc, exec, s[10:11]
	s_cbranch_vccz .LBB17_431
; %bb.423:
	s_andn2_b64 vcc, exec, s[4:5]
	s_cbranch_vccnz .LBB17_425
.LBB17_424:
	v_cmp_ge_i16_sdwa s[4:5], sext(v12), s46 src0_sel:BYTE_0 src1_sel:DWORD
	s_andn2_b64 s[6:7], s[6:7], exec
	s_and_b64 s[4:5], s[4:5], exec
	s_or_b64 s[6:7], s[6:7], s[4:5]
.LBB17_425:
	s_movk_i32 s4, 0xff00
	v_and_b32_sdwa v12, v2, s4 dst_sel:DWORD dst_unused:UNUSED_PAD src0_sel:WORD_1 src1_sel:DWORD
	v_cndmask_b32_e64 v13, 0, 1, s[6:7]
	v_or_b32_sdwa v12, v13, v12 dst_sel:WORD_1 dst_unused:UNUSED_PAD src0_sel:DWORD src1_sel:DWORD
	s_mov_b32 s4, 0xffff
	v_and_or_b32 v2, v2, s4, v12
.LBB17_426:
	s_or_b64 exec, exec, s[2:3]
	v_or_b32_e32 v12, 0xb00, v0
	v_cmp_gt_i32_e32 vcc, s8, v12
	s_and_saveexec_b64 s[2:3], vcc
	s_cbranch_execz .LBB17_441
; %bb.427:
	s_cmp_lt_i32 s9, 1
	s_mov_b64 s[4:5], 0
	s_cbranch_scc1 .LBB17_432
; %bb.428:
	s_cmp_gt_i32 s9, 1
	s_cbranch_scc0 .LBB17_433
; %bb.429:
	s_cmp_eq_u32 s9, 2
	s_cbranch_scc0 .LBB17_545
; %bb.430:
	v_cmp_le_i16_sdwa s[6:7], sext(v11), s46 src0_sel:BYTE_0 src1_sel:DWORD
	s_mov_b64 s[10:11], 0
	s_branch .LBB17_435
.LBB17_431:
	v_cmp_lt_i16_sdwa s[10:11], sext(v12), s46 src0_sel:BYTE_0 src1_sel:DWORD
	s_andn2_b64 s[6:7], s[6:7], exec
	s_and_b64 s[10:11], s[10:11], exec
	s_or_b64 s[6:7], s[6:7], s[10:11]
	s_cbranch_execz .LBB17_424
	s_branch .LBB17_425
.LBB17_432:
                                        ; implicit-def: $sgpr6_sgpr7
	s_mov_b64 s[10:11], 0
	s_cbranch_execnz .LBB17_436
	s_branch .LBB17_437
.LBB17_433:
	s_mov_b64 s[10:11], 0
                                        ; implicit-def: $sgpr6_sgpr7
	s_cbranch_execz .LBB17_435
; %bb.434:
	v_cmp_gt_i16_sdwa s[14:15], sext(v11), s46 src0_sel:BYTE_0 src1_sel:DWORD
	s_andn2_b64 s[6:7], s[6:7], exec
	s_and_b64 s[14:15], s[14:15], exec
	s_or_b64 s[6:7], s[6:7], s[14:15]
.LBB17_435:
	s_branch .LBB17_437
.LBB17_436:
	s_cmp_lg_u32 s9, 0
	s_mov_b64 s[4:5], -1
	s_cselect_b64 s[10:11], -1, 0
.LBB17_437:
	s_andn2_b64 vcc, exec, s[10:11]
	s_cbranch_vccz .LBB17_446
; %bb.438:
	s_andn2_b64 vcc, exec, s[4:5]
	s_cbranch_vccnz .LBB17_440
.LBB17_439:
	v_cmp_ge_i16_sdwa s[4:5], sext(v11), s46 src0_sel:BYTE_0 src1_sel:DWORD
	s_andn2_b64 s[6:7], s[6:7], exec
	s_and_b64 s[4:5], s[4:5], exec
	s_or_b64 s[6:7], s[6:7], s[4:5]
.LBB17_440:
	s_movk_i32 s4, 0xff
	v_cndmask_b32_e64 v12, 0, 1, s[6:7]
	v_and_b32_sdwa v11, v2, s4 dst_sel:DWORD dst_unused:UNUSED_PAD src0_sel:WORD_1 src1_sel:DWORD
	v_lshlrev_b16_e32 v12, 8, v12
	v_or_b32_sdwa v11, v11, v12 dst_sel:WORD_1 dst_unused:UNUSED_PAD src0_sel:DWORD src1_sel:DWORD
	s_mov_b32 s4, 0xffff
	v_and_or_b32 v2, v2, s4, v11
.LBB17_441:
	s_or_b64 exec, exec, s[2:3]
	v_or_b32_e32 v11, 0xc00, v0
	v_cmp_gt_i32_e32 vcc, s8, v11
	s_and_saveexec_b64 s[2:3], vcc
	s_cbranch_execz .LBB17_456
; %bb.442:
	s_cmp_lt_i32 s9, 1
	s_mov_b64 s[4:5], 0
	s_cbranch_scc1 .LBB17_447
; %bb.443:
	s_cmp_gt_i32 s9, 1
	s_cbranch_scc0 .LBB17_448
; %bb.444:
	s_cmp_eq_u32 s9, 2
	s_cbranch_scc0 .LBB17_546
; %bb.445:
	v_cmp_le_i16_sdwa s[6:7], sext(v9), s46 src0_sel:BYTE_0 src1_sel:DWORD
	s_mov_b64 s[10:11], 0
	s_branch .LBB17_450
.LBB17_446:
	v_cmp_lt_i16_sdwa s[10:11], sext(v11), s46 src0_sel:BYTE_0 src1_sel:DWORD
	s_andn2_b64 s[6:7], s[6:7], exec
	s_and_b64 s[10:11], s[10:11], exec
	s_or_b64 s[6:7], s[6:7], s[10:11]
	s_cbranch_execz .LBB17_439
	s_branch .LBB17_440
.LBB17_447:
                                        ; implicit-def: $sgpr6_sgpr7
	s_mov_b64 s[10:11], 0
	s_cbranch_execnz .LBB17_451
	s_branch .LBB17_452
.LBB17_448:
	s_mov_b64 s[10:11], 0
                                        ; implicit-def: $sgpr6_sgpr7
	s_cbranch_execz .LBB17_450
; %bb.449:
	v_cmp_gt_i16_sdwa s[14:15], sext(v9), s46 src0_sel:BYTE_0 src1_sel:DWORD
	s_andn2_b64 s[6:7], s[6:7], exec
	s_and_b64 s[14:15], s[14:15], exec
	s_or_b64 s[6:7], s[6:7], s[14:15]
.LBB17_450:
	s_branch .LBB17_452
.LBB17_451:
	s_cmp_lg_u32 s9, 0
	s_mov_b64 s[4:5], -1
	s_cselect_b64 s[10:11], -1, 0
.LBB17_452:
	s_andn2_b64 vcc, exec, s[10:11]
	s_cbranch_vccz .LBB17_461
; %bb.453:
	s_andn2_b64 vcc, exec, s[4:5]
	s_cbranch_vccnz .LBB17_455
.LBB17_454:
	v_cmp_ge_i16_sdwa s[4:5], sext(v9), s46 src0_sel:BYTE_0 src1_sel:DWORD
	s_andn2_b64 s[6:7], s[6:7], exec
	s_and_b64 s[4:5], s[4:5], exec
	s_or_b64 s[6:7], s[6:7], s[4:5]
.LBB17_455:
	v_and_b32_e32 v9, 0xffffff00, v1
	v_cndmask_b32_e64 v11, 0, 1, s[6:7]
	v_or_b32_e32 v9, v11, v9
	v_and_b32_e32 v9, 0xffff, v9
	s_mov_b32 s4, 0xffff0000
	v_and_or_b32 v1, v1, s4, v9
.LBB17_456:
	s_or_b64 exec, exec, s[2:3]
	v_or_b32_e32 v9, 0xd00, v0
	v_cmp_gt_i32_e32 vcc, s8, v9
	s_and_saveexec_b64 s[2:3], vcc
	s_cbranch_execz .LBB17_471
; %bb.457:
	s_cmp_lt_i32 s9, 1
	s_mov_b64 s[4:5], 0
	s_cbranch_scc1 .LBB17_462
; %bb.458:
	s_cmp_gt_i32 s9, 1
	s_cbranch_scc0 .LBB17_463
; %bb.459:
	s_cmp_eq_u32 s9, 2
	s_cbranch_scc0 .LBB17_547
; %bb.460:
	v_cmp_le_i16_sdwa s[6:7], sext(v7), s46 src0_sel:BYTE_0 src1_sel:DWORD
	s_mov_b64 s[10:11], 0
	s_branch .LBB17_465
.LBB17_461:
	v_cmp_lt_i16_sdwa s[10:11], sext(v9), s46 src0_sel:BYTE_0 src1_sel:DWORD
	s_andn2_b64 s[6:7], s[6:7], exec
	s_and_b64 s[10:11], s[10:11], exec
	s_or_b64 s[6:7], s[6:7], s[10:11]
	s_cbranch_execz .LBB17_454
	s_branch .LBB17_455
.LBB17_462:
                                        ; implicit-def: $sgpr6_sgpr7
	s_mov_b64 s[10:11], 0
	s_cbranch_execnz .LBB17_466
	s_branch .LBB17_467
.LBB17_463:
	s_mov_b64 s[10:11], 0
                                        ; implicit-def: $sgpr6_sgpr7
	s_cbranch_execz .LBB17_465
; %bb.464:
	v_cmp_gt_i16_sdwa s[14:15], sext(v7), s46 src0_sel:BYTE_0 src1_sel:DWORD
	s_andn2_b64 s[6:7], s[6:7], exec
	s_and_b64 s[14:15], s[14:15], exec
	s_or_b64 s[6:7], s[6:7], s[14:15]
.LBB17_465:
	s_branch .LBB17_467
.LBB17_466:
	s_cmp_lg_u32 s9, 0
	s_mov_b64 s[4:5], -1
	s_cselect_b64 s[10:11], -1, 0
.LBB17_467:
	s_andn2_b64 vcc, exec, s[10:11]
	s_cbranch_vccz .LBB17_476
; %bb.468:
	s_andn2_b64 vcc, exec, s[4:5]
	s_cbranch_vccnz .LBB17_470
.LBB17_469:
	v_cmp_ge_i16_sdwa s[4:5], sext(v7), s46 src0_sel:BYTE_0 src1_sel:DWORD
	s_andn2_b64 s[6:7], s[6:7], exec
	s_and_b64 s[4:5], s[4:5], exec
	s_or_b64 s[6:7], s[6:7], s[4:5]
.LBB17_470:
	v_cndmask_b32_e64 v7, 0, 1, s[6:7]
	v_lshlrev_b16_e32 v7, 8, v7
	v_or_b32_sdwa v7, v1, v7 dst_sel:DWORD dst_unused:UNUSED_PAD src0_sel:BYTE_0 src1_sel:DWORD
	v_and_b32_e32 v7, 0xffff, v7
	s_mov_b32 s4, 0xffff0000
	v_and_or_b32 v1, v1, s4, v7
.LBB17_471:
	s_or_b64 exec, exec, s[2:3]
	v_or_b32_e32 v7, 0xe00, v0
	v_cmp_gt_i32_e32 vcc, s8, v7
	s_and_saveexec_b64 s[2:3], vcc
	s_cbranch_execz .LBB17_486
; %bb.472:
	s_cmp_lt_i32 s9, 1
	s_mov_b64 s[4:5], 0
	s_cbranch_scc1 .LBB17_477
; %bb.473:
	s_cmp_gt_i32 s9, 1
	s_cbranch_scc0 .LBB17_478
; %bb.474:
	s_cmp_eq_u32 s9, 2
	s_cbranch_scc0 .LBB17_548
; %bb.475:
	v_cmp_le_i16_sdwa s[6:7], sext(v6), s46 src0_sel:BYTE_0 src1_sel:DWORD
	s_mov_b64 s[10:11], 0
	s_branch .LBB17_480
.LBB17_476:
	v_cmp_lt_i16_sdwa s[10:11], sext(v7), s46 src0_sel:BYTE_0 src1_sel:DWORD
	s_andn2_b64 s[6:7], s[6:7], exec
	s_and_b64 s[10:11], s[10:11], exec
	s_or_b64 s[6:7], s[6:7], s[10:11]
	s_cbranch_execz .LBB17_469
	s_branch .LBB17_470
.LBB17_477:
                                        ; implicit-def: $sgpr6_sgpr7
	s_mov_b64 s[10:11], 0
	s_cbranch_execnz .LBB17_481
	s_branch .LBB17_482
.LBB17_478:
	s_mov_b64 s[10:11], 0
                                        ; implicit-def: $sgpr6_sgpr7
	s_cbranch_execz .LBB17_480
; %bb.479:
	v_cmp_gt_i16_sdwa s[14:15], sext(v6), s46 src0_sel:BYTE_0 src1_sel:DWORD
	s_andn2_b64 s[6:7], s[6:7], exec
	s_and_b64 s[14:15], s[14:15], exec
	s_or_b64 s[6:7], s[6:7], s[14:15]
.LBB17_480:
	s_branch .LBB17_482
.LBB17_481:
	s_cmp_lg_u32 s9, 0
	s_mov_b64 s[4:5], -1
	s_cselect_b64 s[10:11], -1, 0
.LBB17_482:
	s_andn2_b64 vcc, exec, s[10:11]
	s_cbranch_vccz .LBB17_491
; %bb.483:
	s_andn2_b64 vcc, exec, s[4:5]
	s_cbranch_vccnz .LBB17_485
.LBB17_484:
	v_cmp_ge_i16_sdwa s[4:5], sext(v6), s46 src0_sel:BYTE_0 src1_sel:DWORD
	s_andn2_b64 s[6:7], s[6:7], exec
	s_and_b64 s[4:5], s[4:5], exec
	s_or_b64 s[6:7], s[6:7], s[4:5]
.LBB17_485:
	s_movk_i32 s4, 0xff00
	v_and_b32_sdwa v6, v1, s4 dst_sel:DWORD dst_unused:UNUSED_PAD src0_sel:WORD_1 src1_sel:DWORD
	v_cndmask_b32_e64 v7, 0, 1, s[6:7]
	v_or_b32_sdwa v6, v7, v6 dst_sel:WORD_1 dst_unused:UNUSED_PAD src0_sel:DWORD src1_sel:DWORD
	s_mov_b32 s4, 0xffff
	v_and_or_b32 v1, v1, s4, v6
.LBB17_486:
	s_or_b64 exec, exec, s[2:3]
	v_or_b32_e32 v6, 0xf00, v0
	v_cmp_gt_i32_e32 vcc, s8, v6
	s_and_saveexec_b64 s[2:3], vcc
	s_cbranch_execz .LBB17_501
; %bb.487:
	s_cmp_lt_i32 s9, 1
	s_mov_b64 s[4:5], 0
	s_cbranch_scc1 .LBB17_492
; %bb.488:
	s_cmp_gt_i32 s9, 1
	s_cbranch_scc0 .LBB17_493
; %bb.489:
	s_cmp_eq_u32 s9, 2
	s_cbranch_scc0 .LBB17_549
; %bb.490:
	v_cmp_le_i16_sdwa s[6:7], sext(v5), s46 src0_sel:BYTE_0 src1_sel:DWORD
	s_mov_b64 s[10:11], 0
	s_branch .LBB17_495
.LBB17_491:
	v_cmp_lt_i16_sdwa s[10:11], sext(v6), s46 src0_sel:BYTE_0 src1_sel:DWORD
	s_andn2_b64 s[6:7], s[6:7], exec
	s_and_b64 s[10:11], s[10:11], exec
	s_or_b64 s[6:7], s[6:7], s[10:11]
	s_cbranch_execz .LBB17_484
	s_branch .LBB17_485
.LBB17_492:
                                        ; implicit-def: $sgpr6_sgpr7
	s_mov_b64 s[10:11], 0
	s_cbranch_execnz .LBB17_496
	s_branch .LBB17_497
.LBB17_493:
	s_mov_b64 s[10:11], 0
                                        ; implicit-def: $sgpr6_sgpr7
	s_cbranch_execz .LBB17_495
; %bb.494:
	v_cmp_gt_i16_sdwa s[14:15], sext(v5), s46 src0_sel:BYTE_0 src1_sel:DWORD
	s_andn2_b64 s[6:7], s[6:7], exec
	s_and_b64 s[14:15], s[14:15], exec
	s_or_b64 s[6:7], s[6:7], s[14:15]
.LBB17_495:
	s_branch .LBB17_497
.LBB17_496:
	s_cmp_lg_u32 s9, 0
	s_mov_b64 s[4:5], -1
	s_cselect_b64 s[10:11], -1, 0
.LBB17_497:
	s_andn2_b64 vcc, exec, s[10:11]
	s_cbranch_vccz .LBB17_534
; %bb.498:
	s_andn2_b64 vcc, exec, s[4:5]
	s_cbranch_vccnz .LBB17_500
.LBB17_499:
	v_cmp_ge_i16_sdwa s[4:5], sext(v5), s46 src0_sel:BYTE_0 src1_sel:DWORD
	s_andn2_b64 s[6:7], s[6:7], exec
	s_and_b64 s[4:5], s[4:5], exec
	s_or_b64 s[6:7], s[6:7], s[4:5]
.LBB17_500:
	s_movk_i32 s4, 0xff
	v_cndmask_b32_e64 v6, 0, 1, s[6:7]
	v_and_b32_sdwa v5, v1, s4 dst_sel:DWORD dst_unused:UNUSED_PAD src0_sel:WORD_1 src1_sel:DWORD
	v_lshlrev_b16_e32 v6, 8, v6
	v_or_b32_sdwa v5, v5, v6 dst_sel:WORD_1 dst_unused:UNUSED_PAD src0_sel:DWORD src1_sel:DWORD
	s_mov_b32 s4, 0xffff
	v_and_or_b32 v1, v1, s4, v5
.LBB17_501:
	s_or_b64 exec, exec, s[2:3]
	s_and_saveexec_b64 s[2:3], s[0:1]
	s_xor_b64 s[0:1], exec, s[2:3]
	s_cbranch_execz .LBB17_503
; %bb.502:
	v_mov_b32_e32 v0, v10
	global_store_byte v3, v4, s[12:13]
.LBB17_503:
	s_or_b64 exec, exec, s[0:1]
	v_cmp_gt_i32_e32 vcc, s8, v0
	s_and_saveexec_b64 s[0:1], vcc
	s_cbranch_execnz .LBB17_520
; %bb.504:
	s_or_b64 exec, exec, s[0:1]
	v_cmp_gt_i32_e32 vcc, s8, v0
	s_and_saveexec_b64 s[0:1], vcc
	s_cbranch_execnz .LBB17_521
.LBB17_505:
	s_or_b64 exec, exec, s[0:1]
	v_cmp_gt_i32_e32 vcc, s8, v0
	s_and_saveexec_b64 s[0:1], vcc
	s_cbranch_execnz .LBB17_522
.LBB17_506:
	s_or_b64 exec, exec, s[0:1]
	v_cmp_gt_i32_e32 vcc, s8, v0
	s_and_saveexec_b64 s[0:1], vcc
	s_cbranch_execnz .LBB17_523
.LBB17_507:
	s_or_b64 exec, exec, s[0:1]
	v_cmp_gt_i32_e32 vcc, s8, v0
	s_and_saveexec_b64 s[0:1], vcc
	s_cbranch_execnz .LBB17_524
.LBB17_508:
	s_or_b64 exec, exec, s[0:1]
	v_cmp_gt_i32_e32 vcc, s8, v0
	s_and_saveexec_b64 s[0:1], vcc
	s_cbranch_execnz .LBB17_525
.LBB17_509:
	s_or_b64 exec, exec, s[0:1]
	v_cmp_gt_i32_e32 vcc, s8, v0
	s_and_saveexec_b64 s[0:1], vcc
	s_cbranch_execnz .LBB17_526
.LBB17_510:
	s_or_b64 exec, exec, s[0:1]
	v_cmp_gt_i32_e32 vcc, s8, v0
	s_and_saveexec_b64 s[0:1], vcc
	s_cbranch_execnz .LBB17_527
.LBB17_511:
	s_or_b64 exec, exec, s[0:1]
	v_cmp_gt_i32_e32 vcc, s8, v0
	s_and_saveexec_b64 s[0:1], vcc
	s_cbranch_execnz .LBB17_528
.LBB17_512:
	s_or_b64 exec, exec, s[0:1]
	v_cmp_gt_i32_e32 vcc, s8, v0
	s_and_saveexec_b64 s[0:1], vcc
	s_cbranch_execnz .LBB17_529
.LBB17_513:
	s_or_b64 exec, exec, s[0:1]
	v_cmp_gt_i32_e32 vcc, s8, v0
	s_and_saveexec_b64 s[0:1], vcc
	s_cbranch_execnz .LBB17_530
.LBB17_514:
	s_or_b64 exec, exec, s[0:1]
	v_cmp_gt_i32_e32 vcc, s8, v0
	s_and_saveexec_b64 s[0:1], vcc
	s_cbranch_execnz .LBB17_531
.LBB17_515:
	s_or_b64 exec, exec, s[0:1]
	v_cmp_gt_i32_e32 vcc, s8, v0
	s_and_saveexec_b64 s[0:1], vcc
	s_cbranch_execnz .LBB17_532
.LBB17_516:
	s_or_b64 exec, exec, s[0:1]
	v_cmp_gt_i32_e32 vcc, s8, v0
	s_and_saveexec_b64 s[0:1], vcc
	s_cbranch_execnz .LBB17_533
.LBB17_517:
	s_or_b64 exec, exec, s[0:1]
	v_cmp_gt_i32_e32 vcc, s8, v0
	s_and_saveexec_b64 s[0:1], vcc
	s_cbranch_execz .LBB17_519
.LBB17_518:
	v_lshrrev_b32_e32 v1, 24, v1
	v_add_u32_e32 v0, s33, v0
	global_store_byte v0, v1, s[12:13]
.LBB17_519:
	s_endpgm
.LBB17_520:
	v_lshrrev_b32_e32 v3, 8, v4
	v_add_u32_e32 v5, s33, v0
	v_add_u32_e32 v0, 0x100, v0
	global_store_byte v5, v3, s[12:13]
	s_or_b64 exec, exec, s[0:1]
	v_cmp_gt_i32_e32 vcc, s8, v0
	s_and_saveexec_b64 s[0:1], vcc
	s_cbranch_execz .LBB17_505
.LBB17_521:
	v_add_u32_e32 v3, s33, v0
	v_add_u32_e32 v0, 0x100, v0
	global_store_byte_d16_hi v3, v4, s[12:13]
	s_or_b64 exec, exec, s[0:1]
	v_cmp_gt_i32_e32 vcc, s8, v0
	s_and_saveexec_b64 s[0:1], vcc
	s_cbranch_execz .LBB17_506
.LBB17_522:
	v_lshrrev_b32_e32 v3, 24, v4
	v_add_u32_e32 v4, s33, v0
	v_add_u32_e32 v0, 0x100, v0
	global_store_byte v4, v3, s[12:13]
	s_or_b64 exec, exec, s[0:1]
	v_cmp_gt_i32_e32 vcc, s8, v0
	s_and_saveexec_b64 s[0:1], vcc
	s_cbranch_execz .LBB17_507
.LBB17_523:
	v_add_u32_e32 v3, s33, v0
	v_add_u32_e32 v0, 0x100, v0
	global_store_byte v3, v8, s[12:13]
	s_or_b64 exec, exec, s[0:1]
	v_cmp_gt_i32_e32 vcc, s8, v0
	s_and_saveexec_b64 s[0:1], vcc
	s_cbranch_execz .LBB17_508
.LBB17_524:
	v_lshrrev_b32_e32 v3, 8, v8
	v_add_u32_e32 v4, s33, v0
	v_add_u32_e32 v0, 0x100, v0
	global_store_byte v4, v3, s[12:13]
	s_or_b64 exec, exec, s[0:1]
	v_cmp_gt_i32_e32 vcc, s8, v0
	s_and_saveexec_b64 s[0:1], vcc
	s_cbranch_execz .LBB17_509
.LBB17_525:
	v_add_u32_e32 v3, s33, v0
	v_add_u32_e32 v0, 0x100, v0
	global_store_byte_d16_hi v3, v8, s[12:13]
	s_or_b64 exec, exec, s[0:1]
	v_cmp_gt_i32_e32 vcc, s8, v0
	s_and_saveexec_b64 s[0:1], vcc
	s_cbranch_execz .LBB17_510
.LBB17_526:
	v_lshrrev_b32_e32 v3, 24, v8
	v_add_u32_e32 v4, s33, v0
	v_add_u32_e32 v0, 0x100, v0
	global_store_byte v4, v3, s[12:13]
	s_or_b64 exec, exec, s[0:1]
	v_cmp_gt_i32_e32 vcc, s8, v0
	s_and_saveexec_b64 s[0:1], vcc
	s_cbranch_execz .LBB17_511
.LBB17_527:
	v_add_u32_e32 v3, s33, v0
	v_add_u32_e32 v0, 0x100, v0
	global_store_byte v3, v2, s[12:13]
	s_or_b64 exec, exec, s[0:1]
	v_cmp_gt_i32_e32 vcc, s8, v0
	s_and_saveexec_b64 s[0:1], vcc
	s_cbranch_execz .LBB17_512
.LBB17_528:
	v_lshrrev_b32_e32 v3, 8, v2
	v_add_u32_e32 v4, s33, v0
	v_add_u32_e32 v0, 0x100, v0
	global_store_byte v4, v3, s[12:13]
	s_or_b64 exec, exec, s[0:1]
	v_cmp_gt_i32_e32 vcc, s8, v0
	s_and_saveexec_b64 s[0:1], vcc
	s_cbranch_execz .LBB17_513
.LBB17_529:
	v_add_u32_e32 v3, s33, v0
	v_add_u32_e32 v0, 0x100, v0
	global_store_byte_d16_hi v3, v2, s[12:13]
	s_or_b64 exec, exec, s[0:1]
	v_cmp_gt_i32_e32 vcc, s8, v0
	s_and_saveexec_b64 s[0:1], vcc
	s_cbranch_execz .LBB17_514
.LBB17_530:
	v_lshrrev_b32_e32 v2, 24, v2
	v_add_u32_e32 v3, s33, v0
	v_add_u32_e32 v0, 0x100, v0
	global_store_byte v3, v2, s[12:13]
	s_or_b64 exec, exec, s[0:1]
	v_cmp_gt_i32_e32 vcc, s8, v0
	s_and_saveexec_b64 s[0:1], vcc
	s_cbranch_execz .LBB17_515
.LBB17_531:
	v_add_u32_e32 v2, s33, v0
	v_add_u32_e32 v0, 0x100, v0
	global_store_byte v2, v1, s[12:13]
	s_or_b64 exec, exec, s[0:1]
	v_cmp_gt_i32_e32 vcc, s8, v0
	s_and_saveexec_b64 s[0:1], vcc
	s_cbranch_execz .LBB17_516
.LBB17_532:
	v_lshrrev_b32_e32 v2, 8, v1
	v_add_u32_e32 v3, s33, v0
	v_add_u32_e32 v0, 0x100, v0
	global_store_byte v3, v2, s[12:13]
	s_or_b64 exec, exec, s[0:1]
	v_cmp_gt_i32_e32 vcc, s8, v0
	s_and_saveexec_b64 s[0:1], vcc
	s_cbranch_execz .LBB17_517
.LBB17_533:
	v_add_u32_e32 v2, s33, v0
	v_add_u32_e32 v0, 0x100, v0
	global_store_byte_d16_hi v2, v1, s[12:13]
	s_or_b64 exec, exec, s[0:1]
	v_cmp_gt_i32_e32 vcc, s8, v0
	s_and_saveexec_b64 s[0:1], vcc
	s_cbranch_execnz .LBB17_518
	s_branch .LBB17_519
.LBB17_534:
	v_cmp_lt_i16_sdwa s[10:11], sext(v5), s46 src0_sel:BYTE_0 src1_sel:DWORD
	s_andn2_b64 s[6:7], s[6:7], exec
	s_and_b64 s[10:11], s[10:11], exec
	s_or_b64 s[6:7], s[6:7], s[10:11]
	s_cbranch_execz .LBB17_499
	s_branch .LBB17_500
.LBB17_535:
	s_mov_b64 s[10:11], -1
                                        ; implicit-def: $sgpr6_sgpr7
	s_branch .LBB17_285
.LBB17_536:
	s_mov_b64 s[10:11], -1
                                        ; implicit-def: $sgpr6_sgpr7
	s_branch .LBB17_300
.LBB17_537:
	s_mov_b64 s[10:11], -1
                                        ; implicit-def: $sgpr6_sgpr7
	s_branch .LBB17_315
.LBB17_538:
	s_mov_b64 s[10:11], -1
                                        ; implicit-def: $sgpr6_sgpr7
	s_branch .LBB17_330
.LBB17_539:
	s_mov_b64 s[10:11], -1
                                        ; implicit-def: $sgpr6_sgpr7
	s_branch .LBB17_345
.LBB17_540:
	s_mov_b64 s[10:11], -1
                                        ; implicit-def: $sgpr6_sgpr7
	s_branch .LBB17_360
.LBB17_541:
	s_mov_b64 s[10:11], -1
                                        ; implicit-def: $sgpr6_sgpr7
	s_branch .LBB17_375
.LBB17_542:
	s_mov_b64 s[10:11], -1
                                        ; implicit-def: $sgpr6_sgpr7
	s_branch .LBB17_390
.LBB17_543:
	s_mov_b64 s[10:11], -1
                                        ; implicit-def: $sgpr6_sgpr7
	s_branch .LBB17_405
.LBB17_544:
	s_mov_b64 s[10:11], -1
                                        ; implicit-def: $sgpr6_sgpr7
	s_branch .LBB17_420
.LBB17_545:
	s_mov_b64 s[10:11], -1
                                        ; implicit-def: $sgpr6_sgpr7
	s_branch .LBB17_435
.LBB17_546:
	s_mov_b64 s[10:11], -1
                                        ; implicit-def: $sgpr6_sgpr7
	s_branch .LBB17_450
.LBB17_547:
	s_mov_b64 s[10:11], -1
                                        ; implicit-def: $sgpr6_sgpr7
	s_branch .LBB17_465
.LBB17_548:
	s_mov_b64 s[10:11], -1
                                        ; implicit-def: $sgpr6_sgpr7
	s_branch .LBB17_480
.LBB17_549:
	s_mov_b64 s[10:11], -1
                                        ; implicit-def: $sgpr6_sgpr7
	s_branch .LBB17_495
	.section	.rodata,"a",@progbits
	.p2align	6, 0x0
	.amdhsa_kernel _ZN2at6native29vectorized_elementwise_kernelILi8EZNS0_21compare_scalar_kernelIaEEvRNS_18TensorIteratorBaseENS0_12_GLOBAL__N_16OpTypeET_EUlaE_St5arrayIPcLm2EEEEviT0_T1_
		.amdhsa_group_segment_fixed_size 0
		.amdhsa_private_segment_fixed_size 0
		.amdhsa_kernarg_size 32
		.amdhsa_user_sgpr_count 6
		.amdhsa_user_sgpr_private_segment_buffer 1
		.amdhsa_user_sgpr_dispatch_ptr 0
		.amdhsa_user_sgpr_queue_ptr 0
		.amdhsa_user_sgpr_kernarg_segment_ptr 1
		.amdhsa_user_sgpr_dispatch_id 0
		.amdhsa_user_sgpr_flat_scratch_init 0
		.amdhsa_user_sgpr_private_segment_size 0
		.amdhsa_uses_dynamic_stack 0
		.amdhsa_system_sgpr_private_segment_wavefront_offset 0
		.amdhsa_system_sgpr_workgroup_id_x 1
		.amdhsa_system_sgpr_workgroup_id_y 0
		.amdhsa_system_sgpr_workgroup_id_z 0
		.amdhsa_system_sgpr_workgroup_info 0
		.amdhsa_system_vgpr_workitem_id 0
		.amdhsa_next_free_vgpr 22
		.amdhsa_next_free_sgpr 48
		.amdhsa_reserve_vcc 1
		.amdhsa_reserve_flat_scratch 0
		.amdhsa_float_round_mode_32 0
		.amdhsa_float_round_mode_16_64 0
		.amdhsa_float_denorm_mode_32 3
		.amdhsa_float_denorm_mode_16_64 3
		.amdhsa_dx10_clamp 1
		.amdhsa_ieee_mode 1
		.amdhsa_fp16_overflow 0
		.amdhsa_exception_fp_ieee_invalid_op 0
		.amdhsa_exception_fp_denorm_src 0
		.amdhsa_exception_fp_ieee_div_zero 0
		.amdhsa_exception_fp_ieee_overflow 0
		.amdhsa_exception_fp_ieee_underflow 0
		.amdhsa_exception_fp_ieee_inexact 0
		.amdhsa_exception_int_div_zero 0
	.end_amdhsa_kernel
	.section	.text._ZN2at6native29vectorized_elementwise_kernelILi8EZNS0_21compare_scalar_kernelIaEEvRNS_18TensorIteratorBaseENS0_12_GLOBAL__N_16OpTypeET_EUlaE_St5arrayIPcLm2EEEEviT0_T1_,"axG",@progbits,_ZN2at6native29vectorized_elementwise_kernelILi8EZNS0_21compare_scalar_kernelIaEEvRNS_18TensorIteratorBaseENS0_12_GLOBAL__N_16OpTypeET_EUlaE_St5arrayIPcLm2EEEEviT0_T1_,comdat
.Lfunc_end17:
	.size	_ZN2at6native29vectorized_elementwise_kernelILi8EZNS0_21compare_scalar_kernelIaEEvRNS_18TensorIteratorBaseENS0_12_GLOBAL__N_16OpTypeET_EUlaE_St5arrayIPcLm2EEEEviT0_T1_, .Lfunc_end17-_ZN2at6native29vectorized_elementwise_kernelILi8EZNS0_21compare_scalar_kernelIaEEvRNS_18TensorIteratorBaseENS0_12_GLOBAL__N_16OpTypeET_EUlaE_St5arrayIPcLm2EEEEviT0_T1_
                                        ; -- End function
	.set _ZN2at6native29vectorized_elementwise_kernelILi8EZNS0_21compare_scalar_kernelIaEEvRNS_18TensorIteratorBaseENS0_12_GLOBAL__N_16OpTypeET_EUlaE_St5arrayIPcLm2EEEEviT0_T1_.num_vgpr, 22
	.set _ZN2at6native29vectorized_elementwise_kernelILi8EZNS0_21compare_scalar_kernelIaEEvRNS_18TensorIteratorBaseENS0_12_GLOBAL__N_16OpTypeET_EUlaE_St5arrayIPcLm2EEEEviT0_T1_.num_agpr, 0
	.set _ZN2at6native29vectorized_elementwise_kernelILi8EZNS0_21compare_scalar_kernelIaEEvRNS_18TensorIteratorBaseENS0_12_GLOBAL__N_16OpTypeET_EUlaE_St5arrayIPcLm2EEEEviT0_T1_.numbered_sgpr, 48
	.set _ZN2at6native29vectorized_elementwise_kernelILi8EZNS0_21compare_scalar_kernelIaEEvRNS_18TensorIteratorBaseENS0_12_GLOBAL__N_16OpTypeET_EUlaE_St5arrayIPcLm2EEEEviT0_T1_.num_named_barrier, 0
	.set _ZN2at6native29vectorized_elementwise_kernelILi8EZNS0_21compare_scalar_kernelIaEEvRNS_18TensorIteratorBaseENS0_12_GLOBAL__N_16OpTypeET_EUlaE_St5arrayIPcLm2EEEEviT0_T1_.private_seg_size, 0
	.set _ZN2at6native29vectorized_elementwise_kernelILi8EZNS0_21compare_scalar_kernelIaEEvRNS_18TensorIteratorBaseENS0_12_GLOBAL__N_16OpTypeET_EUlaE_St5arrayIPcLm2EEEEviT0_T1_.uses_vcc, 1
	.set _ZN2at6native29vectorized_elementwise_kernelILi8EZNS0_21compare_scalar_kernelIaEEvRNS_18TensorIteratorBaseENS0_12_GLOBAL__N_16OpTypeET_EUlaE_St5arrayIPcLm2EEEEviT0_T1_.uses_flat_scratch, 0
	.set _ZN2at6native29vectorized_elementwise_kernelILi8EZNS0_21compare_scalar_kernelIaEEvRNS_18TensorIteratorBaseENS0_12_GLOBAL__N_16OpTypeET_EUlaE_St5arrayIPcLm2EEEEviT0_T1_.has_dyn_sized_stack, 0
	.set _ZN2at6native29vectorized_elementwise_kernelILi8EZNS0_21compare_scalar_kernelIaEEvRNS_18TensorIteratorBaseENS0_12_GLOBAL__N_16OpTypeET_EUlaE_St5arrayIPcLm2EEEEviT0_T1_.has_recursion, 0
	.set _ZN2at6native29vectorized_elementwise_kernelILi8EZNS0_21compare_scalar_kernelIaEEvRNS_18TensorIteratorBaseENS0_12_GLOBAL__N_16OpTypeET_EUlaE_St5arrayIPcLm2EEEEviT0_T1_.has_indirect_call, 0
	.section	.AMDGPU.csdata,"",@progbits
; Kernel info:
; codeLenInByte = 9184
; TotalNumSgprs: 52
; NumVgprs: 22
; ScratchSize: 0
; MemoryBound: 0
; FloatMode: 240
; IeeeMode: 1
; LDSByteSize: 0 bytes/workgroup (compile time only)
; SGPRBlocks: 6
; VGPRBlocks: 5
; NumSGPRsForWavesPerEU: 52
; NumVGPRsForWavesPerEU: 22
; Occupancy: 10
; WaveLimiterHint : 1
; COMPUTE_PGM_RSRC2:SCRATCH_EN: 0
; COMPUTE_PGM_RSRC2:USER_SGPR: 6
; COMPUTE_PGM_RSRC2:TRAP_HANDLER: 0
; COMPUTE_PGM_RSRC2:TGID_X_EN: 1
; COMPUTE_PGM_RSRC2:TGID_Y_EN: 0
; COMPUTE_PGM_RSRC2:TGID_Z_EN: 0
; COMPUTE_PGM_RSRC2:TIDIG_COMP_CNT: 0
	.section	.text._ZN2at6native29vectorized_elementwise_kernelILi4EZNS0_21compare_scalar_kernelIaEEvRNS_18TensorIteratorBaseENS0_12_GLOBAL__N_16OpTypeET_EUlaE_St5arrayIPcLm2EEEEviT0_T1_,"axG",@progbits,_ZN2at6native29vectorized_elementwise_kernelILi4EZNS0_21compare_scalar_kernelIaEEvRNS_18TensorIteratorBaseENS0_12_GLOBAL__N_16OpTypeET_EUlaE_St5arrayIPcLm2EEEEviT0_T1_,comdat
	.globl	_ZN2at6native29vectorized_elementwise_kernelILi4EZNS0_21compare_scalar_kernelIaEEvRNS_18TensorIteratorBaseENS0_12_GLOBAL__N_16OpTypeET_EUlaE_St5arrayIPcLm2EEEEviT0_T1_ ; -- Begin function _ZN2at6native29vectorized_elementwise_kernelILi4EZNS0_21compare_scalar_kernelIaEEvRNS_18TensorIteratorBaseENS0_12_GLOBAL__N_16OpTypeET_EUlaE_St5arrayIPcLm2EEEEviT0_T1_
	.p2align	8
	.type	_ZN2at6native29vectorized_elementwise_kernelILi4EZNS0_21compare_scalar_kernelIaEEvRNS_18TensorIteratorBaseENS0_12_GLOBAL__N_16OpTypeET_EUlaE_St5arrayIPcLm2EEEEviT0_T1_,@function
_ZN2at6native29vectorized_elementwise_kernelILi4EZNS0_21compare_scalar_kernelIaEEvRNS_18TensorIteratorBaseENS0_12_GLOBAL__N_16OpTypeET_EUlaE_St5arrayIPcLm2EEEEviT0_T1_: ; @_ZN2at6native29vectorized_elementwise_kernelILi4EZNS0_21compare_scalar_kernelIaEEvRNS_18TensorIteratorBaseENS0_12_GLOBAL__N_16OpTypeET_EUlaE_St5arrayIPcLm2EEEEviT0_T1_
; %bb.0:
	s_load_dwordx8 s[8:15], s[4:5], 0x0
	s_lshl_b32 s33, s6, 12
	s_mov_b64 s[0:1], -1
	s_waitcnt lgkmcnt(0)
	s_sub_i32 s8, s8, s33
	s_bfe_i32 s46, s10, 0x80000
	s_cmpk_gt_i32 s8, 0xfff
	s_cbranch_scc0 .LBB18_211
; %bb.1:
	s_ashr_i32 s47, s33, 31
	s_add_u32 s0, s14, s33
	s_addc_u32 s1, s15, s47
	v_lshlrev_b32_e32 v1, 2, v0
	global_load_dword v5, v1, s[0:1]
	global_load_dword v4, v1, s[0:1] offset:1024
	global_load_dword v3, v1, s[0:1] offset:2048
	;; [unrolled: 1-line block ×3, first 2 shown]
	s_cmp_lt_i32 s9, 1
	s_mov_b64 s[2:3], 0
	s_cbranch_scc1 .LBB18_5
; %bb.2:
	s_cmp_gt_i32 s9, 1
	s_cbranch_scc0 .LBB18_6
; %bb.3:
	s_cmp_eq_u32 s9, 2
	s_cbranch_scc0 .LBB18_7
; %bb.4:
	s_waitcnt vmcnt(3)
	v_cmp_le_i16_sdwa s[0:1], sext(v5), s46 src0_sel:BYTE_0 src1_sel:DWORD
	s_mov_b64 s[4:5], 0
	s_branch .LBB18_8
.LBB18_5:
                                        ; implicit-def: $sgpr0_sgpr1
	s_mov_b64 s[4:5], 0
	s_cbranch_execnz .LBB18_11
	s_branch .LBB18_12
.LBB18_6:
	s_mov_b64 s[4:5], 0
                                        ; implicit-def: $sgpr0_sgpr1
	s_cbranch_execnz .LBB18_9
	s_branch .LBB18_10
.LBB18_7:
	s_mov_b64 s[4:5], -1
                                        ; implicit-def: $sgpr0_sgpr1
.LBB18_8:
	s_branch .LBB18_10
.LBB18_9:
	s_waitcnt vmcnt(3)
	v_cmp_gt_i16_sdwa s[6:7], sext(v5), s46 src0_sel:BYTE_0 src1_sel:DWORD
	s_andn2_b64 s[0:1], s[0:1], exec
	s_and_b64 s[6:7], s[6:7], exec
	s_or_b64 s[0:1], s[0:1], s[6:7]
.LBB18_10:
	s_branch .LBB18_12
.LBB18_11:
	s_cmp_lg_u32 s9, 0
	s_mov_b64 s[2:3], -1
	s_cselect_b64 s[4:5], -1, 0
.LBB18_12:
	s_andn2_b64 vcc, exec, s[4:5]
	s_cbranch_vccz .LBB18_18
; %bb.13:
	s_andn2_b64 vcc, exec, s[2:3]
	s_cbranch_vccz .LBB18_19
.LBB18_14:
	s_cmp_lt_i32 s9, 1
	s_mov_b64 s[4:5], 0
	s_cbranch_scc1 .LBB18_20
.LBB18_15:
	s_cmp_gt_i32 s9, 1
	s_cbranch_scc0 .LBB18_21
; %bb.16:
	s_cmp_eq_u32 s9, 2
	s_cbranch_scc0 .LBB18_251
; %bb.17:
	s_waitcnt vmcnt(3)
	v_lshrrev_b32_e32 v6, 8, v5
	v_cmp_le_i16_sdwa s[2:3], sext(v6), s46 src0_sel:BYTE_0 src1_sel:DWORD
	s_mov_b64 s[6:7], 0
	s_branch .LBB18_23
.LBB18_18:
	s_waitcnt vmcnt(3)
	v_cmp_lt_i16_sdwa s[4:5], sext(v5), s46 src0_sel:BYTE_0 src1_sel:DWORD
	s_andn2_b64 s[0:1], s[0:1], exec
	s_and_b64 s[4:5], s[4:5], exec
	s_or_b64 s[0:1], s[0:1], s[4:5]
	s_cbranch_execnz .LBB18_14
.LBB18_19:
	s_waitcnt vmcnt(3)
	v_cmp_ge_i16_sdwa s[2:3], sext(v5), s46 src0_sel:BYTE_0 src1_sel:DWORD
	s_andn2_b64 s[0:1], s[0:1], exec
	s_and_b64 s[2:3], s[2:3], exec
	s_or_b64 s[0:1], s[0:1], s[2:3]
	s_cmp_lt_i32 s9, 1
	s_mov_b64 s[4:5], 0
	s_cbranch_scc0 .LBB18_15
.LBB18_20:
                                        ; implicit-def: $sgpr2_sgpr3
	s_mov_b64 s[6:7], 0
	s_cbranch_execnz .LBB18_24
	s_branch .LBB18_25
.LBB18_21:
	s_mov_b64 s[6:7], 0
                                        ; implicit-def: $sgpr2_sgpr3
	s_cbranch_execz .LBB18_23
; %bb.22:
	s_waitcnt vmcnt(3)
	v_lshrrev_b32_e32 v6, 8, v5
	v_cmp_gt_i16_sdwa s[10:11], sext(v6), s46 src0_sel:BYTE_0 src1_sel:DWORD
	s_andn2_b64 s[2:3], s[2:3], exec
	s_and_b64 s[10:11], s[10:11], exec
	s_or_b64 s[2:3], s[2:3], s[10:11]
.LBB18_23:
	s_branch .LBB18_25
.LBB18_24:
	s_cmp_lg_u32 s9, 0
	s_mov_b64 s[4:5], -1
	s_cselect_b64 s[6:7], -1, 0
.LBB18_25:
	s_andn2_b64 vcc, exec, s[6:7]
	s_waitcnt vmcnt(3)
	v_lshrrev_b32_e32 v6, 8, v5
	s_cbranch_vccz .LBB18_31
; %bb.26:
	s_andn2_b64 vcc, exec, s[4:5]
	s_cbranch_vccz .LBB18_32
.LBB18_27:
	s_cmp_lt_i32 s9, 1
	s_mov_b64 s[6:7], 0
	s_cbranch_scc1 .LBB18_33
.LBB18_28:
	s_cmp_gt_i32 s9, 1
	s_cbranch_scc0 .LBB18_34
; %bb.29:
	s_cmp_eq_u32 s9, 2
	s_cbranch_scc0 .LBB18_252
; %bb.30:
	v_lshrrev_b32_e32 v6, 16, v5
	v_cmp_le_i16_sdwa s[4:5], sext(v6), s46 src0_sel:BYTE_0 src1_sel:DWORD
	s_mov_b64 s[10:11], 0
	s_branch .LBB18_36
.LBB18_31:
	v_cmp_lt_i16_sdwa s[6:7], sext(v6), s46 src0_sel:BYTE_0 src1_sel:DWORD
	s_andn2_b64 s[2:3], s[2:3], exec
	s_and_b64 s[6:7], s[6:7], exec
	s_or_b64 s[2:3], s[2:3], s[6:7]
	s_cbranch_execnz .LBB18_27
.LBB18_32:
	v_cmp_ge_i16_sdwa s[4:5], sext(v6), s46 src0_sel:BYTE_0 src1_sel:DWORD
	s_andn2_b64 s[2:3], s[2:3], exec
	s_and_b64 s[4:5], s[4:5], exec
	s_or_b64 s[2:3], s[2:3], s[4:5]
	s_cmp_lt_i32 s9, 1
	s_mov_b64 s[6:7], 0
	s_cbranch_scc0 .LBB18_28
.LBB18_33:
                                        ; implicit-def: $sgpr4_sgpr5
	s_mov_b64 s[10:11], 0
	s_cbranch_execnz .LBB18_37
	s_branch .LBB18_38
.LBB18_34:
	s_mov_b64 s[10:11], 0
                                        ; implicit-def: $sgpr4_sgpr5
	s_cbranch_execz .LBB18_36
; %bb.35:
	v_lshrrev_b32_e32 v6, 16, v5
	v_cmp_gt_i16_sdwa s[16:17], sext(v6), s46 src0_sel:BYTE_0 src1_sel:DWORD
	s_andn2_b64 s[4:5], s[4:5], exec
	s_and_b64 s[16:17], s[16:17], exec
	s_or_b64 s[4:5], s[4:5], s[16:17]
.LBB18_36:
	s_branch .LBB18_38
.LBB18_37:
	s_cmp_lg_u32 s9, 0
	s_mov_b64 s[6:7], -1
	s_cselect_b64 s[10:11], -1, 0
.LBB18_38:
	s_andn2_b64 vcc, exec, s[10:11]
	v_lshrrev_b32_e32 v6, 16, v5
	s_cbranch_vccz .LBB18_44
; %bb.39:
	s_andn2_b64 vcc, exec, s[6:7]
	s_cbranch_vccz .LBB18_45
.LBB18_40:
	s_cmp_lt_i32 s9, 1
	s_mov_b64 s[10:11], 0
	s_cbranch_scc1 .LBB18_46
.LBB18_41:
	s_cmp_gt_i32 s9, 1
	s_cbranch_scc0 .LBB18_47
; %bb.42:
	s_cmp_eq_u32 s9, 2
	s_cbranch_scc0 .LBB18_253
; %bb.43:
	v_lshrrev_b32_e32 v6, 24, v5
	v_cmp_le_i16_sdwa s[6:7], sext(v6), s46 src0_sel:BYTE_0 src1_sel:DWORD
	s_mov_b64 s[16:17], 0
	s_branch .LBB18_49
.LBB18_44:
	v_cmp_lt_i16_sdwa s[10:11], sext(v6), s46 src0_sel:BYTE_0 src1_sel:DWORD
	s_andn2_b64 s[4:5], s[4:5], exec
	s_and_b64 s[10:11], s[10:11], exec
	s_or_b64 s[4:5], s[4:5], s[10:11]
	s_cbranch_execnz .LBB18_40
.LBB18_45:
	v_cmp_ge_i16_sdwa s[6:7], sext(v6), s46 src0_sel:BYTE_0 src1_sel:DWORD
	s_andn2_b64 s[4:5], s[4:5], exec
	s_and_b64 s[6:7], s[6:7], exec
	s_or_b64 s[4:5], s[4:5], s[6:7]
	s_cmp_lt_i32 s9, 1
	s_mov_b64 s[10:11], 0
	s_cbranch_scc0 .LBB18_41
.LBB18_46:
                                        ; implicit-def: $sgpr6_sgpr7
	s_mov_b64 s[16:17], 0
	s_cbranch_execnz .LBB18_50
	s_branch .LBB18_51
.LBB18_47:
	s_mov_b64 s[16:17], 0
                                        ; implicit-def: $sgpr6_sgpr7
	s_cbranch_execz .LBB18_49
; %bb.48:
	v_lshrrev_b32_e32 v6, 24, v5
	v_cmp_gt_i16_sdwa s[18:19], sext(v6), s46 src0_sel:BYTE_0 src1_sel:DWORD
	s_andn2_b64 s[6:7], s[6:7], exec
	s_and_b64 s[18:19], s[18:19], exec
	s_or_b64 s[6:7], s[6:7], s[18:19]
.LBB18_49:
	s_branch .LBB18_51
.LBB18_50:
	s_cmp_lg_u32 s9, 0
	s_mov_b64 s[10:11], -1
	s_cselect_b64 s[16:17], -1, 0
.LBB18_51:
	s_andn2_b64 vcc, exec, s[16:17]
	v_lshrrev_b32_e32 v5, 24, v5
	s_cbranch_vccz .LBB18_57
; %bb.52:
	s_andn2_b64 vcc, exec, s[10:11]
	s_cbranch_vccz .LBB18_58
.LBB18_53:
	s_cmp_lt_i32 s9, 1
	s_mov_b64 s[16:17], 0
	s_cbranch_scc1 .LBB18_59
.LBB18_54:
	s_cmp_gt_i32 s9, 1
	s_cbranch_scc0 .LBB18_60
; %bb.55:
	s_cmp_eq_u32 s9, 2
	s_cbranch_scc0 .LBB18_254
; %bb.56:
	s_waitcnt vmcnt(2)
	v_cmp_le_i16_sdwa s[10:11], sext(v4), s46 src0_sel:BYTE_0 src1_sel:DWORD
	s_mov_b64 s[18:19], 0
	s_branch .LBB18_62
.LBB18_57:
	v_cmp_lt_i16_sdwa s[16:17], sext(v5), s46 src0_sel:BYTE_0 src1_sel:DWORD
	s_andn2_b64 s[6:7], s[6:7], exec
	s_and_b64 s[16:17], s[16:17], exec
	s_or_b64 s[6:7], s[6:7], s[16:17]
	s_cbranch_execnz .LBB18_53
.LBB18_58:
	v_cmp_ge_i16_sdwa s[10:11], sext(v5), s46 src0_sel:BYTE_0 src1_sel:DWORD
	s_andn2_b64 s[6:7], s[6:7], exec
	s_and_b64 s[10:11], s[10:11], exec
	s_or_b64 s[6:7], s[6:7], s[10:11]
	s_cmp_lt_i32 s9, 1
	s_mov_b64 s[16:17], 0
	s_cbranch_scc0 .LBB18_54
.LBB18_59:
                                        ; implicit-def: $sgpr10_sgpr11
	s_mov_b64 s[18:19], 0
	s_cbranch_execnz .LBB18_63
	s_branch .LBB18_64
.LBB18_60:
	s_mov_b64 s[18:19], 0
                                        ; implicit-def: $sgpr10_sgpr11
	s_cbranch_execz .LBB18_62
; %bb.61:
	s_waitcnt vmcnt(2)
	v_cmp_gt_i16_sdwa s[20:21], sext(v4), s46 src0_sel:BYTE_0 src1_sel:DWORD
	s_andn2_b64 s[10:11], s[10:11], exec
	s_and_b64 s[20:21], s[20:21], exec
	s_or_b64 s[10:11], s[10:11], s[20:21]
.LBB18_62:
	s_branch .LBB18_64
.LBB18_63:
	s_cmp_lg_u32 s9, 0
	s_mov_b64 s[16:17], -1
	s_cselect_b64 s[18:19], -1, 0
.LBB18_64:
	s_andn2_b64 vcc, exec, s[18:19]
	s_cbranch_vccz .LBB18_70
; %bb.65:
	s_andn2_b64 vcc, exec, s[16:17]
	s_cbranch_vccz .LBB18_71
.LBB18_66:
	s_cmp_lt_i32 s9, 1
	s_mov_b64 s[18:19], 0
	s_cbranch_scc1 .LBB18_72
.LBB18_67:
	s_cmp_gt_i32 s9, 1
	s_cbranch_scc0 .LBB18_73
; %bb.68:
	s_cmp_eq_u32 s9, 2
	s_cbranch_scc0 .LBB18_255
; %bb.69:
	s_waitcnt vmcnt(2)
	v_lshrrev_b32_e32 v5, 8, v4
	v_cmp_le_i16_sdwa s[16:17], sext(v5), s46 src0_sel:BYTE_0 src1_sel:DWORD
	s_mov_b64 s[20:21], 0
	s_branch .LBB18_75
.LBB18_70:
	s_waitcnt vmcnt(2)
	v_cmp_lt_i16_sdwa s[18:19], sext(v4), s46 src0_sel:BYTE_0 src1_sel:DWORD
	s_andn2_b64 s[10:11], s[10:11], exec
	s_and_b64 s[18:19], s[18:19], exec
	s_or_b64 s[10:11], s[10:11], s[18:19]
	s_cbranch_execnz .LBB18_66
.LBB18_71:
	s_waitcnt vmcnt(2)
	v_cmp_ge_i16_sdwa s[16:17], sext(v4), s46 src0_sel:BYTE_0 src1_sel:DWORD
	s_andn2_b64 s[10:11], s[10:11], exec
	s_and_b64 s[16:17], s[16:17], exec
	s_or_b64 s[10:11], s[10:11], s[16:17]
	s_cmp_lt_i32 s9, 1
	s_mov_b64 s[18:19], 0
	s_cbranch_scc0 .LBB18_67
.LBB18_72:
                                        ; implicit-def: $sgpr16_sgpr17
	s_mov_b64 s[20:21], 0
	s_cbranch_execnz .LBB18_76
	s_branch .LBB18_77
.LBB18_73:
	s_mov_b64 s[20:21], 0
                                        ; implicit-def: $sgpr16_sgpr17
	s_cbranch_execz .LBB18_75
; %bb.74:
	s_waitcnt vmcnt(2)
	v_lshrrev_b32_e32 v5, 8, v4
	v_cmp_gt_i16_sdwa s[22:23], sext(v5), s46 src0_sel:BYTE_0 src1_sel:DWORD
	s_andn2_b64 s[16:17], s[16:17], exec
	s_and_b64 s[22:23], s[22:23], exec
	s_or_b64 s[16:17], s[16:17], s[22:23]
.LBB18_75:
	s_branch .LBB18_77
.LBB18_76:
	s_cmp_lg_u32 s9, 0
	s_mov_b64 s[18:19], -1
	s_cselect_b64 s[20:21], -1, 0
.LBB18_77:
	s_andn2_b64 vcc, exec, s[20:21]
	s_waitcnt vmcnt(2)
	v_lshrrev_b32_e32 v5, 8, v4
	s_cbranch_vccz .LBB18_83
; %bb.78:
	s_andn2_b64 vcc, exec, s[18:19]
	s_cbranch_vccz .LBB18_84
.LBB18_79:
	s_cmp_lt_i32 s9, 1
	s_mov_b64 s[20:21], 0
	s_cbranch_scc1 .LBB18_85
.LBB18_80:
	s_cmp_gt_i32 s9, 1
	s_cbranch_scc0 .LBB18_86
; %bb.81:
	s_cmp_eq_u32 s9, 2
	s_cbranch_scc0 .LBB18_256
; %bb.82:
	v_lshrrev_b32_e32 v5, 16, v4
	v_cmp_le_i16_sdwa s[18:19], sext(v5), s46 src0_sel:BYTE_0 src1_sel:DWORD
	s_mov_b64 s[22:23], 0
	s_branch .LBB18_88
.LBB18_83:
	v_cmp_lt_i16_sdwa s[20:21], sext(v5), s46 src0_sel:BYTE_0 src1_sel:DWORD
	s_andn2_b64 s[16:17], s[16:17], exec
	s_and_b64 s[20:21], s[20:21], exec
	s_or_b64 s[16:17], s[16:17], s[20:21]
	s_cbranch_execnz .LBB18_79
.LBB18_84:
	v_cmp_ge_i16_sdwa s[18:19], sext(v5), s46 src0_sel:BYTE_0 src1_sel:DWORD
	s_andn2_b64 s[16:17], s[16:17], exec
	s_and_b64 s[18:19], s[18:19], exec
	s_or_b64 s[16:17], s[16:17], s[18:19]
	s_cmp_lt_i32 s9, 1
	s_mov_b64 s[20:21], 0
	s_cbranch_scc0 .LBB18_80
.LBB18_85:
                                        ; implicit-def: $sgpr18_sgpr19
	s_mov_b64 s[22:23], 0
	s_cbranch_execnz .LBB18_89
	s_branch .LBB18_90
.LBB18_86:
	s_mov_b64 s[22:23], 0
                                        ; implicit-def: $sgpr18_sgpr19
	s_cbranch_execz .LBB18_88
; %bb.87:
	v_lshrrev_b32_e32 v5, 16, v4
	v_cmp_gt_i16_sdwa s[24:25], sext(v5), s46 src0_sel:BYTE_0 src1_sel:DWORD
	s_andn2_b64 s[18:19], s[18:19], exec
	s_and_b64 s[24:25], s[24:25], exec
	s_or_b64 s[18:19], s[18:19], s[24:25]
.LBB18_88:
	s_branch .LBB18_90
.LBB18_89:
	s_cmp_lg_u32 s9, 0
	s_mov_b64 s[20:21], -1
	s_cselect_b64 s[22:23], -1, 0
.LBB18_90:
	s_andn2_b64 vcc, exec, s[22:23]
	v_lshrrev_b32_e32 v5, 16, v4
	s_cbranch_vccz .LBB18_96
; %bb.91:
	s_andn2_b64 vcc, exec, s[20:21]
	s_cbranch_vccz .LBB18_97
.LBB18_92:
	s_cmp_lt_i32 s9, 1
	s_mov_b64 s[22:23], 0
	s_cbranch_scc1 .LBB18_98
.LBB18_93:
	s_cmp_gt_i32 s9, 1
	s_cbranch_scc0 .LBB18_99
; %bb.94:
	s_cmp_eq_u32 s9, 2
	s_cbranch_scc0 .LBB18_257
; %bb.95:
	v_lshrrev_b32_e32 v5, 24, v4
	v_cmp_le_i16_sdwa s[20:21], sext(v5), s46 src0_sel:BYTE_0 src1_sel:DWORD
	s_mov_b64 s[24:25], 0
	s_branch .LBB18_101
.LBB18_96:
	v_cmp_lt_i16_sdwa s[22:23], sext(v5), s46 src0_sel:BYTE_0 src1_sel:DWORD
	s_andn2_b64 s[18:19], s[18:19], exec
	s_and_b64 s[22:23], s[22:23], exec
	s_or_b64 s[18:19], s[18:19], s[22:23]
	s_cbranch_execnz .LBB18_92
.LBB18_97:
	v_cmp_ge_i16_sdwa s[20:21], sext(v5), s46 src0_sel:BYTE_0 src1_sel:DWORD
	s_andn2_b64 s[18:19], s[18:19], exec
	s_and_b64 s[20:21], s[20:21], exec
	s_or_b64 s[18:19], s[18:19], s[20:21]
	s_cmp_lt_i32 s9, 1
	s_mov_b64 s[22:23], 0
	s_cbranch_scc0 .LBB18_93
.LBB18_98:
                                        ; implicit-def: $sgpr20_sgpr21
	s_mov_b64 s[24:25], 0
	s_cbranch_execnz .LBB18_102
	s_branch .LBB18_103
.LBB18_99:
	s_mov_b64 s[24:25], 0
                                        ; implicit-def: $sgpr20_sgpr21
	s_cbranch_execz .LBB18_101
; %bb.100:
	v_lshrrev_b32_e32 v5, 24, v4
	v_cmp_gt_i16_sdwa s[26:27], sext(v5), s46 src0_sel:BYTE_0 src1_sel:DWORD
	s_andn2_b64 s[20:21], s[20:21], exec
	s_and_b64 s[26:27], s[26:27], exec
	s_or_b64 s[20:21], s[20:21], s[26:27]
.LBB18_101:
	s_branch .LBB18_103
.LBB18_102:
	s_cmp_lg_u32 s9, 0
	s_mov_b64 s[22:23], -1
	s_cselect_b64 s[24:25], -1, 0
.LBB18_103:
	s_andn2_b64 vcc, exec, s[24:25]
	v_lshrrev_b32_e32 v4, 24, v4
	s_cbranch_vccz .LBB18_109
; %bb.104:
	s_andn2_b64 vcc, exec, s[22:23]
	s_cbranch_vccz .LBB18_110
.LBB18_105:
	s_cmp_lt_i32 s9, 1
	s_mov_b64 s[24:25], 0
	s_cbranch_scc1 .LBB18_111
.LBB18_106:
	s_cmp_gt_i32 s9, 1
	s_cbranch_scc0 .LBB18_112
; %bb.107:
	s_cmp_eq_u32 s9, 2
	s_cbranch_scc0 .LBB18_258
; %bb.108:
	s_waitcnt vmcnt(1)
	v_cmp_le_i16_sdwa s[22:23], sext(v3), s46 src0_sel:BYTE_0 src1_sel:DWORD
	s_mov_b64 s[26:27], 0
	s_branch .LBB18_114
.LBB18_109:
	v_cmp_lt_i16_sdwa s[24:25], sext(v4), s46 src0_sel:BYTE_0 src1_sel:DWORD
	s_andn2_b64 s[20:21], s[20:21], exec
	s_and_b64 s[24:25], s[24:25], exec
	s_or_b64 s[20:21], s[20:21], s[24:25]
	s_cbranch_execnz .LBB18_105
.LBB18_110:
	v_cmp_ge_i16_sdwa s[22:23], sext(v4), s46 src0_sel:BYTE_0 src1_sel:DWORD
	s_andn2_b64 s[20:21], s[20:21], exec
	s_and_b64 s[22:23], s[22:23], exec
	s_or_b64 s[20:21], s[20:21], s[22:23]
	s_cmp_lt_i32 s9, 1
	s_mov_b64 s[24:25], 0
	s_cbranch_scc0 .LBB18_106
.LBB18_111:
                                        ; implicit-def: $sgpr22_sgpr23
	s_mov_b64 s[26:27], 0
	s_cbranch_execnz .LBB18_115
	s_branch .LBB18_116
.LBB18_112:
	s_mov_b64 s[26:27], 0
                                        ; implicit-def: $sgpr22_sgpr23
	s_cbranch_execz .LBB18_114
; %bb.113:
	s_waitcnt vmcnt(1)
	v_cmp_gt_i16_sdwa s[28:29], sext(v3), s46 src0_sel:BYTE_0 src1_sel:DWORD
	s_andn2_b64 s[22:23], s[22:23], exec
	s_and_b64 s[28:29], s[28:29], exec
	s_or_b64 s[22:23], s[22:23], s[28:29]
.LBB18_114:
	s_branch .LBB18_116
.LBB18_115:
	s_cmp_lg_u32 s9, 0
	s_mov_b64 s[24:25], -1
	s_cselect_b64 s[26:27], -1, 0
.LBB18_116:
	s_andn2_b64 vcc, exec, s[26:27]
	s_cbranch_vccz .LBB18_122
; %bb.117:
	s_andn2_b64 vcc, exec, s[24:25]
	s_cbranch_vccz .LBB18_123
.LBB18_118:
	s_cmp_lt_i32 s9, 1
	s_mov_b64 s[26:27], 0
	s_cbranch_scc1 .LBB18_124
.LBB18_119:
	s_cmp_gt_i32 s9, 1
	s_cbranch_scc0 .LBB18_125
; %bb.120:
	s_cmp_eq_u32 s9, 2
	s_cbranch_scc0 .LBB18_259
; %bb.121:
	s_waitcnt vmcnt(1)
	v_lshrrev_b32_e32 v4, 8, v3
	v_cmp_le_i16_sdwa s[24:25], sext(v4), s46 src0_sel:BYTE_0 src1_sel:DWORD
	s_mov_b64 s[28:29], 0
	s_branch .LBB18_127
.LBB18_122:
	s_waitcnt vmcnt(1)
	v_cmp_lt_i16_sdwa s[26:27], sext(v3), s46 src0_sel:BYTE_0 src1_sel:DWORD
	s_andn2_b64 s[22:23], s[22:23], exec
	s_and_b64 s[26:27], s[26:27], exec
	s_or_b64 s[22:23], s[22:23], s[26:27]
	s_cbranch_execnz .LBB18_118
.LBB18_123:
	s_waitcnt vmcnt(1)
	v_cmp_ge_i16_sdwa s[24:25], sext(v3), s46 src0_sel:BYTE_0 src1_sel:DWORD
	s_andn2_b64 s[22:23], s[22:23], exec
	s_and_b64 s[24:25], s[24:25], exec
	s_or_b64 s[22:23], s[22:23], s[24:25]
	s_cmp_lt_i32 s9, 1
	s_mov_b64 s[26:27], 0
	s_cbranch_scc0 .LBB18_119
.LBB18_124:
                                        ; implicit-def: $sgpr24_sgpr25
	s_mov_b64 s[28:29], 0
	s_cbranch_execnz .LBB18_128
	s_branch .LBB18_129
.LBB18_125:
	s_mov_b64 s[28:29], 0
                                        ; implicit-def: $sgpr24_sgpr25
	s_cbranch_execz .LBB18_127
; %bb.126:
	s_waitcnt vmcnt(1)
	v_lshrrev_b32_e32 v4, 8, v3
	v_cmp_gt_i16_sdwa s[30:31], sext(v4), s46 src0_sel:BYTE_0 src1_sel:DWORD
	s_andn2_b64 s[24:25], s[24:25], exec
	s_and_b64 s[30:31], s[30:31], exec
	s_or_b64 s[24:25], s[24:25], s[30:31]
.LBB18_127:
	s_branch .LBB18_129
.LBB18_128:
	s_cmp_lg_u32 s9, 0
	s_mov_b64 s[26:27], -1
	s_cselect_b64 s[28:29], -1, 0
.LBB18_129:
	s_andn2_b64 vcc, exec, s[28:29]
	s_waitcnt vmcnt(1)
	v_lshrrev_b32_e32 v4, 8, v3
	s_cbranch_vccz .LBB18_135
; %bb.130:
	s_andn2_b64 vcc, exec, s[26:27]
	s_cbranch_vccz .LBB18_136
.LBB18_131:
	s_cmp_lt_i32 s9, 1
	s_mov_b64 s[28:29], 0
	s_cbranch_scc1 .LBB18_137
.LBB18_132:
	s_cmp_gt_i32 s9, 1
	s_cbranch_scc0 .LBB18_138
; %bb.133:
	s_cmp_eq_u32 s9, 2
	s_cbranch_scc0 .LBB18_260
; %bb.134:
	v_lshrrev_b32_e32 v4, 16, v3
	v_cmp_le_i16_sdwa s[26:27], sext(v4), s46 src0_sel:BYTE_0 src1_sel:DWORD
	s_mov_b64 s[30:31], 0
	s_branch .LBB18_140
.LBB18_135:
	v_cmp_lt_i16_sdwa s[28:29], sext(v4), s46 src0_sel:BYTE_0 src1_sel:DWORD
	s_andn2_b64 s[24:25], s[24:25], exec
	s_and_b64 s[28:29], s[28:29], exec
	s_or_b64 s[24:25], s[24:25], s[28:29]
	s_cbranch_execnz .LBB18_131
.LBB18_136:
	v_cmp_ge_i16_sdwa s[26:27], sext(v4), s46 src0_sel:BYTE_0 src1_sel:DWORD
	s_andn2_b64 s[24:25], s[24:25], exec
	s_and_b64 s[26:27], s[26:27], exec
	s_or_b64 s[24:25], s[24:25], s[26:27]
	s_cmp_lt_i32 s9, 1
	s_mov_b64 s[28:29], 0
	s_cbranch_scc0 .LBB18_132
.LBB18_137:
                                        ; implicit-def: $sgpr26_sgpr27
	s_mov_b64 s[30:31], 0
	s_cbranch_execnz .LBB18_141
	s_branch .LBB18_142
.LBB18_138:
	s_mov_b64 s[30:31], 0
                                        ; implicit-def: $sgpr26_sgpr27
	s_cbranch_execz .LBB18_140
; %bb.139:
	v_lshrrev_b32_e32 v4, 16, v3
	v_cmp_gt_i16_sdwa s[34:35], sext(v4), s46 src0_sel:BYTE_0 src1_sel:DWORD
	s_andn2_b64 s[26:27], s[26:27], exec
	s_and_b64 s[34:35], s[34:35], exec
	s_or_b64 s[26:27], s[26:27], s[34:35]
.LBB18_140:
	s_branch .LBB18_142
.LBB18_141:
	s_cmp_lg_u32 s9, 0
	s_mov_b64 s[28:29], -1
	s_cselect_b64 s[30:31], -1, 0
.LBB18_142:
	s_andn2_b64 vcc, exec, s[30:31]
	v_lshrrev_b32_e32 v4, 16, v3
	s_cbranch_vccz .LBB18_148
; %bb.143:
	s_andn2_b64 vcc, exec, s[28:29]
	s_cbranch_vccz .LBB18_149
.LBB18_144:
	s_cmp_lt_i32 s9, 1
	s_mov_b64 s[30:31], 0
	s_cbranch_scc1 .LBB18_150
.LBB18_145:
	s_cmp_gt_i32 s9, 1
	s_cbranch_scc0 .LBB18_151
; %bb.146:
	s_cmp_eq_u32 s9, 2
	s_cbranch_scc0 .LBB18_261
; %bb.147:
	v_lshrrev_b32_e32 v4, 24, v3
	v_cmp_le_i16_sdwa s[28:29], sext(v4), s46 src0_sel:BYTE_0 src1_sel:DWORD
	s_mov_b64 s[34:35], 0
	s_branch .LBB18_153
.LBB18_148:
	v_cmp_lt_i16_sdwa s[30:31], sext(v4), s46 src0_sel:BYTE_0 src1_sel:DWORD
	s_andn2_b64 s[26:27], s[26:27], exec
	s_and_b64 s[30:31], s[30:31], exec
	s_or_b64 s[26:27], s[26:27], s[30:31]
	s_cbranch_execnz .LBB18_144
.LBB18_149:
	v_cmp_ge_i16_sdwa s[28:29], sext(v4), s46 src0_sel:BYTE_0 src1_sel:DWORD
	s_andn2_b64 s[26:27], s[26:27], exec
	s_and_b64 s[28:29], s[28:29], exec
	s_or_b64 s[26:27], s[26:27], s[28:29]
	s_cmp_lt_i32 s9, 1
	s_mov_b64 s[30:31], 0
	s_cbranch_scc0 .LBB18_145
.LBB18_150:
                                        ; implicit-def: $sgpr28_sgpr29
	s_mov_b64 s[34:35], 0
	s_cbranch_execnz .LBB18_154
	s_branch .LBB18_155
.LBB18_151:
	s_mov_b64 s[34:35], 0
                                        ; implicit-def: $sgpr28_sgpr29
	s_cbranch_execz .LBB18_153
; %bb.152:
	v_lshrrev_b32_e32 v4, 24, v3
	v_cmp_gt_i16_sdwa s[36:37], sext(v4), s46 src0_sel:BYTE_0 src1_sel:DWORD
	s_andn2_b64 s[28:29], s[28:29], exec
	s_and_b64 s[36:37], s[36:37], exec
	s_or_b64 s[28:29], s[28:29], s[36:37]
.LBB18_153:
	s_branch .LBB18_155
.LBB18_154:
	s_cmp_lg_u32 s9, 0
	s_mov_b64 s[30:31], -1
	s_cselect_b64 s[34:35], -1, 0
.LBB18_155:
	s_andn2_b64 vcc, exec, s[34:35]
	v_lshrrev_b32_e32 v3, 24, v3
	s_cbranch_vccz .LBB18_161
; %bb.156:
	s_andn2_b64 vcc, exec, s[30:31]
	s_cbranch_vccz .LBB18_162
.LBB18_157:
	s_cmp_lt_i32 s9, 1
	s_mov_b64 s[34:35], 0
	s_cbranch_scc1 .LBB18_163
.LBB18_158:
	s_cmp_gt_i32 s9, 1
	s_cbranch_scc0 .LBB18_164
; %bb.159:
	s_cmp_eq_u32 s9, 2
	s_cbranch_scc0 .LBB18_262
; %bb.160:
	s_waitcnt vmcnt(0)
	v_cmp_le_i16_sdwa s[30:31], sext(v2), s46 src0_sel:BYTE_0 src1_sel:DWORD
	s_mov_b64 s[36:37], 0
	s_branch .LBB18_166
.LBB18_161:
	v_cmp_lt_i16_sdwa s[34:35], sext(v3), s46 src0_sel:BYTE_0 src1_sel:DWORD
	s_andn2_b64 s[28:29], s[28:29], exec
	s_and_b64 s[34:35], s[34:35], exec
	s_or_b64 s[28:29], s[28:29], s[34:35]
	s_cbranch_execnz .LBB18_157
.LBB18_162:
	v_cmp_ge_i16_sdwa s[30:31], sext(v3), s46 src0_sel:BYTE_0 src1_sel:DWORD
	s_andn2_b64 s[28:29], s[28:29], exec
	s_and_b64 s[30:31], s[30:31], exec
	s_or_b64 s[28:29], s[28:29], s[30:31]
	s_cmp_lt_i32 s9, 1
	s_mov_b64 s[34:35], 0
	s_cbranch_scc0 .LBB18_158
.LBB18_163:
                                        ; implicit-def: $sgpr30_sgpr31
	s_mov_b64 s[36:37], 0
	s_cbranch_execnz .LBB18_167
	s_branch .LBB18_168
.LBB18_164:
	s_mov_b64 s[36:37], 0
                                        ; implicit-def: $sgpr30_sgpr31
	s_cbranch_execz .LBB18_166
; %bb.165:
	s_waitcnt vmcnt(0)
	v_cmp_gt_i16_sdwa s[38:39], sext(v2), s46 src0_sel:BYTE_0 src1_sel:DWORD
	s_andn2_b64 s[30:31], s[30:31], exec
	s_and_b64 s[38:39], s[38:39], exec
	s_or_b64 s[30:31], s[30:31], s[38:39]
.LBB18_166:
	s_branch .LBB18_168
.LBB18_167:
	s_cmp_lg_u32 s9, 0
	s_mov_b64 s[34:35], -1
	s_cselect_b64 s[36:37], -1, 0
.LBB18_168:
	s_andn2_b64 vcc, exec, s[36:37]
	s_cbranch_vccz .LBB18_174
; %bb.169:
	s_andn2_b64 vcc, exec, s[34:35]
	s_cbranch_vccz .LBB18_175
.LBB18_170:
	s_cmp_lt_i32 s9, 1
	s_mov_b64 s[36:37], 0
	s_cbranch_scc1 .LBB18_176
.LBB18_171:
	s_cmp_gt_i32 s9, 1
	s_cbranch_scc0 .LBB18_177
; %bb.172:
	s_cmp_eq_u32 s9, 2
	s_cbranch_scc0 .LBB18_263
; %bb.173:
	s_waitcnt vmcnt(0)
	v_lshrrev_b32_e32 v3, 8, v2
	v_cmp_le_i16_sdwa s[34:35], sext(v3), s46 src0_sel:BYTE_0 src1_sel:DWORD
	s_mov_b64 s[38:39], 0
	s_branch .LBB18_179
.LBB18_174:
	s_waitcnt vmcnt(0)
	v_cmp_lt_i16_sdwa s[36:37], sext(v2), s46 src0_sel:BYTE_0 src1_sel:DWORD
	s_andn2_b64 s[30:31], s[30:31], exec
	s_and_b64 s[36:37], s[36:37], exec
	s_or_b64 s[30:31], s[30:31], s[36:37]
	s_cbranch_execnz .LBB18_170
.LBB18_175:
	s_waitcnt vmcnt(0)
	v_cmp_ge_i16_sdwa s[34:35], sext(v2), s46 src0_sel:BYTE_0 src1_sel:DWORD
	s_andn2_b64 s[30:31], s[30:31], exec
	s_and_b64 s[34:35], s[34:35], exec
	s_or_b64 s[30:31], s[30:31], s[34:35]
	s_cmp_lt_i32 s9, 1
	s_mov_b64 s[36:37], 0
	s_cbranch_scc0 .LBB18_171
.LBB18_176:
                                        ; implicit-def: $sgpr34_sgpr35
	s_mov_b64 s[38:39], 0
	s_cbranch_execnz .LBB18_180
	s_branch .LBB18_181
.LBB18_177:
	s_mov_b64 s[38:39], 0
                                        ; implicit-def: $sgpr34_sgpr35
	s_cbranch_execz .LBB18_179
; %bb.178:
	s_waitcnt vmcnt(0)
	v_lshrrev_b32_e32 v3, 8, v2
	v_cmp_gt_i16_sdwa s[40:41], sext(v3), s46 src0_sel:BYTE_0 src1_sel:DWORD
	s_andn2_b64 s[34:35], s[34:35], exec
	s_and_b64 s[40:41], s[40:41], exec
	s_or_b64 s[34:35], s[34:35], s[40:41]
.LBB18_179:
	s_branch .LBB18_181
.LBB18_180:
	s_cmp_lg_u32 s9, 0
	s_mov_b64 s[36:37], -1
	s_cselect_b64 s[38:39], -1, 0
.LBB18_181:
	s_andn2_b64 vcc, exec, s[38:39]
	s_waitcnt vmcnt(0)
	v_lshrrev_b32_e32 v3, 8, v2
	s_cbranch_vccz .LBB18_187
; %bb.182:
	s_andn2_b64 vcc, exec, s[36:37]
	s_cbranch_vccz .LBB18_188
.LBB18_183:
	s_cmp_lt_i32 s9, 1
	s_mov_b64 s[38:39], 0
	s_cbranch_scc1 .LBB18_189
.LBB18_184:
	s_cmp_gt_i32 s9, 1
	s_cbranch_scc0 .LBB18_190
; %bb.185:
	s_cmp_eq_u32 s9, 2
	s_cbranch_scc0 .LBB18_264
; %bb.186:
	v_lshrrev_b32_e32 v3, 16, v2
	v_cmp_le_i16_sdwa s[36:37], sext(v3), s46 src0_sel:BYTE_0 src1_sel:DWORD
	s_mov_b64 s[40:41], 0
	s_branch .LBB18_192
.LBB18_187:
	v_cmp_lt_i16_sdwa s[38:39], sext(v3), s46 src0_sel:BYTE_0 src1_sel:DWORD
	s_andn2_b64 s[34:35], s[34:35], exec
	s_and_b64 s[38:39], s[38:39], exec
	s_or_b64 s[34:35], s[34:35], s[38:39]
	s_cbranch_execnz .LBB18_183
.LBB18_188:
	v_cmp_ge_i16_sdwa s[36:37], sext(v3), s46 src0_sel:BYTE_0 src1_sel:DWORD
	s_andn2_b64 s[34:35], s[34:35], exec
	s_and_b64 s[36:37], s[36:37], exec
	s_or_b64 s[34:35], s[34:35], s[36:37]
	s_cmp_lt_i32 s9, 1
	s_mov_b64 s[38:39], 0
	s_cbranch_scc0 .LBB18_184
.LBB18_189:
                                        ; implicit-def: $sgpr36_sgpr37
	s_mov_b64 s[40:41], 0
	s_cbranch_execnz .LBB18_193
	s_branch .LBB18_194
.LBB18_190:
	s_mov_b64 s[40:41], 0
                                        ; implicit-def: $sgpr36_sgpr37
	s_cbranch_execz .LBB18_192
; %bb.191:
	v_lshrrev_b32_e32 v3, 16, v2
	v_cmp_gt_i16_sdwa s[42:43], sext(v3), s46 src0_sel:BYTE_0 src1_sel:DWORD
	s_andn2_b64 s[36:37], s[36:37], exec
	s_and_b64 s[42:43], s[42:43], exec
	s_or_b64 s[36:37], s[36:37], s[42:43]
.LBB18_192:
	s_branch .LBB18_194
.LBB18_193:
	s_cmp_lg_u32 s9, 0
	s_mov_b64 s[38:39], -1
	s_cselect_b64 s[40:41], -1, 0
.LBB18_194:
	s_andn2_b64 vcc, exec, s[40:41]
	v_lshrrev_b32_e32 v3, 16, v2
	s_cbranch_vccz .LBB18_200
; %bb.195:
	s_andn2_b64 vcc, exec, s[38:39]
	s_cbranch_vccz .LBB18_201
.LBB18_196:
	s_cmp_lt_i32 s9, 1
	s_mov_b64 s[40:41], 0
	s_cbranch_scc1 .LBB18_202
.LBB18_197:
	s_cmp_gt_i32 s9, 1
	s_cbranch_scc0 .LBB18_203
; %bb.198:
	s_cmp_eq_u32 s9, 2
	s_cbranch_scc0 .LBB18_265
; %bb.199:
	v_lshrrev_b32_e32 v3, 24, v2
	v_cmp_le_i16_sdwa s[38:39], sext(v3), s46 src0_sel:BYTE_0 src1_sel:DWORD
	s_mov_b64 s[42:43], 0
	s_branch .LBB18_205
.LBB18_200:
	v_cmp_lt_i16_sdwa s[40:41], sext(v3), s46 src0_sel:BYTE_0 src1_sel:DWORD
	s_andn2_b64 s[36:37], s[36:37], exec
	s_and_b64 s[40:41], s[40:41], exec
	s_or_b64 s[36:37], s[36:37], s[40:41]
	s_cbranch_execnz .LBB18_196
.LBB18_201:
	v_cmp_ge_i16_sdwa s[38:39], sext(v3), s46 src0_sel:BYTE_0 src1_sel:DWORD
	s_andn2_b64 s[36:37], s[36:37], exec
	s_and_b64 s[38:39], s[38:39], exec
	s_or_b64 s[36:37], s[36:37], s[38:39]
	s_cmp_lt_i32 s9, 1
	s_mov_b64 s[40:41], 0
	s_cbranch_scc0 .LBB18_197
.LBB18_202:
                                        ; implicit-def: $sgpr38_sgpr39
	s_mov_b64 s[42:43], 0
	s_cbranch_execnz .LBB18_206
	s_branch .LBB18_207
.LBB18_203:
	s_mov_b64 s[42:43], 0
                                        ; implicit-def: $sgpr38_sgpr39
	s_cbranch_execz .LBB18_205
; %bb.204:
	v_lshrrev_b32_e32 v3, 24, v2
	v_cmp_gt_i16_sdwa s[44:45], sext(v3), s46 src0_sel:BYTE_0 src1_sel:DWORD
	s_andn2_b64 s[38:39], s[38:39], exec
	s_and_b64 s[44:45], s[44:45], exec
	s_or_b64 s[38:39], s[38:39], s[44:45]
.LBB18_205:
	s_branch .LBB18_207
.LBB18_206:
	s_cmp_lg_u32 s9, 0
	s_mov_b64 s[40:41], -1
	s_cselect_b64 s[42:43], -1, 0
.LBB18_207:
	s_andn2_b64 vcc, exec, s[42:43]
	v_lshrrev_b32_e32 v2, 24, v2
	s_cbranch_vccz .LBB18_249
; %bb.208:
	s_andn2_b64 vcc, exec, s[40:41]
	s_cbranch_vccnz .LBB18_210
.LBB18_209:
	v_cmp_ge_i16_sdwa s[40:41], sext(v2), s46 src0_sel:BYTE_0 src1_sel:DWORD
	s_andn2_b64 s[38:39], s[38:39], exec
	s_and_b64 s[40:41], s[40:41], exec
	s_or_b64 s[38:39], s[38:39], s[40:41]
.LBB18_210:
	v_cndmask_b32_e64 v2, 0, 1, s[2:3]
	v_lshlrev_b16_e32 v2, 8, v2
	v_cndmask_b32_e64 v3, 0, 1, s[0:1]
	v_or_b32_e32 v2, v3, v2
	v_cndmask_b32_e64 v3, 0, 1, s[6:7]
	v_lshlrev_b16_e32 v3, 8, v3
	v_cndmask_b32_e64 v4, 0, 1, s[4:5]
	v_or_b32_sdwa v3, v4, v3 dst_sel:WORD_1 dst_unused:UNUSED_PAD src0_sel:DWORD src1_sel:DWORD
	v_or_b32_sdwa v2, v2, v3 dst_sel:DWORD dst_unused:UNUSED_PAD src0_sel:WORD_0 src1_sel:DWORD
	v_cndmask_b32_e64 v3, 0, 1, s[16:17]
	v_lshlrev_b16_e32 v3, 8, v3
	v_cndmask_b32_e64 v4, 0, 1, s[10:11]
	v_or_b32_e32 v3, v4, v3
	v_cndmask_b32_e64 v4, 0, 1, s[20:21]
	v_lshlrev_b16_e32 v4, 8, v4
	v_cndmask_b32_e64 v5, 0, 1, s[18:19]
	v_or_b32_sdwa v4, v5, v4 dst_sel:WORD_1 dst_unused:UNUSED_PAD src0_sel:DWORD src1_sel:DWORD
	v_or_b32_sdwa v3, v3, v4 dst_sel:DWORD dst_unused:UNUSED_PAD src0_sel:WORD_0 src1_sel:DWORD
	;; [unrolled: 9-line block ×3, first 2 shown]
	v_cndmask_b32_e64 v5, 0, 1, s[34:35]
	v_lshlrev_b16_e32 v5, 8, v5
	v_cndmask_b32_e64 v6, 0, 1, s[30:31]
	v_or_b32_e32 v5, v6, v5
	v_cndmask_b32_e64 v6, 0, 1, s[38:39]
	v_lshlrev_b16_e32 v6, 8, v6
	v_cndmask_b32_e64 v7, 0, 1, s[36:37]
	s_add_u32 s0, s12, s33
	v_or_b32_sdwa v6, v7, v6 dst_sel:WORD_1 dst_unused:UNUSED_PAD src0_sel:DWORD src1_sel:DWORD
	s_addc_u32 s1, s13, s47
	v_or_b32_sdwa v5, v5, v6 dst_sel:DWORD dst_unused:UNUSED_PAD src0_sel:WORD_0 src1_sel:DWORD
	global_store_dword v1, v2, s[0:1]
	global_store_dword v1, v3, s[0:1] offset:1024
	global_store_dword v1, v4, s[0:1] offset:2048
	;; [unrolled: 1-line block ×3, first 2 shown]
	s_mov_b64 s[0:1], 0
.LBB18_211:
	s_and_b64 vcc, exec, s[0:1]
	s_cbranch_vccz .LBB18_519
; %bb.212:
	v_cmp_gt_i32_e64 s[0:1], s8, v0
	v_mov_b32_e32 v4, 0
	v_or_b32_e32 v3, s33, v0
	v_mov_b32_e32 v5, 0
	v_mov_b32_e32 v6, 0
	;; [unrolled: 1-line block ×16, first 2 shown]
	s_and_saveexec_b64 s[2:3], s[0:1]
	s_cbranch_execz .LBB18_244
; %bb.213:
	global_load_ubyte v10, v3, s[14:15]
	v_or_b32_e32 v1, 0x100, v0
	v_cmp_gt_u32_e32 vcc, s8, v1
	v_mov_b32_e32 v21, 0
	v_mov_b32_e32 v20, 0
	;; [unrolled: 1-line block ×15, first 2 shown]
	s_and_saveexec_b64 s[4:5], vcc
	s_cbranch_execz .LBB18_243
; %bb.214:
	v_add_u32_e32 v1, s33, v0
	global_load_ubyte v21, v1, s[14:15] offset:256
	v_or_b32_e32 v2, 0x200, v0
	v_mov_b32_e32 v20, 0
	v_cmp_gt_u32_e32 vcc, s8, v2
	v_mov_b32_e32 v19, 0
	v_mov_b32_e32 v18, 0
	;; [unrolled: 1-line block ×13, first 2 shown]
	s_and_saveexec_b64 s[6:7], vcc
	s_cbranch_execz .LBB18_242
; %bb.215:
	v_mov_b32_e32 v2, s15
	v_add_co_u32_e32 v1, vcc, s14, v1
	v_addc_co_u32_e32 v2, vcc, 0, v2, vcc
	global_load_ubyte v20, v[1:2], off offset:512
	v_or_b32_e32 v5, 0x300, v0
	v_cmp_gt_u32_e32 vcc, s8, v5
	v_mov_b32_e32 v19, 0
	v_mov_b32_e32 v18, 0
	;; [unrolled: 1-line block ×13, first 2 shown]
	s_and_saveexec_b64 s[10:11], vcc
	s_cbranch_execz .LBB18_241
; %bb.216:
	global_load_ubyte v19, v[1:2], off offset:768
	v_or_b32_e32 v5, 0x400, v0
	v_cmp_gt_u32_e32 vcc, s8, v5
	v_mov_b32_e32 v18, 0
	v_mov_b32_e32 v17, 0
	;; [unrolled: 1-line block ×12, first 2 shown]
	s_and_saveexec_b64 s[14:15], vcc
	s_cbranch_execz .LBB18_240
; %bb.217:
	global_load_ubyte v18, v[1:2], off offset:1024
	v_or_b32_e32 v5, 0x500, v0
	v_cmp_gt_u32_e32 vcc, s8, v5
	v_mov_b32_e32 v17, 0
	v_mov_b32_e32 v16, 0
	;; [unrolled: 1-line block ×11, first 2 shown]
	s_and_saveexec_b64 s[16:17], vcc
	s_cbranch_execz .LBB18_239
; %bb.218:
	global_load_ubyte v17, v[1:2], off offset:1280
	v_or_b32_e32 v5, 0x600, v0
	v_cmp_gt_u32_e32 vcc, s8, v5
	v_mov_b32_e32 v16, 0
	v_mov_b32_e32 v15, 0
	;; [unrolled: 1-line block ×10, first 2 shown]
	s_and_saveexec_b64 s[18:19], vcc
	s_cbranch_execz .LBB18_238
; %bb.219:
	global_load_ubyte v16, v[1:2], off offset:1536
	v_or_b32_e32 v5, 0x700, v0
	v_cmp_gt_u32_e32 vcc, s8, v5
	v_mov_b32_e32 v15, 0
	v_mov_b32_e32 v14, 0
	;; [unrolled: 1-line block ×9, first 2 shown]
	s_and_saveexec_b64 s[20:21], vcc
	s_cbranch_execz .LBB18_237
; %bb.220:
	global_load_ubyte v15, v[1:2], off offset:1792
	v_or_b32_e32 v5, 0x800, v0
	v_cmp_gt_u32_e32 vcc, s8, v5
	v_mov_b32_e32 v14, 0
	v_mov_b32_e32 v13, 0
	;; [unrolled: 1-line block ×8, first 2 shown]
	s_and_saveexec_b64 s[22:23], vcc
	s_cbranch_execz .LBB18_236
; %bb.221:
	global_load_ubyte v14, v[1:2], off offset:2048
	v_or_b32_e32 v5, 0x900, v0
	v_cmp_gt_u32_e32 vcc, s8, v5
	v_mov_b32_e32 v13, 0
	v_mov_b32_e32 v12, 0
	;; [unrolled: 1-line block ×7, first 2 shown]
	s_and_saveexec_b64 s[24:25], vcc
	s_cbranch_execz .LBB18_235
; %bb.222:
	global_load_ubyte v13, v[1:2], off offset:2304
	v_or_b32_e32 v5, 0xa00, v0
	v_cmp_gt_u32_e32 vcc, s8, v5
	v_mov_b32_e32 v12, 0
	v_mov_b32_e32 v11, 0
	;; [unrolled: 1-line block ×6, first 2 shown]
	s_and_saveexec_b64 s[26:27], vcc
	s_cbranch_execz .LBB18_234
; %bb.223:
	global_load_ubyte v12, v[1:2], off offset:2560
	v_or_b32_e32 v5, 0xb00, v0
	v_cmp_gt_u32_e32 vcc, s8, v5
	v_mov_b32_e32 v11, 0
	v_mov_b32_e32 v9, 0
	;; [unrolled: 1-line block ×5, first 2 shown]
	s_and_saveexec_b64 s[28:29], vcc
	s_cbranch_execz .LBB18_233
; %bb.224:
	global_load_ubyte v11, v[1:2], off offset:2816
	v_or_b32_e32 v5, 0xc00, v0
	v_cmp_gt_u32_e32 vcc, s8, v5
	v_mov_b32_e32 v9, 0
	v_mov_b32_e32 v7, 0
	;; [unrolled: 1-line block ×4, first 2 shown]
	s_and_saveexec_b64 s[30:31], vcc
	s_cbranch_execz .LBB18_232
; %bb.225:
	global_load_ubyte v9, v[1:2], off offset:3072
	v_or_b32_e32 v5, 0xd00, v0
	v_cmp_gt_u32_e32 vcc, s8, v5
	v_mov_b32_e32 v7, 0
	v_mov_b32_e32 v6, 0
	;; [unrolled: 1-line block ×3, first 2 shown]
	s_and_saveexec_b64 s[34:35], vcc
	s_cbranch_execz .LBB18_231
; %bb.226:
	global_load_ubyte v7, v[1:2], off offset:3328
	v_or_b32_e32 v5, 0xe00, v0
	v_cmp_gt_u32_e32 vcc, s8, v5
	v_mov_b32_e32 v6, 0
	v_mov_b32_e32 v5, 0
	s_and_saveexec_b64 s[36:37], vcc
	s_cbranch_execz .LBB18_230
; %bb.227:
	global_load_ubyte v6, v[1:2], off offset:3584
	v_or_b32_e32 v5, 0xf00, v0
	v_cmp_gt_u32_e32 vcc, s8, v5
	v_mov_b32_e32 v5, 0
	s_and_saveexec_b64 s[38:39], vcc
	s_cbranch_execz .LBB18_229
; %bb.228:
	global_load_ubyte v5, v[1:2], off offset:3840
.LBB18_229:
	s_or_b64 exec, exec, s[38:39]
.LBB18_230:
	s_or_b64 exec, exec, s[36:37]
.LBB18_231:
	s_or_b64 exec, exec, s[34:35]
.LBB18_232:
	s_or_b64 exec, exec, s[30:31]
.LBB18_233:
	s_or_b64 exec, exec, s[28:29]
.LBB18_234:
	s_or_b64 exec, exec, s[26:27]
.LBB18_235:
	s_or_b64 exec, exec, s[24:25]
.LBB18_236:
	s_or_b64 exec, exec, s[22:23]
.LBB18_237:
	s_or_b64 exec, exec, s[20:21]
.LBB18_238:
	s_or_b64 exec, exec, s[18:19]
.LBB18_239:
	s_or_b64 exec, exec, s[16:17]
.LBB18_240:
	s_or_b64 exec, exec, s[14:15]
.LBB18_241:
	s_or_b64 exec, exec, s[10:11]
.LBB18_242:
	s_or_b64 exec, exec, s[6:7]
.LBB18_243:
	s_or_b64 exec, exec, s[4:5]
.LBB18_244:
	s_or_b64 exec, exec, s[2:3]
	v_mov_b32_e32 v8, v4
	v_mov_b32_e32 v2, v4
	;; [unrolled: 1-line block ×3, first 2 shown]
	s_and_saveexec_b64 s[2:3], s[0:1]
	s_cbranch_execz .LBB18_276
; %bb.245:
	s_cmp_lt_i32 s9, 1
	s_mov_b64 s[4:5], 0
	s_cbranch_scc1 .LBB18_250
; %bb.246:
	s_cmp_gt_i32 s9, 1
	s_cbranch_scc0 .LBB18_266
; %bb.247:
	s_cmp_eq_u32 s9, 2
	s_cbranch_scc0 .LBB18_267
; %bb.248:
	s_waitcnt vmcnt(0)
	v_cmp_le_i16_sdwa s[6:7], sext(v10), s46 src0_sel:BYTE_0 src1_sel:DWORD
	s_mov_b64 s[10:11], 0
	s_branch .LBB18_268
.LBB18_249:
	v_cmp_lt_i16_sdwa s[42:43], sext(v2), s46 src0_sel:BYTE_0 src1_sel:DWORD
	s_andn2_b64 s[38:39], s[38:39], exec
	s_and_b64 s[42:43], s[42:43], exec
	s_or_b64 s[38:39], s[38:39], s[42:43]
	s_cbranch_execz .LBB18_209
	s_branch .LBB18_210
.LBB18_250:
                                        ; implicit-def: $sgpr6_sgpr7
	s_mov_b64 s[10:11], 0
	s_cbranch_execnz .LBB18_271
	s_branch .LBB18_272
.LBB18_251:
	s_mov_b64 s[6:7], -1
                                        ; implicit-def: $sgpr2_sgpr3
	s_branch .LBB18_23
.LBB18_252:
	s_mov_b64 s[10:11], -1
                                        ; implicit-def: $sgpr4_sgpr5
	s_branch .LBB18_36
.LBB18_253:
	s_mov_b64 s[16:17], -1
                                        ; implicit-def: $sgpr6_sgpr7
	s_branch .LBB18_49
.LBB18_254:
	s_mov_b64 s[18:19], -1
                                        ; implicit-def: $sgpr10_sgpr11
	s_branch .LBB18_62
.LBB18_255:
	s_mov_b64 s[20:21], -1
                                        ; implicit-def: $sgpr16_sgpr17
	s_branch .LBB18_75
.LBB18_256:
	s_mov_b64 s[22:23], -1
                                        ; implicit-def: $sgpr18_sgpr19
	s_branch .LBB18_88
.LBB18_257:
	s_mov_b64 s[24:25], -1
                                        ; implicit-def: $sgpr20_sgpr21
	s_branch .LBB18_101
.LBB18_258:
	s_mov_b64 s[26:27], -1
                                        ; implicit-def: $sgpr22_sgpr23
	s_branch .LBB18_114
.LBB18_259:
	s_mov_b64 s[28:29], -1
                                        ; implicit-def: $sgpr24_sgpr25
	s_branch .LBB18_127
.LBB18_260:
	s_mov_b64 s[30:31], -1
                                        ; implicit-def: $sgpr26_sgpr27
	s_branch .LBB18_140
.LBB18_261:
	s_mov_b64 s[34:35], -1
                                        ; implicit-def: $sgpr28_sgpr29
	s_branch .LBB18_153
.LBB18_262:
	s_mov_b64 s[36:37], -1
                                        ; implicit-def: $sgpr30_sgpr31
	s_branch .LBB18_166
.LBB18_263:
	s_mov_b64 s[38:39], -1
                                        ; implicit-def: $sgpr34_sgpr35
	s_branch .LBB18_179
.LBB18_264:
	s_mov_b64 s[40:41], -1
                                        ; implicit-def: $sgpr36_sgpr37
	s_branch .LBB18_192
.LBB18_265:
	s_mov_b64 s[42:43], -1
                                        ; implicit-def: $sgpr38_sgpr39
	s_branch .LBB18_205
.LBB18_266:
	s_mov_b64 s[10:11], 0
                                        ; implicit-def: $sgpr6_sgpr7
	s_cbranch_execnz .LBB18_269
	s_branch .LBB18_270
.LBB18_267:
	s_mov_b64 s[10:11], -1
                                        ; implicit-def: $sgpr6_sgpr7
.LBB18_268:
	s_branch .LBB18_270
.LBB18_269:
	s_waitcnt vmcnt(0)
	v_cmp_gt_i16_sdwa s[14:15], sext(v10), s46 src0_sel:BYTE_0 src1_sel:DWORD
	s_andn2_b64 s[6:7], s[6:7], exec
	s_and_b64 s[14:15], s[14:15], exec
	s_or_b64 s[6:7], s[6:7], s[14:15]
.LBB18_270:
	s_branch .LBB18_272
.LBB18_271:
	s_cmp_lg_u32 s9, 0
	s_mov_b64 s[4:5], -1
	s_cselect_b64 s[10:11], -1, 0
.LBB18_272:
	s_andn2_b64 vcc, exec, s[10:11]
	s_cbranch_vccz .LBB18_281
; %bb.273:
	s_andn2_b64 vcc, exec, s[4:5]
	s_cbranch_vccnz .LBB18_275
.LBB18_274:
	s_waitcnt vmcnt(0)
	v_cmp_ge_i16_sdwa s[4:5], sext(v10), s46 src0_sel:BYTE_0 src1_sel:DWORD
	s_andn2_b64 s[6:7], s[6:7], exec
	s_and_b64 s[4:5], s[4:5], exec
	s_or_b64 s[6:7], s[6:7], s[4:5]
.LBB18_275:
	v_cndmask_b32_e64 v1, 0, 1, s[6:7]
	v_mov_b32_e32 v8, 0
	v_and_b32_e32 v4, 0xffff, v1
	v_mov_b32_e32 v2, v8
	v_mov_b32_e32 v1, v8
.LBB18_276:
	s_or_b64 exec, exec, s[2:3]
	s_waitcnt vmcnt(0)
	v_or_b32_e32 v10, 0x100, v0
	v_cmp_gt_i32_e32 vcc, s8, v10
	s_and_saveexec_b64 s[2:3], vcc
	s_cbranch_execz .LBB18_291
; %bb.277:
	s_cmp_lt_i32 s9, 1
	s_mov_b64 s[4:5], 0
	s_cbranch_scc1 .LBB18_282
; %bb.278:
	s_cmp_gt_i32 s9, 1
	s_cbranch_scc0 .LBB18_283
; %bb.279:
	s_cmp_eq_u32 s9, 2
	s_cbranch_scc0 .LBB18_535
; %bb.280:
	v_cmp_le_i16_sdwa s[6:7], sext(v21), s46 src0_sel:BYTE_0 src1_sel:DWORD
	s_mov_b64 s[10:11], 0
	s_branch .LBB18_285
.LBB18_281:
	s_waitcnt vmcnt(0)
	v_cmp_lt_i16_sdwa s[10:11], sext(v10), s46 src0_sel:BYTE_0 src1_sel:DWORD
	s_andn2_b64 s[6:7], s[6:7], exec
	s_and_b64 s[10:11], s[10:11], exec
	s_or_b64 s[6:7], s[6:7], s[10:11]
	s_cbranch_execz .LBB18_274
	s_branch .LBB18_275
.LBB18_282:
                                        ; implicit-def: $sgpr6_sgpr7
	s_mov_b64 s[10:11], 0
	s_cbranch_execnz .LBB18_286
	s_branch .LBB18_287
.LBB18_283:
	s_mov_b64 s[10:11], 0
                                        ; implicit-def: $sgpr6_sgpr7
	s_cbranch_execz .LBB18_285
; %bb.284:
	v_cmp_gt_i16_sdwa s[14:15], sext(v21), s46 src0_sel:BYTE_0 src1_sel:DWORD
	s_andn2_b64 s[6:7], s[6:7], exec
	s_and_b64 s[14:15], s[14:15], exec
	s_or_b64 s[6:7], s[6:7], s[14:15]
.LBB18_285:
	s_branch .LBB18_287
.LBB18_286:
	s_cmp_lg_u32 s9, 0
	s_mov_b64 s[4:5], -1
	s_cselect_b64 s[10:11], -1, 0
.LBB18_287:
	s_andn2_b64 vcc, exec, s[10:11]
	s_cbranch_vccz .LBB18_296
; %bb.288:
	s_andn2_b64 vcc, exec, s[4:5]
	s_cbranch_vccnz .LBB18_290
.LBB18_289:
	v_cmp_ge_i16_sdwa s[4:5], sext(v21), s46 src0_sel:BYTE_0 src1_sel:DWORD
	s_andn2_b64 s[6:7], s[6:7], exec
	s_and_b64 s[4:5], s[4:5], exec
	s_or_b64 s[6:7], s[6:7], s[4:5]
.LBB18_290:
	v_cndmask_b32_e64 v21, 0, 1, s[6:7]
	v_lshlrev_b16_e32 v21, 8, v21
	v_or_b32_sdwa v21, v4, v21 dst_sel:DWORD dst_unused:UNUSED_PAD src0_sel:BYTE_0 src1_sel:DWORD
	v_and_b32_e32 v21, 0xffff, v21
	s_mov_b32 s4, 0xffff0000
	v_and_or_b32 v4, v4, s4, v21
.LBB18_291:
	s_or_b64 exec, exec, s[2:3]
	v_or_b32_e32 v21, 0x200, v0
	v_cmp_gt_i32_e32 vcc, s8, v21
	s_and_saveexec_b64 s[2:3], vcc
	s_cbranch_execz .LBB18_306
; %bb.292:
	s_cmp_lt_i32 s9, 1
	s_mov_b64 s[4:5], 0
	s_cbranch_scc1 .LBB18_297
; %bb.293:
	s_cmp_gt_i32 s9, 1
	s_cbranch_scc0 .LBB18_298
; %bb.294:
	s_cmp_eq_u32 s9, 2
	s_cbranch_scc0 .LBB18_536
; %bb.295:
	v_cmp_le_i16_sdwa s[6:7], sext(v20), s46 src0_sel:BYTE_0 src1_sel:DWORD
	s_mov_b64 s[10:11], 0
	s_branch .LBB18_300
.LBB18_296:
	v_cmp_lt_i16_sdwa s[10:11], sext(v21), s46 src0_sel:BYTE_0 src1_sel:DWORD
	s_andn2_b64 s[6:7], s[6:7], exec
	s_and_b64 s[10:11], s[10:11], exec
	s_or_b64 s[6:7], s[6:7], s[10:11]
	s_cbranch_execz .LBB18_289
	s_branch .LBB18_290
.LBB18_297:
                                        ; implicit-def: $sgpr6_sgpr7
	s_mov_b64 s[10:11], 0
	s_cbranch_execnz .LBB18_301
	s_branch .LBB18_302
.LBB18_298:
	s_mov_b64 s[10:11], 0
                                        ; implicit-def: $sgpr6_sgpr7
	s_cbranch_execz .LBB18_300
; %bb.299:
	v_cmp_gt_i16_sdwa s[14:15], sext(v20), s46 src0_sel:BYTE_0 src1_sel:DWORD
	s_andn2_b64 s[6:7], s[6:7], exec
	s_and_b64 s[14:15], s[14:15], exec
	s_or_b64 s[6:7], s[6:7], s[14:15]
.LBB18_300:
	s_branch .LBB18_302
.LBB18_301:
	s_cmp_lg_u32 s9, 0
	s_mov_b64 s[4:5], -1
	s_cselect_b64 s[10:11], -1, 0
.LBB18_302:
	s_andn2_b64 vcc, exec, s[10:11]
	s_cbranch_vccz .LBB18_311
; %bb.303:
	s_andn2_b64 vcc, exec, s[4:5]
	s_cbranch_vccnz .LBB18_305
.LBB18_304:
	v_cmp_ge_i16_sdwa s[4:5], sext(v20), s46 src0_sel:BYTE_0 src1_sel:DWORD
	s_andn2_b64 s[6:7], s[6:7], exec
	s_and_b64 s[4:5], s[4:5], exec
	s_or_b64 s[6:7], s[6:7], s[4:5]
.LBB18_305:
	s_movk_i32 s4, 0xff00
	v_and_b32_sdwa v20, v4, s4 dst_sel:DWORD dst_unused:UNUSED_PAD src0_sel:WORD_1 src1_sel:DWORD
	v_cndmask_b32_e64 v21, 0, 1, s[6:7]
	v_or_b32_sdwa v20, v21, v20 dst_sel:WORD_1 dst_unused:UNUSED_PAD src0_sel:DWORD src1_sel:DWORD
	s_mov_b32 s4, 0xffff
	v_and_or_b32 v4, v4, s4, v20
.LBB18_306:
	s_or_b64 exec, exec, s[2:3]
	v_or_b32_e32 v20, 0x300, v0
	v_cmp_gt_i32_e32 vcc, s8, v20
	s_and_saveexec_b64 s[2:3], vcc
	s_cbranch_execz .LBB18_321
; %bb.307:
	s_cmp_lt_i32 s9, 1
	s_mov_b64 s[4:5], 0
	s_cbranch_scc1 .LBB18_312
; %bb.308:
	s_cmp_gt_i32 s9, 1
	s_cbranch_scc0 .LBB18_313
; %bb.309:
	s_cmp_eq_u32 s9, 2
	s_cbranch_scc0 .LBB18_537
; %bb.310:
	v_cmp_le_i16_sdwa s[6:7], sext(v19), s46 src0_sel:BYTE_0 src1_sel:DWORD
	s_mov_b64 s[10:11], 0
	s_branch .LBB18_315
.LBB18_311:
	v_cmp_lt_i16_sdwa s[10:11], sext(v20), s46 src0_sel:BYTE_0 src1_sel:DWORD
	s_andn2_b64 s[6:7], s[6:7], exec
	s_and_b64 s[10:11], s[10:11], exec
	s_or_b64 s[6:7], s[6:7], s[10:11]
	s_cbranch_execz .LBB18_304
	s_branch .LBB18_305
.LBB18_312:
                                        ; implicit-def: $sgpr6_sgpr7
	s_mov_b64 s[10:11], 0
	s_cbranch_execnz .LBB18_316
	s_branch .LBB18_317
.LBB18_313:
	s_mov_b64 s[10:11], 0
                                        ; implicit-def: $sgpr6_sgpr7
	s_cbranch_execz .LBB18_315
; %bb.314:
	v_cmp_gt_i16_sdwa s[14:15], sext(v19), s46 src0_sel:BYTE_0 src1_sel:DWORD
	s_andn2_b64 s[6:7], s[6:7], exec
	s_and_b64 s[14:15], s[14:15], exec
	s_or_b64 s[6:7], s[6:7], s[14:15]
.LBB18_315:
	s_branch .LBB18_317
.LBB18_316:
	s_cmp_lg_u32 s9, 0
	s_mov_b64 s[4:5], -1
	s_cselect_b64 s[10:11], -1, 0
.LBB18_317:
	s_andn2_b64 vcc, exec, s[10:11]
	s_cbranch_vccz .LBB18_326
; %bb.318:
	s_andn2_b64 vcc, exec, s[4:5]
	s_cbranch_vccnz .LBB18_320
.LBB18_319:
	v_cmp_ge_i16_sdwa s[4:5], sext(v19), s46 src0_sel:BYTE_0 src1_sel:DWORD
	s_andn2_b64 s[6:7], s[6:7], exec
	s_and_b64 s[4:5], s[4:5], exec
	s_or_b64 s[6:7], s[6:7], s[4:5]
.LBB18_320:
	s_movk_i32 s4, 0xff
	v_cndmask_b32_e64 v20, 0, 1, s[6:7]
	v_and_b32_sdwa v19, v4, s4 dst_sel:DWORD dst_unused:UNUSED_PAD src0_sel:WORD_1 src1_sel:DWORD
	v_lshlrev_b16_e32 v20, 8, v20
	v_or_b32_sdwa v19, v19, v20 dst_sel:WORD_1 dst_unused:UNUSED_PAD src0_sel:DWORD src1_sel:DWORD
	s_mov_b32 s4, 0xffff
	v_and_or_b32 v4, v4, s4, v19
.LBB18_321:
	s_or_b64 exec, exec, s[2:3]
	v_or_b32_e32 v19, 0x400, v0
	v_cmp_gt_i32_e32 vcc, s8, v19
	s_and_saveexec_b64 s[2:3], vcc
	s_cbranch_execz .LBB18_336
; %bb.322:
	s_cmp_lt_i32 s9, 1
	s_mov_b64 s[4:5], 0
	s_cbranch_scc1 .LBB18_327
; %bb.323:
	s_cmp_gt_i32 s9, 1
	s_cbranch_scc0 .LBB18_328
; %bb.324:
	s_cmp_eq_u32 s9, 2
	s_cbranch_scc0 .LBB18_538
; %bb.325:
	v_cmp_le_i16_sdwa s[6:7], sext(v18), s46 src0_sel:BYTE_0 src1_sel:DWORD
	s_mov_b64 s[10:11], 0
	s_branch .LBB18_330
.LBB18_326:
	v_cmp_lt_i16_sdwa s[10:11], sext(v19), s46 src0_sel:BYTE_0 src1_sel:DWORD
	s_andn2_b64 s[6:7], s[6:7], exec
	s_and_b64 s[10:11], s[10:11], exec
	s_or_b64 s[6:7], s[6:7], s[10:11]
	s_cbranch_execz .LBB18_319
	s_branch .LBB18_320
.LBB18_327:
                                        ; implicit-def: $sgpr6_sgpr7
	s_mov_b64 s[10:11], 0
	s_cbranch_execnz .LBB18_331
	s_branch .LBB18_332
.LBB18_328:
	s_mov_b64 s[10:11], 0
                                        ; implicit-def: $sgpr6_sgpr7
	s_cbranch_execz .LBB18_330
; %bb.329:
	v_cmp_gt_i16_sdwa s[14:15], sext(v18), s46 src0_sel:BYTE_0 src1_sel:DWORD
	s_andn2_b64 s[6:7], s[6:7], exec
	s_and_b64 s[14:15], s[14:15], exec
	s_or_b64 s[6:7], s[6:7], s[14:15]
.LBB18_330:
	s_branch .LBB18_332
.LBB18_331:
	s_cmp_lg_u32 s9, 0
	s_mov_b64 s[4:5], -1
	s_cselect_b64 s[10:11], -1, 0
.LBB18_332:
	s_andn2_b64 vcc, exec, s[10:11]
	s_cbranch_vccz .LBB18_341
; %bb.333:
	s_andn2_b64 vcc, exec, s[4:5]
	s_cbranch_vccnz .LBB18_335
.LBB18_334:
	v_cmp_ge_i16_sdwa s[4:5], sext(v18), s46 src0_sel:BYTE_0 src1_sel:DWORD
	s_andn2_b64 s[6:7], s[6:7], exec
	s_and_b64 s[4:5], s[4:5], exec
	s_or_b64 s[6:7], s[6:7], s[4:5]
.LBB18_335:
	v_and_b32_e32 v18, 0xffffff00, v8
	v_cndmask_b32_e64 v19, 0, 1, s[6:7]
	v_or_b32_e32 v18, v19, v18
	v_and_b32_e32 v18, 0xffff, v18
	s_mov_b32 s4, 0xffff0000
	v_and_or_b32 v8, v8, s4, v18
.LBB18_336:
	s_or_b64 exec, exec, s[2:3]
	v_or_b32_e32 v18, 0x500, v0
	v_cmp_gt_i32_e32 vcc, s8, v18
	s_and_saveexec_b64 s[2:3], vcc
	s_cbranch_execz .LBB18_351
; %bb.337:
	s_cmp_lt_i32 s9, 1
	s_mov_b64 s[4:5], 0
	s_cbranch_scc1 .LBB18_342
; %bb.338:
	s_cmp_gt_i32 s9, 1
	s_cbranch_scc0 .LBB18_343
; %bb.339:
	s_cmp_eq_u32 s9, 2
	s_cbranch_scc0 .LBB18_539
; %bb.340:
	v_cmp_le_i16_sdwa s[6:7], sext(v17), s46 src0_sel:BYTE_0 src1_sel:DWORD
	s_mov_b64 s[10:11], 0
	s_branch .LBB18_345
.LBB18_341:
	v_cmp_lt_i16_sdwa s[10:11], sext(v18), s46 src0_sel:BYTE_0 src1_sel:DWORD
	s_andn2_b64 s[6:7], s[6:7], exec
	s_and_b64 s[10:11], s[10:11], exec
	s_or_b64 s[6:7], s[6:7], s[10:11]
	s_cbranch_execz .LBB18_334
	s_branch .LBB18_335
.LBB18_342:
                                        ; implicit-def: $sgpr6_sgpr7
	s_mov_b64 s[10:11], 0
	s_cbranch_execnz .LBB18_346
	s_branch .LBB18_347
.LBB18_343:
	s_mov_b64 s[10:11], 0
                                        ; implicit-def: $sgpr6_sgpr7
	s_cbranch_execz .LBB18_345
; %bb.344:
	v_cmp_gt_i16_sdwa s[14:15], sext(v17), s46 src0_sel:BYTE_0 src1_sel:DWORD
	s_andn2_b64 s[6:7], s[6:7], exec
	s_and_b64 s[14:15], s[14:15], exec
	s_or_b64 s[6:7], s[6:7], s[14:15]
.LBB18_345:
	s_branch .LBB18_347
.LBB18_346:
	s_cmp_lg_u32 s9, 0
	s_mov_b64 s[4:5], -1
	s_cselect_b64 s[10:11], -1, 0
.LBB18_347:
	s_andn2_b64 vcc, exec, s[10:11]
	s_cbranch_vccz .LBB18_356
; %bb.348:
	s_andn2_b64 vcc, exec, s[4:5]
	s_cbranch_vccnz .LBB18_350
.LBB18_349:
	v_cmp_ge_i16_sdwa s[4:5], sext(v17), s46 src0_sel:BYTE_0 src1_sel:DWORD
	s_andn2_b64 s[6:7], s[6:7], exec
	s_and_b64 s[4:5], s[4:5], exec
	s_or_b64 s[6:7], s[6:7], s[4:5]
.LBB18_350:
	v_cndmask_b32_e64 v17, 0, 1, s[6:7]
	v_lshlrev_b16_e32 v17, 8, v17
	v_or_b32_sdwa v17, v8, v17 dst_sel:DWORD dst_unused:UNUSED_PAD src0_sel:BYTE_0 src1_sel:DWORD
	v_and_b32_e32 v17, 0xffff, v17
	s_mov_b32 s4, 0xffff0000
	v_and_or_b32 v8, v8, s4, v17
.LBB18_351:
	s_or_b64 exec, exec, s[2:3]
	v_or_b32_e32 v17, 0x600, v0
	v_cmp_gt_i32_e32 vcc, s8, v17
	s_and_saveexec_b64 s[2:3], vcc
	s_cbranch_execz .LBB18_366
; %bb.352:
	s_cmp_lt_i32 s9, 1
	s_mov_b64 s[4:5], 0
	s_cbranch_scc1 .LBB18_357
; %bb.353:
	s_cmp_gt_i32 s9, 1
	s_cbranch_scc0 .LBB18_358
; %bb.354:
	s_cmp_eq_u32 s9, 2
	s_cbranch_scc0 .LBB18_540
; %bb.355:
	v_cmp_le_i16_sdwa s[6:7], sext(v16), s46 src0_sel:BYTE_0 src1_sel:DWORD
	s_mov_b64 s[10:11], 0
	s_branch .LBB18_360
.LBB18_356:
	v_cmp_lt_i16_sdwa s[10:11], sext(v17), s46 src0_sel:BYTE_0 src1_sel:DWORD
	s_andn2_b64 s[6:7], s[6:7], exec
	s_and_b64 s[10:11], s[10:11], exec
	s_or_b64 s[6:7], s[6:7], s[10:11]
	s_cbranch_execz .LBB18_349
	s_branch .LBB18_350
.LBB18_357:
                                        ; implicit-def: $sgpr6_sgpr7
	s_mov_b64 s[10:11], 0
	s_cbranch_execnz .LBB18_361
	s_branch .LBB18_362
.LBB18_358:
	s_mov_b64 s[10:11], 0
                                        ; implicit-def: $sgpr6_sgpr7
	s_cbranch_execz .LBB18_360
; %bb.359:
	v_cmp_gt_i16_sdwa s[14:15], sext(v16), s46 src0_sel:BYTE_0 src1_sel:DWORD
	s_andn2_b64 s[6:7], s[6:7], exec
	s_and_b64 s[14:15], s[14:15], exec
	s_or_b64 s[6:7], s[6:7], s[14:15]
.LBB18_360:
	s_branch .LBB18_362
.LBB18_361:
	s_cmp_lg_u32 s9, 0
	s_mov_b64 s[4:5], -1
	s_cselect_b64 s[10:11], -1, 0
.LBB18_362:
	s_andn2_b64 vcc, exec, s[10:11]
	s_cbranch_vccz .LBB18_371
; %bb.363:
	s_andn2_b64 vcc, exec, s[4:5]
	s_cbranch_vccnz .LBB18_365
.LBB18_364:
	v_cmp_ge_i16_sdwa s[4:5], sext(v16), s46 src0_sel:BYTE_0 src1_sel:DWORD
	s_andn2_b64 s[6:7], s[6:7], exec
	s_and_b64 s[4:5], s[4:5], exec
	s_or_b64 s[6:7], s[6:7], s[4:5]
.LBB18_365:
	s_movk_i32 s4, 0xff00
	v_and_b32_sdwa v16, v8, s4 dst_sel:DWORD dst_unused:UNUSED_PAD src0_sel:WORD_1 src1_sel:DWORD
	v_cndmask_b32_e64 v17, 0, 1, s[6:7]
	v_or_b32_sdwa v16, v17, v16 dst_sel:WORD_1 dst_unused:UNUSED_PAD src0_sel:DWORD src1_sel:DWORD
	s_mov_b32 s4, 0xffff
	v_and_or_b32 v8, v8, s4, v16
.LBB18_366:
	s_or_b64 exec, exec, s[2:3]
	v_or_b32_e32 v16, 0x700, v0
	v_cmp_gt_i32_e32 vcc, s8, v16
	s_and_saveexec_b64 s[2:3], vcc
	s_cbranch_execz .LBB18_381
; %bb.367:
	s_cmp_lt_i32 s9, 1
	s_mov_b64 s[4:5], 0
	s_cbranch_scc1 .LBB18_372
; %bb.368:
	s_cmp_gt_i32 s9, 1
	s_cbranch_scc0 .LBB18_373
; %bb.369:
	s_cmp_eq_u32 s9, 2
	s_cbranch_scc0 .LBB18_541
; %bb.370:
	v_cmp_le_i16_sdwa s[6:7], sext(v15), s46 src0_sel:BYTE_0 src1_sel:DWORD
	s_mov_b64 s[10:11], 0
	s_branch .LBB18_375
.LBB18_371:
	v_cmp_lt_i16_sdwa s[10:11], sext(v16), s46 src0_sel:BYTE_0 src1_sel:DWORD
	s_andn2_b64 s[6:7], s[6:7], exec
	s_and_b64 s[10:11], s[10:11], exec
	s_or_b64 s[6:7], s[6:7], s[10:11]
	s_cbranch_execz .LBB18_364
	s_branch .LBB18_365
.LBB18_372:
                                        ; implicit-def: $sgpr6_sgpr7
	s_mov_b64 s[10:11], 0
	s_cbranch_execnz .LBB18_376
	s_branch .LBB18_377
.LBB18_373:
	s_mov_b64 s[10:11], 0
                                        ; implicit-def: $sgpr6_sgpr7
	s_cbranch_execz .LBB18_375
; %bb.374:
	v_cmp_gt_i16_sdwa s[14:15], sext(v15), s46 src0_sel:BYTE_0 src1_sel:DWORD
	s_andn2_b64 s[6:7], s[6:7], exec
	s_and_b64 s[14:15], s[14:15], exec
	s_or_b64 s[6:7], s[6:7], s[14:15]
.LBB18_375:
	s_branch .LBB18_377
.LBB18_376:
	s_cmp_lg_u32 s9, 0
	s_mov_b64 s[4:5], -1
	s_cselect_b64 s[10:11], -1, 0
.LBB18_377:
	s_andn2_b64 vcc, exec, s[10:11]
	s_cbranch_vccz .LBB18_386
; %bb.378:
	s_andn2_b64 vcc, exec, s[4:5]
	s_cbranch_vccnz .LBB18_380
.LBB18_379:
	v_cmp_ge_i16_sdwa s[4:5], sext(v15), s46 src0_sel:BYTE_0 src1_sel:DWORD
	s_andn2_b64 s[6:7], s[6:7], exec
	s_and_b64 s[4:5], s[4:5], exec
	s_or_b64 s[6:7], s[6:7], s[4:5]
.LBB18_380:
	s_movk_i32 s4, 0xff
	v_cndmask_b32_e64 v16, 0, 1, s[6:7]
	v_and_b32_sdwa v15, v8, s4 dst_sel:DWORD dst_unused:UNUSED_PAD src0_sel:WORD_1 src1_sel:DWORD
	v_lshlrev_b16_e32 v16, 8, v16
	v_or_b32_sdwa v15, v15, v16 dst_sel:WORD_1 dst_unused:UNUSED_PAD src0_sel:DWORD src1_sel:DWORD
	s_mov_b32 s4, 0xffff
	v_and_or_b32 v8, v8, s4, v15
.LBB18_381:
	s_or_b64 exec, exec, s[2:3]
	v_or_b32_e32 v15, 0x800, v0
	v_cmp_gt_i32_e32 vcc, s8, v15
	s_and_saveexec_b64 s[2:3], vcc
	s_cbranch_execz .LBB18_396
; %bb.382:
	s_cmp_lt_i32 s9, 1
	s_mov_b64 s[4:5], 0
	s_cbranch_scc1 .LBB18_387
; %bb.383:
	s_cmp_gt_i32 s9, 1
	s_cbranch_scc0 .LBB18_388
; %bb.384:
	s_cmp_eq_u32 s9, 2
	s_cbranch_scc0 .LBB18_542
; %bb.385:
	v_cmp_le_i16_sdwa s[6:7], sext(v14), s46 src0_sel:BYTE_0 src1_sel:DWORD
	s_mov_b64 s[10:11], 0
	s_branch .LBB18_390
.LBB18_386:
	v_cmp_lt_i16_sdwa s[10:11], sext(v15), s46 src0_sel:BYTE_0 src1_sel:DWORD
	s_andn2_b64 s[6:7], s[6:7], exec
	s_and_b64 s[10:11], s[10:11], exec
	s_or_b64 s[6:7], s[6:7], s[10:11]
	s_cbranch_execz .LBB18_379
	s_branch .LBB18_380
.LBB18_387:
                                        ; implicit-def: $sgpr6_sgpr7
	s_mov_b64 s[10:11], 0
	s_cbranch_execnz .LBB18_391
	s_branch .LBB18_392
.LBB18_388:
	s_mov_b64 s[10:11], 0
                                        ; implicit-def: $sgpr6_sgpr7
	s_cbranch_execz .LBB18_390
; %bb.389:
	v_cmp_gt_i16_sdwa s[14:15], sext(v14), s46 src0_sel:BYTE_0 src1_sel:DWORD
	s_andn2_b64 s[6:7], s[6:7], exec
	s_and_b64 s[14:15], s[14:15], exec
	s_or_b64 s[6:7], s[6:7], s[14:15]
.LBB18_390:
	s_branch .LBB18_392
.LBB18_391:
	s_cmp_lg_u32 s9, 0
	s_mov_b64 s[4:5], -1
	s_cselect_b64 s[10:11], -1, 0
.LBB18_392:
	s_andn2_b64 vcc, exec, s[10:11]
	s_cbranch_vccz .LBB18_401
; %bb.393:
	s_andn2_b64 vcc, exec, s[4:5]
	s_cbranch_vccnz .LBB18_395
.LBB18_394:
	v_cmp_ge_i16_sdwa s[4:5], sext(v14), s46 src0_sel:BYTE_0 src1_sel:DWORD
	s_andn2_b64 s[6:7], s[6:7], exec
	s_and_b64 s[4:5], s[4:5], exec
	s_or_b64 s[6:7], s[6:7], s[4:5]
.LBB18_395:
	v_and_b32_e32 v14, 0xffffff00, v2
	v_cndmask_b32_e64 v15, 0, 1, s[6:7]
	v_or_b32_e32 v14, v15, v14
	v_and_b32_e32 v14, 0xffff, v14
	s_mov_b32 s4, 0xffff0000
	v_and_or_b32 v2, v2, s4, v14
.LBB18_396:
	s_or_b64 exec, exec, s[2:3]
	v_or_b32_e32 v14, 0x900, v0
	v_cmp_gt_i32_e32 vcc, s8, v14
	s_and_saveexec_b64 s[2:3], vcc
	s_cbranch_execz .LBB18_411
; %bb.397:
	s_cmp_lt_i32 s9, 1
	s_mov_b64 s[4:5], 0
	s_cbranch_scc1 .LBB18_402
; %bb.398:
	s_cmp_gt_i32 s9, 1
	s_cbranch_scc0 .LBB18_403
; %bb.399:
	s_cmp_eq_u32 s9, 2
	s_cbranch_scc0 .LBB18_543
; %bb.400:
	v_cmp_le_i16_sdwa s[6:7], sext(v13), s46 src0_sel:BYTE_0 src1_sel:DWORD
	s_mov_b64 s[10:11], 0
	s_branch .LBB18_405
.LBB18_401:
	v_cmp_lt_i16_sdwa s[10:11], sext(v14), s46 src0_sel:BYTE_0 src1_sel:DWORD
	s_andn2_b64 s[6:7], s[6:7], exec
	s_and_b64 s[10:11], s[10:11], exec
	s_or_b64 s[6:7], s[6:7], s[10:11]
	s_cbranch_execz .LBB18_394
	s_branch .LBB18_395
.LBB18_402:
                                        ; implicit-def: $sgpr6_sgpr7
	s_mov_b64 s[10:11], 0
	s_cbranch_execnz .LBB18_406
	s_branch .LBB18_407
.LBB18_403:
	s_mov_b64 s[10:11], 0
                                        ; implicit-def: $sgpr6_sgpr7
	s_cbranch_execz .LBB18_405
; %bb.404:
	v_cmp_gt_i16_sdwa s[14:15], sext(v13), s46 src0_sel:BYTE_0 src1_sel:DWORD
	s_andn2_b64 s[6:7], s[6:7], exec
	s_and_b64 s[14:15], s[14:15], exec
	s_or_b64 s[6:7], s[6:7], s[14:15]
.LBB18_405:
	s_branch .LBB18_407
.LBB18_406:
	s_cmp_lg_u32 s9, 0
	s_mov_b64 s[4:5], -1
	s_cselect_b64 s[10:11], -1, 0
.LBB18_407:
	s_andn2_b64 vcc, exec, s[10:11]
	s_cbranch_vccz .LBB18_416
; %bb.408:
	s_andn2_b64 vcc, exec, s[4:5]
	s_cbranch_vccnz .LBB18_410
.LBB18_409:
	v_cmp_ge_i16_sdwa s[4:5], sext(v13), s46 src0_sel:BYTE_0 src1_sel:DWORD
	s_andn2_b64 s[6:7], s[6:7], exec
	s_and_b64 s[4:5], s[4:5], exec
	s_or_b64 s[6:7], s[6:7], s[4:5]
.LBB18_410:
	v_cndmask_b32_e64 v13, 0, 1, s[6:7]
	v_lshlrev_b16_e32 v13, 8, v13
	v_or_b32_sdwa v13, v2, v13 dst_sel:DWORD dst_unused:UNUSED_PAD src0_sel:BYTE_0 src1_sel:DWORD
	v_and_b32_e32 v13, 0xffff, v13
	s_mov_b32 s4, 0xffff0000
	v_and_or_b32 v2, v2, s4, v13
.LBB18_411:
	s_or_b64 exec, exec, s[2:3]
	v_or_b32_e32 v13, 0xa00, v0
	v_cmp_gt_i32_e32 vcc, s8, v13
	s_and_saveexec_b64 s[2:3], vcc
	s_cbranch_execz .LBB18_426
; %bb.412:
	s_cmp_lt_i32 s9, 1
	s_mov_b64 s[4:5], 0
	s_cbranch_scc1 .LBB18_417
; %bb.413:
	s_cmp_gt_i32 s9, 1
	s_cbranch_scc0 .LBB18_418
; %bb.414:
	s_cmp_eq_u32 s9, 2
	s_cbranch_scc0 .LBB18_544
; %bb.415:
	v_cmp_le_i16_sdwa s[6:7], sext(v12), s46 src0_sel:BYTE_0 src1_sel:DWORD
	s_mov_b64 s[10:11], 0
	s_branch .LBB18_420
.LBB18_416:
	v_cmp_lt_i16_sdwa s[10:11], sext(v13), s46 src0_sel:BYTE_0 src1_sel:DWORD
	s_andn2_b64 s[6:7], s[6:7], exec
	s_and_b64 s[10:11], s[10:11], exec
	s_or_b64 s[6:7], s[6:7], s[10:11]
	s_cbranch_execz .LBB18_409
	s_branch .LBB18_410
.LBB18_417:
                                        ; implicit-def: $sgpr6_sgpr7
	s_mov_b64 s[10:11], 0
	s_cbranch_execnz .LBB18_421
	s_branch .LBB18_422
.LBB18_418:
	s_mov_b64 s[10:11], 0
                                        ; implicit-def: $sgpr6_sgpr7
	s_cbranch_execz .LBB18_420
; %bb.419:
	v_cmp_gt_i16_sdwa s[14:15], sext(v12), s46 src0_sel:BYTE_0 src1_sel:DWORD
	s_andn2_b64 s[6:7], s[6:7], exec
	s_and_b64 s[14:15], s[14:15], exec
	s_or_b64 s[6:7], s[6:7], s[14:15]
.LBB18_420:
	s_branch .LBB18_422
.LBB18_421:
	s_cmp_lg_u32 s9, 0
	s_mov_b64 s[4:5], -1
	s_cselect_b64 s[10:11], -1, 0
.LBB18_422:
	s_andn2_b64 vcc, exec, s[10:11]
	s_cbranch_vccz .LBB18_431
; %bb.423:
	s_andn2_b64 vcc, exec, s[4:5]
	s_cbranch_vccnz .LBB18_425
.LBB18_424:
	v_cmp_ge_i16_sdwa s[4:5], sext(v12), s46 src0_sel:BYTE_0 src1_sel:DWORD
	s_andn2_b64 s[6:7], s[6:7], exec
	s_and_b64 s[4:5], s[4:5], exec
	s_or_b64 s[6:7], s[6:7], s[4:5]
.LBB18_425:
	s_movk_i32 s4, 0xff00
	v_and_b32_sdwa v12, v2, s4 dst_sel:DWORD dst_unused:UNUSED_PAD src0_sel:WORD_1 src1_sel:DWORD
	v_cndmask_b32_e64 v13, 0, 1, s[6:7]
	v_or_b32_sdwa v12, v13, v12 dst_sel:WORD_1 dst_unused:UNUSED_PAD src0_sel:DWORD src1_sel:DWORD
	s_mov_b32 s4, 0xffff
	v_and_or_b32 v2, v2, s4, v12
.LBB18_426:
	s_or_b64 exec, exec, s[2:3]
	v_or_b32_e32 v12, 0xb00, v0
	v_cmp_gt_i32_e32 vcc, s8, v12
	s_and_saveexec_b64 s[2:3], vcc
	s_cbranch_execz .LBB18_441
; %bb.427:
	s_cmp_lt_i32 s9, 1
	s_mov_b64 s[4:5], 0
	s_cbranch_scc1 .LBB18_432
; %bb.428:
	s_cmp_gt_i32 s9, 1
	s_cbranch_scc0 .LBB18_433
; %bb.429:
	s_cmp_eq_u32 s9, 2
	s_cbranch_scc0 .LBB18_545
; %bb.430:
	v_cmp_le_i16_sdwa s[6:7], sext(v11), s46 src0_sel:BYTE_0 src1_sel:DWORD
	s_mov_b64 s[10:11], 0
	s_branch .LBB18_435
.LBB18_431:
	v_cmp_lt_i16_sdwa s[10:11], sext(v12), s46 src0_sel:BYTE_0 src1_sel:DWORD
	s_andn2_b64 s[6:7], s[6:7], exec
	s_and_b64 s[10:11], s[10:11], exec
	s_or_b64 s[6:7], s[6:7], s[10:11]
	s_cbranch_execz .LBB18_424
	s_branch .LBB18_425
.LBB18_432:
                                        ; implicit-def: $sgpr6_sgpr7
	s_mov_b64 s[10:11], 0
	s_cbranch_execnz .LBB18_436
	s_branch .LBB18_437
.LBB18_433:
	s_mov_b64 s[10:11], 0
                                        ; implicit-def: $sgpr6_sgpr7
	s_cbranch_execz .LBB18_435
; %bb.434:
	v_cmp_gt_i16_sdwa s[14:15], sext(v11), s46 src0_sel:BYTE_0 src1_sel:DWORD
	s_andn2_b64 s[6:7], s[6:7], exec
	s_and_b64 s[14:15], s[14:15], exec
	s_or_b64 s[6:7], s[6:7], s[14:15]
.LBB18_435:
	s_branch .LBB18_437
.LBB18_436:
	s_cmp_lg_u32 s9, 0
	s_mov_b64 s[4:5], -1
	s_cselect_b64 s[10:11], -1, 0
.LBB18_437:
	s_andn2_b64 vcc, exec, s[10:11]
	s_cbranch_vccz .LBB18_446
; %bb.438:
	s_andn2_b64 vcc, exec, s[4:5]
	s_cbranch_vccnz .LBB18_440
.LBB18_439:
	v_cmp_ge_i16_sdwa s[4:5], sext(v11), s46 src0_sel:BYTE_0 src1_sel:DWORD
	s_andn2_b64 s[6:7], s[6:7], exec
	s_and_b64 s[4:5], s[4:5], exec
	s_or_b64 s[6:7], s[6:7], s[4:5]
.LBB18_440:
	s_movk_i32 s4, 0xff
	v_cndmask_b32_e64 v12, 0, 1, s[6:7]
	v_and_b32_sdwa v11, v2, s4 dst_sel:DWORD dst_unused:UNUSED_PAD src0_sel:WORD_1 src1_sel:DWORD
	v_lshlrev_b16_e32 v12, 8, v12
	v_or_b32_sdwa v11, v11, v12 dst_sel:WORD_1 dst_unused:UNUSED_PAD src0_sel:DWORD src1_sel:DWORD
	s_mov_b32 s4, 0xffff
	v_and_or_b32 v2, v2, s4, v11
.LBB18_441:
	s_or_b64 exec, exec, s[2:3]
	v_or_b32_e32 v11, 0xc00, v0
	v_cmp_gt_i32_e32 vcc, s8, v11
	s_and_saveexec_b64 s[2:3], vcc
	s_cbranch_execz .LBB18_456
; %bb.442:
	s_cmp_lt_i32 s9, 1
	s_mov_b64 s[4:5], 0
	s_cbranch_scc1 .LBB18_447
; %bb.443:
	s_cmp_gt_i32 s9, 1
	s_cbranch_scc0 .LBB18_448
; %bb.444:
	s_cmp_eq_u32 s9, 2
	s_cbranch_scc0 .LBB18_546
; %bb.445:
	v_cmp_le_i16_sdwa s[6:7], sext(v9), s46 src0_sel:BYTE_0 src1_sel:DWORD
	s_mov_b64 s[10:11], 0
	s_branch .LBB18_450
.LBB18_446:
	v_cmp_lt_i16_sdwa s[10:11], sext(v11), s46 src0_sel:BYTE_0 src1_sel:DWORD
	s_andn2_b64 s[6:7], s[6:7], exec
	s_and_b64 s[10:11], s[10:11], exec
	s_or_b64 s[6:7], s[6:7], s[10:11]
	s_cbranch_execz .LBB18_439
	s_branch .LBB18_440
.LBB18_447:
                                        ; implicit-def: $sgpr6_sgpr7
	s_mov_b64 s[10:11], 0
	s_cbranch_execnz .LBB18_451
	s_branch .LBB18_452
.LBB18_448:
	s_mov_b64 s[10:11], 0
                                        ; implicit-def: $sgpr6_sgpr7
	s_cbranch_execz .LBB18_450
; %bb.449:
	v_cmp_gt_i16_sdwa s[14:15], sext(v9), s46 src0_sel:BYTE_0 src1_sel:DWORD
	s_andn2_b64 s[6:7], s[6:7], exec
	s_and_b64 s[14:15], s[14:15], exec
	s_or_b64 s[6:7], s[6:7], s[14:15]
.LBB18_450:
	s_branch .LBB18_452
.LBB18_451:
	s_cmp_lg_u32 s9, 0
	s_mov_b64 s[4:5], -1
	s_cselect_b64 s[10:11], -1, 0
.LBB18_452:
	s_andn2_b64 vcc, exec, s[10:11]
	s_cbranch_vccz .LBB18_461
; %bb.453:
	s_andn2_b64 vcc, exec, s[4:5]
	s_cbranch_vccnz .LBB18_455
.LBB18_454:
	v_cmp_ge_i16_sdwa s[4:5], sext(v9), s46 src0_sel:BYTE_0 src1_sel:DWORD
	s_andn2_b64 s[6:7], s[6:7], exec
	s_and_b64 s[4:5], s[4:5], exec
	s_or_b64 s[6:7], s[6:7], s[4:5]
.LBB18_455:
	v_and_b32_e32 v9, 0xffffff00, v1
	v_cndmask_b32_e64 v11, 0, 1, s[6:7]
	v_or_b32_e32 v9, v11, v9
	v_and_b32_e32 v9, 0xffff, v9
	s_mov_b32 s4, 0xffff0000
	v_and_or_b32 v1, v1, s4, v9
.LBB18_456:
	s_or_b64 exec, exec, s[2:3]
	v_or_b32_e32 v9, 0xd00, v0
	v_cmp_gt_i32_e32 vcc, s8, v9
	s_and_saveexec_b64 s[2:3], vcc
	s_cbranch_execz .LBB18_471
; %bb.457:
	s_cmp_lt_i32 s9, 1
	s_mov_b64 s[4:5], 0
	s_cbranch_scc1 .LBB18_462
; %bb.458:
	s_cmp_gt_i32 s9, 1
	s_cbranch_scc0 .LBB18_463
; %bb.459:
	s_cmp_eq_u32 s9, 2
	s_cbranch_scc0 .LBB18_547
; %bb.460:
	v_cmp_le_i16_sdwa s[6:7], sext(v7), s46 src0_sel:BYTE_0 src1_sel:DWORD
	s_mov_b64 s[10:11], 0
	s_branch .LBB18_465
.LBB18_461:
	v_cmp_lt_i16_sdwa s[10:11], sext(v9), s46 src0_sel:BYTE_0 src1_sel:DWORD
	s_andn2_b64 s[6:7], s[6:7], exec
	s_and_b64 s[10:11], s[10:11], exec
	s_or_b64 s[6:7], s[6:7], s[10:11]
	s_cbranch_execz .LBB18_454
	s_branch .LBB18_455
.LBB18_462:
                                        ; implicit-def: $sgpr6_sgpr7
	s_mov_b64 s[10:11], 0
	s_cbranch_execnz .LBB18_466
	s_branch .LBB18_467
.LBB18_463:
	s_mov_b64 s[10:11], 0
                                        ; implicit-def: $sgpr6_sgpr7
	s_cbranch_execz .LBB18_465
; %bb.464:
	v_cmp_gt_i16_sdwa s[14:15], sext(v7), s46 src0_sel:BYTE_0 src1_sel:DWORD
	s_andn2_b64 s[6:7], s[6:7], exec
	s_and_b64 s[14:15], s[14:15], exec
	s_or_b64 s[6:7], s[6:7], s[14:15]
.LBB18_465:
	s_branch .LBB18_467
.LBB18_466:
	s_cmp_lg_u32 s9, 0
	s_mov_b64 s[4:5], -1
	s_cselect_b64 s[10:11], -1, 0
.LBB18_467:
	s_andn2_b64 vcc, exec, s[10:11]
	s_cbranch_vccz .LBB18_476
; %bb.468:
	s_andn2_b64 vcc, exec, s[4:5]
	s_cbranch_vccnz .LBB18_470
.LBB18_469:
	v_cmp_ge_i16_sdwa s[4:5], sext(v7), s46 src0_sel:BYTE_0 src1_sel:DWORD
	s_andn2_b64 s[6:7], s[6:7], exec
	s_and_b64 s[4:5], s[4:5], exec
	s_or_b64 s[6:7], s[6:7], s[4:5]
.LBB18_470:
	v_cndmask_b32_e64 v7, 0, 1, s[6:7]
	v_lshlrev_b16_e32 v7, 8, v7
	v_or_b32_sdwa v7, v1, v7 dst_sel:DWORD dst_unused:UNUSED_PAD src0_sel:BYTE_0 src1_sel:DWORD
	v_and_b32_e32 v7, 0xffff, v7
	s_mov_b32 s4, 0xffff0000
	v_and_or_b32 v1, v1, s4, v7
.LBB18_471:
	s_or_b64 exec, exec, s[2:3]
	v_or_b32_e32 v7, 0xe00, v0
	v_cmp_gt_i32_e32 vcc, s8, v7
	s_and_saveexec_b64 s[2:3], vcc
	s_cbranch_execz .LBB18_486
; %bb.472:
	s_cmp_lt_i32 s9, 1
	s_mov_b64 s[4:5], 0
	s_cbranch_scc1 .LBB18_477
; %bb.473:
	s_cmp_gt_i32 s9, 1
	s_cbranch_scc0 .LBB18_478
; %bb.474:
	s_cmp_eq_u32 s9, 2
	s_cbranch_scc0 .LBB18_548
; %bb.475:
	v_cmp_le_i16_sdwa s[6:7], sext(v6), s46 src0_sel:BYTE_0 src1_sel:DWORD
	s_mov_b64 s[10:11], 0
	s_branch .LBB18_480
.LBB18_476:
	v_cmp_lt_i16_sdwa s[10:11], sext(v7), s46 src0_sel:BYTE_0 src1_sel:DWORD
	s_andn2_b64 s[6:7], s[6:7], exec
	s_and_b64 s[10:11], s[10:11], exec
	s_or_b64 s[6:7], s[6:7], s[10:11]
	s_cbranch_execz .LBB18_469
	s_branch .LBB18_470
.LBB18_477:
                                        ; implicit-def: $sgpr6_sgpr7
	s_mov_b64 s[10:11], 0
	s_cbranch_execnz .LBB18_481
	s_branch .LBB18_482
.LBB18_478:
	s_mov_b64 s[10:11], 0
                                        ; implicit-def: $sgpr6_sgpr7
	s_cbranch_execz .LBB18_480
; %bb.479:
	v_cmp_gt_i16_sdwa s[14:15], sext(v6), s46 src0_sel:BYTE_0 src1_sel:DWORD
	s_andn2_b64 s[6:7], s[6:7], exec
	s_and_b64 s[14:15], s[14:15], exec
	s_or_b64 s[6:7], s[6:7], s[14:15]
.LBB18_480:
	s_branch .LBB18_482
.LBB18_481:
	s_cmp_lg_u32 s9, 0
	s_mov_b64 s[4:5], -1
	s_cselect_b64 s[10:11], -1, 0
.LBB18_482:
	s_andn2_b64 vcc, exec, s[10:11]
	s_cbranch_vccz .LBB18_491
; %bb.483:
	s_andn2_b64 vcc, exec, s[4:5]
	s_cbranch_vccnz .LBB18_485
.LBB18_484:
	v_cmp_ge_i16_sdwa s[4:5], sext(v6), s46 src0_sel:BYTE_0 src1_sel:DWORD
	s_andn2_b64 s[6:7], s[6:7], exec
	s_and_b64 s[4:5], s[4:5], exec
	s_or_b64 s[6:7], s[6:7], s[4:5]
.LBB18_485:
	s_movk_i32 s4, 0xff00
	v_and_b32_sdwa v6, v1, s4 dst_sel:DWORD dst_unused:UNUSED_PAD src0_sel:WORD_1 src1_sel:DWORD
	v_cndmask_b32_e64 v7, 0, 1, s[6:7]
	v_or_b32_sdwa v6, v7, v6 dst_sel:WORD_1 dst_unused:UNUSED_PAD src0_sel:DWORD src1_sel:DWORD
	s_mov_b32 s4, 0xffff
	v_and_or_b32 v1, v1, s4, v6
.LBB18_486:
	s_or_b64 exec, exec, s[2:3]
	v_or_b32_e32 v6, 0xf00, v0
	v_cmp_gt_i32_e32 vcc, s8, v6
	s_and_saveexec_b64 s[2:3], vcc
	s_cbranch_execz .LBB18_501
; %bb.487:
	s_cmp_lt_i32 s9, 1
	s_mov_b64 s[4:5], 0
	s_cbranch_scc1 .LBB18_492
; %bb.488:
	s_cmp_gt_i32 s9, 1
	s_cbranch_scc0 .LBB18_493
; %bb.489:
	s_cmp_eq_u32 s9, 2
	s_cbranch_scc0 .LBB18_549
; %bb.490:
	v_cmp_le_i16_sdwa s[6:7], sext(v5), s46 src0_sel:BYTE_0 src1_sel:DWORD
	s_mov_b64 s[10:11], 0
	s_branch .LBB18_495
.LBB18_491:
	v_cmp_lt_i16_sdwa s[10:11], sext(v6), s46 src0_sel:BYTE_0 src1_sel:DWORD
	s_andn2_b64 s[6:7], s[6:7], exec
	s_and_b64 s[10:11], s[10:11], exec
	s_or_b64 s[6:7], s[6:7], s[10:11]
	s_cbranch_execz .LBB18_484
	s_branch .LBB18_485
.LBB18_492:
                                        ; implicit-def: $sgpr6_sgpr7
	s_mov_b64 s[10:11], 0
	s_cbranch_execnz .LBB18_496
	s_branch .LBB18_497
.LBB18_493:
	s_mov_b64 s[10:11], 0
                                        ; implicit-def: $sgpr6_sgpr7
	s_cbranch_execz .LBB18_495
; %bb.494:
	v_cmp_gt_i16_sdwa s[14:15], sext(v5), s46 src0_sel:BYTE_0 src1_sel:DWORD
	s_andn2_b64 s[6:7], s[6:7], exec
	s_and_b64 s[14:15], s[14:15], exec
	s_or_b64 s[6:7], s[6:7], s[14:15]
.LBB18_495:
	s_branch .LBB18_497
.LBB18_496:
	s_cmp_lg_u32 s9, 0
	s_mov_b64 s[4:5], -1
	s_cselect_b64 s[10:11], -1, 0
.LBB18_497:
	s_andn2_b64 vcc, exec, s[10:11]
	s_cbranch_vccz .LBB18_534
; %bb.498:
	s_andn2_b64 vcc, exec, s[4:5]
	s_cbranch_vccnz .LBB18_500
.LBB18_499:
	v_cmp_ge_i16_sdwa s[4:5], sext(v5), s46 src0_sel:BYTE_0 src1_sel:DWORD
	s_andn2_b64 s[6:7], s[6:7], exec
	s_and_b64 s[4:5], s[4:5], exec
	s_or_b64 s[6:7], s[6:7], s[4:5]
.LBB18_500:
	s_movk_i32 s4, 0xff
	v_cndmask_b32_e64 v6, 0, 1, s[6:7]
	v_and_b32_sdwa v5, v1, s4 dst_sel:DWORD dst_unused:UNUSED_PAD src0_sel:WORD_1 src1_sel:DWORD
	v_lshlrev_b16_e32 v6, 8, v6
	v_or_b32_sdwa v5, v5, v6 dst_sel:WORD_1 dst_unused:UNUSED_PAD src0_sel:DWORD src1_sel:DWORD
	s_mov_b32 s4, 0xffff
	v_and_or_b32 v1, v1, s4, v5
.LBB18_501:
	s_or_b64 exec, exec, s[2:3]
	s_and_saveexec_b64 s[2:3], s[0:1]
	s_xor_b64 s[0:1], exec, s[2:3]
	s_cbranch_execz .LBB18_503
; %bb.502:
	v_mov_b32_e32 v0, v10
	global_store_byte v3, v4, s[12:13]
.LBB18_503:
	s_or_b64 exec, exec, s[0:1]
	v_cmp_gt_i32_e32 vcc, s8, v0
	s_and_saveexec_b64 s[0:1], vcc
	s_cbranch_execnz .LBB18_520
; %bb.504:
	s_or_b64 exec, exec, s[0:1]
	v_cmp_gt_i32_e32 vcc, s8, v0
	s_and_saveexec_b64 s[0:1], vcc
	s_cbranch_execnz .LBB18_521
.LBB18_505:
	s_or_b64 exec, exec, s[0:1]
	v_cmp_gt_i32_e32 vcc, s8, v0
	s_and_saveexec_b64 s[0:1], vcc
	s_cbranch_execnz .LBB18_522
.LBB18_506:
	s_or_b64 exec, exec, s[0:1]
	v_cmp_gt_i32_e32 vcc, s8, v0
	s_and_saveexec_b64 s[0:1], vcc
	s_cbranch_execnz .LBB18_523
.LBB18_507:
	s_or_b64 exec, exec, s[0:1]
	v_cmp_gt_i32_e32 vcc, s8, v0
	s_and_saveexec_b64 s[0:1], vcc
	s_cbranch_execnz .LBB18_524
.LBB18_508:
	s_or_b64 exec, exec, s[0:1]
	v_cmp_gt_i32_e32 vcc, s8, v0
	s_and_saveexec_b64 s[0:1], vcc
	s_cbranch_execnz .LBB18_525
.LBB18_509:
	s_or_b64 exec, exec, s[0:1]
	v_cmp_gt_i32_e32 vcc, s8, v0
	s_and_saveexec_b64 s[0:1], vcc
	s_cbranch_execnz .LBB18_526
.LBB18_510:
	s_or_b64 exec, exec, s[0:1]
	v_cmp_gt_i32_e32 vcc, s8, v0
	s_and_saveexec_b64 s[0:1], vcc
	s_cbranch_execnz .LBB18_527
.LBB18_511:
	s_or_b64 exec, exec, s[0:1]
	v_cmp_gt_i32_e32 vcc, s8, v0
	s_and_saveexec_b64 s[0:1], vcc
	s_cbranch_execnz .LBB18_528
.LBB18_512:
	s_or_b64 exec, exec, s[0:1]
	v_cmp_gt_i32_e32 vcc, s8, v0
	s_and_saveexec_b64 s[0:1], vcc
	s_cbranch_execnz .LBB18_529
.LBB18_513:
	s_or_b64 exec, exec, s[0:1]
	v_cmp_gt_i32_e32 vcc, s8, v0
	s_and_saveexec_b64 s[0:1], vcc
	s_cbranch_execnz .LBB18_530
.LBB18_514:
	s_or_b64 exec, exec, s[0:1]
	v_cmp_gt_i32_e32 vcc, s8, v0
	s_and_saveexec_b64 s[0:1], vcc
	s_cbranch_execnz .LBB18_531
.LBB18_515:
	s_or_b64 exec, exec, s[0:1]
	v_cmp_gt_i32_e32 vcc, s8, v0
	s_and_saveexec_b64 s[0:1], vcc
	s_cbranch_execnz .LBB18_532
.LBB18_516:
	s_or_b64 exec, exec, s[0:1]
	v_cmp_gt_i32_e32 vcc, s8, v0
	s_and_saveexec_b64 s[0:1], vcc
	s_cbranch_execnz .LBB18_533
.LBB18_517:
	s_or_b64 exec, exec, s[0:1]
	v_cmp_gt_i32_e32 vcc, s8, v0
	s_and_saveexec_b64 s[0:1], vcc
	s_cbranch_execz .LBB18_519
.LBB18_518:
	v_lshrrev_b32_e32 v1, 24, v1
	v_add_u32_e32 v0, s33, v0
	global_store_byte v0, v1, s[12:13]
.LBB18_519:
	s_endpgm
.LBB18_520:
	v_lshrrev_b32_e32 v3, 8, v4
	v_add_u32_e32 v5, s33, v0
	v_add_u32_e32 v0, 0x100, v0
	global_store_byte v5, v3, s[12:13]
	s_or_b64 exec, exec, s[0:1]
	v_cmp_gt_i32_e32 vcc, s8, v0
	s_and_saveexec_b64 s[0:1], vcc
	s_cbranch_execz .LBB18_505
.LBB18_521:
	v_add_u32_e32 v3, s33, v0
	v_add_u32_e32 v0, 0x100, v0
	global_store_byte_d16_hi v3, v4, s[12:13]
	s_or_b64 exec, exec, s[0:1]
	v_cmp_gt_i32_e32 vcc, s8, v0
	s_and_saveexec_b64 s[0:1], vcc
	s_cbranch_execz .LBB18_506
.LBB18_522:
	v_lshrrev_b32_e32 v3, 24, v4
	v_add_u32_e32 v4, s33, v0
	v_add_u32_e32 v0, 0x100, v0
	global_store_byte v4, v3, s[12:13]
	s_or_b64 exec, exec, s[0:1]
	v_cmp_gt_i32_e32 vcc, s8, v0
	s_and_saveexec_b64 s[0:1], vcc
	s_cbranch_execz .LBB18_507
.LBB18_523:
	v_add_u32_e32 v3, s33, v0
	v_add_u32_e32 v0, 0x100, v0
	global_store_byte v3, v8, s[12:13]
	s_or_b64 exec, exec, s[0:1]
	v_cmp_gt_i32_e32 vcc, s8, v0
	s_and_saveexec_b64 s[0:1], vcc
	s_cbranch_execz .LBB18_508
.LBB18_524:
	v_lshrrev_b32_e32 v3, 8, v8
	v_add_u32_e32 v4, s33, v0
	v_add_u32_e32 v0, 0x100, v0
	global_store_byte v4, v3, s[12:13]
	s_or_b64 exec, exec, s[0:1]
	v_cmp_gt_i32_e32 vcc, s8, v0
	s_and_saveexec_b64 s[0:1], vcc
	s_cbranch_execz .LBB18_509
.LBB18_525:
	v_add_u32_e32 v3, s33, v0
	v_add_u32_e32 v0, 0x100, v0
	global_store_byte_d16_hi v3, v8, s[12:13]
	s_or_b64 exec, exec, s[0:1]
	v_cmp_gt_i32_e32 vcc, s8, v0
	s_and_saveexec_b64 s[0:1], vcc
	s_cbranch_execz .LBB18_510
.LBB18_526:
	v_lshrrev_b32_e32 v3, 24, v8
	v_add_u32_e32 v4, s33, v0
	v_add_u32_e32 v0, 0x100, v0
	global_store_byte v4, v3, s[12:13]
	s_or_b64 exec, exec, s[0:1]
	v_cmp_gt_i32_e32 vcc, s8, v0
	s_and_saveexec_b64 s[0:1], vcc
	s_cbranch_execz .LBB18_511
.LBB18_527:
	v_add_u32_e32 v3, s33, v0
	v_add_u32_e32 v0, 0x100, v0
	global_store_byte v3, v2, s[12:13]
	s_or_b64 exec, exec, s[0:1]
	v_cmp_gt_i32_e32 vcc, s8, v0
	s_and_saveexec_b64 s[0:1], vcc
	s_cbranch_execz .LBB18_512
.LBB18_528:
	v_lshrrev_b32_e32 v3, 8, v2
	v_add_u32_e32 v4, s33, v0
	v_add_u32_e32 v0, 0x100, v0
	global_store_byte v4, v3, s[12:13]
	s_or_b64 exec, exec, s[0:1]
	v_cmp_gt_i32_e32 vcc, s8, v0
	s_and_saveexec_b64 s[0:1], vcc
	s_cbranch_execz .LBB18_513
.LBB18_529:
	v_add_u32_e32 v3, s33, v0
	v_add_u32_e32 v0, 0x100, v0
	global_store_byte_d16_hi v3, v2, s[12:13]
	s_or_b64 exec, exec, s[0:1]
	v_cmp_gt_i32_e32 vcc, s8, v0
	s_and_saveexec_b64 s[0:1], vcc
	s_cbranch_execz .LBB18_514
.LBB18_530:
	v_lshrrev_b32_e32 v2, 24, v2
	v_add_u32_e32 v3, s33, v0
	v_add_u32_e32 v0, 0x100, v0
	global_store_byte v3, v2, s[12:13]
	s_or_b64 exec, exec, s[0:1]
	v_cmp_gt_i32_e32 vcc, s8, v0
	s_and_saveexec_b64 s[0:1], vcc
	s_cbranch_execz .LBB18_515
.LBB18_531:
	v_add_u32_e32 v2, s33, v0
	v_add_u32_e32 v0, 0x100, v0
	global_store_byte v2, v1, s[12:13]
	s_or_b64 exec, exec, s[0:1]
	v_cmp_gt_i32_e32 vcc, s8, v0
	s_and_saveexec_b64 s[0:1], vcc
	s_cbranch_execz .LBB18_516
.LBB18_532:
	v_lshrrev_b32_e32 v2, 8, v1
	v_add_u32_e32 v3, s33, v0
	v_add_u32_e32 v0, 0x100, v0
	global_store_byte v3, v2, s[12:13]
	s_or_b64 exec, exec, s[0:1]
	v_cmp_gt_i32_e32 vcc, s8, v0
	s_and_saveexec_b64 s[0:1], vcc
	s_cbranch_execz .LBB18_517
.LBB18_533:
	v_add_u32_e32 v2, s33, v0
	v_add_u32_e32 v0, 0x100, v0
	global_store_byte_d16_hi v2, v1, s[12:13]
	s_or_b64 exec, exec, s[0:1]
	v_cmp_gt_i32_e32 vcc, s8, v0
	s_and_saveexec_b64 s[0:1], vcc
	s_cbranch_execnz .LBB18_518
	s_branch .LBB18_519
.LBB18_534:
	v_cmp_lt_i16_sdwa s[10:11], sext(v5), s46 src0_sel:BYTE_0 src1_sel:DWORD
	s_andn2_b64 s[6:7], s[6:7], exec
	s_and_b64 s[10:11], s[10:11], exec
	s_or_b64 s[6:7], s[6:7], s[10:11]
	s_cbranch_execz .LBB18_499
	s_branch .LBB18_500
.LBB18_535:
	s_mov_b64 s[10:11], -1
                                        ; implicit-def: $sgpr6_sgpr7
	s_branch .LBB18_285
.LBB18_536:
	s_mov_b64 s[10:11], -1
                                        ; implicit-def: $sgpr6_sgpr7
	s_branch .LBB18_300
.LBB18_537:
	s_mov_b64 s[10:11], -1
                                        ; implicit-def: $sgpr6_sgpr7
	s_branch .LBB18_315
.LBB18_538:
	s_mov_b64 s[10:11], -1
                                        ; implicit-def: $sgpr6_sgpr7
	s_branch .LBB18_330
.LBB18_539:
	s_mov_b64 s[10:11], -1
                                        ; implicit-def: $sgpr6_sgpr7
	s_branch .LBB18_345
.LBB18_540:
	s_mov_b64 s[10:11], -1
                                        ; implicit-def: $sgpr6_sgpr7
	s_branch .LBB18_360
.LBB18_541:
	s_mov_b64 s[10:11], -1
                                        ; implicit-def: $sgpr6_sgpr7
	s_branch .LBB18_375
.LBB18_542:
	s_mov_b64 s[10:11], -1
                                        ; implicit-def: $sgpr6_sgpr7
	s_branch .LBB18_390
.LBB18_543:
	s_mov_b64 s[10:11], -1
                                        ; implicit-def: $sgpr6_sgpr7
	s_branch .LBB18_405
.LBB18_544:
	s_mov_b64 s[10:11], -1
                                        ; implicit-def: $sgpr6_sgpr7
	s_branch .LBB18_420
.LBB18_545:
	s_mov_b64 s[10:11], -1
                                        ; implicit-def: $sgpr6_sgpr7
	s_branch .LBB18_435
.LBB18_546:
	s_mov_b64 s[10:11], -1
                                        ; implicit-def: $sgpr6_sgpr7
	s_branch .LBB18_450
.LBB18_547:
	s_mov_b64 s[10:11], -1
                                        ; implicit-def: $sgpr6_sgpr7
	s_branch .LBB18_465
.LBB18_548:
	s_mov_b64 s[10:11], -1
                                        ; implicit-def: $sgpr6_sgpr7
	s_branch .LBB18_480
.LBB18_549:
	s_mov_b64 s[10:11], -1
                                        ; implicit-def: $sgpr6_sgpr7
	s_branch .LBB18_495
	.section	.rodata,"a",@progbits
	.p2align	6, 0x0
	.amdhsa_kernel _ZN2at6native29vectorized_elementwise_kernelILi4EZNS0_21compare_scalar_kernelIaEEvRNS_18TensorIteratorBaseENS0_12_GLOBAL__N_16OpTypeET_EUlaE_St5arrayIPcLm2EEEEviT0_T1_
		.amdhsa_group_segment_fixed_size 0
		.amdhsa_private_segment_fixed_size 0
		.amdhsa_kernarg_size 32
		.amdhsa_user_sgpr_count 6
		.amdhsa_user_sgpr_private_segment_buffer 1
		.amdhsa_user_sgpr_dispatch_ptr 0
		.amdhsa_user_sgpr_queue_ptr 0
		.amdhsa_user_sgpr_kernarg_segment_ptr 1
		.amdhsa_user_sgpr_dispatch_id 0
		.amdhsa_user_sgpr_flat_scratch_init 0
		.amdhsa_user_sgpr_private_segment_size 0
		.amdhsa_uses_dynamic_stack 0
		.amdhsa_system_sgpr_private_segment_wavefront_offset 0
		.amdhsa_system_sgpr_workgroup_id_x 1
		.amdhsa_system_sgpr_workgroup_id_y 0
		.amdhsa_system_sgpr_workgroup_id_z 0
		.amdhsa_system_sgpr_workgroup_info 0
		.amdhsa_system_vgpr_workitem_id 0
		.amdhsa_next_free_vgpr 22
		.amdhsa_next_free_sgpr 48
		.amdhsa_reserve_vcc 1
		.amdhsa_reserve_flat_scratch 0
		.amdhsa_float_round_mode_32 0
		.amdhsa_float_round_mode_16_64 0
		.amdhsa_float_denorm_mode_32 3
		.amdhsa_float_denorm_mode_16_64 3
		.amdhsa_dx10_clamp 1
		.amdhsa_ieee_mode 1
		.amdhsa_fp16_overflow 0
		.amdhsa_exception_fp_ieee_invalid_op 0
		.amdhsa_exception_fp_denorm_src 0
		.amdhsa_exception_fp_ieee_div_zero 0
		.amdhsa_exception_fp_ieee_overflow 0
		.amdhsa_exception_fp_ieee_underflow 0
		.amdhsa_exception_fp_ieee_inexact 0
		.amdhsa_exception_int_div_zero 0
	.end_amdhsa_kernel
	.section	.text._ZN2at6native29vectorized_elementwise_kernelILi4EZNS0_21compare_scalar_kernelIaEEvRNS_18TensorIteratorBaseENS0_12_GLOBAL__N_16OpTypeET_EUlaE_St5arrayIPcLm2EEEEviT0_T1_,"axG",@progbits,_ZN2at6native29vectorized_elementwise_kernelILi4EZNS0_21compare_scalar_kernelIaEEvRNS_18TensorIteratorBaseENS0_12_GLOBAL__N_16OpTypeET_EUlaE_St5arrayIPcLm2EEEEviT0_T1_,comdat
.Lfunc_end18:
	.size	_ZN2at6native29vectorized_elementwise_kernelILi4EZNS0_21compare_scalar_kernelIaEEvRNS_18TensorIteratorBaseENS0_12_GLOBAL__N_16OpTypeET_EUlaE_St5arrayIPcLm2EEEEviT0_T1_, .Lfunc_end18-_ZN2at6native29vectorized_elementwise_kernelILi4EZNS0_21compare_scalar_kernelIaEEvRNS_18TensorIteratorBaseENS0_12_GLOBAL__N_16OpTypeET_EUlaE_St5arrayIPcLm2EEEEviT0_T1_
                                        ; -- End function
	.set _ZN2at6native29vectorized_elementwise_kernelILi4EZNS0_21compare_scalar_kernelIaEEvRNS_18TensorIteratorBaseENS0_12_GLOBAL__N_16OpTypeET_EUlaE_St5arrayIPcLm2EEEEviT0_T1_.num_vgpr, 22
	.set _ZN2at6native29vectorized_elementwise_kernelILi4EZNS0_21compare_scalar_kernelIaEEvRNS_18TensorIteratorBaseENS0_12_GLOBAL__N_16OpTypeET_EUlaE_St5arrayIPcLm2EEEEviT0_T1_.num_agpr, 0
	.set _ZN2at6native29vectorized_elementwise_kernelILi4EZNS0_21compare_scalar_kernelIaEEvRNS_18TensorIteratorBaseENS0_12_GLOBAL__N_16OpTypeET_EUlaE_St5arrayIPcLm2EEEEviT0_T1_.numbered_sgpr, 48
	.set _ZN2at6native29vectorized_elementwise_kernelILi4EZNS0_21compare_scalar_kernelIaEEvRNS_18TensorIteratorBaseENS0_12_GLOBAL__N_16OpTypeET_EUlaE_St5arrayIPcLm2EEEEviT0_T1_.num_named_barrier, 0
	.set _ZN2at6native29vectorized_elementwise_kernelILi4EZNS0_21compare_scalar_kernelIaEEvRNS_18TensorIteratorBaseENS0_12_GLOBAL__N_16OpTypeET_EUlaE_St5arrayIPcLm2EEEEviT0_T1_.private_seg_size, 0
	.set _ZN2at6native29vectorized_elementwise_kernelILi4EZNS0_21compare_scalar_kernelIaEEvRNS_18TensorIteratorBaseENS0_12_GLOBAL__N_16OpTypeET_EUlaE_St5arrayIPcLm2EEEEviT0_T1_.uses_vcc, 1
	.set _ZN2at6native29vectorized_elementwise_kernelILi4EZNS0_21compare_scalar_kernelIaEEvRNS_18TensorIteratorBaseENS0_12_GLOBAL__N_16OpTypeET_EUlaE_St5arrayIPcLm2EEEEviT0_T1_.uses_flat_scratch, 0
	.set _ZN2at6native29vectorized_elementwise_kernelILi4EZNS0_21compare_scalar_kernelIaEEvRNS_18TensorIteratorBaseENS0_12_GLOBAL__N_16OpTypeET_EUlaE_St5arrayIPcLm2EEEEviT0_T1_.has_dyn_sized_stack, 0
	.set _ZN2at6native29vectorized_elementwise_kernelILi4EZNS0_21compare_scalar_kernelIaEEvRNS_18TensorIteratorBaseENS0_12_GLOBAL__N_16OpTypeET_EUlaE_St5arrayIPcLm2EEEEviT0_T1_.has_recursion, 0
	.set _ZN2at6native29vectorized_elementwise_kernelILi4EZNS0_21compare_scalar_kernelIaEEvRNS_18TensorIteratorBaseENS0_12_GLOBAL__N_16OpTypeET_EUlaE_St5arrayIPcLm2EEEEviT0_T1_.has_indirect_call, 0
	.section	.AMDGPU.csdata,"",@progbits
; Kernel info:
; codeLenInByte = 9272
; TotalNumSgprs: 52
; NumVgprs: 22
; ScratchSize: 0
; MemoryBound: 0
; FloatMode: 240
; IeeeMode: 1
; LDSByteSize: 0 bytes/workgroup (compile time only)
; SGPRBlocks: 6
; VGPRBlocks: 5
; NumSGPRsForWavesPerEU: 52
; NumVGPRsForWavesPerEU: 22
; Occupancy: 10
; WaveLimiterHint : 1
; COMPUTE_PGM_RSRC2:SCRATCH_EN: 0
; COMPUTE_PGM_RSRC2:USER_SGPR: 6
; COMPUTE_PGM_RSRC2:TRAP_HANDLER: 0
; COMPUTE_PGM_RSRC2:TGID_X_EN: 1
; COMPUTE_PGM_RSRC2:TGID_Y_EN: 0
; COMPUTE_PGM_RSRC2:TGID_Z_EN: 0
; COMPUTE_PGM_RSRC2:TIDIG_COMP_CNT: 0
	.section	.text._ZN2at6native29vectorized_elementwise_kernelILi2EZNS0_21compare_scalar_kernelIaEEvRNS_18TensorIteratorBaseENS0_12_GLOBAL__N_16OpTypeET_EUlaE_St5arrayIPcLm2EEEEviT0_T1_,"axG",@progbits,_ZN2at6native29vectorized_elementwise_kernelILi2EZNS0_21compare_scalar_kernelIaEEvRNS_18TensorIteratorBaseENS0_12_GLOBAL__N_16OpTypeET_EUlaE_St5arrayIPcLm2EEEEviT0_T1_,comdat
	.globl	_ZN2at6native29vectorized_elementwise_kernelILi2EZNS0_21compare_scalar_kernelIaEEvRNS_18TensorIteratorBaseENS0_12_GLOBAL__N_16OpTypeET_EUlaE_St5arrayIPcLm2EEEEviT0_T1_ ; -- Begin function _ZN2at6native29vectorized_elementwise_kernelILi2EZNS0_21compare_scalar_kernelIaEEvRNS_18TensorIteratorBaseENS0_12_GLOBAL__N_16OpTypeET_EUlaE_St5arrayIPcLm2EEEEviT0_T1_
	.p2align	8
	.type	_ZN2at6native29vectorized_elementwise_kernelILi2EZNS0_21compare_scalar_kernelIaEEvRNS_18TensorIteratorBaseENS0_12_GLOBAL__N_16OpTypeET_EUlaE_St5arrayIPcLm2EEEEviT0_T1_,@function
_ZN2at6native29vectorized_elementwise_kernelILi2EZNS0_21compare_scalar_kernelIaEEvRNS_18TensorIteratorBaseENS0_12_GLOBAL__N_16OpTypeET_EUlaE_St5arrayIPcLm2EEEEviT0_T1_: ; @_ZN2at6native29vectorized_elementwise_kernelILi2EZNS0_21compare_scalar_kernelIaEEvRNS_18TensorIteratorBaseENS0_12_GLOBAL__N_16OpTypeET_EUlaE_St5arrayIPcLm2EEEEviT0_T1_
; %bb.0:
	s_load_dwordx8 s[8:15], s[4:5], 0x0
	s_lshl_b32 s33, s6, 12
	s_mov_b64 s[0:1], -1
	s_waitcnt lgkmcnt(0)
	s_sub_i32 s8, s8, s33
	s_bfe_i32 s46, s10, 0x80000
	s_cmpk_gt_i32 s8, 0xfff
	s_cbranch_scc0 .LBB19_211
; %bb.1:
	s_ashr_i32 s47, s33, 31
	s_add_u32 s0, s14, s33
	s_addc_u32 s1, s15, s47
	v_lshlrev_b32_e32 v1, 1, v0
	global_load_ushort v9, v1, s[0:1]
	global_load_ushort v8, v1, s[0:1] offset:512
	global_load_ushort v7, v1, s[0:1] offset:1024
	;; [unrolled: 1-line block ×7, first 2 shown]
	s_cmp_lt_i32 s9, 1
	s_mov_b64 s[2:3], 0
	s_cbranch_scc1 .LBB19_5
; %bb.2:
	s_cmp_gt_i32 s9, 1
	s_cbranch_scc0 .LBB19_6
; %bb.3:
	s_cmp_eq_u32 s9, 2
	s_cbranch_scc0 .LBB19_7
; %bb.4:
	s_waitcnt vmcnt(7)
	v_cmp_le_i16_sdwa s[0:1], sext(v9), s46 src0_sel:BYTE_0 src1_sel:DWORD
	s_mov_b64 s[4:5], 0
	s_branch .LBB19_8
.LBB19_5:
                                        ; implicit-def: $sgpr0_sgpr1
	s_mov_b64 s[4:5], 0
	s_cbranch_execnz .LBB19_11
	s_branch .LBB19_12
.LBB19_6:
	s_mov_b64 s[4:5], 0
                                        ; implicit-def: $sgpr0_sgpr1
	s_cbranch_execnz .LBB19_9
	s_branch .LBB19_10
.LBB19_7:
	s_mov_b64 s[4:5], -1
                                        ; implicit-def: $sgpr0_sgpr1
.LBB19_8:
	s_branch .LBB19_10
.LBB19_9:
	s_waitcnt vmcnt(7)
	v_cmp_gt_i16_sdwa s[6:7], sext(v9), s46 src0_sel:BYTE_0 src1_sel:DWORD
	s_andn2_b64 s[0:1], s[0:1], exec
	s_and_b64 s[6:7], s[6:7], exec
	s_or_b64 s[0:1], s[0:1], s[6:7]
.LBB19_10:
	s_branch .LBB19_12
.LBB19_11:
	s_cmp_lg_u32 s9, 0
	s_mov_b64 s[2:3], -1
	s_cselect_b64 s[4:5], -1, 0
.LBB19_12:
	s_andn2_b64 vcc, exec, s[4:5]
	s_cbranch_vccz .LBB19_18
; %bb.13:
	s_andn2_b64 vcc, exec, s[2:3]
	s_cbranch_vccz .LBB19_19
.LBB19_14:
	s_cmp_lt_i32 s9, 1
	s_mov_b64 s[4:5], 0
	s_cbranch_scc1 .LBB19_20
.LBB19_15:
	s_cmp_gt_i32 s9, 1
	s_cbranch_scc0 .LBB19_21
; %bb.16:
	s_cmp_eq_u32 s9, 2
	s_cbranch_scc0 .LBB19_251
; %bb.17:
	s_waitcnt vmcnt(7)
	v_cmp_le_i16_sdwa s[2:3], sext(v9), s46 src0_sel:BYTE_1 src1_sel:DWORD
	s_mov_b64 s[6:7], 0
	s_branch .LBB19_23
.LBB19_18:
	s_waitcnt vmcnt(7)
	v_cmp_lt_i16_sdwa s[4:5], sext(v9), s46 src0_sel:BYTE_0 src1_sel:DWORD
	s_andn2_b64 s[0:1], s[0:1], exec
	s_and_b64 s[4:5], s[4:5], exec
	s_or_b64 s[0:1], s[0:1], s[4:5]
	s_cbranch_execnz .LBB19_14
.LBB19_19:
	s_waitcnt vmcnt(7)
	v_cmp_ge_i16_sdwa s[2:3], sext(v9), s46 src0_sel:BYTE_0 src1_sel:DWORD
	s_andn2_b64 s[0:1], s[0:1], exec
	s_and_b64 s[2:3], s[2:3], exec
	s_or_b64 s[0:1], s[0:1], s[2:3]
	s_cmp_lt_i32 s9, 1
	s_mov_b64 s[4:5], 0
	s_cbranch_scc0 .LBB19_15
.LBB19_20:
                                        ; implicit-def: $sgpr2_sgpr3
	s_mov_b64 s[6:7], 0
	s_cbranch_execnz .LBB19_24
	s_branch .LBB19_25
.LBB19_21:
	s_mov_b64 s[6:7], 0
                                        ; implicit-def: $sgpr2_sgpr3
	s_cbranch_execz .LBB19_23
; %bb.22:
	s_waitcnt vmcnt(7)
	v_cmp_gt_i16_sdwa s[10:11], sext(v9), s46 src0_sel:BYTE_1 src1_sel:DWORD
	s_andn2_b64 s[2:3], s[2:3], exec
	s_and_b64 s[10:11], s[10:11], exec
	s_or_b64 s[2:3], s[2:3], s[10:11]
.LBB19_23:
	s_branch .LBB19_25
.LBB19_24:
	s_cmp_lg_u32 s9, 0
	s_mov_b64 s[4:5], -1
	s_cselect_b64 s[6:7], -1, 0
.LBB19_25:
	s_andn2_b64 vcc, exec, s[6:7]
	s_cbranch_vccz .LBB19_31
; %bb.26:
	s_andn2_b64 vcc, exec, s[4:5]
	s_cbranch_vccz .LBB19_32
.LBB19_27:
	s_cmp_lt_i32 s9, 1
	s_mov_b64 s[6:7], 0
	s_cbranch_scc1 .LBB19_33
.LBB19_28:
	s_cmp_gt_i32 s9, 1
	s_cbranch_scc0 .LBB19_34
; %bb.29:
	s_cmp_eq_u32 s9, 2
	s_cbranch_scc0 .LBB19_252
; %bb.30:
	s_waitcnt vmcnt(6)
	v_cmp_le_i16_sdwa s[4:5], sext(v8), s46 src0_sel:BYTE_0 src1_sel:DWORD
	s_mov_b64 s[10:11], 0
	s_branch .LBB19_36
.LBB19_31:
	s_waitcnt vmcnt(7)
	v_cmp_lt_i16_sdwa s[6:7], sext(v9), s46 src0_sel:BYTE_1 src1_sel:DWORD
	s_andn2_b64 s[2:3], s[2:3], exec
	s_and_b64 s[6:7], s[6:7], exec
	s_or_b64 s[2:3], s[2:3], s[6:7]
	s_cbranch_execnz .LBB19_27
.LBB19_32:
	s_waitcnt vmcnt(7)
	v_cmp_ge_i16_sdwa s[4:5], sext(v9), s46 src0_sel:BYTE_1 src1_sel:DWORD
	s_andn2_b64 s[2:3], s[2:3], exec
	s_and_b64 s[4:5], s[4:5], exec
	s_or_b64 s[2:3], s[2:3], s[4:5]
	s_cmp_lt_i32 s9, 1
	s_mov_b64 s[6:7], 0
	s_cbranch_scc0 .LBB19_28
.LBB19_33:
                                        ; implicit-def: $sgpr4_sgpr5
	s_mov_b64 s[10:11], 0
	s_cbranch_execnz .LBB19_37
	s_branch .LBB19_38
.LBB19_34:
	s_mov_b64 s[10:11], 0
                                        ; implicit-def: $sgpr4_sgpr5
	s_cbranch_execz .LBB19_36
; %bb.35:
	s_waitcnt vmcnt(6)
	v_cmp_gt_i16_sdwa s[16:17], sext(v8), s46 src0_sel:BYTE_0 src1_sel:DWORD
	s_andn2_b64 s[4:5], s[4:5], exec
	s_and_b64 s[16:17], s[16:17], exec
	s_or_b64 s[4:5], s[4:5], s[16:17]
.LBB19_36:
	s_branch .LBB19_38
.LBB19_37:
	s_cmp_lg_u32 s9, 0
	s_mov_b64 s[6:7], -1
	s_cselect_b64 s[10:11], -1, 0
.LBB19_38:
	s_andn2_b64 vcc, exec, s[10:11]
	s_cbranch_vccz .LBB19_44
; %bb.39:
	s_andn2_b64 vcc, exec, s[6:7]
	s_cbranch_vccz .LBB19_45
.LBB19_40:
	s_cmp_lt_i32 s9, 1
	s_mov_b64 s[10:11], 0
	s_cbranch_scc1 .LBB19_46
.LBB19_41:
	s_cmp_gt_i32 s9, 1
	s_cbranch_scc0 .LBB19_47
; %bb.42:
	s_cmp_eq_u32 s9, 2
	s_cbranch_scc0 .LBB19_253
; %bb.43:
	s_waitcnt vmcnt(6)
	v_cmp_le_i16_sdwa s[6:7], sext(v8), s46 src0_sel:BYTE_1 src1_sel:DWORD
	s_mov_b64 s[16:17], 0
	s_branch .LBB19_49
.LBB19_44:
	s_waitcnt vmcnt(6)
	v_cmp_lt_i16_sdwa s[10:11], sext(v8), s46 src0_sel:BYTE_0 src1_sel:DWORD
	s_andn2_b64 s[4:5], s[4:5], exec
	s_and_b64 s[10:11], s[10:11], exec
	s_or_b64 s[4:5], s[4:5], s[10:11]
	s_cbranch_execnz .LBB19_40
.LBB19_45:
	s_waitcnt vmcnt(6)
	v_cmp_ge_i16_sdwa s[6:7], sext(v8), s46 src0_sel:BYTE_0 src1_sel:DWORD
	s_andn2_b64 s[4:5], s[4:5], exec
	s_and_b64 s[6:7], s[6:7], exec
	s_or_b64 s[4:5], s[4:5], s[6:7]
	s_cmp_lt_i32 s9, 1
	s_mov_b64 s[10:11], 0
	s_cbranch_scc0 .LBB19_41
.LBB19_46:
                                        ; implicit-def: $sgpr6_sgpr7
	s_mov_b64 s[16:17], 0
	s_cbranch_execnz .LBB19_50
	s_branch .LBB19_51
.LBB19_47:
	s_mov_b64 s[16:17], 0
                                        ; implicit-def: $sgpr6_sgpr7
	s_cbranch_execz .LBB19_49
; %bb.48:
	s_waitcnt vmcnt(6)
	v_cmp_gt_i16_sdwa s[18:19], sext(v8), s46 src0_sel:BYTE_1 src1_sel:DWORD
	s_andn2_b64 s[6:7], s[6:7], exec
	s_and_b64 s[18:19], s[18:19], exec
	s_or_b64 s[6:7], s[6:7], s[18:19]
.LBB19_49:
	s_branch .LBB19_51
.LBB19_50:
	s_cmp_lg_u32 s9, 0
	s_mov_b64 s[10:11], -1
	s_cselect_b64 s[16:17], -1, 0
.LBB19_51:
	s_andn2_b64 vcc, exec, s[16:17]
	s_cbranch_vccz .LBB19_57
; %bb.52:
	s_andn2_b64 vcc, exec, s[10:11]
	s_cbranch_vccz .LBB19_58
.LBB19_53:
	s_cmp_lt_i32 s9, 1
	s_mov_b64 s[16:17], 0
	s_cbranch_scc1 .LBB19_59
.LBB19_54:
	s_cmp_gt_i32 s9, 1
	s_cbranch_scc0 .LBB19_60
; %bb.55:
	s_cmp_eq_u32 s9, 2
	s_cbranch_scc0 .LBB19_254
; %bb.56:
	s_waitcnt vmcnt(5)
	v_cmp_le_i16_sdwa s[10:11], sext(v7), s46 src0_sel:BYTE_0 src1_sel:DWORD
	s_mov_b64 s[18:19], 0
	s_branch .LBB19_62
.LBB19_57:
	s_waitcnt vmcnt(6)
	v_cmp_lt_i16_sdwa s[16:17], sext(v8), s46 src0_sel:BYTE_1 src1_sel:DWORD
	s_andn2_b64 s[6:7], s[6:7], exec
	s_and_b64 s[16:17], s[16:17], exec
	s_or_b64 s[6:7], s[6:7], s[16:17]
	s_cbranch_execnz .LBB19_53
.LBB19_58:
	s_waitcnt vmcnt(6)
	v_cmp_ge_i16_sdwa s[10:11], sext(v8), s46 src0_sel:BYTE_1 src1_sel:DWORD
	s_andn2_b64 s[6:7], s[6:7], exec
	s_and_b64 s[10:11], s[10:11], exec
	s_or_b64 s[6:7], s[6:7], s[10:11]
	s_cmp_lt_i32 s9, 1
	s_mov_b64 s[16:17], 0
	s_cbranch_scc0 .LBB19_54
.LBB19_59:
                                        ; implicit-def: $sgpr10_sgpr11
	s_mov_b64 s[18:19], 0
	s_cbranch_execnz .LBB19_63
	s_branch .LBB19_64
.LBB19_60:
	s_mov_b64 s[18:19], 0
                                        ; implicit-def: $sgpr10_sgpr11
	s_cbranch_execz .LBB19_62
; %bb.61:
	s_waitcnt vmcnt(5)
	v_cmp_gt_i16_sdwa s[20:21], sext(v7), s46 src0_sel:BYTE_0 src1_sel:DWORD
	s_andn2_b64 s[10:11], s[10:11], exec
	s_and_b64 s[20:21], s[20:21], exec
	s_or_b64 s[10:11], s[10:11], s[20:21]
.LBB19_62:
	s_branch .LBB19_64
.LBB19_63:
	s_cmp_lg_u32 s9, 0
	s_mov_b64 s[16:17], -1
	s_cselect_b64 s[18:19], -1, 0
.LBB19_64:
	s_andn2_b64 vcc, exec, s[18:19]
	s_cbranch_vccz .LBB19_70
; %bb.65:
	s_andn2_b64 vcc, exec, s[16:17]
	s_cbranch_vccz .LBB19_71
.LBB19_66:
	s_cmp_lt_i32 s9, 1
	s_mov_b64 s[18:19], 0
	s_cbranch_scc1 .LBB19_72
.LBB19_67:
	s_cmp_gt_i32 s9, 1
	s_cbranch_scc0 .LBB19_73
; %bb.68:
	s_cmp_eq_u32 s9, 2
	s_cbranch_scc0 .LBB19_255
; %bb.69:
	s_waitcnt vmcnt(5)
	v_cmp_le_i16_sdwa s[16:17], sext(v7), s46 src0_sel:BYTE_1 src1_sel:DWORD
	s_mov_b64 s[20:21], 0
	s_branch .LBB19_75
.LBB19_70:
	s_waitcnt vmcnt(5)
	v_cmp_lt_i16_sdwa s[18:19], sext(v7), s46 src0_sel:BYTE_0 src1_sel:DWORD
	s_andn2_b64 s[10:11], s[10:11], exec
	s_and_b64 s[18:19], s[18:19], exec
	s_or_b64 s[10:11], s[10:11], s[18:19]
	s_cbranch_execnz .LBB19_66
.LBB19_71:
	s_waitcnt vmcnt(5)
	v_cmp_ge_i16_sdwa s[16:17], sext(v7), s46 src0_sel:BYTE_0 src1_sel:DWORD
	s_andn2_b64 s[10:11], s[10:11], exec
	s_and_b64 s[16:17], s[16:17], exec
	s_or_b64 s[10:11], s[10:11], s[16:17]
	s_cmp_lt_i32 s9, 1
	s_mov_b64 s[18:19], 0
	s_cbranch_scc0 .LBB19_67
.LBB19_72:
                                        ; implicit-def: $sgpr16_sgpr17
	s_mov_b64 s[20:21], 0
	s_cbranch_execnz .LBB19_76
	s_branch .LBB19_77
.LBB19_73:
	s_mov_b64 s[20:21], 0
                                        ; implicit-def: $sgpr16_sgpr17
	s_cbranch_execz .LBB19_75
; %bb.74:
	s_waitcnt vmcnt(5)
	v_cmp_gt_i16_sdwa s[22:23], sext(v7), s46 src0_sel:BYTE_1 src1_sel:DWORD
	s_andn2_b64 s[16:17], s[16:17], exec
	s_and_b64 s[22:23], s[22:23], exec
	s_or_b64 s[16:17], s[16:17], s[22:23]
.LBB19_75:
	s_branch .LBB19_77
.LBB19_76:
	s_cmp_lg_u32 s9, 0
	s_mov_b64 s[18:19], -1
	s_cselect_b64 s[20:21], -1, 0
.LBB19_77:
	s_andn2_b64 vcc, exec, s[20:21]
	s_cbranch_vccz .LBB19_83
; %bb.78:
	s_andn2_b64 vcc, exec, s[18:19]
	s_cbranch_vccz .LBB19_84
.LBB19_79:
	s_cmp_lt_i32 s9, 1
	s_mov_b64 s[20:21], 0
	s_cbranch_scc1 .LBB19_85
.LBB19_80:
	s_cmp_gt_i32 s9, 1
	s_cbranch_scc0 .LBB19_86
; %bb.81:
	s_cmp_eq_u32 s9, 2
	s_cbranch_scc0 .LBB19_256
; %bb.82:
	s_waitcnt vmcnt(4)
	v_cmp_le_i16_sdwa s[18:19], sext(v6), s46 src0_sel:BYTE_0 src1_sel:DWORD
	s_mov_b64 s[22:23], 0
	s_branch .LBB19_88
.LBB19_83:
	s_waitcnt vmcnt(5)
	v_cmp_lt_i16_sdwa s[20:21], sext(v7), s46 src0_sel:BYTE_1 src1_sel:DWORD
	s_andn2_b64 s[16:17], s[16:17], exec
	s_and_b64 s[20:21], s[20:21], exec
	s_or_b64 s[16:17], s[16:17], s[20:21]
	s_cbranch_execnz .LBB19_79
.LBB19_84:
	s_waitcnt vmcnt(5)
	v_cmp_ge_i16_sdwa s[18:19], sext(v7), s46 src0_sel:BYTE_1 src1_sel:DWORD
	s_andn2_b64 s[16:17], s[16:17], exec
	s_and_b64 s[18:19], s[18:19], exec
	s_or_b64 s[16:17], s[16:17], s[18:19]
	s_cmp_lt_i32 s9, 1
	s_mov_b64 s[20:21], 0
	s_cbranch_scc0 .LBB19_80
.LBB19_85:
                                        ; implicit-def: $sgpr18_sgpr19
	s_mov_b64 s[22:23], 0
	s_cbranch_execnz .LBB19_89
	s_branch .LBB19_90
.LBB19_86:
	s_mov_b64 s[22:23], 0
                                        ; implicit-def: $sgpr18_sgpr19
	s_cbranch_execz .LBB19_88
; %bb.87:
	s_waitcnt vmcnt(4)
	v_cmp_gt_i16_sdwa s[24:25], sext(v6), s46 src0_sel:BYTE_0 src1_sel:DWORD
	s_andn2_b64 s[18:19], s[18:19], exec
	s_and_b64 s[24:25], s[24:25], exec
	s_or_b64 s[18:19], s[18:19], s[24:25]
.LBB19_88:
	s_branch .LBB19_90
.LBB19_89:
	s_cmp_lg_u32 s9, 0
	s_mov_b64 s[20:21], -1
	s_cselect_b64 s[22:23], -1, 0
.LBB19_90:
	s_andn2_b64 vcc, exec, s[22:23]
	s_cbranch_vccz .LBB19_96
; %bb.91:
	s_andn2_b64 vcc, exec, s[20:21]
	s_cbranch_vccz .LBB19_97
.LBB19_92:
	s_cmp_lt_i32 s9, 1
	s_mov_b64 s[22:23], 0
	s_cbranch_scc1 .LBB19_98
.LBB19_93:
	s_cmp_gt_i32 s9, 1
	s_cbranch_scc0 .LBB19_99
; %bb.94:
	s_cmp_eq_u32 s9, 2
	s_cbranch_scc0 .LBB19_257
; %bb.95:
	s_waitcnt vmcnt(4)
	v_cmp_le_i16_sdwa s[20:21], sext(v6), s46 src0_sel:BYTE_1 src1_sel:DWORD
	s_mov_b64 s[24:25], 0
	s_branch .LBB19_101
.LBB19_96:
	s_waitcnt vmcnt(4)
	v_cmp_lt_i16_sdwa s[22:23], sext(v6), s46 src0_sel:BYTE_0 src1_sel:DWORD
	s_andn2_b64 s[18:19], s[18:19], exec
	s_and_b64 s[22:23], s[22:23], exec
	s_or_b64 s[18:19], s[18:19], s[22:23]
	s_cbranch_execnz .LBB19_92
.LBB19_97:
	s_waitcnt vmcnt(4)
	v_cmp_ge_i16_sdwa s[20:21], sext(v6), s46 src0_sel:BYTE_0 src1_sel:DWORD
	s_andn2_b64 s[18:19], s[18:19], exec
	s_and_b64 s[20:21], s[20:21], exec
	s_or_b64 s[18:19], s[18:19], s[20:21]
	s_cmp_lt_i32 s9, 1
	s_mov_b64 s[22:23], 0
	s_cbranch_scc0 .LBB19_93
.LBB19_98:
                                        ; implicit-def: $sgpr20_sgpr21
	s_mov_b64 s[24:25], 0
	s_cbranch_execnz .LBB19_102
	s_branch .LBB19_103
.LBB19_99:
	s_mov_b64 s[24:25], 0
                                        ; implicit-def: $sgpr20_sgpr21
	s_cbranch_execz .LBB19_101
; %bb.100:
	s_waitcnt vmcnt(4)
	v_cmp_gt_i16_sdwa s[26:27], sext(v6), s46 src0_sel:BYTE_1 src1_sel:DWORD
	s_andn2_b64 s[20:21], s[20:21], exec
	s_and_b64 s[26:27], s[26:27], exec
	s_or_b64 s[20:21], s[20:21], s[26:27]
.LBB19_101:
	s_branch .LBB19_103
.LBB19_102:
	s_cmp_lg_u32 s9, 0
	s_mov_b64 s[22:23], -1
	s_cselect_b64 s[24:25], -1, 0
.LBB19_103:
	s_andn2_b64 vcc, exec, s[24:25]
	s_cbranch_vccz .LBB19_109
; %bb.104:
	s_andn2_b64 vcc, exec, s[22:23]
	s_cbranch_vccz .LBB19_110
.LBB19_105:
	s_cmp_lt_i32 s9, 1
	s_mov_b64 s[24:25], 0
	s_cbranch_scc1 .LBB19_111
.LBB19_106:
	s_cmp_gt_i32 s9, 1
	s_cbranch_scc0 .LBB19_112
; %bb.107:
	s_cmp_eq_u32 s9, 2
	s_cbranch_scc0 .LBB19_258
; %bb.108:
	s_waitcnt vmcnt(3)
	v_cmp_le_i16_sdwa s[22:23], sext(v5), s46 src0_sel:BYTE_0 src1_sel:DWORD
	s_mov_b64 s[26:27], 0
	s_branch .LBB19_114
.LBB19_109:
	s_waitcnt vmcnt(4)
	v_cmp_lt_i16_sdwa s[24:25], sext(v6), s46 src0_sel:BYTE_1 src1_sel:DWORD
	s_andn2_b64 s[20:21], s[20:21], exec
	s_and_b64 s[24:25], s[24:25], exec
	s_or_b64 s[20:21], s[20:21], s[24:25]
	s_cbranch_execnz .LBB19_105
.LBB19_110:
	s_waitcnt vmcnt(4)
	v_cmp_ge_i16_sdwa s[22:23], sext(v6), s46 src0_sel:BYTE_1 src1_sel:DWORD
	s_andn2_b64 s[20:21], s[20:21], exec
	s_and_b64 s[22:23], s[22:23], exec
	s_or_b64 s[20:21], s[20:21], s[22:23]
	s_cmp_lt_i32 s9, 1
	s_mov_b64 s[24:25], 0
	s_cbranch_scc0 .LBB19_106
.LBB19_111:
                                        ; implicit-def: $sgpr22_sgpr23
	s_mov_b64 s[26:27], 0
	s_cbranch_execnz .LBB19_115
	s_branch .LBB19_116
.LBB19_112:
	s_mov_b64 s[26:27], 0
                                        ; implicit-def: $sgpr22_sgpr23
	s_cbranch_execz .LBB19_114
; %bb.113:
	s_waitcnt vmcnt(3)
	v_cmp_gt_i16_sdwa s[28:29], sext(v5), s46 src0_sel:BYTE_0 src1_sel:DWORD
	s_andn2_b64 s[22:23], s[22:23], exec
	s_and_b64 s[28:29], s[28:29], exec
	s_or_b64 s[22:23], s[22:23], s[28:29]
.LBB19_114:
	s_branch .LBB19_116
.LBB19_115:
	s_cmp_lg_u32 s9, 0
	s_mov_b64 s[24:25], -1
	s_cselect_b64 s[26:27], -1, 0
.LBB19_116:
	s_andn2_b64 vcc, exec, s[26:27]
	s_cbranch_vccz .LBB19_122
; %bb.117:
	s_andn2_b64 vcc, exec, s[24:25]
	s_cbranch_vccz .LBB19_123
.LBB19_118:
	s_cmp_lt_i32 s9, 1
	s_mov_b64 s[26:27], 0
	s_cbranch_scc1 .LBB19_124
.LBB19_119:
	s_cmp_gt_i32 s9, 1
	s_cbranch_scc0 .LBB19_125
; %bb.120:
	s_cmp_eq_u32 s9, 2
	s_cbranch_scc0 .LBB19_259
; %bb.121:
	s_waitcnt vmcnt(3)
	v_cmp_le_i16_sdwa s[24:25], sext(v5), s46 src0_sel:BYTE_1 src1_sel:DWORD
	s_mov_b64 s[28:29], 0
	s_branch .LBB19_127
.LBB19_122:
	s_waitcnt vmcnt(3)
	v_cmp_lt_i16_sdwa s[26:27], sext(v5), s46 src0_sel:BYTE_0 src1_sel:DWORD
	s_andn2_b64 s[22:23], s[22:23], exec
	s_and_b64 s[26:27], s[26:27], exec
	s_or_b64 s[22:23], s[22:23], s[26:27]
	s_cbranch_execnz .LBB19_118
.LBB19_123:
	s_waitcnt vmcnt(3)
	v_cmp_ge_i16_sdwa s[24:25], sext(v5), s46 src0_sel:BYTE_0 src1_sel:DWORD
	s_andn2_b64 s[22:23], s[22:23], exec
	s_and_b64 s[24:25], s[24:25], exec
	s_or_b64 s[22:23], s[22:23], s[24:25]
	s_cmp_lt_i32 s9, 1
	s_mov_b64 s[26:27], 0
	s_cbranch_scc0 .LBB19_119
.LBB19_124:
                                        ; implicit-def: $sgpr24_sgpr25
	s_mov_b64 s[28:29], 0
	s_cbranch_execnz .LBB19_128
	s_branch .LBB19_129
.LBB19_125:
	s_mov_b64 s[28:29], 0
                                        ; implicit-def: $sgpr24_sgpr25
	s_cbranch_execz .LBB19_127
; %bb.126:
	s_waitcnt vmcnt(3)
	v_cmp_gt_i16_sdwa s[30:31], sext(v5), s46 src0_sel:BYTE_1 src1_sel:DWORD
	s_andn2_b64 s[24:25], s[24:25], exec
	s_and_b64 s[30:31], s[30:31], exec
	s_or_b64 s[24:25], s[24:25], s[30:31]
.LBB19_127:
	s_branch .LBB19_129
.LBB19_128:
	s_cmp_lg_u32 s9, 0
	s_mov_b64 s[26:27], -1
	s_cselect_b64 s[28:29], -1, 0
.LBB19_129:
	s_andn2_b64 vcc, exec, s[28:29]
	s_cbranch_vccz .LBB19_135
; %bb.130:
	s_andn2_b64 vcc, exec, s[26:27]
	s_cbranch_vccz .LBB19_136
.LBB19_131:
	s_cmp_lt_i32 s9, 1
	s_mov_b64 s[28:29], 0
	s_cbranch_scc1 .LBB19_137
.LBB19_132:
	s_cmp_gt_i32 s9, 1
	s_cbranch_scc0 .LBB19_138
; %bb.133:
	s_cmp_eq_u32 s9, 2
	s_cbranch_scc0 .LBB19_260
; %bb.134:
	s_waitcnt vmcnt(2)
	v_cmp_le_i16_sdwa s[26:27], sext(v4), s46 src0_sel:BYTE_0 src1_sel:DWORD
	s_mov_b64 s[30:31], 0
	s_branch .LBB19_140
.LBB19_135:
	s_waitcnt vmcnt(3)
	v_cmp_lt_i16_sdwa s[28:29], sext(v5), s46 src0_sel:BYTE_1 src1_sel:DWORD
	s_andn2_b64 s[24:25], s[24:25], exec
	s_and_b64 s[28:29], s[28:29], exec
	s_or_b64 s[24:25], s[24:25], s[28:29]
	s_cbranch_execnz .LBB19_131
.LBB19_136:
	s_waitcnt vmcnt(3)
	v_cmp_ge_i16_sdwa s[26:27], sext(v5), s46 src0_sel:BYTE_1 src1_sel:DWORD
	s_andn2_b64 s[24:25], s[24:25], exec
	s_and_b64 s[26:27], s[26:27], exec
	s_or_b64 s[24:25], s[24:25], s[26:27]
	s_cmp_lt_i32 s9, 1
	s_mov_b64 s[28:29], 0
	s_cbranch_scc0 .LBB19_132
.LBB19_137:
                                        ; implicit-def: $sgpr26_sgpr27
	s_mov_b64 s[30:31], 0
	s_cbranch_execnz .LBB19_141
	s_branch .LBB19_142
.LBB19_138:
	s_mov_b64 s[30:31], 0
                                        ; implicit-def: $sgpr26_sgpr27
	s_cbranch_execz .LBB19_140
; %bb.139:
	s_waitcnt vmcnt(2)
	v_cmp_gt_i16_sdwa s[34:35], sext(v4), s46 src0_sel:BYTE_0 src1_sel:DWORD
	s_andn2_b64 s[26:27], s[26:27], exec
	s_and_b64 s[34:35], s[34:35], exec
	s_or_b64 s[26:27], s[26:27], s[34:35]
.LBB19_140:
	s_branch .LBB19_142
.LBB19_141:
	s_cmp_lg_u32 s9, 0
	s_mov_b64 s[28:29], -1
	s_cselect_b64 s[30:31], -1, 0
.LBB19_142:
	s_andn2_b64 vcc, exec, s[30:31]
	s_cbranch_vccz .LBB19_148
; %bb.143:
	s_andn2_b64 vcc, exec, s[28:29]
	s_cbranch_vccz .LBB19_149
.LBB19_144:
	s_cmp_lt_i32 s9, 1
	s_mov_b64 s[30:31], 0
	s_cbranch_scc1 .LBB19_150
.LBB19_145:
	s_cmp_gt_i32 s9, 1
	s_cbranch_scc0 .LBB19_151
; %bb.146:
	s_cmp_eq_u32 s9, 2
	s_cbranch_scc0 .LBB19_261
; %bb.147:
	s_waitcnt vmcnt(2)
	v_cmp_le_i16_sdwa s[28:29], sext(v4), s46 src0_sel:BYTE_1 src1_sel:DWORD
	s_mov_b64 s[34:35], 0
	s_branch .LBB19_153
.LBB19_148:
	s_waitcnt vmcnt(2)
	v_cmp_lt_i16_sdwa s[30:31], sext(v4), s46 src0_sel:BYTE_0 src1_sel:DWORD
	s_andn2_b64 s[26:27], s[26:27], exec
	s_and_b64 s[30:31], s[30:31], exec
	s_or_b64 s[26:27], s[26:27], s[30:31]
	s_cbranch_execnz .LBB19_144
.LBB19_149:
	s_waitcnt vmcnt(2)
	v_cmp_ge_i16_sdwa s[28:29], sext(v4), s46 src0_sel:BYTE_0 src1_sel:DWORD
	s_andn2_b64 s[26:27], s[26:27], exec
	s_and_b64 s[28:29], s[28:29], exec
	s_or_b64 s[26:27], s[26:27], s[28:29]
	s_cmp_lt_i32 s9, 1
	s_mov_b64 s[30:31], 0
	s_cbranch_scc0 .LBB19_145
.LBB19_150:
                                        ; implicit-def: $sgpr28_sgpr29
	s_mov_b64 s[34:35], 0
	s_cbranch_execnz .LBB19_154
	s_branch .LBB19_155
.LBB19_151:
	s_mov_b64 s[34:35], 0
                                        ; implicit-def: $sgpr28_sgpr29
	s_cbranch_execz .LBB19_153
; %bb.152:
	s_waitcnt vmcnt(2)
	v_cmp_gt_i16_sdwa s[36:37], sext(v4), s46 src0_sel:BYTE_1 src1_sel:DWORD
	s_andn2_b64 s[28:29], s[28:29], exec
	s_and_b64 s[36:37], s[36:37], exec
	s_or_b64 s[28:29], s[28:29], s[36:37]
.LBB19_153:
	s_branch .LBB19_155
.LBB19_154:
	s_cmp_lg_u32 s9, 0
	s_mov_b64 s[30:31], -1
	s_cselect_b64 s[34:35], -1, 0
.LBB19_155:
	s_andn2_b64 vcc, exec, s[34:35]
	s_cbranch_vccz .LBB19_161
; %bb.156:
	s_andn2_b64 vcc, exec, s[30:31]
	s_cbranch_vccz .LBB19_162
.LBB19_157:
	s_cmp_lt_i32 s9, 1
	s_mov_b64 s[34:35], 0
	s_cbranch_scc1 .LBB19_163
.LBB19_158:
	s_cmp_gt_i32 s9, 1
	s_cbranch_scc0 .LBB19_164
; %bb.159:
	s_cmp_eq_u32 s9, 2
	s_cbranch_scc0 .LBB19_262
; %bb.160:
	s_waitcnt vmcnt(1)
	v_cmp_le_i16_sdwa s[30:31], sext(v3), s46 src0_sel:BYTE_0 src1_sel:DWORD
	s_mov_b64 s[36:37], 0
	s_branch .LBB19_166
.LBB19_161:
	s_waitcnt vmcnt(2)
	v_cmp_lt_i16_sdwa s[34:35], sext(v4), s46 src0_sel:BYTE_1 src1_sel:DWORD
	s_andn2_b64 s[28:29], s[28:29], exec
	s_and_b64 s[34:35], s[34:35], exec
	s_or_b64 s[28:29], s[28:29], s[34:35]
	s_cbranch_execnz .LBB19_157
.LBB19_162:
	s_waitcnt vmcnt(2)
	v_cmp_ge_i16_sdwa s[30:31], sext(v4), s46 src0_sel:BYTE_1 src1_sel:DWORD
	s_andn2_b64 s[28:29], s[28:29], exec
	s_and_b64 s[30:31], s[30:31], exec
	s_or_b64 s[28:29], s[28:29], s[30:31]
	s_cmp_lt_i32 s9, 1
	s_mov_b64 s[34:35], 0
	s_cbranch_scc0 .LBB19_158
.LBB19_163:
                                        ; implicit-def: $sgpr30_sgpr31
	s_mov_b64 s[36:37], 0
	s_cbranch_execnz .LBB19_167
	s_branch .LBB19_168
.LBB19_164:
	s_mov_b64 s[36:37], 0
                                        ; implicit-def: $sgpr30_sgpr31
	s_cbranch_execz .LBB19_166
; %bb.165:
	s_waitcnt vmcnt(1)
	v_cmp_gt_i16_sdwa s[38:39], sext(v3), s46 src0_sel:BYTE_0 src1_sel:DWORD
	s_andn2_b64 s[30:31], s[30:31], exec
	s_and_b64 s[38:39], s[38:39], exec
	s_or_b64 s[30:31], s[30:31], s[38:39]
.LBB19_166:
	s_branch .LBB19_168
.LBB19_167:
	s_cmp_lg_u32 s9, 0
	s_mov_b64 s[34:35], -1
	s_cselect_b64 s[36:37], -1, 0
.LBB19_168:
	s_andn2_b64 vcc, exec, s[36:37]
	s_cbranch_vccz .LBB19_174
; %bb.169:
	s_andn2_b64 vcc, exec, s[34:35]
	s_cbranch_vccz .LBB19_175
.LBB19_170:
	s_cmp_lt_i32 s9, 1
	s_mov_b64 s[36:37], 0
	s_cbranch_scc1 .LBB19_176
.LBB19_171:
	s_cmp_gt_i32 s9, 1
	s_cbranch_scc0 .LBB19_177
; %bb.172:
	s_cmp_eq_u32 s9, 2
	s_cbranch_scc0 .LBB19_263
; %bb.173:
	s_waitcnt vmcnt(1)
	v_cmp_le_i16_sdwa s[34:35], sext(v3), s46 src0_sel:BYTE_1 src1_sel:DWORD
	s_mov_b64 s[38:39], 0
	s_branch .LBB19_179
.LBB19_174:
	s_waitcnt vmcnt(1)
	v_cmp_lt_i16_sdwa s[36:37], sext(v3), s46 src0_sel:BYTE_0 src1_sel:DWORD
	s_andn2_b64 s[30:31], s[30:31], exec
	s_and_b64 s[36:37], s[36:37], exec
	s_or_b64 s[30:31], s[30:31], s[36:37]
	s_cbranch_execnz .LBB19_170
.LBB19_175:
	s_waitcnt vmcnt(1)
	v_cmp_ge_i16_sdwa s[34:35], sext(v3), s46 src0_sel:BYTE_0 src1_sel:DWORD
	s_andn2_b64 s[30:31], s[30:31], exec
	s_and_b64 s[34:35], s[34:35], exec
	s_or_b64 s[30:31], s[30:31], s[34:35]
	s_cmp_lt_i32 s9, 1
	s_mov_b64 s[36:37], 0
	s_cbranch_scc0 .LBB19_171
.LBB19_176:
                                        ; implicit-def: $sgpr34_sgpr35
	s_mov_b64 s[38:39], 0
	s_cbranch_execnz .LBB19_180
	s_branch .LBB19_181
.LBB19_177:
	s_mov_b64 s[38:39], 0
                                        ; implicit-def: $sgpr34_sgpr35
	s_cbranch_execz .LBB19_179
; %bb.178:
	s_waitcnt vmcnt(1)
	v_cmp_gt_i16_sdwa s[40:41], sext(v3), s46 src0_sel:BYTE_1 src1_sel:DWORD
	s_andn2_b64 s[34:35], s[34:35], exec
	s_and_b64 s[40:41], s[40:41], exec
	s_or_b64 s[34:35], s[34:35], s[40:41]
.LBB19_179:
	s_branch .LBB19_181
.LBB19_180:
	s_cmp_lg_u32 s9, 0
	s_mov_b64 s[36:37], -1
	s_cselect_b64 s[38:39], -1, 0
.LBB19_181:
	s_andn2_b64 vcc, exec, s[38:39]
	s_cbranch_vccz .LBB19_187
; %bb.182:
	s_andn2_b64 vcc, exec, s[36:37]
	s_cbranch_vccz .LBB19_188
.LBB19_183:
	s_cmp_lt_i32 s9, 1
	s_mov_b64 s[38:39], 0
	s_cbranch_scc1 .LBB19_189
.LBB19_184:
	s_cmp_gt_i32 s9, 1
	s_cbranch_scc0 .LBB19_190
; %bb.185:
	s_cmp_eq_u32 s9, 2
	s_cbranch_scc0 .LBB19_264
; %bb.186:
	s_waitcnt vmcnt(0)
	v_cmp_le_i16_sdwa s[36:37], sext(v2), s46 src0_sel:BYTE_0 src1_sel:DWORD
	s_mov_b64 s[40:41], 0
	s_branch .LBB19_192
.LBB19_187:
	s_waitcnt vmcnt(1)
	v_cmp_lt_i16_sdwa s[38:39], sext(v3), s46 src0_sel:BYTE_1 src1_sel:DWORD
	s_andn2_b64 s[34:35], s[34:35], exec
	s_and_b64 s[38:39], s[38:39], exec
	s_or_b64 s[34:35], s[34:35], s[38:39]
	s_cbranch_execnz .LBB19_183
.LBB19_188:
	s_waitcnt vmcnt(1)
	v_cmp_ge_i16_sdwa s[36:37], sext(v3), s46 src0_sel:BYTE_1 src1_sel:DWORD
	s_andn2_b64 s[34:35], s[34:35], exec
	s_and_b64 s[36:37], s[36:37], exec
	s_or_b64 s[34:35], s[34:35], s[36:37]
	s_cmp_lt_i32 s9, 1
	s_mov_b64 s[38:39], 0
	s_cbranch_scc0 .LBB19_184
.LBB19_189:
                                        ; implicit-def: $sgpr36_sgpr37
	s_mov_b64 s[40:41], 0
	s_cbranch_execnz .LBB19_193
	s_branch .LBB19_194
.LBB19_190:
	s_mov_b64 s[40:41], 0
                                        ; implicit-def: $sgpr36_sgpr37
	s_cbranch_execz .LBB19_192
; %bb.191:
	s_waitcnt vmcnt(0)
	v_cmp_gt_i16_sdwa s[42:43], sext(v2), s46 src0_sel:BYTE_0 src1_sel:DWORD
	s_andn2_b64 s[36:37], s[36:37], exec
	s_and_b64 s[42:43], s[42:43], exec
	s_or_b64 s[36:37], s[36:37], s[42:43]
.LBB19_192:
	s_branch .LBB19_194
.LBB19_193:
	s_cmp_lg_u32 s9, 0
	s_mov_b64 s[38:39], -1
	s_cselect_b64 s[40:41], -1, 0
.LBB19_194:
	s_andn2_b64 vcc, exec, s[40:41]
	s_cbranch_vccz .LBB19_200
; %bb.195:
	s_andn2_b64 vcc, exec, s[38:39]
	s_cbranch_vccz .LBB19_201
.LBB19_196:
	s_cmp_lt_i32 s9, 1
	s_mov_b64 s[40:41], 0
	s_cbranch_scc1 .LBB19_202
.LBB19_197:
	s_cmp_gt_i32 s9, 1
	s_cbranch_scc0 .LBB19_203
; %bb.198:
	s_cmp_eq_u32 s9, 2
	s_cbranch_scc0 .LBB19_265
; %bb.199:
	s_waitcnt vmcnt(0)
	v_cmp_le_i16_sdwa s[38:39], sext(v2), s46 src0_sel:BYTE_1 src1_sel:DWORD
	s_mov_b64 s[42:43], 0
	s_branch .LBB19_205
.LBB19_200:
	s_waitcnt vmcnt(0)
	v_cmp_lt_i16_sdwa s[40:41], sext(v2), s46 src0_sel:BYTE_0 src1_sel:DWORD
	s_andn2_b64 s[36:37], s[36:37], exec
	s_and_b64 s[40:41], s[40:41], exec
	s_or_b64 s[36:37], s[36:37], s[40:41]
	s_cbranch_execnz .LBB19_196
.LBB19_201:
	s_waitcnt vmcnt(0)
	v_cmp_ge_i16_sdwa s[38:39], sext(v2), s46 src0_sel:BYTE_0 src1_sel:DWORD
	s_andn2_b64 s[36:37], s[36:37], exec
	s_and_b64 s[38:39], s[38:39], exec
	s_or_b64 s[36:37], s[36:37], s[38:39]
	s_cmp_lt_i32 s9, 1
	s_mov_b64 s[40:41], 0
	s_cbranch_scc0 .LBB19_197
.LBB19_202:
                                        ; implicit-def: $sgpr38_sgpr39
	s_mov_b64 s[42:43], 0
	s_cbranch_execnz .LBB19_206
	s_branch .LBB19_207
.LBB19_203:
	s_mov_b64 s[42:43], 0
                                        ; implicit-def: $sgpr38_sgpr39
	s_cbranch_execz .LBB19_205
; %bb.204:
	s_waitcnt vmcnt(0)
	v_cmp_gt_i16_sdwa s[44:45], sext(v2), s46 src0_sel:BYTE_1 src1_sel:DWORD
	s_andn2_b64 s[38:39], s[38:39], exec
	s_and_b64 s[44:45], s[44:45], exec
	s_or_b64 s[38:39], s[38:39], s[44:45]
.LBB19_205:
	s_branch .LBB19_207
.LBB19_206:
	s_cmp_lg_u32 s9, 0
	s_mov_b64 s[40:41], -1
	s_cselect_b64 s[42:43], -1, 0
.LBB19_207:
	s_andn2_b64 vcc, exec, s[42:43]
	s_cbranch_vccz .LBB19_249
; %bb.208:
	s_andn2_b64 vcc, exec, s[40:41]
	s_cbranch_vccnz .LBB19_210
.LBB19_209:
	s_waitcnt vmcnt(0)
	v_cmp_ge_i16_sdwa s[40:41], sext(v2), s46 src0_sel:BYTE_1 src1_sel:DWORD
	s_andn2_b64 s[38:39], s[38:39], exec
	s_and_b64 s[40:41], s[40:41], exec
	s_or_b64 s[38:39], s[38:39], s[40:41]
.LBB19_210:
	s_waitcnt vmcnt(0)
	v_cndmask_b32_e64 v2, 0, 1, s[6:7]
	v_lshlrev_b16_e32 v2, 8, v2
	v_cndmask_b32_e64 v3, 0, 1, s[4:5]
	v_or_b32_e32 v2, v3, v2
	v_cndmask_b32_e64 v3, 0, 1, s[2:3]
	v_lshlrev_b16_e32 v3, 8, v3
	v_cndmask_b32_e64 v4, 0, 1, s[0:1]
	v_or_b32_e32 v3, v4, v3
	;; [unrolled: 4-line block ×7, first 2 shown]
	v_cndmask_b32_e64 v9, 0, 1, s[34:35]
	s_add_u32 s0, s12, s33
	v_lshlrev_b16_e32 v9, 8, v9
	v_cndmask_b32_e64 v10, 0, 1, s[30:31]
	s_addc_u32 s1, s13, s47
	v_or_b32_e32 v9, v10, v9
	global_store_short v1, v3, s[0:1]
	global_store_short v1, v2, s[0:1] offset:512
	global_store_short v1, v5, s[0:1] offset:1024
	;; [unrolled: 1-line block ×7, first 2 shown]
	s_mov_b64 s[0:1], 0
.LBB19_211:
	s_and_b64 vcc, exec, s[0:1]
	s_cbranch_vccz .LBB19_519
; %bb.212:
	v_cmp_gt_i32_e64 s[0:1], s8, v0
	v_mov_b32_e32 v4, 0
	v_or_b32_e32 v3, s33, v0
	v_mov_b32_e32 v5, 0
	v_mov_b32_e32 v6, 0
	;; [unrolled: 1-line block ×16, first 2 shown]
	s_and_saveexec_b64 s[2:3], s[0:1]
	s_cbranch_execz .LBB19_244
; %bb.213:
	global_load_ubyte v10, v3, s[14:15]
	v_or_b32_e32 v1, 0x100, v0
	v_cmp_gt_u32_e32 vcc, s8, v1
	v_mov_b32_e32 v21, 0
	v_mov_b32_e32 v20, 0
	;; [unrolled: 1-line block ×15, first 2 shown]
	s_and_saveexec_b64 s[4:5], vcc
	s_cbranch_execz .LBB19_243
; %bb.214:
	v_add_u32_e32 v1, s33, v0
	global_load_ubyte v21, v1, s[14:15] offset:256
	v_or_b32_e32 v2, 0x200, v0
	v_mov_b32_e32 v20, 0
	v_cmp_gt_u32_e32 vcc, s8, v2
	v_mov_b32_e32 v19, 0
	v_mov_b32_e32 v18, 0
	v_mov_b32_e32 v17, 0
	v_mov_b32_e32 v16, 0
	v_mov_b32_e32 v15, 0
	v_mov_b32_e32 v14, 0
	v_mov_b32_e32 v13, 0
	v_mov_b32_e32 v12, 0
	v_mov_b32_e32 v11, 0
	v_mov_b32_e32 v9, 0
	v_mov_b32_e32 v7, 0
	v_mov_b32_e32 v6, 0
	v_mov_b32_e32 v5, 0
	s_and_saveexec_b64 s[6:7], vcc
	s_cbranch_execz .LBB19_242
; %bb.215:
	v_mov_b32_e32 v2, s15
	v_add_co_u32_e32 v1, vcc, s14, v1
	v_addc_co_u32_e32 v2, vcc, 0, v2, vcc
	global_load_ubyte v20, v[1:2], off offset:512
	v_or_b32_e32 v5, 0x300, v0
	v_cmp_gt_u32_e32 vcc, s8, v5
	v_mov_b32_e32 v19, 0
	v_mov_b32_e32 v18, 0
	;; [unrolled: 1-line block ×13, first 2 shown]
	s_and_saveexec_b64 s[10:11], vcc
	s_cbranch_execz .LBB19_241
; %bb.216:
	global_load_ubyte v19, v[1:2], off offset:768
	v_or_b32_e32 v5, 0x400, v0
	v_cmp_gt_u32_e32 vcc, s8, v5
	v_mov_b32_e32 v18, 0
	v_mov_b32_e32 v17, 0
	;; [unrolled: 1-line block ×12, first 2 shown]
	s_and_saveexec_b64 s[14:15], vcc
	s_cbranch_execz .LBB19_240
; %bb.217:
	global_load_ubyte v18, v[1:2], off offset:1024
	v_or_b32_e32 v5, 0x500, v0
	v_cmp_gt_u32_e32 vcc, s8, v5
	v_mov_b32_e32 v17, 0
	v_mov_b32_e32 v16, 0
	;; [unrolled: 1-line block ×11, first 2 shown]
	s_and_saveexec_b64 s[16:17], vcc
	s_cbranch_execz .LBB19_239
; %bb.218:
	global_load_ubyte v17, v[1:2], off offset:1280
	v_or_b32_e32 v5, 0x600, v0
	v_cmp_gt_u32_e32 vcc, s8, v5
	v_mov_b32_e32 v16, 0
	v_mov_b32_e32 v15, 0
	v_mov_b32_e32 v14, 0
	v_mov_b32_e32 v13, 0
	v_mov_b32_e32 v12, 0
	v_mov_b32_e32 v11, 0
	v_mov_b32_e32 v9, 0
	v_mov_b32_e32 v7, 0
	v_mov_b32_e32 v6, 0
	v_mov_b32_e32 v5, 0
	s_and_saveexec_b64 s[18:19], vcc
	s_cbranch_execz .LBB19_238
; %bb.219:
	global_load_ubyte v16, v[1:2], off offset:1536
	v_or_b32_e32 v5, 0x700, v0
	v_cmp_gt_u32_e32 vcc, s8, v5
	v_mov_b32_e32 v15, 0
	v_mov_b32_e32 v14, 0
	;; [unrolled: 1-line block ×9, first 2 shown]
	s_and_saveexec_b64 s[20:21], vcc
	s_cbranch_execz .LBB19_237
; %bb.220:
	global_load_ubyte v15, v[1:2], off offset:1792
	v_or_b32_e32 v5, 0x800, v0
	v_cmp_gt_u32_e32 vcc, s8, v5
	v_mov_b32_e32 v14, 0
	v_mov_b32_e32 v13, 0
	v_mov_b32_e32 v12, 0
	v_mov_b32_e32 v11, 0
	v_mov_b32_e32 v9, 0
	v_mov_b32_e32 v7, 0
	v_mov_b32_e32 v6, 0
	v_mov_b32_e32 v5, 0
	s_and_saveexec_b64 s[22:23], vcc
	s_cbranch_execz .LBB19_236
; %bb.221:
	global_load_ubyte v14, v[1:2], off offset:2048
	v_or_b32_e32 v5, 0x900, v0
	v_cmp_gt_u32_e32 vcc, s8, v5
	v_mov_b32_e32 v13, 0
	v_mov_b32_e32 v12, 0
	;; [unrolled: 1-line block ×7, first 2 shown]
	s_and_saveexec_b64 s[24:25], vcc
	s_cbranch_execz .LBB19_235
; %bb.222:
	global_load_ubyte v13, v[1:2], off offset:2304
	v_or_b32_e32 v5, 0xa00, v0
	v_cmp_gt_u32_e32 vcc, s8, v5
	v_mov_b32_e32 v12, 0
	v_mov_b32_e32 v11, 0
	;; [unrolled: 1-line block ×6, first 2 shown]
	s_and_saveexec_b64 s[26:27], vcc
	s_cbranch_execz .LBB19_234
; %bb.223:
	global_load_ubyte v12, v[1:2], off offset:2560
	v_or_b32_e32 v5, 0xb00, v0
	v_cmp_gt_u32_e32 vcc, s8, v5
	v_mov_b32_e32 v11, 0
	v_mov_b32_e32 v9, 0
	;; [unrolled: 1-line block ×5, first 2 shown]
	s_and_saveexec_b64 s[28:29], vcc
	s_cbranch_execz .LBB19_233
; %bb.224:
	global_load_ubyte v11, v[1:2], off offset:2816
	v_or_b32_e32 v5, 0xc00, v0
	v_cmp_gt_u32_e32 vcc, s8, v5
	v_mov_b32_e32 v9, 0
	v_mov_b32_e32 v7, 0
	;; [unrolled: 1-line block ×4, first 2 shown]
	s_and_saveexec_b64 s[30:31], vcc
	s_cbranch_execz .LBB19_232
; %bb.225:
	global_load_ubyte v9, v[1:2], off offset:3072
	v_or_b32_e32 v5, 0xd00, v0
	v_cmp_gt_u32_e32 vcc, s8, v5
	v_mov_b32_e32 v7, 0
	v_mov_b32_e32 v6, 0
	;; [unrolled: 1-line block ×3, first 2 shown]
	s_and_saveexec_b64 s[34:35], vcc
	s_cbranch_execz .LBB19_231
; %bb.226:
	global_load_ubyte v7, v[1:2], off offset:3328
	v_or_b32_e32 v5, 0xe00, v0
	v_cmp_gt_u32_e32 vcc, s8, v5
	v_mov_b32_e32 v6, 0
	v_mov_b32_e32 v5, 0
	s_and_saveexec_b64 s[36:37], vcc
	s_cbranch_execz .LBB19_230
; %bb.227:
	global_load_ubyte v6, v[1:2], off offset:3584
	v_or_b32_e32 v5, 0xf00, v0
	v_cmp_gt_u32_e32 vcc, s8, v5
	v_mov_b32_e32 v5, 0
	s_and_saveexec_b64 s[38:39], vcc
	s_cbranch_execz .LBB19_229
; %bb.228:
	global_load_ubyte v5, v[1:2], off offset:3840
.LBB19_229:
	s_or_b64 exec, exec, s[38:39]
.LBB19_230:
	s_or_b64 exec, exec, s[36:37]
.LBB19_231:
	s_or_b64 exec, exec, s[34:35]
.LBB19_232:
	s_or_b64 exec, exec, s[30:31]
.LBB19_233:
	s_or_b64 exec, exec, s[28:29]
.LBB19_234:
	s_or_b64 exec, exec, s[26:27]
.LBB19_235:
	s_or_b64 exec, exec, s[24:25]
.LBB19_236:
	s_or_b64 exec, exec, s[22:23]
.LBB19_237:
	s_or_b64 exec, exec, s[20:21]
.LBB19_238:
	s_or_b64 exec, exec, s[18:19]
.LBB19_239:
	s_or_b64 exec, exec, s[16:17]
.LBB19_240:
	s_or_b64 exec, exec, s[14:15]
.LBB19_241:
	s_or_b64 exec, exec, s[10:11]
.LBB19_242:
	s_or_b64 exec, exec, s[6:7]
.LBB19_243:
	s_or_b64 exec, exec, s[4:5]
.LBB19_244:
	s_or_b64 exec, exec, s[2:3]
	v_mov_b32_e32 v8, v4
	v_mov_b32_e32 v2, v4
	;; [unrolled: 1-line block ×3, first 2 shown]
	s_and_saveexec_b64 s[2:3], s[0:1]
	s_cbranch_execz .LBB19_276
; %bb.245:
	s_cmp_lt_i32 s9, 1
	s_mov_b64 s[4:5], 0
	s_cbranch_scc1 .LBB19_250
; %bb.246:
	s_cmp_gt_i32 s9, 1
	s_cbranch_scc0 .LBB19_266
; %bb.247:
	s_cmp_eq_u32 s9, 2
	s_cbranch_scc0 .LBB19_267
; %bb.248:
	s_waitcnt vmcnt(0)
	v_cmp_le_i16_sdwa s[6:7], sext(v10), s46 src0_sel:BYTE_0 src1_sel:DWORD
	s_mov_b64 s[10:11], 0
	s_branch .LBB19_268
.LBB19_249:
	s_waitcnt vmcnt(0)
	v_cmp_lt_i16_sdwa s[42:43], sext(v2), s46 src0_sel:BYTE_1 src1_sel:DWORD
	s_andn2_b64 s[38:39], s[38:39], exec
	s_and_b64 s[42:43], s[42:43], exec
	s_or_b64 s[38:39], s[38:39], s[42:43]
	s_cbranch_execz .LBB19_209
	s_branch .LBB19_210
.LBB19_250:
                                        ; implicit-def: $sgpr6_sgpr7
	s_mov_b64 s[10:11], 0
	s_cbranch_execnz .LBB19_271
	s_branch .LBB19_272
.LBB19_251:
	s_mov_b64 s[6:7], -1
                                        ; implicit-def: $sgpr2_sgpr3
	s_branch .LBB19_23
.LBB19_252:
	s_mov_b64 s[10:11], -1
                                        ; implicit-def: $sgpr4_sgpr5
	s_branch .LBB19_36
.LBB19_253:
	s_mov_b64 s[16:17], -1
                                        ; implicit-def: $sgpr6_sgpr7
	s_branch .LBB19_49
.LBB19_254:
	s_mov_b64 s[18:19], -1
                                        ; implicit-def: $sgpr10_sgpr11
	s_branch .LBB19_62
.LBB19_255:
	s_mov_b64 s[20:21], -1
                                        ; implicit-def: $sgpr16_sgpr17
	s_branch .LBB19_75
.LBB19_256:
	s_mov_b64 s[22:23], -1
                                        ; implicit-def: $sgpr18_sgpr19
	s_branch .LBB19_88
.LBB19_257:
	s_mov_b64 s[24:25], -1
                                        ; implicit-def: $sgpr20_sgpr21
	s_branch .LBB19_101
.LBB19_258:
	s_mov_b64 s[26:27], -1
                                        ; implicit-def: $sgpr22_sgpr23
	s_branch .LBB19_114
.LBB19_259:
	s_mov_b64 s[28:29], -1
                                        ; implicit-def: $sgpr24_sgpr25
	s_branch .LBB19_127
.LBB19_260:
	s_mov_b64 s[30:31], -1
                                        ; implicit-def: $sgpr26_sgpr27
	s_branch .LBB19_140
.LBB19_261:
	s_mov_b64 s[34:35], -1
                                        ; implicit-def: $sgpr28_sgpr29
	s_branch .LBB19_153
.LBB19_262:
	s_mov_b64 s[36:37], -1
                                        ; implicit-def: $sgpr30_sgpr31
	s_branch .LBB19_166
.LBB19_263:
	s_mov_b64 s[38:39], -1
                                        ; implicit-def: $sgpr34_sgpr35
	s_branch .LBB19_179
.LBB19_264:
	s_mov_b64 s[40:41], -1
                                        ; implicit-def: $sgpr36_sgpr37
	s_branch .LBB19_192
.LBB19_265:
	s_mov_b64 s[42:43], -1
                                        ; implicit-def: $sgpr38_sgpr39
	s_branch .LBB19_205
.LBB19_266:
	s_mov_b64 s[10:11], 0
                                        ; implicit-def: $sgpr6_sgpr7
	s_cbranch_execnz .LBB19_269
	s_branch .LBB19_270
.LBB19_267:
	s_mov_b64 s[10:11], -1
                                        ; implicit-def: $sgpr6_sgpr7
.LBB19_268:
	s_branch .LBB19_270
.LBB19_269:
	s_waitcnt vmcnt(0)
	v_cmp_gt_i16_sdwa s[14:15], sext(v10), s46 src0_sel:BYTE_0 src1_sel:DWORD
	s_andn2_b64 s[6:7], s[6:7], exec
	s_and_b64 s[14:15], s[14:15], exec
	s_or_b64 s[6:7], s[6:7], s[14:15]
.LBB19_270:
	s_branch .LBB19_272
.LBB19_271:
	s_cmp_lg_u32 s9, 0
	s_mov_b64 s[4:5], -1
	s_cselect_b64 s[10:11], -1, 0
.LBB19_272:
	s_andn2_b64 vcc, exec, s[10:11]
	s_cbranch_vccz .LBB19_281
; %bb.273:
	s_andn2_b64 vcc, exec, s[4:5]
	s_cbranch_vccnz .LBB19_275
.LBB19_274:
	s_waitcnt vmcnt(0)
	v_cmp_ge_i16_sdwa s[4:5], sext(v10), s46 src0_sel:BYTE_0 src1_sel:DWORD
	s_andn2_b64 s[6:7], s[6:7], exec
	s_and_b64 s[4:5], s[4:5], exec
	s_or_b64 s[6:7], s[6:7], s[4:5]
.LBB19_275:
	v_cndmask_b32_e64 v1, 0, 1, s[6:7]
	v_mov_b32_e32 v8, 0
	v_and_b32_e32 v4, 0xffff, v1
	v_mov_b32_e32 v2, v8
	v_mov_b32_e32 v1, v8
.LBB19_276:
	s_or_b64 exec, exec, s[2:3]
	s_waitcnt vmcnt(0)
	v_or_b32_e32 v10, 0x100, v0
	v_cmp_gt_i32_e32 vcc, s8, v10
	s_and_saveexec_b64 s[2:3], vcc
	s_cbranch_execz .LBB19_291
; %bb.277:
	s_cmp_lt_i32 s9, 1
	s_mov_b64 s[4:5], 0
	s_cbranch_scc1 .LBB19_282
; %bb.278:
	s_cmp_gt_i32 s9, 1
	s_cbranch_scc0 .LBB19_283
; %bb.279:
	s_cmp_eq_u32 s9, 2
	s_cbranch_scc0 .LBB19_535
; %bb.280:
	v_cmp_le_i16_sdwa s[6:7], sext(v21), s46 src0_sel:BYTE_0 src1_sel:DWORD
	s_mov_b64 s[10:11], 0
	s_branch .LBB19_285
.LBB19_281:
	s_waitcnt vmcnt(0)
	v_cmp_lt_i16_sdwa s[10:11], sext(v10), s46 src0_sel:BYTE_0 src1_sel:DWORD
	s_andn2_b64 s[6:7], s[6:7], exec
	s_and_b64 s[10:11], s[10:11], exec
	s_or_b64 s[6:7], s[6:7], s[10:11]
	s_cbranch_execz .LBB19_274
	s_branch .LBB19_275
.LBB19_282:
                                        ; implicit-def: $sgpr6_sgpr7
	s_mov_b64 s[10:11], 0
	s_cbranch_execnz .LBB19_286
	s_branch .LBB19_287
.LBB19_283:
	s_mov_b64 s[10:11], 0
                                        ; implicit-def: $sgpr6_sgpr7
	s_cbranch_execz .LBB19_285
; %bb.284:
	v_cmp_gt_i16_sdwa s[14:15], sext(v21), s46 src0_sel:BYTE_0 src1_sel:DWORD
	s_andn2_b64 s[6:7], s[6:7], exec
	s_and_b64 s[14:15], s[14:15], exec
	s_or_b64 s[6:7], s[6:7], s[14:15]
.LBB19_285:
	s_branch .LBB19_287
.LBB19_286:
	s_cmp_lg_u32 s9, 0
	s_mov_b64 s[4:5], -1
	s_cselect_b64 s[10:11], -1, 0
.LBB19_287:
	s_andn2_b64 vcc, exec, s[10:11]
	s_cbranch_vccz .LBB19_296
; %bb.288:
	s_andn2_b64 vcc, exec, s[4:5]
	s_cbranch_vccnz .LBB19_290
.LBB19_289:
	v_cmp_ge_i16_sdwa s[4:5], sext(v21), s46 src0_sel:BYTE_0 src1_sel:DWORD
	s_andn2_b64 s[6:7], s[6:7], exec
	s_and_b64 s[4:5], s[4:5], exec
	s_or_b64 s[6:7], s[6:7], s[4:5]
.LBB19_290:
	v_cndmask_b32_e64 v21, 0, 1, s[6:7]
	v_lshlrev_b16_e32 v21, 8, v21
	v_or_b32_sdwa v21, v4, v21 dst_sel:DWORD dst_unused:UNUSED_PAD src0_sel:BYTE_0 src1_sel:DWORD
	v_and_b32_e32 v21, 0xffff, v21
	s_mov_b32 s4, 0xffff0000
	v_and_or_b32 v4, v4, s4, v21
.LBB19_291:
	s_or_b64 exec, exec, s[2:3]
	v_or_b32_e32 v21, 0x200, v0
	v_cmp_gt_i32_e32 vcc, s8, v21
	s_and_saveexec_b64 s[2:3], vcc
	s_cbranch_execz .LBB19_306
; %bb.292:
	s_cmp_lt_i32 s9, 1
	s_mov_b64 s[4:5], 0
	s_cbranch_scc1 .LBB19_297
; %bb.293:
	s_cmp_gt_i32 s9, 1
	s_cbranch_scc0 .LBB19_298
; %bb.294:
	s_cmp_eq_u32 s9, 2
	s_cbranch_scc0 .LBB19_536
; %bb.295:
	v_cmp_le_i16_sdwa s[6:7], sext(v20), s46 src0_sel:BYTE_0 src1_sel:DWORD
	s_mov_b64 s[10:11], 0
	s_branch .LBB19_300
.LBB19_296:
	v_cmp_lt_i16_sdwa s[10:11], sext(v21), s46 src0_sel:BYTE_0 src1_sel:DWORD
	s_andn2_b64 s[6:7], s[6:7], exec
	s_and_b64 s[10:11], s[10:11], exec
	s_or_b64 s[6:7], s[6:7], s[10:11]
	s_cbranch_execz .LBB19_289
	s_branch .LBB19_290
.LBB19_297:
                                        ; implicit-def: $sgpr6_sgpr7
	s_mov_b64 s[10:11], 0
	s_cbranch_execnz .LBB19_301
	s_branch .LBB19_302
.LBB19_298:
	s_mov_b64 s[10:11], 0
                                        ; implicit-def: $sgpr6_sgpr7
	s_cbranch_execz .LBB19_300
; %bb.299:
	v_cmp_gt_i16_sdwa s[14:15], sext(v20), s46 src0_sel:BYTE_0 src1_sel:DWORD
	s_andn2_b64 s[6:7], s[6:7], exec
	s_and_b64 s[14:15], s[14:15], exec
	s_or_b64 s[6:7], s[6:7], s[14:15]
.LBB19_300:
	s_branch .LBB19_302
.LBB19_301:
	s_cmp_lg_u32 s9, 0
	s_mov_b64 s[4:5], -1
	s_cselect_b64 s[10:11], -1, 0
.LBB19_302:
	s_andn2_b64 vcc, exec, s[10:11]
	s_cbranch_vccz .LBB19_311
; %bb.303:
	s_andn2_b64 vcc, exec, s[4:5]
	s_cbranch_vccnz .LBB19_305
.LBB19_304:
	v_cmp_ge_i16_sdwa s[4:5], sext(v20), s46 src0_sel:BYTE_0 src1_sel:DWORD
	s_andn2_b64 s[6:7], s[6:7], exec
	s_and_b64 s[4:5], s[4:5], exec
	s_or_b64 s[6:7], s[6:7], s[4:5]
.LBB19_305:
	s_movk_i32 s4, 0xff00
	v_and_b32_sdwa v20, v4, s4 dst_sel:DWORD dst_unused:UNUSED_PAD src0_sel:WORD_1 src1_sel:DWORD
	v_cndmask_b32_e64 v21, 0, 1, s[6:7]
	v_or_b32_sdwa v20, v21, v20 dst_sel:WORD_1 dst_unused:UNUSED_PAD src0_sel:DWORD src1_sel:DWORD
	s_mov_b32 s4, 0xffff
	v_and_or_b32 v4, v4, s4, v20
.LBB19_306:
	s_or_b64 exec, exec, s[2:3]
	v_or_b32_e32 v20, 0x300, v0
	v_cmp_gt_i32_e32 vcc, s8, v20
	s_and_saveexec_b64 s[2:3], vcc
	s_cbranch_execz .LBB19_321
; %bb.307:
	s_cmp_lt_i32 s9, 1
	s_mov_b64 s[4:5], 0
	s_cbranch_scc1 .LBB19_312
; %bb.308:
	s_cmp_gt_i32 s9, 1
	s_cbranch_scc0 .LBB19_313
; %bb.309:
	s_cmp_eq_u32 s9, 2
	s_cbranch_scc0 .LBB19_537
; %bb.310:
	v_cmp_le_i16_sdwa s[6:7], sext(v19), s46 src0_sel:BYTE_0 src1_sel:DWORD
	s_mov_b64 s[10:11], 0
	s_branch .LBB19_315
.LBB19_311:
	v_cmp_lt_i16_sdwa s[10:11], sext(v20), s46 src0_sel:BYTE_0 src1_sel:DWORD
	s_andn2_b64 s[6:7], s[6:7], exec
	s_and_b64 s[10:11], s[10:11], exec
	s_or_b64 s[6:7], s[6:7], s[10:11]
	s_cbranch_execz .LBB19_304
	s_branch .LBB19_305
.LBB19_312:
                                        ; implicit-def: $sgpr6_sgpr7
	s_mov_b64 s[10:11], 0
	s_cbranch_execnz .LBB19_316
	s_branch .LBB19_317
.LBB19_313:
	s_mov_b64 s[10:11], 0
                                        ; implicit-def: $sgpr6_sgpr7
	s_cbranch_execz .LBB19_315
; %bb.314:
	v_cmp_gt_i16_sdwa s[14:15], sext(v19), s46 src0_sel:BYTE_0 src1_sel:DWORD
	s_andn2_b64 s[6:7], s[6:7], exec
	s_and_b64 s[14:15], s[14:15], exec
	s_or_b64 s[6:7], s[6:7], s[14:15]
.LBB19_315:
	s_branch .LBB19_317
.LBB19_316:
	s_cmp_lg_u32 s9, 0
	s_mov_b64 s[4:5], -1
	s_cselect_b64 s[10:11], -1, 0
.LBB19_317:
	s_andn2_b64 vcc, exec, s[10:11]
	s_cbranch_vccz .LBB19_326
; %bb.318:
	s_andn2_b64 vcc, exec, s[4:5]
	s_cbranch_vccnz .LBB19_320
.LBB19_319:
	v_cmp_ge_i16_sdwa s[4:5], sext(v19), s46 src0_sel:BYTE_0 src1_sel:DWORD
	s_andn2_b64 s[6:7], s[6:7], exec
	s_and_b64 s[4:5], s[4:5], exec
	s_or_b64 s[6:7], s[6:7], s[4:5]
.LBB19_320:
	s_movk_i32 s4, 0xff
	v_cndmask_b32_e64 v20, 0, 1, s[6:7]
	v_and_b32_sdwa v19, v4, s4 dst_sel:DWORD dst_unused:UNUSED_PAD src0_sel:WORD_1 src1_sel:DWORD
	v_lshlrev_b16_e32 v20, 8, v20
	v_or_b32_sdwa v19, v19, v20 dst_sel:WORD_1 dst_unused:UNUSED_PAD src0_sel:DWORD src1_sel:DWORD
	s_mov_b32 s4, 0xffff
	v_and_or_b32 v4, v4, s4, v19
.LBB19_321:
	s_or_b64 exec, exec, s[2:3]
	v_or_b32_e32 v19, 0x400, v0
	v_cmp_gt_i32_e32 vcc, s8, v19
	s_and_saveexec_b64 s[2:3], vcc
	s_cbranch_execz .LBB19_336
; %bb.322:
	s_cmp_lt_i32 s9, 1
	s_mov_b64 s[4:5], 0
	s_cbranch_scc1 .LBB19_327
; %bb.323:
	s_cmp_gt_i32 s9, 1
	s_cbranch_scc0 .LBB19_328
; %bb.324:
	s_cmp_eq_u32 s9, 2
	s_cbranch_scc0 .LBB19_538
; %bb.325:
	v_cmp_le_i16_sdwa s[6:7], sext(v18), s46 src0_sel:BYTE_0 src1_sel:DWORD
	s_mov_b64 s[10:11], 0
	s_branch .LBB19_330
.LBB19_326:
	v_cmp_lt_i16_sdwa s[10:11], sext(v19), s46 src0_sel:BYTE_0 src1_sel:DWORD
	s_andn2_b64 s[6:7], s[6:7], exec
	s_and_b64 s[10:11], s[10:11], exec
	s_or_b64 s[6:7], s[6:7], s[10:11]
	s_cbranch_execz .LBB19_319
	s_branch .LBB19_320
.LBB19_327:
                                        ; implicit-def: $sgpr6_sgpr7
	s_mov_b64 s[10:11], 0
	s_cbranch_execnz .LBB19_331
	s_branch .LBB19_332
.LBB19_328:
	s_mov_b64 s[10:11], 0
                                        ; implicit-def: $sgpr6_sgpr7
	s_cbranch_execz .LBB19_330
; %bb.329:
	v_cmp_gt_i16_sdwa s[14:15], sext(v18), s46 src0_sel:BYTE_0 src1_sel:DWORD
	s_andn2_b64 s[6:7], s[6:7], exec
	s_and_b64 s[14:15], s[14:15], exec
	s_or_b64 s[6:7], s[6:7], s[14:15]
.LBB19_330:
	s_branch .LBB19_332
.LBB19_331:
	s_cmp_lg_u32 s9, 0
	s_mov_b64 s[4:5], -1
	s_cselect_b64 s[10:11], -1, 0
.LBB19_332:
	s_andn2_b64 vcc, exec, s[10:11]
	s_cbranch_vccz .LBB19_341
; %bb.333:
	s_andn2_b64 vcc, exec, s[4:5]
	s_cbranch_vccnz .LBB19_335
.LBB19_334:
	v_cmp_ge_i16_sdwa s[4:5], sext(v18), s46 src0_sel:BYTE_0 src1_sel:DWORD
	s_andn2_b64 s[6:7], s[6:7], exec
	s_and_b64 s[4:5], s[4:5], exec
	s_or_b64 s[6:7], s[6:7], s[4:5]
.LBB19_335:
	v_and_b32_e32 v18, 0xffffff00, v8
	v_cndmask_b32_e64 v19, 0, 1, s[6:7]
	v_or_b32_e32 v18, v19, v18
	v_and_b32_e32 v18, 0xffff, v18
	s_mov_b32 s4, 0xffff0000
	v_and_or_b32 v8, v8, s4, v18
.LBB19_336:
	s_or_b64 exec, exec, s[2:3]
	v_or_b32_e32 v18, 0x500, v0
	v_cmp_gt_i32_e32 vcc, s8, v18
	s_and_saveexec_b64 s[2:3], vcc
	s_cbranch_execz .LBB19_351
; %bb.337:
	s_cmp_lt_i32 s9, 1
	s_mov_b64 s[4:5], 0
	s_cbranch_scc1 .LBB19_342
; %bb.338:
	s_cmp_gt_i32 s9, 1
	s_cbranch_scc0 .LBB19_343
; %bb.339:
	s_cmp_eq_u32 s9, 2
	s_cbranch_scc0 .LBB19_539
; %bb.340:
	v_cmp_le_i16_sdwa s[6:7], sext(v17), s46 src0_sel:BYTE_0 src1_sel:DWORD
	s_mov_b64 s[10:11], 0
	s_branch .LBB19_345
.LBB19_341:
	v_cmp_lt_i16_sdwa s[10:11], sext(v18), s46 src0_sel:BYTE_0 src1_sel:DWORD
	s_andn2_b64 s[6:7], s[6:7], exec
	s_and_b64 s[10:11], s[10:11], exec
	s_or_b64 s[6:7], s[6:7], s[10:11]
	s_cbranch_execz .LBB19_334
	s_branch .LBB19_335
.LBB19_342:
                                        ; implicit-def: $sgpr6_sgpr7
	s_mov_b64 s[10:11], 0
	s_cbranch_execnz .LBB19_346
	s_branch .LBB19_347
.LBB19_343:
	s_mov_b64 s[10:11], 0
                                        ; implicit-def: $sgpr6_sgpr7
	s_cbranch_execz .LBB19_345
; %bb.344:
	v_cmp_gt_i16_sdwa s[14:15], sext(v17), s46 src0_sel:BYTE_0 src1_sel:DWORD
	s_andn2_b64 s[6:7], s[6:7], exec
	s_and_b64 s[14:15], s[14:15], exec
	s_or_b64 s[6:7], s[6:7], s[14:15]
.LBB19_345:
	s_branch .LBB19_347
.LBB19_346:
	s_cmp_lg_u32 s9, 0
	s_mov_b64 s[4:5], -1
	s_cselect_b64 s[10:11], -1, 0
.LBB19_347:
	s_andn2_b64 vcc, exec, s[10:11]
	s_cbranch_vccz .LBB19_356
; %bb.348:
	s_andn2_b64 vcc, exec, s[4:5]
	s_cbranch_vccnz .LBB19_350
.LBB19_349:
	v_cmp_ge_i16_sdwa s[4:5], sext(v17), s46 src0_sel:BYTE_0 src1_sel:DWORD
	s_andn2_b64 s[6:7], s[6:7], exec
	s_and_b64 s[4:5], s[4:5], exec
	s_or_b64 s[6:7], s[6:7], s[4:5]
.LBB19_350:
	v_cndmask_b32_e64 v17, 0, 1, s[6:7]
	v_lshlrev_b16_e32 v17, 8, v17
	v_or_b32_sdwa v17, v8, v17 dst_sel:DWORD dst_unused:UNUSED_PAD src0_sel:BYTE_0 src1_sel:DWORD
	v_and_b32_e32 v17, 0xffff, v17
	s_mov_b32 s4, 0xffff0000
	v_and_or_b32 v8, v8, s4, v17
.LBB19_351:
	s_or_b64 exec, exec, s[2:3]
	v_or_b32_e32 v17, 0x600, v0
	v_cmp_gt_i32_e32 vcc, s8, v17
	s_and_saveexec_b64 s[2:3], vcc
	s_cbranch_execz .LBB19_366
; %bb.352:
	s_cmp_lt_i32 s9, 1
	s_mov_b64 s[4:5], 0
	s_cbranch_scc1 .LBB19_357
; %bb.353:
	s_cmp_gt_i32 s9, 1
	s_cbranch_scc0 .LBB19_358
; %bb.354:
	s_cmp_eq_u32 s9, 2
	s_cbranch_scc0 .LBB19_540
; %bb.355:
	v_cmp_le_i16_sdwa s[6:7], sext(v16), s46 src0_sel:BYTE_0 src1_sel:DWORD
	s_mov_b64 s[10:11], 0
	s_branch .LBB19_360
.LBB19_356:
	v_cmp_lt_i16_sdwa s[10:11], sext(v17), s46 src0_sel:BYTE_0 src1_sel:DWORD
	s_andn2_b64 s[6:7], s[6:7], exec
	s_and_b64 s[10:11], s[10:11], exec
	s_or_b64 s[6:7], s[6:7], s[10:11]
	s_cbranch_execz .LBB19_349
	s_branch .LBB19_350
.LBB19_357:
                                        ; implicit-def: $sgpr6_sgpr7
	s_mov_b64 s[10:11], 0
	s_cbranch_execnz .LBB19_361
	s_branch .LBB19_362
.LBB19_358:
	s_mov_b64 s[10:11], 0
                                        ; implicit-def: $sgpr6_sgpr7
	s_cbranch_execz .LBB19_360
; %bb.359:
	v_cmp_gt_i16_sdwa s[14:15], sext(v16), s46 src0_sel:BYTE_0 src1_sel:DWORD
	s_andn2_b64 s[6:7], s[6:7], exec
	s_and_b64 s[14:15], s[14:15], exec
	s_or_b64 s[6:7], s[6:7], s[14:15]
.LBB19_360:
	s_branch .LBB19_362
.LBB19_361:
	s_cmp_lg_u32 s9, 0
	s_mov_b64 s[4:5], -1
	s_cselect_b64 s[10:11], -1, 0
.LBB19_362:
	s_andn2_b64 vcc, exec, s[10:11]
	s_cbranch_vccz .LBB19_371
; %bb.363:
	s_andn2_b64 vcc, exec, s[4:5]
	s_cbranch_vccnz .LBB19_365
.LBB19_364:
	v_cmp_ge_i16_sdwa s[4:5], sext(v16), s46 src0_sel:BYTE_0 src1_sel:DWORD
	s_andn2_b64 s[6:7], s[6:7], exec
	s_and_b64 s[4:5], s[4:5], exec
	s_or_b64 s[6:7], s[6:7], s[4:5]
.LBB19_365:
	s_movk_i32 s4, 0xff00
	v_and_b32_sdwa v16, v8, s4 dst_sel:DWORD dst_unused:UNUSED_PAD src0_sel:WORD_1 src1_sel:DWORD
	v_cndmask_b32_e64 v17, 0, 1, s[6:7]
	v_or_b32_sdwa v16, v17, v16 dst_sel:WORD_1 dst_unused:UNUSED_PAD src0_sel:DWORD src1_sel:DWORD
	s_mov_b32 s4, 0xffff
	v_and_or_b32 v8, v8, s4, v16
.LBB19_366:
	s_or_b64 exec, exec, s[2:3]
	v_or_b32_e32 v16, 0x700, v0
	v_cmp_gt_i32_e32 vcc, s8, v16
	s_and_saveexec_b64 s[2:3], vcc
	s_cbranch_execz .LBB19_381
; %bb.367:
	s_cmp_lt_i32 s9, 1
	s_mov_b64 s[4:5], 0
	s_cbranch_scc1 .LBB19_372
; %bb.368:
	s_cmp_gt_i32 s9, 1
	s_cbranch_scc0 .LBB19_373
; %bb.369:
	s_cmp_eq_u32 s9, 2
	s_cbranch_scc0 .LBB19_541
; %bb.370:
	v_cmp_le_i16_sdwa s[6:7], sext(v15), s46 src0_sel:BYTE_0 src1_sel:DWORD
	s_mov_b64 s[10:11], 0
	s_branch .LBB19_375
.LBB19_371:
	v_cmp_lt_i16_sdwa s[10:11], sext(v16), s46 src0_sel:BYTE_0 src1_sel:DWORD
	s_andn2_b64 s[6:7], s[6:7], exec
	s_and_b64 s[10:11], s[10:11], exec
	s_or_b64 s[6:7], s[6:7], s[10:11]
	s_cbranch_execz .LBB19_364
	s_branch .LBB19_365
.LBB19_372:
                                        ; implicit-def: $sgpr6_sgpr7
	s_mov_b64 s[10:11], 0
	s_cbranch_execnz .LBB19_376
	s_branch .LBB19_377
.LBB19_373:
	s_mov_b64 s[10:11], 0
                                        ; implicit-def: $sgpr6_sgpr7
	s_cbranch_execz .LBB19_375
; %bb.374:
	v_cmp_gt_i16_sdwa s[14:15], sext(v15), s46 src0_sel:BYTE_0 src1_sel:DWORD
	s_andn2_b64 s[6:7], s[6:7], exec
	s_and_b64 s[14:15], s[14:15], exec
	s_or_b64 s[6:7], s[6:7], s[14:15]
.LBB19_375:
	s_branch .LBB19_377
.LBB19_376:
	s_cmp_lg_u32 s9, 0
	s_mov_b64 s[4:5], -1
	s_cselect_b64 s[10:11], -1, 0
.LBB19_377:
	s_andn2_b64 vcc, exec, s[10:11]
	s_cbranch_vccz .LBB19_386
; %bb.378:
	s_andn2_b64 vcc, exec, s[4:5]
	s_cbranch_vccnz .LBB19_380
.LBB19_379:
	v_cmp_ge_i16_sdwa s[4:5], sext(v15), s46 src0_sel:BYTE_0 src1_sel:DWORD
	s_andn2_b64 s[6:7], s[6:7], exec
	s_and_b64 s[4:5], s[4:5], exec
	s_or_b64 s[6:7], s[6:7], s[4:5]
.LBB19_380:
	s_movk_i32 s4, 0xff
	v_cndmask_b32_e64 v16, 0, 1, s[6:7]
	v_and_b32_sdwa v15, v8, s4 dst_sel:DWORD dst_unused:UNUSED_PAD src0_sel:WORD_1 src1_sel:DWORD
	v_lshlrev_b16_e32 v16, 8, v16
	v_or_b32_sdwa v15, v15, v16 dst_sel:WORD_1 dst_unused:UNUSED_PAD src0_sel:DWORD src1_sel:DWORD
	s_mov_b32 s4, 0xffff
	v_and_or_b32 v8, v8, s4, v15
.LBB19_381:
	s_or_b64 exec, exec, s[2:3]
	v_or_b32_e32 v15, 0x800, v0
	v_cmp_gt_i32_e32 vcc, s8, v15
	s_and_saveexec_b64 s[2:3], vcc
	s_cbranch_execz .LBB19_396
; %bb.382:
	s_cmp_lt_i32 s9, 1
	s_mov_b64 s[4:5], 0
	s_cbranch_scc1 .LBB19_387
; %bb.383:
	s_cmp_gt_i32 s9, 1
	s_cbranch_scc0 .LBB19_388
; %bb.384:
	s_cmp_eq_u32 s9, 2
	s_cbranch_scc0 .LBB19_542
; %bb.385:
	v_cmp_le_i16_sdwa s[6:7], sext(v14), s46 src0_sel:BYTE_0 src1_sel:DWORD
	s_mov_b64 s[10:11], 0
	s_branch .LBB19_390
.LBB19_386:
	v_cmp_lt_i16_sdwa s[10:11], sext(v15), s46 src0_sel:BYTE_0 src1_sel:DWORD
	s_andn2_b64 s[6:7], s[6:7], exec
	s_and_b64 s[10:11], s[10:11], exec
	s_or_b64 s[6:7], s[6:7], s[10:11]
	s_cbranch_execz .LBB19_379
	s_branch .LBB19_380
.LBB19_387:
                                        ; implicit-def: $sgpr6_sgpr7
	s_mov_b64 s[10:11], 0
	s_cbranch_execnz .LBB19_391
	s_branch .LBB19_392
.LBB19_388:
	s_mov_b64 s[10:11], 0
                                        ; implicit-def: $sgpr6_sgpr7
	s_cbranch_execz .LBB19_390
; %bb.389:
	v_cmp_gt_i16_sdwa s[14:15], sext(v14), s46 src0_sel:BYTE_0 src1_sel:DWORD
	s_andn2_b64 s[6:7], s[6:7], exec
	s_and_b64 s[14:15], s[14:15], exec
	s_or_b64 s[6:7], s[6:7], s[14:15]
.LBB19_390:
	s_branch .LBB19_392
.LBB19_391:
	s_cmp_lg_u32 s9, 0
	s_mov_b64 s[4:5], -1
	s_cselect_b64 s[10:11], -1, 0
.LBB19_392:
	s_andn2_b64 vcc, exec, s[10:11]
	s_cbranch_vccz .LBB19_401
; %bb.393:
	s_andn2_b64 vcc, exec, s[4:5]
	s_cbranch_vccnz .LBB19_395
.LBB19_394:
	v_cmp_ge_i16_sdwa s[4:5], sext(v14), s46 src0_sel:BYTE_0 src1_sel:DWORD
	s_andn2_b64 s[6:7], s[6:7], exec
	s_and_b64 s[4:5], s[4:5], exec
	s_or_b64 s[6:7], s[6:7], s[4:5]
.LBB19_395:
	v_and_b32_e32 v14, 0xffffff00, v2
	v_cndmask_b32_e64 v15, 0, 1, s[6:7]
	v_or_b32_e32 v14, v15, v14
	v_and_b32_e32 v14, 0xffff, v14
	s_mov_b32 s4, 0xffff0000
	v_and_or_b32 v2, v2, s4, v14
.LBB19_396:
	s_or_b64 exec, exec, s[2:3]
	v_or_b32_e32 v14, 0x900, v0
	v_cmp_gt_i32_e32 vcc, s8, v14
	s_and_saveexec_b64 s[2:3], vcc
	s_cbranch_execz .LBB19_411
; %bb.397:
	s_cmp_lt_i32 s9, 1
	s_mov_b64 s[4:5], 0
	s_cbranch_scc1 .LBB19_402
; %bb.398:
	s_cmp_gt_i32 s9, 1
	s_cbranch_scc0 .LBB19_403
; %bb.399:
	s_cmp_eq_u32 s9, 2
	s_cbranch_scc0 .LBB19_543
; %bb.400:
	v_cmp_le_i16_sdwa s[6:7], sext(v13), s46 src0_sel:BYTE_0 src1_sel:DWORD
	s_mov_b64 s[10:11], 0
	s_branch .LBB19_405
.LBB19_401:
	v_cmp_lt_i16_sdwa s[10:11], sext(v14), s46 src0_sel:BYTE_0 src1_sel:DWORD
	s_andn2_b64 s[6:7], s[6:7], exec
	s_and_b64 s[10:11], s[10:11], exec
	s_or_b64 s[6:7], s[6:7], s[10:11]
	s_cbranch_execz .LBB19_394
	s_branch .LBB19_395
.LBB19_402:
                                        ; implicit-def: $sgpr6_sgpr7
	s_mov_b64 s[10:11], 0
	s_cbranch_execnz .LBB19_406
	s_branch .LBB19_407
.LBB19_403:
	s_mov_b64 s[10:11], 0
                                        ; implicit-def: $sgpr6_sgpr7
	s_cbranch_execz .LBB19_405
; %bb.404:
	v_cmp_gt_i16_sdwa s[14:15], sext(v13), s46 src0_sel:BYTE_0 src1_sel:DWORD
	s_andn2_b64 s[6:7], s[6:7], exec
	s_and_b64 s[14:15], s[14:15], exec
	s_or_b64 s[6:7], s[6:7], s[14:15]
.LBB19_405:
	s_branch .LBB19_407
.LBB19_406:
	s_cmp_lg_u32 s9, 0
	s_mov_b64 s[4:5], -1
	s_cselect_b64 s[10:11], -1, 0
.LBB19_407:
	s_andn2_b64 vcc, exec, s[10:11]
	s_cbranch_vccz .LBB19_416
; %bb.408:
	s_andn2_b64 vcc, exec, s[4:5]
	s_cbranch_vccnz .LBB19_410
.LBB19_409:
	v_cmp_ge_i16_sdwa s[4:5], sext(v13), s46 src0_sel:BYTE_0 src1_sel:DWORD
	s_andn2_b64 s[6:7], s[6:7], exec
	s_and_b64 s[4:5], s[4:5], exec
	s_or_b64 s[6:7], s[6:7], s[4:5]
.LBB19_410:
	v_cndmask_b32_e64 v13, 0, 1, s[6:7]
	v_lshlrev_b16_e32 v13, 8, v13
	v_or_b32_sdwa v13, v2, v13 dst_sel:DWORD dst_unused:UNUSED_PAD src0_sel:BYTE_0 src1_sel:DWORD
	v_and_b32_e32 v13, 0xffff, v13
	s_mov_b32 s4, 0xffff0000
	v_and_or_b32 v2, v2, s4, v13
.LBB19_411:
	s_or_b64 exec, exec, s[2:3]
	v_or_b32_e32 v13, 0xa00, v0
	v_cmp_gt_i32_e32 vcc, s8, v13
	s_and_saveexec_b64 s[2:3], vcc
	s_cbranch_execz .LBB19_426
; %bb.412:
	s_cmp_lt_i32 s9, 1
	s_mov_b64 s[4:5], 0
	s_cbranch_scc1 .LBB19_417
; %bb.413:
	s_cmp_gt_i32 s9, 1
	s_cbranch_scc0 .LBB19_418
; %bb.414:
	s_cmp_eq_u32 s9, 2
	s_cbranch_scc0 .LBB19_544
; %bb.415:
	v_cmp_le_i16_sdwa s[6:7], sext(v12), s46 src0_sel:BYTE_0 src1_sel:DWORD
	s_mov_b64 s[10:11], 0
	s_branch .LBB19_420
.LBB19_416:
	v_cmp_lt_i16_sdwa s[10:11], sext(v13), s46 src0_sel:BYTE_0 src1_sel:DWORD
	s_andn2_b64 s[6:7], s[6:7], exec
	s_and_b64 s[10:11], s[10:11], exec
	s_or_b64 s[6:7], s[6:7], s[10:11]
	s_cbranch_execz .LBB19_409
	s_branch .LBB19_410
.LBB19_417:
                                        ; implicit-def: $sgpr6_sgpr7
	s_mov_b64 s[10:11], 0
	s_cbranch_execnz .LBB19_421
	s_branch .LBB19_422
.LBB19_418:
	s_mov_b64 s[10:11], 0
                                        ; implicit-def: $sgpr6_sgpr7
	s_cbranch_execz .LBB19_420
; %bb.419:
	v_cmp_gt_i16_sdwa s[14:15], sext(v12), s46 src0_sel:BYTE_0 src1_sel:DWORD
	s_andn2_b64 s[6:7], s[6:7], exec
	s_and_b64 s[14:15], s[14:15], exec
	s_or_b64 s[6:7], s[6:7], s[14:15]
.LBB19_420:
	s_branch .LBB19_422
.LBB19_421:
	s_cmp_lg_u32 s9, 0
	s_mov_b64 s[4:5], -1
	s_cselect_b64 s[10:11], -1, 0
.LBB19_422:
	s_andn2_b64 vcc, exec, s[10:11]
	s_cbranch_vccz .LBB19_431
; %bb.423:
	s_andn2_b64 vcc, exec, s[4:5]
	s_cbranch_vccnz .LBB19_425
.LBB19_424:
	v_cmp_ge_i16_sdwa s[4:5], sext(v12), s46 src0_sel:BYTE_0 src1_sel:DWORD
	s_andn2_b64 s[6:7], s[6:7], exec
	s_and_b64 s[4:5], s[4:5], exec
	s_or_b64 s[6:7], s[6:7], s[4:5]
.LBB19_425:
	s_movk_i32 s4, 0xff00
	v_and_b32_sdwa v12, v2, s4 dst_sel:DWORD dst_unused:UNUSED_PAD src0_sel:WORD_1 src1_sel:DWORD
	v_cndmask_b32_e64 v13, 0, 1, s[6:7]
	v_or_b32_sdwa v12, v13, v12 dst_sel:WORD_1 dst_unused:UNUSED_PAD src0_sel:DWORD src1_sel:DWORD
	s_mov_b32 s4, 0xffff
	v_and_or_b32 v2, v2, s4, v12
.LBB19_426:
	s_or_b64 exec, exec, s[2:3]
	v_or_b32_e32 v12, 0xb00, v0
	v_cmp_gt_i32_e32 vcc, s8, v12
	s_and_saveexec_b64 s[2:3], vcc
	s_cbranch_execz .LBB19_441
; %bb.427:
	s_cmp_lt_i32 s9, 1
	s_mov_b64 s[4:5], 0
	s_cbranch_scc1 .LBB19_432
; %bb.428:
	s_cmp_gt_i32 s9, 1
	s_cbranch_scc0 .LBB19_433
; %bb.429:
	s_cmp_eq_u32 s9, 2
	s_cbranch_scc0 .LBB19_545
; %bb.430:
	v_cmp_le_i16_sdwa s[6:7], sext(v11), s46 src0_sel:BYTE_0 src1_sel:DWORD
	s_mov_b64 s[10:11], 0
	s_branch .LBB19_435
.LBB19_431:
	v_cmp_lt_i16_sdwa s[10:11], sext(v12), s46 src0_sel:BYTE_0 src1_sel:DWORD
	s_andn2_b64 s[6:7], s[6:7], exec
	s_and_b64 s[10:11], s[10:11], exec
	s_or_b64 s[6:7], s[6:7], s[10:11]
	s_cbranch_execz .LBB19_424
	s_branch .LBB19_425
.LBB19_432:
                                        ; implicit-def: $sgpr6_sgpr7
	s_mov_b64 s[10:11], 0
	s_cbranch_execnz .LBB19_436
	s_branch .LBB19_437
.LBB19_433:
	s_mov_b64 s[10:11], 0
                                        ; implicit-def: $sgpr6_sgpr7
	s_cbranch_execz .LBB19_435
; %bb.434:
	v_cmp_gt_i16_sdwa s[14:15], sext(v11), s46 src0_sel:BYTE_0 src1_sel:DWORD
	s_andn2_b64 s[6:7], s[6:7], exec
	s_and_b64 s[14:15], s[14:15], exec
	s_or_b64 s[6:7], s[6:7], s[14:15]
.LBB19_435:
	s_branch .LBB19_437
.LBB19_436:
	s_cmp_lg_u32 s9, 0
	s_mov_b64 s[4:5], -1
	s_cselect_b64 s[10:11], -1, 0
.LBB19_437:
	s_andn2_b64 vcc, exec, s[10:11]
	s_cbranch_vccz .LBB19_446
; %bb.438:
	s_andn2_b64 vcc, exec, s[4:5]
	s_cbranch_vccnz .LBB19_440
.LBB19_439:
	v_cmp_ge_i16_sdwa s[4:5], sext(v11), s46 src0_sel:BYTE_0 src1_sel:DWORD
	s_andn2_b64 s[6:7], s[6:7], exec
	s_and_b64 s[4:5], s[4:5], exec
	s_or_b64 s[6:7], s[6:7], s[4:5]
.LBB19_440:
	s_movk_i32 s4, 0xff
	v_cndmask_b32_e64 v12, 0, 1, s[6:7]
	v_and_b32_sdwa v11, v2, s4 dst_sel:DWORD dst_unused:UNUSED_PAD src0_sel:WORD_1 src1_sel:DWORD
	v_lshlrev_b16_e32 v12, 8, v12
	v_or_b32_sdwa v11, v11, v12 dst_sel:WORD_1 dst_unused:UNUSED_PAD src0_sel:DWORD src1_sel:DWORD
	s_mov_b32 s4, 0xffff
	v_and_or_b32 v2, v2, s4, v11
.LBB19_441:
	s_or_b64 exec, exec, s[2:3]
	v_or_b32_e32 v11, 0xc00, v0
	v_cmp_gt_i32_e32 vcc, s8, v11
	s_and_saveexec_b64 s[2:3], vcc
	s_cbranch_execz .LBB19_456
; %bb.442:
	s_cmp_lt_i32 s9, 1
	s_mov_b64 s[4:5], 0
	s_cbranch_scc1 .LBB19_447
; %bb.443:
	s_cmp_gt_i32 s9, 1
	s_cbranch_scc0 .LBB19_448
; %bb.444:
	s_cmp_eq_u32 s9, 2
	s_cbranch_scc0 .LBB19_546
; %bb.445:
	v_cmp_le_i16_sdwa s[6:7], sext(v9), s46 src0_sel:BYTE_0 src1_sel:DWORD
	s_mov_b64 s[10:11], 0
	s_branch .LBB19_450
.LBB19_446:
	v_cmp_lt_i16_sdwa s[10:11], sext(v11), s46 src0_sel:BYTE_0 src1_sel:DWORD
	s_andn2_b64 s[6:7], s[6:7], exec
	s_and_b64 s[10:11], s[10:11], exec
	s_or_b64 s[6:7], s[6:7], s[10:11]
	s_cbranch_execz .LBB19_439
	s_branch .LBB19_440
.LBB19_447:
                                        ; implicit-def: $sgpr6_sgpr7
	s_mov_b64 s[10:11], 0
	s_cbranch_execnz .LBB19_451
	s_branch .LBB19_452
.LBB19_448:
	s_mov_b64 s[10:11], 0
                                        ; implicit-def: $sgpr6_sgpr7
	s_cbranch_execz .LBB19_450
; %bb.449:
	v_cmp_gt_i16_sdwa s[14:15], sext(v9), s46 src0_sel:BYTE_0 src1_sel:DWORD
	s_andn2_b64 s[6:7], s[6:7], exec
	s_and_b64 s[14:15], s[14:15], exec
	s_or_b64 s[6:7], s[6:7], s[14:15]
.LBB19_450:
	s_branch .LBB19_452
.LBB19_451:
	s_cmp_lg_u32 s9, 0
	s_mov_b64 s[4:5], -1
	s_cselect_b64 s[10:11], -1, 0
.LBB19_452:
	s_andn2_b64 vcc, exec, s[10:11]
	s_cbranch_vccz .LBB19_461
; %bb.453:
	s_andn2_b64 vcc, exec, s[4:5]
	s_cbranch_vccnz .LBB19_455
.LBB19_454:
	v_cmp_ge_i16_sdwa s[4:5], sext(v9), s46 src0_sel:BYTE_0 src1_sel:DWORD
	s_andn2_b64 s[6:7], s[6:7], exec
	s_and_b64 s[4:5], s[4:5], exec
	s_or_b64 s[6:7], s[6:7], s[4:5]
.LBB19_455:
	v_and_b32_e32 v9, 0xffffff00, v1
	v_cndmask_b32_e64 v11, 0, 1, s[6:7]
	v_or_b32_e32 v9, v11, v9
	v_and_b32_e32 v9, 0xffff, v9
	s_mov_b32 s4, 0xffff0000
	v_and_or_b32 v1, v1, s4, v9
.LBB19_456:
	s_or_b64 exec, exec, s[2:3]
	v_or_b32_e32 v9, 0xd00, v0
	v_cmp_gt_i32_e32 vcc, s8, v9
	s_and_saveexec_b64 s[2:3], vcc
	s_cbranch_execz .LBB19_471
; %bb.457:
	s_cmp_lt_i32 s9, 1
	s_mov_b64 s[4:5], 0
	s_cbranch_scc1 .LBB19_462
; %bb.458:
	s_cmp_gt_i32 s9, 1
	s_cbranch_scc0 .LBB19_463
; %bb.459:
	s_cmp_eq_u32 s9, 2
	s_cbranch_scc0 .LBB19_547
; %bb.460:
	v_cmp_le_i16_sdwa s[6:7], sext(v7), s46 src0_sel:BYTE_0 src1_sel:DWORD
	s_mov_b64 s[10:11], 0
	s_branch .LBB19_465
.LBB19_461:
	v_cmp_lt_i16_sdwa s[10:11], sext(v9), s46 src0_sel:BYTE_0 src1_sel:DWORD
	s_andn2_b64 s[6:7], s[6:7], exec
	s_and_b64 s[10:11], s[10:11], exec
	s_or_b64 s[6:7], s[6:7], s[10:11]
	s_cbranch_execz .LBB19_454
	s_branch .LBB19_455
.LBB19_462:
                                        ; implicit-def: $sgpr6_sgpr7
	s_mov_b64 s[10:11], 0
	s_cbranch_execnz .LBB19_466
	s_branch .LBB19_467
.LBB19_463:
	s_mov_b64 s[10:11], 0
                                        ; implicit-def: $sgpr6_sgpr7
	s_cbranch_execz .LBB19_465
; %bb.464:
	v_cmp_gt_i16_sdwa s[14:15], sext(v7), s46 src0_sel:BYTE_0 src1_sel:DWORD
	s_andn2_b64 s[6:7], s[6:7], exec
	s_and_b64 s[14:15], s[14:15], exec
	s_or_b64 s[6:7], s[6:7], s[14:15]
.LBB19_465:
	s_branch .LBB19_467
.LBB19_466:
	s_cmp_lg_u32 s9, 0
	s_mov_b64 s[4:5], -1
	s_cselect_b64 s[10:11], -1, 0
.LBB19_467:
	s_andn2_b64 vcc, exec, s[10:11]
	s_cbranch_vccz .LBB19_476
; %bb.468:
	s_andn2_b64 vcc, exec, s[4:5]
	s_cbranch_vccnz .LBB19_470
.LBB19_469:
	v_cmp_ge_i16_sdwa s[4:5], sext(v7), s46 src0_sel:BYTE_0 src1_sel:DWORD
	s_andn2_b64 s[6:7], s[6:7], exec
	s_and_b64 s[4:5], s[4:5], exec
	s_or_b64 s[6:7], s[6:7], s[4:5]
.LBB19_470:
	v_cndmask_b32_e64 v7, 0, 1, s[6:7]
	v_lshlrev_b16_e32 v7, 8, v7
	v_or_b32_sdwa v7, v1, v7 dst_sel:DWORD dst_unused:UNUSED_PAD src0_sel:BYTE_0 src1_sel:DWORD
	v_and_b32_e32 v7, 0xffff, v7
	s_mov_b32 s4, 0xffff0000
	v_and_or_b32 v1, v1, s4, v7
.LBB19_471:
	s_or_b64 exec, exec, s[2:3]
	v_or_b32_e32 v7, 0xe00, v0
	v_cmp_gt_i32_e32 vcc, s8, v7
	s_and_saveexec_b64 s[2:3], vcc
	s_cbranch_execz .LBB19_486
; %bb.472:
	s_cmp_lt_i32 s9, 1
	s_mov_b64 s[4:5], 0
	s_cbranch_scc1 .LBB19_477
; %bb.473:
	s_cmp_gt_i32 s9, 1
	s_cbranch_scc0 .LBB19_478
; %bb.474:
	s_cmp_eq_u32 s9, 2
	s_cbranch_scc0 .LBB19_548
; %bb.475:
	v_cmp_le_i16_sdwa s[6:7], sext(v6), s46 src0_sel:BYTE_0 src1_sel:DWORD
	s_mov_b64 s[10:11], 0
	s_branch .LBB19_480
.LBB19_476:
	v_cmp_lt_i16_sdwa s[10:11], sext(v7), s46 src0_sel:BYTE_0 src1_sel:DWORD
	s_andn2_b64 s[6:7], s[6:7], exec
	s_and_b64 s[10:11], s[10:11], exec
	s_or_b64 s[6:7], s[6:7], s[10:11]
	s_cbranch_execz .LBB19_469
	s_branch .LBB19_470
.LBB19_477:
                                        ; implicit-def: $sgpr6_sgpr7
	s_mov_b64 s[10:11], 0
	s_cbranch_execnz .LBB19_481
	s_branch .LBB19_482
.LBB19_478:
	s_mov_b64 s[10:11], 0
                                        ; implicit-def: $sgpr6_sgpr7
	s_cbranch_execz .LBB19_480
; %bb.479:
	v_cmp_gt_i16_sdwa s[14:15], sext(v6), s46 src0_sel:BYTE_0 src1_sel:DWORD
	s_andn2_b64 s[6:7], s[6:7], exec
	s_and_b64 s[14:15], s[14:15], exec
	s_or_b64 s[6:7], s[6:7], s[14:15]
.LBB19_480:
	s_branch .LBB19_482
.LBB19_481:
	s_cmp_lg_u32 s9, 0
	s_mov_b64 s[4:5], -1
	s_cselect_b64 s[10:11], -1, 0
.LBB19_482:
	s_andn2_b64 vcc, exec, s[10:11]
	s_cbranch_vccz .LBB19_491
; %bb.483:
	s_andn2_b64 vcc, exec, s[4:5]
	s_cbranch_vccnz .LBB19_485
.LBB19_484:
	v_cmp_ge_i16_sdwa s[4:5], sext(v6), s46 src0_sel:BYTE_0 src1_sel:DWORD
	s_andn2_b64 s[6:7], s[6:7], exec
	s_and_b64 s[4:5], s[4:5], exec
	s_or_b64 s[6:7], s[6:7], s[4:5]
.LBB19_485:
	s_movk_i32 s4, 0xff00
	v_and_b32_sdwa v6, v1, s4 dst_sel:DWORD dst_unused:UNUSED_PAD src0_sel:WORD_1 src1_sel:DWORD
	v_cndmask_b32_e64 v7, 0, 1, s[6:7]
	v_or_b32_sdwa v6, v7, v6 dst_sel:WORD_1 dst_unused:UNUSED_PAD src0_sel:DWORD src1_sel:DWORD
	s_mov_b32 s4, 0xffff
	v_and_or_b32 v1, v1, s4, v6
.LBB19_486:
	s_or_b64 exec, exec, s[2:3]
	v_or_b32_e32 v6, 0xf00, v0
	v_cmp_gt_i32_e32 vcc, s8, v6
	s_and_saveexec_b64 s[2:3], vcc
	s_cbranch_execz .LBB19_501
; %bb.487:
	s_cmp_lt_i32 s9, 1
	s_mov_b64 s[4:5], 0
	s_cbranch_scc1 .LBB19_492
; %bb.488:
	s_cmp_gt_i32 s9, 1
	s_cbranch_scc0 .LBB19_493
; %bb.489:
	s_cmp_eq_u32 s9, 2
	s_cbranch_scc0 .LBB19_549
; %bb.490:
	v_cmp_le_i16_sdwa s[6:7], sext(v5), s46 src0_sel:BYTE_0 src1_sel:DWORD
	s_mov_b64 s[10:11], 0
	s_branch .LBB19_495
.LBB19_491:
	v_cmp_lt_i16_sdwa s[10:11], sext(v6), s46 src0_sel:BYTE_0 src1_sel:DWORD
	s_andn2_b64 s[6:7], s[6:7], exec
	s_and_b64 s[10:11], s[10:11], exec
	s_or_b64 s[6:7], s[6:7], s[10:11]
	s_cbranch_execz .LBB19_484
	s_branch .LBB19_485
.LBB19_492:
                                        ; implicit-def: $sgpr6_sgpr7
	s_mov_b64 s[10:11], 0
	s_cbranch_execnz .LBB19_496
	s_branch .LBB19_497
.LBB19_493:
	s_mov_b64 s[10:11], 0
                                        ; implicit-def: $sgpr6_sgpr7
	s_cbranch_execz .LBB19_495
; %bb.494:
	v_cmp_gt_i16_sdwa s[14:15], sext(v5), s46 src0_sel:BYTE_0 src1_sel:DWORD
	s_andn2_b64 s[6:7], s[6:7], exec
	s_and_b64 s[14:15], s[14:15], exec
	s_or_b64 s[6:7], s[6:7], s[14:15]
.LBB19_495:
	s_branch .LBB19_497
.LBB19_496:
	s_cmp_lg_u32 s9, 0
	s_mov_b64 s[4:5], -1
	s_cselect_b64 s[10:11], -1, 0
.LBB19_497:
	s_andn2_b64 vcc, exec, s[10:11]
	s_cbranch_vccz .LBB19_534
; %bb.498:
	s_andn2_b64 vcc, exec, s[4:5]
	s_cbranch_vccnz .LBB19_500
.LBB19_499:
	v_cmp_ge_i16_sdwa s[4:5], sext(v5), s46 src0_sel:BYTE_0 src1_sel:DWORD
	s_andn2_b64 s[6:7], s[6:7], exec
	s_and_b64 s[4:5], s[4:5], exec
	s_or_b64 s[6:7], s[6:7], s[4:5]
.LBB19_500:
	s_movk_i32 s4, 0xff
	v_cndmask_b32_e64 v6, 0, 1, s[6:7]
	v_and_b32_sdwa v5, v1, s4 dst_sel:DWORD dst_unused:UNUSED_PAD src0_sel:WORD_1 src1_sel:DWORD
	v_lshlrev_b16_e32 v6, 8, v6
	v_or_b32_sdwa v5, v5, v6 dst_sel:WORD_1 dst_unused:UNUSED_PAD src0_sel:DWORD src1_sel:DWORD
	s_mov_b32 s4, 0xffff
	v_and_or_b32 v1, v1, s4, v5
.LBB19_501:
	s_or_b64 exec, exec, s[2:3]
	s_and_saveexec_b64 s[2:3], s[0:1]
	s_xor_b64 s[0:1], exec, s[2:3]
	s_cbranch_execz .LBB19_503
; %bb.502:
	v_mov_b32_e32 v0, v10
	global_store_byte v3, v4, s[12:13]
.LBB19_503:
	s_or_b64 exec, exec, s[0:1]
	v_cmp_gt_i32_e32 vcc, s8, v0
	s_and_saveexec_b64 s[0:1], vcc
	s_cbranch_execnz .LBB19_520
; %bb.504:
	s_or_b64 exec, exec, s[0:1]
	v_cmp_gt_i32_e32 vcc, s8, v0
	s_and_saveexec_b64 s[0:1], vcc
	s_cbranch_execnz .LBB19_521
.LBB19_505:
	s_or_b64 exec, exec, s[0:1]
	v_cmp_gt_i32_e32 vcc, s8, v0
	s_and_saveexec_b64 s[0:1], vcc
	s_cbranch_execnz .LBB19_522
.LBB19_506:
	s_or_b64 exec, exec, s[0:1]
	v_cmp_gt_i32_e32 vcc, s8, v0
	s_and_saveexec_b64 s[0:1], vcc
	s_cbranch_execnz .LBB19_523
.LBB19_507:
	s_or_b64 exec, exec, s[0:1]
	v_cmp_gt_i32_e32 vcc, s8, v0
	s_and_saveexec_b64 s[0:1], vcc
	s_cbranch_execnz .LBB19_524
.LBB19_508:
	s_or_b64 exec, exec, s[0:1]
	v_cmp_gt_i32_e32 vcc, s8, v0
	s_and_saveexec_b64 s[0:1], vcc
	s_cbranch_execnz .LBB19_525
.LBB19_509:
	s_or_b64 exec, exec, s[0:1]
	v_cmp_gt_i32_e32 vcc, s8, v0
	s_and_saveexec_b64 s[0:1], vcc
	s_cbranch_execnz .LBB19_526
.LBB19_510:
	s_or_b64 exec, exec, s[0:1]
	v_cmp_gt_i32_e32 vcc, s8, v0
	s_and_saveexec_b64 s[0:1], vcc
	s_cbranch_execnz .LBB19_527
.LBB19_511:
	s_or_b64 exec, exec, s[0:1]
	v_cmp_gt_i32_e32 vcc, s8, v0
	s_and_saveexec_b64 s[0:1], vcc
	s_cbranch_execnz .LBB19_528
.LBB19_512:
	s_or_b64 exec, exec, s[0:1]
	v_cmp_gt_i32_e32 vcc, s8, v0
	s_and_saveexec_b64 s[0:1], vcc
	s_cbranch_execnz .LBB19_529
.LBB19_513:
	s_or_b64 exec, exec, s[0:1]
	v_cmp_gt_i32_e32 vcc, s8, v0
	s_and_saveexec_b64 s[0:1], vcc
	s_cbranch_execnz .LBB19_530
.LBB19_514:
	s_or_b64 exec, exec, s[0:1]
	v_cmp_gt_i32_e32 vcc, s8, v0
	s_and_saveexec_b64 s[0:1], vcc
	s_cbranch_execnz .LBB19_531
.LBB19_515:
	s_or_b64 exec, exec, s[0:1]
	v_cmp_gt_i32_e32 vcc, s8, v0
	s_and_saveexec_b64 s[0:1], vcc
	s_cbranch_execnz .LBB19_532
.LBB19_516:
	s_or_b64 exec, exec, s[0:1]
	v_cmp_gt_i32_e32 vcc, s8, v0
	s_and_saveexec_b64 s[0:1], vcc
	s_cbranch_execnz .LBB19_533
.LBB19_517:
	s_or_b64 exec, exec, s[0:1]
	v_cmp_gt_i32_e32 vcc, s8, v0
	s_and_saveexec_b64 s[0:1], vcc
	s_cbranch_execz .LBB19_519
.LBB19_518:
	v_lshrrev_b32_e32 v1, 24, v1
	v_add_u32_e32 v0, s33, v0
	global_store_byte v0, v1, s[12:13]
.LBB19_519:
	s_endpgm
.LBB19_520:
	v_lshrrev_b32_e32 v3, 8, v4
	v_add_u32_e32 v5, s33, v0
	v_add_u32_e32 v0, 0x100, v0
	global_store_byte v5, v3, s[12:13]
	s_or_b64 exec, exec, s[0:1]
	v_cmp_gt_i32_e32 vcc, s8, v0
	s_and_saveexec_b64 s[0:1], vcc
	s_cbranch_execz .LBB19_505
.LBB19_521:
	v_add_u32_e32 v3, s33, v0
	v_add_u32_e32 v0, 0x100, v0
	global_store_byte_d16_hi v3, v4, s[12:13]
	s_or_b64 exec, exec, s[0:1]
	v_cmp_gt_i32_e32 vcc, s8, v0
	s_and_saveexec_b64 s[0:1], vcc
	s_cbranch_execz .LBB19_506
.LBB19_522:
	v_lshrrev_b32_e32 v3, 24, v4
	v_add_u32_e32 v4, s33, v0
	v_add_u32_e32 v0, 0x100, v0
	global_store_byte v4, v3, s[12:13]
	s_or_b64 exec, exec, s[0:1]
	v_cmp_gt_i32_e32 vcc, s8, v0
	s_and_saveexec_b64 s[0:1], vcc
	s_cbranch_execz .LBB19_507
.LBB19_523:
	v_add_u32_e32 v3, s33, v0
	v_add_u32_e32 v0, 0x100, v0
	global_store_byte v3, v8, s[12:13]
	s_or_b64 exec, exec, s[0:1]
	v_cmp_gt_i32_e32 vcc, s8, v0
	s_and_saveexec_b64 s[0:1], vcc
	s_cbranch_execz .LBB19_508
.LBB19_524:
	v_lshrrev_b32_e32 v3, 8, v8
	v_add_u32_e32 v4, s33, v0
	v_add_u32_e32 v0, 0x100, v0
	global_store_byte v4, v3, s[12:13]
	s_or_b64 exec, exec, s[0:1]
	v_cmp_gt_i32_e32 vcc, s8, v0
	s_and_saveexec_b64 s[0:1], vcc
	s_cbranch_execz .LBB19_509
.LBB19_525:
	v_add_u32_e32 v3, s33, v0
	v_add_u32_e32 v0, 0x100, v0
	global_store_byte_d16_hi v3, v8, s[12:13]
	s_or_b64 exec, exec, s[0:1]
	v_cmp_gt_i32_e32 vcc, s8, v0
	s_and_saveexec_b64 s[0:1], vcc
	s_cbranch_execz .LBB19_510
.LBB19_526:
	v_lshrrev_b32_e32 v3, 24, v8
	v_add_u32_e32 v4, s33, v0
	v_add_u32_e32 v0, 0x100, v0
	global_store_byte v4, v3, s[12:13]
	s_or_b64 exec, exec, s[0:1]
	v_cmp_gt_i32_e32 vcc, s8, v0
	s_and_saveexec_b64 s[0:1], vcc
	s_cbranch_execz .LBB19_511
.LBB19_527:
	v_add_u32_e32 v3, s33, v0
	v_add_u32_e32 v0, 0x100, v0
	global_store_byte v3, v2, s[12:13]
	s_or_b64 exec, exec, s[0:1]
	v_cmp_gt_i32_e32 vcc, s8, v0
	s_and_saveexec_b64 s[0:1], vcc
	s_cbranch_execz .LBB19_512
.LBB19_528:
	v_lshrrev_b32_e32 v3, 8, v2
	v_add_u32_e32 v4, s33, v0
	v_add_u32_e32 v0, 0x100, v0
	global_store_byte v4, v3, s[12:13]
	s_or_b64 exec, exec, s[0:1]
	v_cmp_gt_i32_e32 vcc, s8, v0
	s_and_saveexec_b64 s[0:1], vcc
	s_cbranch_execz .LBB19_513
.LBB19_529:
	v_add_u32_e32 v3, s33, v0
	v_add_u32_e32 v0, 0x100, v0
	global_store_byte_d16_hi v3, v2, s[12:13]
	s_or_b64 exec, exec, s[0:1]
	v_cmp_gt_i32_e32 vcc, s8, v0
	s_and_saveexec_b64 s[0:1], vcc
	s_cbranch_execz .LBB19_514
.LBB19_530:
	v_lshrrev_b32_e32 v2, 24, v2
	v_add_u32_e32 v3, s33, v0
	v_add_u32_e32 v0, 0x100, v0
	global_store_byte v3, v2, s[12:13]
	s_or_b64 exec, exec, s[0:1]
	v_cmp_gt_i32_e32 vcc, s8, v0
	s_and_saveexec_b64 s[0:1], vcc
	s_cbranch_execz .LBB19_515
.LBB19_531:
	v_add_u32_e32 v2, s33, v0
	v_add_u32_e32 v0, 0x100, v0
	global_store_byte v2, v1, s[12:13]
	s_or_b64 exec, exec, s[0:1]
	v_cmp_gt_i32_e32 vcc, s8, v0
	s_and_saveexec_b64 s[0:1], vcc
	s_cbranch_execz .LBB19_516
.LBB19_532:
	v_lshrrev_b32_e32 v2, 8, v1
	v_add_u32_e32 v3, s33, v0
	v_add_u32_e32 v0, 0x100, v0
	global_store_byte v3, v2, s[12:13]
	s_or_b64 exec, exec, s[0:1]
	v_cmp_gt_i32_e32 vcc, s8, v0
	s_and_saveexec_b64 s[0:1], vcc
	s_cbranch_execz .LBB19_517
.LBB19_533:
	v_add_u32_e32 v2, s33, v0
	v_add_u32_e32 v0, 0x100, v0
	global_store_byte_d16_hi v2, v1, s[12:13]
	s_or_b64 exec, exec, s[0:1]
	v_cmp_gt_i32_e32 vcc, s8, v0
	s_and_saveexec_b64 s[0:1], vcc
	s_cbranch_execnz .LBB19_518
	s_branch .LBB19_519
.LBB19_534:
	v_cmp_lt_i16_sdwa s[10:11], sext(v5), s46 src0_sel:BYTE_0 src1_sel:DWORD
	s_andn2_b64 s[6:7], s[6:7], exec
	s_and_b64 s[10:11], s[10:11], exec
	s_or_b64 s[6:7], s[6:7], s[10:11]
	s_cbranch_execz .LBB19_499
	s_branch .LBB19_500
.LBB19_535:
	s_mov_b64 s[10:11], -1
                                        ; implicit-def: $sgpr6_sgpr7
	s_branch .LBB19_285
.LBB19_536:
	s_mov_b64 s[10:11], -1
                                        ; implicit-def: $sgpr6_sgpr7
	s_branch .LBB19_300
.LBB19_537:
	s_mov_b64 s[10:11], -1
                                        ; implicit-def: $sgpr6_sgpr7
	s_branch .LBB19_315
.LBB19_538:
	s_mov_b64 s[10:11], -1
                                        ; implicit-def: $sgpr6_sgpr7
	s_branch .LBB19_330
.LBB19_539:
	s_mov_b64 s[10:11], -1
                                        ; implicit-def: $sgpr6_sgpr7
	s_branch .LBB19_345
.LBB19_540:
	s_mov_b64 s[10:11], -1
                                        ; implicit-def: $sgpr6_sgpr7
	s_branch .LBB19_360
.LBB19_541:
	s_mov_b64 s[10:11], -1
                                        ; implicit-def: $sgpr6_sgpr7
	s_branch .LBB19_375
.LBB19_542:
	s_mov_b64 s[10:11], -1
                                        ; implicit-def: $sgpr6_sgpr7
	s_branch .LBB19_390
.LBB19_543:
	s_mov_b64 s[10:11], -1
                                        ; implicit-def: $sgpr6_sgpr7
	s_branch .LBB19_405
.LBB19_544:
	s_mov_b64 s[10:11], -1
                                        ; implicit-def: $sgpr6_sgpr7
	s_branch .LBB19_420
.LBB19_545:
	s_mov_b64 s[10:11], -1
                                        ; implicit-def: $sgpr6_sgpr7
	s_branch .LBB19_435
.LBB19_546:
	s_mov_b64 s[10:11], -1
                                        ; implicit-def: $sgpr6_sgpr7
	s_branch .LBB19_450
.LBB19_547:
	s_mov_b64 s[10:11], -1
                                        ; implicit-def: $sgpr6_sgpr7
	s_branch .LBB19_465
.LBB19_548:
	s_mov_b64 s[10:11], -1
                                        ; implicit-def: $sgpr6_sgpr7
	s_branch .LBB19_480
.LBB19_549:
	s_mov_b64 s[10:11], -1
                                        ; implicit-def: $sgpr6_sgpr7
	s_branch .LBB19_495
	.section	.rodata,"a",@progbits
	.p2align	6, 0x0
	.amdhsa_kernel _ZN2at6native29vectorized_elementwise_kernelILi2EZNS0_21compare_scalar_kernelIaEEvRNS_18TensorIteratorBaseENS0_12_GLOBAL__N_16OpTypeET_EUlaE_St5arrayIPcLm2EEEEviT0_T1_
		.amdhsa_group_segment_fixed_size 0
		.amdhsa_private_segment_fixed_size 0
		.amdhsa_kernarg_size 32
		.amdhsa_user_sgpr_count 6
		.amdhsa_user_sgpr_private_segment_buffer 1
		.amdhsa_user_sgpr_dispatch_ptr 0
		.amdhsa_user_sgpr_queue_ptr 0
		.amdhsa_user_sgpr_kernarg_segment_ptr 1
		.amdhsa_user_sgpr_dispatch_id 0
		.amdhsa_user_sgpr_flat_scratch_init 0
		.amdhsa_user_sgpr_private_segment_size 0
		.amdhsa_uses_dynamic_stack 0
		.amdhsa_system_sgpr_private_segment_wavefront_offset 0
		.amdhsa_system_sgpr_workgroup_id_x 1
		.amdhsa_system_sgpr_workgroup_id_y 0
		.amdhsa_system_sgpr_workgroup_id_z 0
		.amdhsa_system_sgpr_workgroup_info 0
		.amdhsa_system_vgpr_workitem_id 0
		.amdhsa_next_free_vgpr 22
		.amdhsa_next_free_sgpr 48
		.amdhsa_reserve_vcc 1
		.amdhsa_reserve_flat_scratch 0
		.amdhsa_float_round_mode_32 0
		.amdhsa_float_round_mode_16_64 0
		.amdhsa_float_denorm_mode_32 3
		.amdhsa_float_denorm_mode_16_64 3
		.amdhsa_dx10_clamp 1
		.amdhsa_ieee_mode 1
		.amdhsa_fp16_overflow 0
		.amdhsa_exception_fp_ieee_invalid_op 0
		.amdhsa_exception_fp_denorm_src 0
		.amdhsa_exception_fp_ieee_div_zero 0
		.amdhsa_exception_fp_ieee_overflow 0
		.amdhsa_exception_fp_ieee_underflow 0
		.amdhsa_exception_fp_ieee_inexact 0
		.amdhsa_exception_int_div_zero 0
	.end_amdhsa_kernel
	.section	.text._ZN2at6native29vectorized_elementwise_kernelILi2EZNS0_21compare_scalar_kernelIaEEvRNS_18TensorIteratorBaseENS0_12_GLOBAL__N_16OpTypeET_EUlaE_St5arrayIPcLm2EEEEviT0_T1_,"axG",@progbits,_ZN2at6native29vectorized_elementwise_kernelILi2EZNS0_21compare_scalar_kernelIaEEvRNS_18TensorIteratorBaseENS0_12_GLOBAL__N_16OpTypeET_EUlaE_St5arrayIPcLm2EEEEviT0_T1_,comdat
.Lfunc_end19:
	.size	_ZN2at6native29vectorized_elementwise_kernelILi2EZNS0_21compare_scalar_kernelIaEEvRNS_18TensorIteratorBaseENS0_12_GLOBAL__N_16OpTypeET_EUlaE_St5arrayIPcLm2EEEEviT0_T1_, .Lfunc_end19-_ZN2at6native29vectorized_elementwise_kernelILi2EZNS0_21compare_scalar_kernelIaEEvRNS_18TensorIteratorBaseENS0_12_GLOBAL__N_16OpTypeET_EUlaE_St5arrayIPcLm2EEEEviT0_T1_
                                        ; -- End function
	.set _ZN2at6native29vectorized_elementwise_kernelILi2EZNS0_21compare_scalar_kernelIaEEvRNS_18TensorIteratorBaseENS0_12_GLOBAL__N_16OpTypeET_EUlaE_St5arrayIPcLm2EEEEviT0_T1_.num_vgpr, 22
	.set _ZN2at6native29vectorized_elementwise_kernelILi2EZNS0_21compare_scalar_kernelIaEEvRNS_18TensorIteratorBaseENS0_12_GLOBAL__N_16OpTypeET_EUlaE_St5arrayIPcLm2EEEEviT0_T1_.num_agpr, 0
	.set _ZN2at6native29vectorized_elementwise_kernelILi2EZNS0_21compare_scalar_kernelIaEEvRNS_18TensorIteratorBaseENS0_12_GLOBAL__N_16OpTypeET_EUlaE_St5arrayIPcLm2EEEEviT0_T1_.numbered_sgpr, 48
	.set _ZN2at6native29vectorized_elementwise_kernelILi2EZNS0_21compare_scalar_kernelIaEEvRNS_18TensorIteratorBaseENS0_12_GLOBAL__N_16OpTypeET_EUlaE_St5arrayIPcLm2EEEEviT0_T1_.num_named_barrier, 0
	.set _ZN2at6native29vectorized_elementwise_kernelILi2EZNS0_21compare_scalar_kernelIaEEvRNS_18TensorIteratorBaseENS0_12_GLOBAL__N_16OpTypeET_EUlaE_St5arrayIPcLm2EEEEviT0_T1_.private_seg_size, 0
	.set _ZN2at6native29vectorized_elementwise_kernelILi2EZNS0_21compare_scalar_kernelIaEEvRNS_18TensorIteratorBaseENS0_12_GLOBAL__N_16OpTypeET_EUlaE_St5arrayIPcLm2EEEEviT0_T1_.uses_vcc, 1
	.set _ZN2at6native29vectorized_elementwise_kernelILi2EZNS0_21compare_scalar_kernelIaEEvRNS_18TensorIteratorBaseENS0_12_GLOBAL__N_16OpTypeET_EUlaE_St5arrayIPcLm2EEEEviT0_T1_.uses_flat_scratch, 0
	.set _ZN2at6native29vectorized_elementwise_kernelILi2EZNS0_21compare_scalar_kernelIaEEvRNS_18TensorIteratorBaseENS0_12_GLOBAL__N_16OpTypeET_EUlaE_St5arrayIPcLm2EEEEviT0_T1_.has_dyn_sized_stack, 0
	.set _ZN2at6native29vectorized_elementwise_kernelILi2EZNS0_21compare_scalar_kernelIaEEvRNS_18TensorIteratorBaseENS0_12_GLOBAL__N_16OpTypeET_EUlaE_St5arrayIPcLm2EEEEviT0_T1_.has_recursion, 0
	.set _ZN2at6native29vectorized_elementwise_kernelILi2EZNS0_21compare_scalar_kernelIaEEvRNS_18TensorIteratorBaseENS0_12_GLOBAL__N_16OpTypeET_EUlaE_St5arrayIPcLm2EEEEviT0_T1_.has_indirect_call, 0
	.section	.AMDGPU.csdata,"",@progbits
; Kernel info:
; codeLenInByte = 9292
; TotalNumSgprs: 52
; NumVgprs: 22
; ScratchSize: 0
; MemoryBound: 0
; FloatMode: 240
; IeeeMode: 1
; LDSByteSize: 0 bytes/workgroup (compile time only)
; SGPRBlocks: 6
; VGPRBlocks: 5
; NumSGPRsForWavesPerEU: 52
; NumVGPRsForWavesPerEU: 22
; Occupancy: 10
; WaveLimiterHint : 1
; COMPUTE_PGM_RSRC2:SCRATCH_EN: 0
; COMPUTE_PGM_RSRC2:USER_SGPR: 6
; COMPUTE_PGM_RSRC2:TRAP_HANDLER: 0
; COMPUTE_PGM_RSRC2:TGID_X_EN: 1
; COMPUTE_PGM_RSRC2:TGID_Y_EN: 0
; COMPUTE_PGM_RSRC2:TGID_Z_EN: 0
; COMPUTE_PGM_RSRC2:TIDIG_COMP_CNT: 0
	.section	.text._ZN2at6native27unrolled_elementwise_kernelIZNS0_21compare_scalar_kernelIaEEvRNS_18TensorIteratorBaseENS0_12_GLOBAL__N_16OpTypeET_EUlaE_St5arrayIPcLm2EELi4E23TrivialOffsetCalculatorILi1EjESD_NS0_6memory15LoadWithoutCastENSE_16StoreWithoutCastEEEviS7_T0_T2_T3_T4_T5_,"axG",@progbits,_ZN2at6native27unrolled_elementwise_kernelIZNS0_21compare_scalar_kernelIaEEvRNS_18TensorIteratorBaseENS0_12_GLOBAL__N_16OpTypeET_EUlaE_St5arrayIPcLm2EELi4E23TrivialOffsetCalculatorILi1EjESD_NS0_6memory15LoadWithoutCastENSE_16StoreWithoutCastEEEviS7_T0_T2_T3_T4_T5_,comdat
	.globl	_ZN2at6native27unrolled_elementwise_kernelIZNS0_21compare_scalar_kernelIaEEvRNS_18TensorIteratorBaseENS0_12_GLOBAL__N_16OpTypeET_EUlaE_St5arrayIPcLm2EELi4E23TrivialOffsetCalculatorILi1EjESD_NS0_6memory15LoadWithoutCastENSE_16StoreWithoutCastEEEviS7_T0_T2_T3_T4_T5_ ; -- Begin function _ZN2at6native27unrolled_elementwise_kernelIZNS0_21compare_scalar_kernelIaEEvRNS_18TensorIteratorBaseENS0_12_GLOBAL__N_16OpTypeET_EUlaE_St5arrayIPcLm2EELi4E23TrivialOffsetCalculatorILi1EjESD_NS0_6memory15LoadWithoutCastENSE_16StoreWithoutCastEEEviS7_T0_T2_T3_T4_T5_
	.p2align	8
	.type	_ZN2at6native27unrolled_elementwise_kernelIZNS0_21compare_scalar_kernelIaEEvRNS_18TensorIteratorBaseENS0_12_GLOBAL__N_16OpTypeET_EUlaE_St5arrayIPcLm2EELi4E23TrivialOffsetCalculatorILi1EjESD_NS0_6memory15LoadWithoutCastENSE_16StoreWithoutCastEEEviS7_T0_T2_T3_T4_T5_,@function
_ZN2at6native27unrolled_elementwise_kernelIZNS0_21compare_scalar_kernelIaEEvRNS_18TensorIteratorBaseENS0_12_GLOBAL__N_16OpTypeET_EUlaE_St5arrayIPcLm2EELi4E23TrivialOffsetCalculatorILi1EjESD_NS0_6memory15LoadWithoutCastENSE_16StoreWithoutCastEEEviS7_T0_T2_T3_T4_T5_: ; @_ZN2at6native27unrolled_elementwise_kernelIZNS0_21compare_scalar_kernelIaEEvRNS_18TensorIteratorBaseENS0_12_GLOBAL__N_16OpTypeET_EUlaE_St5arrayIPcLm2EELi4E23TrivialOffsetCalculatorILi1EjESD_NS0_6memory15LoadWithoutCastENSE_16StoreWithoutCastEEEviS7_T0_T2_T3_T4_T5_
; %bb.0:
	s_load_dwordx8 s[8:15], s[4:5], 0x0
	s_lshl_b32 s18, s6, 10
	v_mov_b32_e32 v3, 0
	v_or_b32_e32 v1, s18, v0
	v_mov_b32_e32 v2, 0
	s_waitcnt lgkmcnt(0)
	s_sub_i32 s8, s8, s18
	v_cmp_gt_i32_e64 s[0:1], s8, v0
	v_mov_b32_e32 v4, 0
	v_mov_b32_e32 v6, 0
	v_mov_b32_e32 v5, 0
	s_and_saveexec_b64 s[2:3], s[0:1]
	s_cbranch_execz .LBB20_8
; %bb.1:
	global_load_ubyte v5, v1, s[14:15]
	v_or_b32_e32 v7, 0x100, v0
	v_cmp_gt_u32_e32 vcc, s8, v7
	v_mov_b32_e32 v6, 0
	v_mov_b32_e32 v4, 0
	;; [unrolled: 1-line block ×3, first 2 shown]
	s_and_saveexec_b64 s[4:5], vcc
	s_cbranch_execz .LBB20_7
; %bb.2:
	v_add_u32_e32 v2, s18, v7
	global_load_ubyte v6, v2, s[14:15]
	v_or_b32_e32 v7, 0x200, v0
	v_cmp_gt_u32_e32 vcc, s8, v7
	v_mov_b32_e32 v4, 0
	v_mov_b32_e32 v2, 0
	s_and_saveexec_b64 s[6:7], vcc
	s_cbranch_execz .LBB20_6
; %bb.3:
	v_add_u32_e32 v2, s18, v7
	global_load_ubyte v4, v2, s[14:15]
	v_or_b32_e32 v7, 0x300, v0
	v_cmp_gt_u32_e32 vcc, s8, v7
	v_mov_b32_e32 v2, 0
	s_and_saveexec_b64 s[16:17], vcc
	s_cbranch_execz .LBB20_5
; %bb.4:
	v_add_u32_e32 v2, s18, v7
	global_load_ubyte v2, v2, s[14:15]
.LBB20_5:
	s_or_b64 exec, exec, s[16:17]
.LBB20_6:
	s_or_b64 exec, exec, s[6:7]
.LBB20_7:
	s_or_b64 exec, exec, s[4:5]
.LBB20_8:
	s_or_b64 exec, exec, s[2:3]
	s_bfe_i32 s16, s10, 0x80000
	s_and_saveexec_b64 s[2:3], s[0:1]
	s_cbranch_execz .LBB20_24
; %bb.9:
	s_cmp_lt_i32 s9, 1
	s_mov_b64 s[4:5], 0
	s_cbranch_scc1 .LBB20_13
; %bb.10:
	s_cmp_gt_i32 s9, 1
	s_cbranch_scc0 .LBB20_14
; %bb.11:
	s_cmp_eq_u32 s9, 2
	s_cbranch_scc0 .LBB20_15
; %bb.12:
	s_waitcnt vmcnt(0)
	v_cmp_le_i16_sdwa s[6:7], sext(v5), s16 src0_sel:BYTE_0 src1_sel:DWORD
	s_mov_b64 s[10:11], 0
	s_branch .LBB20_16
.LBB20_13:
                                        ; implicit-def: $sgpr6_sgpr7
	s_mov_b64 s[10:11], 0
	s_cbranch_execnz .LBB20_19
	s_branch .LBB20_20
.LBB20_14:
	s_mov_b64 s[10:11], 0
                                        ; implicit-def: $sgpr6_sgpr7
	s_cbranch_execnz .LBB20_17
	s_branch .LBB20_18
.LBB20_15:
	s_mov_b64 s[10:11], -1
                                        ; implicit-def: $sgpr6_sgpr7
.LBB20_16:
	s_branch .LBB20_18
.LBB20_17:
	s_waitcnt vmcnt(0)
	v_cmp_gt_i16_sdwa s[14:15], sext(v5), s16 src0_sel:BYTE_0 src1_sel:DWORD
	s_andn2_b64 s[6:7], s[6:7], exec
	s_and_b64 s[14:15], s[14:15], exec
	s_or_b64 s[6:7], s[6:7], s[14:15]
.LBB20_18:
	s_branch .LBB20_20
.LBB20_19:
	s_cmp_lg_u32 s9, 0
	s_mov_b64 s[4:5], -1
	s_cselect_b64 s[10:11], -1, 0
.LBB20_20:
	s_andn2_b64 vcc, exec, s[10:11]
	s_cbranch_vccz .LBB20_29
; %bb.21:
	s_andn2_b64 vcc, exec, s[4:5]
	s_cbranch_vccnz .LBB20_23
.LBB20_22:
	s_waitcnt vmcnt(0)
	v_cmp_ge_i16_sdwa s[4:5], sext(v5), s16 src0_sel:BYTE_0 src1_sel:DWORD
	s_andn2_b64 s[6:7], s[6:7], exec
	s_and_b64 s[4:5], s[4:5], exec
	s_or_b64 s[6:7], s[6:7], s[4:5]
.LBB20_23:
	v_cndmask_b32_e64 v3, 0, 1, s[6:7]
.LBB20_24:
	s_or_b64 exec, exec, s[2:3]
	s_waitcnt vmcnt(0)
	v_or_b32_e32 v5, 0x100, v0
	v_cmp_gt_i32_e32 vcc, s8, v5
	s_and_saveexec_b64 s[2:3], vcc
	s_cbranch_execz .LBB20_39
; %bb.25:
	s_cmp_lt_i32 s9, 1
	s_mov_b64 s[4:5], 0
	s_cbranch_scc1 .LBB20_30
; %bb.26:
	s_cmp_gt_i32 s9, 1
	s_cbranch_scc0 .LBB20_31
; %bb.27:
	s_cmp_eq_u32 s9, 2
	s_cbranch_scc0 .LBB20_79
; %bb.28:
	v_cmp_le_i16_sdwa s[6:7], sext(v6), s16 src0_sel:BYTE_0 src1_sel:DWORD
	s_mov_b64 s[10:11], 0
	s_branch .LBB20_33
.LBB20_29:
	s_waitcnt vmcnt(0)
	v_cmp_lt_i16_sdwa s[10:11], sext(v5), s16 src0_sel:BYTE_0 src1_sel:DWORD
	s_andn2_b64 s[6:7], s[6:7], exec
	s_and_b64 s[10:11], s[10:11], exec
	s_or_b64 s[6:7], s[6:7], s[10:11]
	s_cbranch_execz .LBB20_22
	s_branch .LBB20_23
.LBB20_30:
                                        ; implicit-def: $sgpr6_sgpr7
	s_mov_b64 s[10:11], 0
	s_cbranch_execnz .LBB20_34
	s_branch .LBB20_35
.LBB20_31:
	s_mov_b64 s[10:11], 0
                                        ; implicit-def: $sgpr6_sgpr7
	s_cbranch_execz .LBB20_33
; %bb.32:
	v_cmp_gt_i16_sdwa s[14:15], sext(v6), s16 src0_sel:BYTE_0 src1_sel:DWORD
	s_andn2_b64 s[6:7], s[6:7], exec
	s_and_b64 s[14:15], s[14:15], exec
	s_or_b64 s[6:7], s[6:7], s[14:15]
.LBB20_33:
	s_branch .LBB20_35
.LBB20_34:
	s_cmp_lg_u32 s9, 0
	s_mov_b64 s[4:5], -1
	s_cselect_b64 s[10:11], -1, 0
.LBB20_35:
	s_andn2_b64 vcc, exec, s[10:11]
	s_cbranch_vccz .LBB20_44
; %bb.36:
	s_andn2_b64 vcc, exec, s[4:5]
	s_cbranch_vccnz .LBB20_38
.LBB20_37:
	v_cmp_ge_i16_sdwa s[4:5], sext(v6), s16 src0_sel:BYTE_0 src1_sel:DWORD
	s_andn2_b64 s[6:7], s[6:7], exec
	s_and_b64 s[4:5], s[4:5], exec
	s_or_b64 s[6:7], s[6:7], s[4:5]
.LBB20_38:
	v_cndmask_b32_e64 v6, 0, 1, s[6:7]
	v_lshlrev_b16_e32 v6, 8, v6
	v_or_b32_e32 v3, v3, v6
	v_and_b32_e32 v3, 0xffff, v3
.LBB20_39:
	s_or_b64 exec, exec, s[2:3]
	v_or_b32_e32 v6, 0x200, v0
	v_cmp_gt_i32_e32 vcc, s8, v6
	s_and_saveexec_b64 s[2:3], vcc
	s_cbranch_execz .LBB20_54
; %bb.40:
	s_cmp_lt_i32 s9, 1
	s_mov_b64 s[4:5], 0
	s_cbranch_scc1 .LBB20_45
; %bb.41:
	s_cmp_gt_i32 s9, 1
	s_cbranch_scc0 .LBB20_46
; %bb.42:
	s_cmp_eq_u32 s9, 2
	s_cbranch_scc0 .LBB20_80
; %bb.43:
	v_cmp_le_i16_sdwa s[6:7], sext(v4), s16 src0_sel:BYTE_0 src1_sel:DWORD
	s_mov_b64 s[10:11], 0
	s_branch .LBB20_48
.LBB20_44:
	v_cmp_lt_i16_sdwa s[10:11], sext(v6), s16 src0_sel:BYTE_0 src1_sel:DWORD
	s_andn2_b64 s[6:7], s[6:7], exec
	s_and_b64 s[10:11], s[10:11], exec
	s_or_b64 s[6:7], s[6:7], s[10:11]
	s_cbranch_execz .LBB20_37
	s_branch .LBB20_38
.LBB20_45:
                                        ; implicit-def: $sgpr6_sgpr7
	s_mov_b64 s[10:11], 0
	s_cbranch_execnz .LBB20_49
	s_branch .LBB20_50
.LBB20_46:
	s_mov_b64 s[10:11], 0
                                        ; implicit-def: $sgpr6_sgpr7
	s_cbranch_execz .LBB20_48
; %bb.47:
	v_cmp_gt_i16_sdwa s[14:15], sext(v4), s16 src0_sel:BYTE_0 src1_sel:DWORD
	s_andn2_b64 s[6:7], s[6:7], exec
	s_and_b64 s[14:15], s[14:15], exec
	s_or_b64 s[6:7], s[6:7], s[14:15]
.LBB20_48:
	s_branch .LBB20_50
.LBB20_49:
	s_cmp_lg_u32 s9, 0
	s_mov_b64 s[4:5], -1
	s_cselect_b64 s[10:11], -1, 0
.LBB20_50:
	s_andn2_b64 vcc, exec, s[10:11]
	s_cbranch_vccz .LBB20_59
; %bb.51:
	s_andn2_b64 vcc, exec, s[4:5]
	s_cbranch_vccnz .LBB20_53
.LBB20_52:
	v_cmp_ge_i16_sdwa s[4:5], sext(v4), s16 src0_sel:BYTE_0 src1_sel:DWORD
	s_andn2_b64 s[6:7], s[6:7], exec
	s_and_b64 s[4:5], s[4:5], exec
	s_or_b64 s[6:7], s[6:7], s[4:5]
.LBB20_53:
	v_cndmask_b32_e64 v4, 0, 1, s[6:7]
	v_lshl_or_b32 v3, v4, 16, v3
.LBB20_54:
	s_or_b64 exec, exec, s[2:3]
	v_or_b32_e32 v4, 0x300, v0
	v_cmp_gt_i32_e32 vcc, s8, v4
	s_and_saveexec_b64 s[2:3], vcc
	s_cbranch_execz .LBB20_69
; %bb.55:
	s_cmp_lt_i32 s9, 1
	s_mov_b64 s[4:5], 0
	s_cbranch_scc1 .LBB20_60
; %bb.56:
	s_cmp_gt_i32 s9, 1
	s_cbranch_scc0 .LBB20_61
; %bb.57:
	s_cmp_eq_u32 s9, 2
	s_cbranch_scc0 .LBB20_81
; %bb.58:
	v_cmp_le_i16_sdwa s[6:7], sext(v2), s16 src0_sel:BYTE_0 src1_sel:DWORD
	s_mov_b64 s[10:11], 0
	s_branch .LBB20_63
.LBB20_59:
	v_cmp_lt_i16_sdwa s[10:11], sext(v4), s16 src0_sel:BYTE_0 src1_sel:DWORD
	s_andn2_b64 s[6:7], s[6:7], exec
	s_and_b64 s[10:11], s[10:11], exec
	s_or_b64 s[6:7], s[6:7], s[10:11]
	s_cbranch_execz .LBB20_52
	s_branch .LBB20_53
.LBB20_60:
                                        ; implicit-def: $sgpr6_sgpr7
	s_mov_b64 s[10:11], 0
	s_cbranch_execnz .LBB20_64
	s_branch .LBB20_65
.LBB20_61:
	s_mov_b64 s[10:11], 0
                                        ; implicit-def: $sgpr6_sgpr7
	s_cbranch_execz .LBB20_63
; %bb.62:
	v_cmp_gt_i16_sdwa s[14:15], sext(v2), s16 src0_sel:BYTE_0 src1_sel:DWORD
	s_andn2_b64 s[6:7], s[6:7], exec
	s_and_b64 s[14:15], s[14:15], exec
	s_or_b64 s[6:7], s[6:7], s[14:15]
.LBB20_63:
	s_branch .LBB20_65
.LBB20_64:
	s_cmp_lg_u32 s9, 0
	s_mov_b64 s[4:5], -1
	s_cselect_b64 s[10:11], -1, 0
.LBB20_65:
	s_andn2_b64 vcc, exec, s[10:11]
	s_cbranch_vccz .LBB20_78
; %bb.66:
	s_andn2_b64 vcc, exec, s[4:5]
	s_cbranch_vccnz .LBB20_68
.LBB20_67:
	v_cmp_ge_i16_sdwa s[4:5], sext(v2), s16 src0_sel:BYTE_0 src1_sel:DWORD
	s_andn2_b64 s[6:7], s[6:7], exec
	s_and_b64 s[4:5], s[4:5], exec
	s_or_b64 s[6:7], s[6:7], s[4:5]
.LBB20_68:
	v_cndmask_b32_e64 v2, 0, 1, s[6:7]
	v_lshlrev_b16_e32 v2, 8, v2
	v_or_b32_sdwa v2, v3, v2 dst_sel:WORD_1 dst_unused:UNUSED_PAD src0_sel:WORD_1 src1_sel:DWORD
	s_mov_b32 s4, 0xffff
	v_and_or_b32 v3, v3, s4, v2
.LBB20_69:
	s_or_b64 exec, exec, s[2:3]
	s_and_saveexec_b64 s[2:3], s[0:1]
	s_xor_b64 s[0:1], exec, s[2:3]
	s_cbranch_execz .LBB20_71
; %bb.70:
	v_mov_b32_e32 v0, v5
	global_store_byte v1, v3, s[12:13]
.LBB20_71:
	s_or_b64 exec, exec, s[0:1]
	v_cmp_gt_i32_e32 vcc, s8, v0
	s_and_saveexec_b64 s[0:1], vcc
	s_cbranch_execnz .LBB20_75
; %bb.72:
	s_or_b64 exec, exec, s[0:1]
	v_cmp_gt_i32_e32 vcc, s8, v0
	s_and_saveexec_b64 s[0:1], vcc
	s_cbranch_execnz .LBB20_76
.LBB20_73:
	s_or_b64 exec, exec, s[0:1]
	v_cmp_gt_i32_e32 vcc, s8, v0
	s_and_saveexec_b64 s[0:1], vcc
	s_cbranch_execnz .LBB20_77
.LBB20_74:
	s_endpgm
.LBB20_75:
	v_add_u32_e32 v1, 0x100, v0
	v_add_u32_e32 v0, s18, v0
	v_lshrrev_b32_e32 v2, 8, v3
	global_store_byte v0, v2, s[12:13]
	v_mov_b32_e32 v0, v1
	s_or_b64 exec, exec, s[0:1]
	v_cmp_gt_i32_e32 vcc, s8, v0
	s_and_saveexec_b64 s[0:1], vcc
	s_cbranch_execz .LBB20_73
.LBB20_76:
	v_add_u32_e32 v1, 0x100, v0
	v_add_u32_e32 v0, s18, v0
	global_store_byte_d16_hi v0, v3, s[12:13]
	v_mov_b32_e32 v0, v1
	s_or_b64 exec, exec, s[0:1]
	v_cmp_gt_i32_e32 vcc, s8, v0
	s_and_saveexec_b64 s[0:1], vcc
	s_cbranch_execz .LBB20_74
.LBB20_77:
	v_add_u32_e32 v0, s18, v0
	v_lshrrev_b32_e32 v1, 24, v3
	global_store_byte v0, v1, s[12:13]
	s_endpgm
.LBB20_78:
	v_cmp_lt_i16_sdwa s[10:11], sext(v2), s16 src0_sel:BYTE_0 src1_sel:DWORD
	s_andn2_b64 s[6:7], s[6:7], exec
	s_and_b64 s[10:11], s[10:11], exec
	s_or_b64 s[6:7], s[6:7], s[10:11]
	s_cbranch_execz .LBB20_67
	s_branch .LBB20_68
.LBB20_79:
	s_mov_b64 s[10:11], -1
                                        ; implicit-def: $sgpr6_sgpr7
	s_branch .LBB20_33
.LBB20_80:
	s_mov_b64 s[10:11], -1
                                        ; implicit-def: $sgpr6_sgpr7
	s_branch .LBB20_48
.LBB20_81:
	s_mov_b64 s[10:11], -1
                                        ; implicit-def: $sgpr6_sgpr7
	s_branch .LBB20_63
	.section	.rodata,"a",@progbits
	.p2align	6, 0x0
	.amdhsa_kernel _ZN2at6native27unrolled_elementwise_kernelIZNS0_21compare_scalar_kernelIaEEvRNS_18TensorIteratorBaseENS0_12_GLOBAL__N_16OpTypeET_EUlaE_St5arrayIPcLm2EELi4E23TrivialOffsetCalculatorILi1EjESD_NS0_6memory15LoadWithoutCastENSE_16StoreWithoutCastEEEviS7_T0_T2_T3_T4_T5_
		.amdhsa_group_segment_fixed_size 0
		.amdhsa_private_segment_fixed_size 0
		.amdhsa_kernarg_size 36
		.amdhsa_user_sgpr_count 6
		.amdhsa_user_sgpr_private_segment_buffer 1
		.amdhsa_user_sgpr_dispatch_ptr 0
		.amdhsa_user_sgpr_queue_ptr 0
		.amdhsa_user_sgpr_kernarg_segment_ptr 1
		.amdhsa_user_sgpr_dispatch_id 0
		.amdhsa_user_sgpr_flat_scratch_init 0
		.amdhsa_user_sgpr_private_segment_size 0
		.amdhsa_uses_dynamic_stack 0
		.amdhsa_system_sgpr_private_segment_wavefront_offset 0
		.amdhsa_system_sgpr_workgroup_id_x 1
		.amdhsa_system_sgpr_workgroup_id_y 0
		.amdhsa_system_sgpr_workgroup_id_z 0
		.amdhsa_system_sgpr_workgroup_info 0
		.amdhsa_system_vgpr_workitem_id 0
		.amdhsa_next_free_vgpr 8
		.amdhsa_next_free_sgpr 19
		.amdhsa_reserve_vcc 1
		.amdhsa_reserve_flat_scratch 0
		.amdhsa_float_round_mode_32 0
		.amdhsa_float_round_mode_16_64 0
		.amdhsa_float_denorm_mode_32 3
		.amdhsa_float_denorm_mode_16_64 3
		.amdhsa_dx10_clamp 1
		.amdhsa_ieee_mode 1
		.amdhsa_fp16_overflow 0
		.amdhsa_exception_fp_ieee_invalid_op 0
		.amdhsa_exception_fp_denorm_src 0
		.amdhsa_exception_fp_ieee_div_zero 0
		.amdhsa_exception_fp_ieee_overflow 0
		.amdhsa_exception_fp_ieee_underflow 0
		.amdhsa_exception_fp_ieee_inexact 0
		.amdhsa_exception_int_div_zero 0
	.end_amdhsa_kernel
	.section	.text._ZN2at6native27unrolled_elementwise_kernelIZNS0_21compare_scalar_kernelIaEEvRNS_18TensorIteratorBaseENS0_12_GLOBAL__N_16OpTypeET_EUlaE_St5arrayIPcLm2EELi4E23TrivialOffsetCalculatorILi1EjESD_NS0_6memory15LoadWithoutCastENSE_16StoreWithoutCastEEEviS7_T0_T2_T3_T4_T5_,"axG",@progbits,_ZN2at6native27unrolled_elementwise_kernelIZNS0_21compare_scalar_kernelIaEEvRNS_18TensorIteratorBaseENS0_12_GLOBAL__N_16OpTypeET_EUlaE_St5arrayIPcLm2EELi4E23TrivialOffsetCalculatorILi1EjESD_NS0_6memory15LoadWithoutCastENSE_16StoreWithoutCastEEEviS7_T0_T2_T3_T4_T5_,comdat
.Lfunc_end20:
	.size	_ZN2at6native27unrolled_elementwise_kernelIZNS0_21compare_scalar_kernelIaEEvRNS_18TensorIteratorBaseENS0_12_GLOBAL__N_16OpTypeET_EUlaE_St5arrayIPcLm2EELi4E23TrivialOffsetCalculatorILi1EjESD_NS0_6memory15LoadWithoutCastENSE_16StoreWithoutCastEEEviS7_T0_T2_T3_T4_T5_, .Lfunc_end20-_ZN2at6native27unrolled_elementwise_kernelIZNS0_21compare_scalar_kernelIaEEvRNS_18TensorIteratorBaseENS0_12_GLOBAL__N_16OpTypeET_EUlaE_St5arrayIPcLm2EELi4E23TrivialOffsetCalculatorILi1EjESD_NS0_6memory15LoadWithoutCastENSE_16StoreWithoutCastEEEviS7_T0_T2_T3_T4_T5_
                                        ; -- End function
	.set _ZN2at6native27unrolled_elementwise_kernelIZNS0_21compare_scalar_kernelIaEEvRNS_18TensorIteratorBaseENS0_12_GLOBAL__N_16OpTypeET_EUlaE_St5arrayIPcLm2EELi4E23TrivialOffsetCalculatorILi1EjESD_NS0_6memory15LoadWithoutCastENSE_16StoreWithoutCastEEEviS7_T0_T2_T3_T4_T5_.num_vgpr, 8
	.set _ZN2at6native27unrolled_elementwise_kernelIZNS0_21compare_scalar_kernelIaEEvRNS_18TensorIteratorBaseENS0_12_GLOBAL__N_16OpTypeET_EUlaE_St5arrayIPcLm2EELi4E23TrivialOffsetCalculatorILi1EjESD_NS0_6memory15LoadWithoutCastENSE_16StoreWithoutCastEEEviS7_T0_T2_T3_T4_T5_.num_agpr, 0
	.set _ZN2at6native27unrolled_elementwise_kernelIZNS0_21compare_scalar_kernelIaEEvRNS_18TensorIteratorBaseENS0_12_GLOBAL__N_16OpTypeET_EUlaE_St5arrayIPcLm2EELi4E23TrivialOffsetCalculatorILi1EjESD_NS0_6memory15LoadWithoutCastENSE_16StoreWithoutCastEEEviS7_T0_T2_T3_T4_T5_.numbered_sgpr, 19
	.set _ZN2at6native27unrolled_elementwise_kernelIZNS0_21compare_scalar_kernelIaEEvRNS_18TensorIteratorBaseENS0_12_GLOBAL__N_16OpTypeET_EUlaE_St5arrayIPcLm2EELi4E23TrivialOffsetCalculatorILi1EjESD_NS0_6memory15LoadWithoutCastENSE_16StoreWithoutCastEEEviS7_T0_T2_T3_T4_T5_.num_named_barrier, 0
	.set _ZN2at6native27unrolled_elementwise_kernelIZNS0_21compare_scalar_kernelIaEEvRNS_18TensorIteratorBaseENS0_12_GLOBAL__N_16OpTypeET_EUlaE_St5arrayIPcLm2EELi4E23TrivialOffsetCalculatorILi1EjESD_NS0_6memory15LoadWithoutCastENSE_16StoreWithoutCastEEEviS7_T0_T2_T3_T4_T5_.private_seg_size, 0
	.set _ZN2at6native27unrolled_elementwise_kernelIZNS0_21compare_scalar_kernelIaEEvRNS_18TensorIteratorBaseENS0_12_GLOBAL__N_16OpTypeET_EUlaE_St5arrayIPcLm2EELi4E23TrivialOffsetCalculatorILi1EjESD_NS0_6memory15LoadWithoutCastENSE_16StoreWithoutCastEEEviS7_T0_T2_T3_T4_T5_.uses_vcc, 1
	.set _ZN2at6native27unrolled_elementwise_kernelIZNS0_21compare_scalar_kernelIaEEvRNS_18TensorIteratorBaseENS0_12_GLOBAL__N_16OpTypeET_EUlaE_St5arrayIPcLm2EELi4E23TrivialOffsetCalculatorILi1EjESD_NS0_6memory15LoadWithoutCastENSE_16StoreWithoutCastEEEviS7_T0_T2_T3_T4_T5_.uses_flat_scratch, 0
	.set _ZN2at6native27unrolled_elementwise_kernelIZNS0_21compare_scalar_kernelIaEEvRNS_18TensorIteratorBaseENS0_12_GLOBAL__N_16OpTypeET_EUlaE_St5arrayIPcLm2EELi4E23TrivialOffsetCalculatorILi1EjESD_NS0_6memory15LoadWithoutCastENSE_16StoreWithoutCastEEEviS7_T0_T2_T3_T4_T5_.has_dyn_sized_stack, 0
	.set _ZN2at6native27unrolled_elementwise_kernelIZNS0_21compare_scalar_kernelIaEEvRNS_18TensorIteratorBaseENS0_12_GLOBAL__N_16OpTypeET_EUlaE_St5arrayIPcLm2EELi4E23TrivialOffsetCalculatorILi1EjESD_NS0_6memory15LoadWithoutCastENSE_16StoreWithoutCastEEEviS7_T0_T2_T3_T4_T5_.has_recursion, 0
	.set _ZN2at6native27unrolled_elementwise_kernelIZNS0_21compare_scalar_kernelIaEEvRNS_18TensorIteratorBaseENS0_12_GLOBAL__N_16OpTypeET_EUlaE_St5arrayIPcLm2EELi4E23TrivialOffsetCalculatorILi1EjESD_NS0_6memory15LoadWithoutCastENSE_16StoreWithoutCastEEEviS7_T0_T2_T3_T4_T5_.has_indirect_call, 0
	.section	.AMDGPU.csdata,"",@progbits
; Kernel info:
; codeLenInByte = 1272
; TotalNumSgprs: 23
; NumVgprs: 8
; ScratchSize: 0
; MemoryBound: 0
; FloatMode: 240
; IeeeMode: 1
; LDSByteSize: 0 bytes/workgroup (compile time only)
; SGPRBlocks: 2
; VGPRBlocks: 1
; NumSGPRsForWavesPerEU: 23
; NumVGPRsForWavesPerEU: 8
; Occupancy: 10
; WaveLimiterHint : 0
; COMPUTE_PGM_RSRC2:SCRATCH_EN: 0
; COMPUTE_PGM_RSRC2:USER_SGPR: 6
; COMPUTE_PGM_RSRC2:TRAP_HANDLER: 0
; COMPUTE_PGM_RSRC2:TGID_X_EN: 1
; COMPUTE_PGM_RSRC2:TGID_Y_EN: 0
; COMPUTE_PGM_RSRC2:TGID_Z_EN: 0
; COMPUTE_PGM_RSRC2:TIDIG_COMP_CNT: 0
	.section	.text._ZN2at6native32elementwise_kernel_manual_unrollILi128ELi8EZNS0_22gpu_kernel_impl_nocastIZNS0_21compare_scalar_kernelIaEEvRNS_18TensorIteratorBaseENS0_12_GLOBAL__N_16OpTypeET_EUlaE_EEvS5_RKS8_EUlibE_EEviT1_,"axG",@progbits,_ZN2at6native32elementwise_kernel_manual_unrollILi128ELi8EZNS0_22gpu_kernel_impl_nocastIZNS0_21compare_scalar_kernelIaEEvRNS_18TensorIteratorBaseENS0_12_GLOBAL__N_16OpTypeET_EUlaE_EEvS5_RKS8_EUlibE_EEviT1_,comdat
	.globl	_ZN2at6native32elementwise_kernel_manual_unrollILi128ELi8EZNS0_22gpu_kernel_impl_nocastIZNS0_21compare_scalar_kernelIaEEvRNS_18TensorIteratorBaseENS0_12_GLOBAL__N_16OpTypeET_EUlaE_EEvS5_RKS8_EUlibE_EEviT1_ ; -- Begin function _ZN2at6native32elementwise_kernel_manual_unrollILi128ELi8EZNS0_22gpu_kernel_impl_nocastIZNS0_21compare_scalar_kernelIaEEvRNS_18TensorIteratorBaseENS0_12_GLOBAL__N_16OpTypeET_EUlaE_EEvS5_RKS8_EUlibE_EEviT1_
	.p2align	8
	.type	_ZN2at6native32elementwise_kernel_manual_unrollILi128ELi8EZNS0_22gpu_kernel_impl_nocastIZNS0_21compare_scalar_kernelIaEEvRNS_18TensorIteratorBaseENS0_12_GLOBAL__N_16OpTypeET_EUlaE_EEvS5_RKS8_EUlibE_EEviT1_,@function
_ZN2at6native32elementwise_kernel_manual_unrollILi128ELi8EZNS0_22gpu_kernel_impl_nocastIZNS0_21compare_scalar_kernelIaEEvRNS_18TensorIteratorBaseENS0_12_GLOBAL__N_16OpTypeET_EUlaE_EEvS5_RKS8_EUlibE_EEviT1_: ; @_ZN2at6native32elementwise_kernel_manual_unrollILi128ELi8EZNS0_22gpu_kernel_impl_nocastIZNS0_21compare_scalar_kernelIaEEvRNS_18TensorIteratorBaseENS0_12_GLOBAL__N_16OpTypeET_EUlaE_EEvS5_RKS8_EUlibE_EEviT1_
; %bb.0:
	s_load_dword s57, s[4:5], 0x0
	s_load_dword s33, s[4:5], 0x8
	s_add_u32 s34, s4, 8
	s_addc_u32 s35, s5, 0
	v_lshl_or_b32 v15, s6, 10, v0
	v_or_b32_e32 v22, 0x380, v15
	s_waitcnt lgkmcnt(0)
	s_add_i32 s56, s33, -1
	s_cmp_gt_u32 s56, 1
	v_cmp_le_i32_e32 vcc, s57, v22
	s_cselect_b64 s[36:37], -1, 0
	s_and_saveexec_b64 s[0:1], vcc
	s_xor_b64 s[38:39], exec, s[0:1]
	s_cbranch_execz .LBB21_235
; %bb.1:
	s_cmp_lg_u32 s33, 0
	s_cselect_b64 s[48:49], -1, 0
	s_add_u32 s46, s34, 0xc4
	s_load_dwordx4 s[20:23], s[34:35], 0x4
	s_load_dwordx2 s[42:43], s[34:35], 0x14
	s_load_dwordx2 s[40:41], s[34:35], 0x158
	s_load_dwordx4 s[24:27], s[34:35], 0xc4
	s_load_dwordx4 s[16:19], s[34:35], 0x148
	s_addc_u32 s47, s35, 0
	s_min_u32 s58, s56, 15
	s_cmp_gt_u32 s33, 1
	s_cselect_b64 s[44:45], -1, 0
	s_waitcnt lgkmcnt(0)
	s_sext_i32_i8 s41, s41
	v_cmp_gt_i32_e32 vcc, s57, v15
	s_and_saveexec_b64 s[50:51], vcc
	s_cbranch_execnz .LBB21_9
; %bb.2:
	s_or_b64 exec, exec, s[50:51]
	v_cmp_gt_i32_e32 vcc, s57, v15
	s_and_saveexec_b64 s[50:51], vcc
	s_cbranch_execnz .LBB21_38
.LBB21_3:
	s_or_b64 exec, exec, s[50:51]
	v_cmp_gt_i32_e32 vcc, s57, v15
	s_and_saveexec_b64 s[50:51], vcc
	s_cbranch_execnz .LBB21_66
.LBB21_4:
	s_or_b64 exec, exec, s[50:51]
	v_cmp_gt_i32_e32 vcc, s57, v15
	s_and_saveexec_b64 s[50:51], vcc
	s_cbranch_execnz .LBB21_94
.LBB21_5:
	s_or_b64 exec, exec, s[50:51]
	v_cmp_gt_i32_e32 vcc, s57, v15
	s_and_saveexec_b64 s[50:51], vcc
	s_cbranch_execnz .LBB21_122
.LBB21_6:
	s_or_b64 exec, exec, s[50:51]
	v_cmp_gt_i32_e32 vcc, s57, v15
	s_and_saveexec_b64 s[50:51], vcc
	s_cbranch_execnz .LBB21_150
.LBB21_7:
	s_or_b64 exec, exec, s[50:51]
	v_cmp_gt_i32_e32 vcc, s57, v15
	s_and_saveexec_b64 s[50:51], vcc
	s_cbranch_execnz .LBB21_178
.LBB21_8:
	s_or_b64 exec, exec, s[50:51]
	v_cmp_gt_i32_e32 vcc, s57, v15
	s_and_saveexec_b64 s[50:51], vcc
	s_cbranch_execnz .LBB21_206
	s_branch .LBB21_234
.LBB21_9:
	s_andn2_b64 vcc, exec, s[36:37]
	s_cbranch_vccnz .LBB21_14
; %bb.10:
	s_andn2_b64 vcc, exec, s[48:49]
	s_cbranch_vccnz .LBB21_15
; %bb.11:
	s_add_i32 s60, s58, 1
	s_cmp_eq_u32 s56, 2
	s_cbranch_scc1 .LBB21_16
; %bb.12:
	s_and_b32 s59, s60, 28
	v_mov_b32_e32 v2, 0
	s_mov_b32 s61, 0
	s_mov_b64 s[52:53], s[34:35]
	s_mov_b64 s[54:55], s[46:47]
	v_mov_b32_e32 v0, 0
	v_mov_b32_e32 v1, v15
.LBB21_13:                              ; =>This Inner Loop Header: Depth=1
	s_load_dwordx8 s[8:15], s[52:53], 0x4
	s_load_dwordx4 s[28:31], s[52:53], 0x24
	s_load_dwordx8 s[0:7], s[54:55], 0x0
	s_add_u32 s52, s52, 48
	s_addc_u32 s53, s53, 0
	s_waitcnt lgkmcnt(0)
	v_mul_hi_u32 v3, s9, v1
	s_add_i32 s61, s61, 4
	s_add_u32 s54, s54, 32
	s_addc_u32 s55, s55, 0
	v_add_u32_e32 v3, v1, v3
	v_lshrrev_b32_e32 v3, s10, v3
	v_mul_lo_u32 v4, v3, s8
	v_mul_hi_u32 v5, s12, v3
	s_cmp_lg_u32 s59, s61
	v_sub_u32_e32 v1, v1, v4
	v_add_u32_e32 v4, v3, v5
	v_mul_lo_u32 v5, v1, s0
	v_mul_lo_u32 v6, v1, s1
	v_lshrrev_b32_e32 v1, s13, v4
	v_mul_lo_u32 v4, v1, s11
	v_mul_hi_u32 v7, s15, v1
	v_sub_u32_e32 v3, v3, v4
	v_add_u32_e32 v4, v1, v7
	v_lshrrev_b32_e32 v4, s28, v4
	v_mul_hi_u32 v8, s30, v4
	v_mul_lo_u32 v9, v4, s14
	v_mul_lo_u32 v7, v3, s2
	;; [unrolled: 1-line block ×3, first 2 shown]
	v_sub_u32_e32 v9, v1, v9
	v_add_u32_e32 v1, v4, v8
	v_lshrrev_b32_e32 v1, s31, v1
	v_mul_lo_u32 v8, v1, s29
	v_mul_lo_u32 v10, v9, s4
	;; [unrolled: 1-line block ×3, first 2 shown]
	v_add3_u32 v0, v5, v0, v7
	v_sub_u32_e32 v4, v4, v8
	v_mul_lo_u32 v8, v4, s6
	v_mul_lo_u32 v4, v4, s7
	v_add3_u32 v2, v6, v2, v3
	v_add3_u32 v0, v10, v0, v8
	;; [unrolled: 1-line block ×3, first 2 shown]
	s_cbranch_scc1 .LBB21_13
	s_branch .LBB21_17
.LBB21_14:
                                        ; implicit-def: $vgpr0
                                        ; implicit-def: $vgpr2
	s_branch .LBB21_21
.LBB21_15:
	v_mov_b32_e32 v0, 0
	v_mov_b32_e32 v2, 0
	s_branch .LBB21_20
.LBB21_16:
	s_mov_b32 s59, 0
	v_mov_b32_e32 v0, 0
	v_mov_b32_e32 v2, 0
	;; [unrolled: 1-line block ×3, first 2 shown]
.LBB21_17:
	s_and_b32 s4, s60, 3
	s_cmp_eq_u32 s4, 0
	s_cbranch_scc1 .LBB21_20
; %bb.18:
	s_lshl_b32 s0, s59, 3
	s_add_u32 s0, s34, s0
	s_addc_u32 s1, s35, 0
	s_add_u32 s0, s0, 0xc4
	s_addc_u32 s1, s1, 0
	s_mul_i32 s2, s59, 12
	s_add_u32 s2, s34, s2
	s_addc_u32 s3, s35, 0
.LBB21_19:                              ; =>This Inner Loop Header: Depth=1
	s_load_dwordx2 s[6:7], s[2:3], 0x4
	s_load_dword s5, s[2:3], 0xc
	s_load_dwordx2 s[8:9], s[0:1], 0x0
	s_add_u32 s2, s2, 12
	s_addc_u32 s3, s3, 0
	s_waitcnt lgkmcnt(0)
	v_mul_hi_u32 v3, s7, v1
	s_add_u32 s0, s0, 8
	s_addc_u32 s1, s1, 0
	s_add_i32 s4, s4, -1
	v_add_u32_e32 v3, v1, v3
	v_lshrrev_b32_e32 v4, s5, v3
	v_mul_lo_u32 v3, v4, s6
	s_cmp_lg_u32 s4, 0
	v_sub_u32_e32 v3, v1, v3
	v_mad_u64_u32 v[0:1], s[6:7], v3, s8, v[0:1]
	v_mad_u64_u32 v[2:3], s[6:7], v3, s9, v[2:3]
	v_mov_b32_e32 v1, v4
	s_cbranch_scc1 .LBB21_19
.LBB21_20:
	s_cbranch_execnz .LBB21_23
.LBB21_21:
	v_mul_hi_u32 v0, s21, v15
	s_andn2_b64 vcc, exec, s[44:45]
	v_add_u32_e32 v0, v15, v0
	v_lshrrev_b32_e32 v1, s22, v0
	v_mul_lo_u32 v0, v1, s20
	v_sub_u32_e32 v2, v15, v0
	v_mul_lo_u32 v0, v2, s24
	v_mul_lo_u32 v2, v2, s25
	s_cbranch_vccnz .LBB21_23
; %bb.22:
	v_mul_hi_u32 v3, s42, v1
	v_add_u32_e32 v3, v1, v3
	v_lshrrev_b32_e32 v3, s43, v3
	v_mul_lo_u32 v3, v3, s23
	v_sub_u32_e32 v3, v1, v3
	v_mad_u64_u32 v[0:1], s[0:1], v3, s26, v[0:1]
	v_mad_u64_u32 v[2:3], s[0:1], v3, s27, v[2:3]
.LBB21_23:
	global_load_sbyte v1, v2, s[18:19]
	s_cmp_lt_i32 s40, 1
	s_mov_b64 s[0:1], 0
	s_cbranch_scc1 .LBB21_27
; %bb.24:
	s_cmp_gt_i32 s40, 1
	s_cbranch_scc0 .LBB21_28
; %bb.25:
	s_cmp_eq_u32 s40, 2
	s_cbranch_scc0 .LBB21_29
; %bb.26:
	s_waitcnt vmcnt(0)
	v_cmp_ge_i16_e64 s[2:3], s41, v1
	s_mov_b64 s[4:5], 0
	s_branch .LBB21_30
.LBB21_27:
                                        ; implicit-def: $sgpr2_sgpr3
	s_mov_b64 s[4:5], 0
	s_cbranch_execnz .LBB21_33
	s_branch .LBB21_34
.LBB21_28:
	s_mov_b64 s[4:5], 0
                                        ; implicit-def: $sgpr2_sgpr3
	s_cbranch_execnz .LBB21_31
	s_branch .LBB21_32
.LBB21_29:
	s_mov_b64 s[4:5], -1
                                        ; implicit-def: $sgpr2_sgpr3
.LBB21_30:
	s_branch .LBB21_32
.LBB21_31:
	s_waitcnt vmcnt(0)
	v_cmp_lt_i16_e32 vcc, s41, v1
	s_andn2_b64 s[2:3], s[2:3], exec
	s_and_b64 s[6:7], vcc, exec
	s_or_b64 s[2:3], s[2:3], s[6:7]
.LBB21_32:
	s_branch .LBB21_34
.LBB21_33:
	s_cmp_lg_u32 s40, 0
	s_mov_b64 s[0:1], -1
	s_cselect_b64 s[4:5], -1, 0
.LBB21_34:
	s_andn2_b64 vcc, exec, s[4:5]
	s_cbranch_vccz .LBB21_43
; %bb.35:
	s_andn2_b64 vcc, exec, s[0:1]
	s_cbranch_vccnz .LBB21_37
.LBB21_36:
	s_waitcnt vmcnt(0)
	v_cmp_le_i16_e32 vcc, s41, v1
	s_andn2_b64 s[0:1], s[2:3], exec
	s_and_b64 s[2:3], vcc, exec
	s_or_b64 s[2:3], s[0:1], s[2:3]
.LBB21_37:
	s_waitcnt vmcnt(0)
	v_cndmask_b32_e64 v1, 0, 1, s[2:3]
	v_add_u32_e32 v15, 0x80, v15
	global_store_byte v0, v1, s[16:17]
	s_or_b64 exec, exec, s[50:51]
	v_cmp_gt_i32_e32 vcc, s57, v15
	s_and_saveexec_b64 s[50:51], vcc
	s_cbranch_execz .LBB21_3
.LBB21_38:
	s_andn2_b64 vcc, exec, s[36:37]
	s_cbranch_vccnz .LBB21_44
; %bb.39:
	s_andn2_b64 vcc, exec, s[48:49]
	s_cbranch_vccnz .LBB21_45
; %bb.40:
	s_add_i32 s60, s58, 1
	s_cmp_eq_u32 s56, 2
	s_cbranch_scc1 .LBB21_46
; %bb.41:
	s_and_b32 s59, s60, 28
	v_mov_b32_e32 v2, 0
	s_mov_b32 s61, 0
	s_mov_b64 s[52:53], s[34:35]
	s_mov_b64 s[54:55], s[46:47]
	v_mov_b32_e32 v0, 0
	v_mov_b32_e32 v1, v15
.LBB21_42:                              ; =>This Inner Loop Header: Depth=1
	s_load_dwordx8 s[8:15], s[52:53], 0x4
	s_load_dwordx4 s[28:31], s[52:53], 0x24
	s_load_dwordx8 s[0:7], s[54:55], 0x0
	s_add_u32 s52, s52, 48
	s_addc_u32 s53, s53, 0
	s_waitcnt lgkmcnt(0)
	v_mul_hi_u32 v3, s9, v1
	s_add_i32 s61, s61, 4
	s_add_u32 s54, s54, 32
	s_addc_u32 s55, s55, 0
	v_add_u32_e32 v3, v1, v3
	v_lshrrev_b32_e32 v3, s10, v3
	v_mul_lo_u32 v4, v3, s8
	v_mul_hi_u32 v5, s12, v3
	s_cmp_eq_u32 s59, s61
	v_sub_u32_e32 v1, v1, v4
	v_add_u32_e32 v4, v3, v5
	v_mul_lo_u32 v5, v1, s0
	v_mul_lo_u32 v6, v1, s1
	v_lshrrev_b32_e32 v1, s13, v4
	v_mul_lo_u32 v4, v1, s11
	v_mul_hi_u32 v7, s15, v1
	v_sub_u32_e32 v3, v3, v4
	v_add_u32_e32 v4, v1, v7
	v_lshrrev_b32_e32 v4, s28, v4
	v_mul_hi_u32 v8, s30, v4
	v_mul_lo_u32 v9, v4, s14
	v_mul_lo_u32 v7, v3, s2
	;; [unrolled: 1-line block ×3, first 2 shown]
	v_sub_u32_e32 v9, v1, v9
	v_add_u32_e32 v1, v4, v8
	v_lshrrev_b32_e32 v1, s31, v1
	v_mul_lo_u32 v8, v1, s29
	v_mul_lo_u32 v10, v9, s4
	;; [unrolled: 1-line block ×3, first 2 shown]
	v_add3_u32 v0, v5, v0, v7
	v_sub_u32_e32 v4, v4, v8
	v_mul_lo_u32 v8, v4, s6
	v_mul_lo_u32 v4, v4, s7
	v_add3_u32 v2, v6, v2, v3
	v_add3_u32 v0, v10, v0, v8
	;; [unrolled: 1-line block ×3, first 2 shown]
	s_cbranch_scc0 .LBB21_42
	s_branch .LBB21_47
.LBB21_43:
	s_waitcnt vmcnt(0)
	v_cmp_gt_i16_e32 vcc, s41, v1
	s_andn2_b64 s[2:3], s[2:3], exec
	s_and_b64 s[4:5], vcc, exec
	s_or_b64 s[2:3], s[2:3], s[4:5]
	s_cbranch_execz .LBB21_36
	s_branch .LBB21_37
.LBB21_44:
                                        ; implicit-def: $vgpr0
                                        ; implicit-def: $vgpr2
	s_branch .LBB21_51
.LBB21_45:
	v_mov_b32_e32 v0, 0
	v_mov_b32_e32 v2, 0
	s_branch .LBB21_50
.LBB21_46:
	s_mov_b32 s59, 0
	v_mov_b32_e32 v0, 0
	v_mov_b32_e32 v2, 0
	;; [unrolled: 1-line block ×3, first 2 shown]
.LBB21_47:
	s_and_b32 s4, s60, 3
	s_cmp_eq_u32 s4, 0
	s_cbranch_scc1 .LBB21_50
; %bb.48:
	s_lshl_b32 s0, s59, 3
	s_add_u32 s0, s34, s0
	s_addc_u32 s1, s35, 0
	s_add_u32 s0, s0, 0xc4
	s_addc_u32 s1, s1, 0
	s_mul_i32 s2, s59, 12
	s_add_u32 s2, s34, s2
	s_addc_u32 s3, s35, 0
.LBB21_49:                              ; =>This Inner Loop Header: Depth=1
	s_load_dwordx2 s[6:7], s[2:3], 0x4
	s_load_dword s5, s[2:3], 0xc
	s_load_dwordx2 s[8:9], s[0:1], 0x0
	s_add_u32 s2, s2, 12
	s_addc_u32 s3, s3, 0
	s_waitcnt lgkmcnt(0)
	v_mul_hi_u32 v3, s7, v1
	s_add_u32 s0, s0, 8
	s_addc_u32 s1, s1, 0
	s_add_i32 s4, s4, -1
	v_add_u32_e32 v3, v1, v3
	v_lshrrev_b32_e32 v4, s5, v3
	v_mul_lo_u32 v3, v4, s6
	s_cmp_lg_u32 s4, 0
	v_sub_u32_e32 v3, v1, v3
	v_mad_u64_u32 v[0:1], s[6:7], v3, s8, v[0:1]
	v_mad_u64_u32 v[2:3], s[6:7], v3, s9, v[2:3]
	v_mov_b32_e32 v1, v4
	s_cbranch_scc1 .LBB21_49
.LBB21_50:
	s_cbranch_execnz .LBB21_53
.LBB21_51:
	v_mul_hi_u32 v0, s21, v15
	s_andn2_b64 vcc, exec, s[44:45]
	v_add_u32_e32 v0, v15, v0
	v_lshrrev_b32_e32 v1, s22, v0
	v_mul_lo_u32 v0, v1, s20
	v_sub_u32_e32 v2, v15, v0
	v_mul_lo_u32 v0, v2, s24
	v_mul_lo_u32 v2, v2, s25
	s_cbranch_vccnz .LBB21_53
; %bb.52:
	v_mul_hi_u32 v3, s42, v1
	v_add_u32_e32 v3, v1, v3
	v_lshrrev_b32_e32 v3, s43, v3
	v_mul_lo_u32 v3, v3, s23
	v_sub_u32_e32 v3, v1, v3
	v_mad_u64_u32 v[0:1], s[0:1], v3, s26, v[0:1]
	v_mad_u64_u32 v[2:3], s[0:1], v3, s27, v[2:3]
.LBB21_53:
	global_load_sbyte v1, v2, s[18:19]
	s_cmp_lt_i32 s40, 1
	s_mov_b64 s[0:1], 0
	s_cbranch_scc1 .LBB21_57
; %bb.54:
	s_cmp_gt_i32 s40, 1
	s_cbranch_scc0 .LBB21_58
; %bb.55:
	s_cmp_eq_u32 s40, 2
	s_cbranch_scc0 .LBB21_471
; %bb.56:
	s_waitcnt vmcnt(0)
	v_cmp_ge_i16_e64 s[2:3], s41, v1
	s_mov_b64 s[4:5], 0
	s_branch .LBB21_60
.LBB21_57:
                                        ; implicit-def: $sgpr2_sgpr3
	s_mov_b64 s[4:5], 0
	s_cbranch_execnz .LBB21_61
	s_branch .LBB21_62
.LBB21_58:
	s_mov_b64 s[4:5], 0
                                        ; implicit-def: $sgpr2_sgpr3
	s_cbranch_execz .LBB21_60
; %bb.59:
	s_waitcnt vmcnt(0)
	v_cmp_lt_i16_e32 vcc, s41, v1
	s_andn2_b64 s[2:3], s[2:3], exec
	s_and_b64 s[6:7], vcc, exec
	s_or_b64 s[2:3], s[2:3], s[6:7]
.LBB21_60:
	s_branch .LBB21_62
.LBB21_61:
	s_cmp_lg_u32 s40, 0
	s_mov_b64 s[0:1], -1
	s_cselect_b64 s[4:5], -1, 0
.LBB21_62:
	s_andn2_b64 vcc, exec, s[4:5]
	s_cbranch_vccz .LBB21_71
; %bb.63:
	s_andn2_b64 vcc, exec, s[0:1]
	s_cbranch_vccnz .LBB21_65
.LBB21_64:
	s_waitcnt vmcnt(0)
	v_cmp_le_i16_e32 vcc, s41, v1
	s_andn2_b64 s[0:1], s[2:3], exec
	s_and_b64 s[2:3], vcc, exec
	s_or_b64 s[2:3], s[0:1], s[2:3]
.LBB21_65:
	s_waitcnt vmcnt(0)
	v_cndmask_b32_e64 v1, 0, 1, s[2:3]
	v_add_u32_e32 v15, 0x80, v15
	global_store_byte v0, v1, s[16:17]
	s_or_b64 exec, exec, s[50:51]
	v_cmp_gt_i32_e32 vcc, s57, v15
	s_and_saveexec_b64 s[50:51], vcc
	s_cbranch_execz .LBB21_4
.LBB21_66:
	s_andn2_b64 vcc, exec, s[36:37]
	s_cbranch_vccnz .LBB21_72
; %bb.67:
	s_andn2_b64 vcc, exec, s[48:49]
	s_cbranch_vccnz .LBB21_73
; %bb.68:
	s_add_i32 s60, s58, 1
	s_cmp_eq_u32 s56, 2
	s_cbranch_scc1 .LBB21_74
; %bb.69:
	s_and_b32 s59, s60, 28
	v_mov_b32_e32 v2, 0
	s_mov_b32 s61, 0
	s_mov_b64 s[52:53], s[34:35]
	s_mov_b64 s[54:55], s[46:47]
	v_mov_b32_e32 v0, 0
	v_mov_b32_e32 v1, v15
.LBB21_70:                              ; =>This Inner Loop Header: Depth=1
	s_load_dwordx8 s[8:15], s[52:53], 0x4
	s_load_dwordx4 s[28:31], s[52:53], 0x24
	s_load_dwordx8 s[0:7], s[54:55], 0x0
	s_add_u32 s52, s52, 48
	s_addc_u32 s53, s53, 0
	s_waitcnt lgkmcnt(0)
	v_mul_hi_u32 v3, s9, v1
	s_add_i32 s61, s61, 4
	s_add_u32 s54, s54, 32
	s_addc_u32 s55, s55, 0
	v_add_u32_e32 v3, v1, v3
	v_lshrrev_b32_e32 v3, s10, v3
	v_mul_lo_u32 v4, v3, s8
	v_mul_hi_u32 v5, s12, v3
	s_cmp_eq_u32 s59, s61
	v_sub_u32_e32 v1, v1, v4
	v_add_u32_e32 v4, v3, v5
	v_mul_lo_u32 v5, v1, s0
	v_mul_lo_u32 v6, v1, s1
	v_lshrrev_b32_e32 v1, s13, v4
	v_mul_lo_u32 v4, v1, s11
	v_mul_hi_u32 v7, s15, v1
	v_sub_u32_e32 v3, v3, v4
	v_add_u32_e32 v4, v1, v7
	v_lshrrev_b32_e32 v4, s28, v4
	v_mul_hi_u32 v8, s30, v4
	v_mul_lo_u32 v9, v4, s14
	v_mul_lo_u32 v7, v3, s2
	;; [unrolled: 1-line block ×3, first 2 shown]
	v_sub_u32_e32 v9, v1, v9
	v_add_u32_e32 v1, v4, v8
	v_lshrrev_b32_e32 v1, s31, v1
	v_mul_lo_u32 v8, v1, s29
	v_mul_lo_u32 v10, v9, s4
	;; [unrolled: 1-line block ×3, first 2 shown]
	v_add3_u32 v0, v5, v0, v7
	v_sub_u32_e32 v4, v4, v8
	v_mul_lo_u32 v8, v4, s6
	v_mul_lo_u32 v4, v4, s7
	v_add3_u32 v2, v6, v2, v3
	v_add3_u32 v0, v10, v0, v8
	;; [unrolled: 1-line block ×3, first 2 shown]
	s_cbranch_scc0 .LBB21_70
	s_branch .LBB21_75
.LBB21_71:
	s_waitcnt vmcnt(0)
	v_cmp_gt_i16_e32 vcc, s41, v1
	s_andn2_b64 s[2:3], s[2:3], exec
	s_and_b64 s[4:5], vcc, exec
	s_or_b64 s[2:3], s[2:3], s[4:5]
	s_cbranch_execz .LBB21_64
	s_branch .LBB21_65
.LBB21_72:
                                        ; implicit-def: $vgpr0
                                        ; implicit-def: $vgpr2
	s_branch .LBB21_79
.LBB21_73:
	v_mov_b32_e32 v0, 0
	v_mov_b32_e32 v2, 0
	s_branch .LBB21_78
.LBB21_74:
	s_mov_b32 s59, 0
	v_mov_b32_e32 v0, 0
	v_mov_b32_e32 v2, 0
	;; [unrolled: 1-line block ×3, first 2 shown]
.LBB21_75:
	s_and_b32 s4, s60, 3
	s_cmp_eq_u32 s4, 0
	s_cbranch_scc1 .LBB21_78
; %bb.76:
	s_lshl_b32 s0, s59, 3
	s_add_u32 s0, s34, s0
	s_addc_u32 s1, s35, 0
	s_add_u32 s0, s0, 0xc4
	s_addc_u32 s1, s1, 0
	s_mul_i32 s2, s59, 12
	s_add_u32 s2, s34, s2
	s_addc_u32 s3, s35, 0
.LBB21_77:                              ; =>This Inner Loop Header: Depth=1
	s_load_dwordx2 s[6:7], s[2:3], 0x4
	s_load_dword s5, s[2:3], 0xc
	s_load_dwordx2 s[8:9], s[0:1], 0x0
	s_add_u32 s2, s2, 12
	s_addc_u32 s3, s3, 0
	s_waitcnt lgkmcnt(0)
	v_mul_hi_u32 v3, s7, v1
	s_add_u32 s0, s0, 8
	s_addc_u32 s1, s1, 0
	s_add_i32 s4, s4, -1
	v_add_u32_e32 v3, v1, v3
	v_lshrrev_b32_e32 v4, s5, v3
	v_mul_lo_u32 v3, v4, s6
	s_cmp_lg_u32 s4, 0
	v_sub_u32_e32 v3, v1, v3
	v_mad_u64_u32 v[0:1], s[6:7], v3, s8, v[0:1]
	v_mad_u64_u32 v[2:3], s[6:7], v3, s9, v[2:3]
	v_mov_b32_e32 v1, v4
	s_cbranch_scc1 .LBB21_77
.LBB21_78:
	s_cbranch_execnz .LBB21_81
.LBB21_79:
	v_mul_hi_u32 v0, s21, v15
	s_andn2_b64 vcc, exec, s[44:45]
	v_add_u32_e32 v0, v15, v0
	v_lshrrev_b32_e32 v1, s22, v0
	v_mul_lo_u32 v0, v1, s20
	v_sub_u32_e32 v2, v15, v0
	v_mul_lo_u32 v0, v2, s24
	v_mul_lo_u32 v2, v2, s25
	s_cbranch_vccnz .LBB21_81
; %bb.80:
	v_mul_hi_u32 v3, s42, v1
	v_add_u32_e32 v3, v1, v3
	v_lshrrev_b32_e32 v3, s43, v3
	v_mul_lo_u32 v3, v3, s23
	v_sub_u32_e32 v3, v1, v3
	v_mad_u64_u32 v[0:1], s[0:1], v3, s26, v[0:1]
	v_mad_u64_u32 v[2:3], s[0:1], v3, s27, v[2:3]
.LBB21_81:
	global_load_sbyte v1, v2, s[18:19]
	s_cmp_lt_i32 s40, 1
	s_mov_b64 s[0:1], 0
	s_cbranch_scc1 .LBB21_85
; %bb.82:
	s_cmp_gt_i32 s40, 1
	s_cbranch_scc0 .LBB21_86
; %bb.83:
	s_cmp_eq_u32 s40, 2
	s_cbranch_scc0 .LBB21_472
; %bb.84:
	s_waitcnt vmcnt(0)
	v_cmp_ge_i16_e64 s[2:3], s41, v1
	s_mov_b64 s[4:5], 0
	s_branch .LBB21_88
.LBB21_85:
                                        ; implicit-def: $sgpr2_sgpr3
	s_mov_b64 s[4:5], 0
	s_cbranch_execnz .LBB21_89
	s_branch .LBB21_90
.LBB21_86:
	s_mov_b64 s[4:5], 0
                                        ; implicit-def: $sgpr2_sgpr3
	s_cbranch_execz .LBB21_88
; %bb.87:
	s_waitcnt vmcnt(0)
	v_cmp_lt_i16_e32 vcc, s41, v1
	s_andn2_b64 s[2:3], s[2:3], exec
	s_and_b64 s[6:7], vcc, exec
	s_or_b64 s[2:3], s[2:3], s[6:7]
.LBB21_88:
	s_branch .LBB21_90
.LBB21_89:
	s_cmp_lg_u32 s40, 0
	s_mov_b64 s[0:1], -1
	s_cselect_b64 s[4:5], -1, 0
.LBB21_90:
	s_andn2_b64 vcc, exec, s[4:5]
	s_cbranch_vccz .LBB21_99
; %bb.91:
	s_andn2_b64 vcc, exec, s[0:1]
	s_cbranch_vccnz .LBB21_93
.LBB21_92:
	s_waitcnt vmcnt(0)
	v_cmp_le_i16_e32 vcc, s41, v1
	s_andn2_b64 s[0:1], s[2:3], exec
	s_and_b64 s[2:3], vcc, exec
	s_or_b64 s[2:3], s[0:1], s[2:3]
.LBB21_93:
	s_waitcnt vmcnt(0)
	v_cndmask_b32_e64 v1, 0, 1, s[2:3]
	v_add_u32_e32 v15, 0x80, v15
	global_store_byte v0, v1, s[16:17]
	s_or_b64 exec, exec, s[50:51]
	v_cmp_gt_i32_e32 vcc, s57, v15
	s_and_saveexec_b64 s[50:51], vcc
	s_cbranch_execz .LBB21_5
.LBB21_94:
	s_andn2_b64 vcc, exec, s[36:37]
	s_cbranch_vccnz .LBB21_100
; %bb.95:
	s_andn2_b64 vcc, exec, s[48:49]
	s_cbranch_vccnz .LBB21_101
; %bb.96:
	s_add_i32 s60, s58, 1
	s_cmp_eq_u32 s56, 2
	s_cbranch_scc1 .LBB21_102
; %bb.97:
	s_and_b32 s59, s60, 28
	v_mov_b32_e32 v2, 0
	s_mov_b32 s61, 0
	s_mov_b64 s[52:53], s[34:35]
	s_mov_b64 s[54:55], s[46:47]
	v_mov_b32_e32 v0, 0
	v_mov_b32_e32 v1, v15
.LBB21_98:                              ; =>This Inner Loop Header: Depth=1
	s_load_dwordx8 s[8:15], s[52:53], 0x4
	s_load_dwordx4 s[28:31], s[52:53], 0x24
	s_load_dwordx8 s[0:7], s[54:55], 0x0
	s_add_u32 s52, s52, 48
	s_addc_u32 s53, s53, 0
	s_waitcnt lgkmcnt(0)
	v_mul_hi_u32 v3, s9, v1
	s_add_i32 s61, s61, 4
	s_add_u32 s54, s54, 32
	s_addc_u32 s55, s55, 0
	v_add_u32_e32 v3, v1, v3
	v_lshrrev_b32_e32 v3, s10, v3
	v_mul_lo_u32 v4, v3, s8
	v_mul_hi_u32 v5, s12, v3
	s_cmp_eq_u32 s59, s61
	v_sub_u32_e32 v1, v1, v4
	v_add_u32_e32 v4, v3, v5
	v_mul_lo_u32 v5, v1, s0
	v_mul_lo_u32 v6, v1, s1
	v_lshrrev_b32_e32 v1, s13, v4
	v_mul_lo_u32 v4, v1, s11
	v_mul_hi_u32 v7, s15, v1
	v_sub_u32_e32 v3, v3, v4
	v_add_u32_e32 v4, v1, v7
	v_lshrrev_b32_e32 v4, s28, v4
	v_mul_hi_u32 v8, s30, v4
	v_mul_lo_u32 v9, v4, s14
	v_mul_lo_u32 v7, v3, s2
	;; [unrolled: 1-line block ×3, first 2 shown]
	v_sub_u32_e32 v9, v1, v9
	v_add_u32_e32 v1, v4, v8
	v_lshrrev_b32_e32 v1, s31, v1
	v_mul_lo_u32 v8, v1, s29
	v_mul_lo_u32 v10, v9, s4
	;; [unrolled: 1-line block ×3, first 2 shown]
	v_add3_u32 v0, v5, v0, v7
	v_sub_u32_e32 v4, v4, v8
	v_mul_lo_u32 v8, v4, s6
	v_mul_lo_u32 v4, v4, s7
	v_add3_u32 v2, v6, v2, v3
	v_add3_u32 v0, v10, v0, v8
	;; [unrolled: 1-line block ×3, first 2 shown]
	s_cbranch_scc0 .LBB21_98
	s_branch .LBB21_103
.LBB21_99:
	s_waitcnt vmcnt(0)
	v_cmp_gt_i16_e32 vcc, s41, v1
	s_andn2_b64 s[2:3], s[2:3], exec
	s_and_b64 s[4:5], vcc, exec
	s_or_b64 s[2:3], s[2:3], s[4:5]
	s_cbranch_execz .LBB21_92
	s_branch .LBB21_93
.LBB21_100:
                                        ; implicit-def: $vgpr0
                                        ; implicit-def: $vgpr2
	s_branch .LBB21_107
.LBB21_101:
	v_mov_b32_e32 v0, 0
	v_mov_b32_e32 v2, 0
	s_branch .LBB21_106
.LBB21_102:
	s_mov_b32 s59, 0
	v_mov_b32_e32 v0, 0
	v_mov_b32_e32 v2, 0
	v_mov_b32_e32 v1, v15
.LBB21_103:
	s_and_b32 s4, s60, 3
	s_cmp_eq_u32 s4, 0
	s_cbranch_scc1 .LBB21_106
; %bb.104:
	s_lshl_b32 s0, s59, 3
	s_add_u32 s0, s34, s0
	s_addc_u32 s1, s35, 0
	s_add_u32 s0, s0, 0xc4
	s_addc_u32 s1, s1, 0
	s_mul_i32 s2, s59, 12
	s_add_u32 s2, s34, s2
	s_addc_u32 s3, s35, 0
.LBB21_105:                             ; =>This Inner Loop Header: Depth=1
	s_load_dwordx2 s[6:7], s[2:3], 0x4
	s_load_dword s5, s[2:3], 0xc
	s_load_dwordx2 s[8:9], s[0:1], 0x0
	s_add_u32 s2, s2, 12
	s_addc_u32 s3, s3, 0
	s_waitcnt lgkmcnt(0)
	v_mul_hi_u32 v3, s7, v1
	s_add_u32 s0, s0, 8
	s_addc_u32 s1, s1, 0
	s_add_i32 s4, s4, -1
	v_add_u32_e32 v3, v1, v3
	v_lshrrev_b32_e32 v4, s5, v3
	v_mul_lo_u32 v3, v4, s6
	s_cmp_lg_u32 s4, 0
	v_sub_u32_e32 v3, v1, v3
	v_mad_u64_u32 v[0:1], s[6:7], v3, s8, v[0:1]
	v_mad_u64_u32 v[2:3], s[6:7], v3, s9, v[2:3]
	v_mov_b32_e32 v1, v4
	s_cbranch_scc1 .LBB21_105
.LBB21_106:
	s_cbranch_execnz .LBB21_109
.LBB21_107:
	v_mul_hi_u32 v0, s21, v15
	s_andn2_b64 vcc, exec, s[44:45]
	v_add_u32_e32 v0, v15, v0
	v_lshrrev_b32_e32 v1, s22, v0
	v_mul_lo_u32 v0, v1, s20
	v_sub_u32_e32 v2, v15, v0
	v_mul_lo_u32 v0, v2, s24
	v_mul_lo_u32 v2, v2, s25
	s_cbranch_vccnz .LBB21_109
; %bb.108:
	v_mul_hi_u32 v3, s42, v1
	v_add_u32_e32 v3, v1, v3
	v_lshrrev_b32_e32 v3, s43, v3
	v_mul_lo_u32 v3, v3, s23
	v_sub_u32_e32 v3, v1, v3
	v_mad_u64_u32 v[0:1], s[0:1], v3, s26, v[0:1]
	v_mad_u64_u32 v[2:3], s[0:1], v3, s27, v[2:3]
.LBB21_109:
	global_load_sbyte v1, v2, s[18:19]
	s_cmp_lt_i32 s40, 1
	s_mov_b64 s[0:1], 0
	s_cbranch_scc1 .LBB21_113
; %bb.110:
	s_cmp_gt_i32 s40, 1
	s_cbranch_scc0 .LBB21_114
; %bb.111:
	s_cmp_eq_u32 s40, 2
	s_cbranch_scc0 .LBB21_473
; %bb.112:
	s_waitcnt vmcnt(0)
	v_cmp_ge_i16_e64 s[2:3], s41, v1
	s_mov_b64 s[4:5], 0
	s_branch .LBB21_116
.LBB21_113:
                                        ; implicit-def: $sgpr2_sgpr3
	s_mov_b64 s[4:5], 0
	s_cbranch_execnz .LBB21_117
	s_branch .LBB21_118
.LBB21_114:
	s_mov_b64 s[4:5], 0
                                        ; implicit-def: $sgpr2_sgpr3
	s_cbranch_execz .LBB21_116
; %bb.115:
	s_waitcnt vmcnt(0)
	v_cmp_lt_i16_e32 vcc, s41, v1
	s_andn2_b64 s[2:3], s[2:3], exec
	s_and_b64 s[6:7], vcc, exec
	s_or_b64 s[2:3], s[2:3], s[6:7]
.LBB21_116:
	s_branch .LBB21_118
.LBB21_117:
	s_cmp_lg_u32 s40, 0
	s_mov_b64 s[0:1], -1
	s_cselect_b64 s[4:5], -1, 0
.LBB21_118:
	s_andn2_b64 vcc, exec, s[4:5]
	s_cbranch_vccz .LBB21_127
; %bb.119:
	s_andn2_b64 vcc, exec, s[0:1]
	s_cbranch_vccnz .LBB21_121
.LBB21_120:
	s_waitcnt vmcnt(0)
	v_cmp_le_i16_e32 vcc, s41, v1
	s_andn2_b64 s[0:1], s[2:3], exec
	s_and_b64 s[2:3], vcc, exec
	s_or_b64 s[2:3], s[0:1], s[2:3]
.LBB21_121:
	s_waitcnt vmcnt(0)
	v_cndmask_b32_e64 v1, 0, 1, s[2:3]
	v_add_u32_e32 v15, 0x80, v15
	global_store_byte v0, v1, s[16:17]
	s_or_b64 exec, exec, s[50:51]
	v_cmp_gt_i32_e32 vcc, s57, v15
	s_and_saveexec_b64 s[50:51], vcc
	s_cbranch_execz .LBB21_6
.LBB21_122:
	s_andn2_b64 vcc, exec, s[36:37]
	s_cbranch_vccnz .LBB21_128
; %bb.123:
	s_andn2_b64 vcc, exec, s[48:49]
	s_cbranch_vccnz .LBB21_129
; %bb.124:
	s_add_i32 s60, s58, 1
	s_cmp_eq_u32 s56, 2
	s_cbranch_scc1 .LBB21_130
; %bb.125:
	s_and_b32 s59, s60, 28
	v_mov_b32_e32 v2, 0
	s_mov_b32 s61, 0
	s_mov_b64 s[52:53], s[34:35]
	s_mov_b64 s[54:55], s[46:47]
	v_mov_b32_e32 v0, 0
	v_mov_b32_e32 v1, v15
.LBB21_126:                             ; =>This Inner Loop Header: Depth=1
	s_load_dwordx8 s[8:15], s[52:53], 0x4
	s_load_dwordx4 s[28:31], s[52:53], 0x24
	s_load_dwordx8 s[0:7], s[54:55], 0x0
	s_add_u32 s52, s52, 48
	s_addc_u32 s53, s53, 0
	s_waitcnt lgkmcnt(0)
	v_mul_hi_u32 v3, s9, v1
	s_add_i32 s61, s61, 4
	s_add_u32 s54, s54, 32
	s_addc_u32 s55, s55, 0
	v_add_u32_e32 v3, v1, v3
	v_lshrrev_b32_e32 v3, s10, v3
	v_mul_lo_u32 v4, v3, s8
	v_mul_hi_u32 v5, s12, v3
	s_cmp_eq_u32 s59, s61
	v_sub_u32_e32 v1, v1, v4
	v_add_u32_e32 v4, v3, v5
	v_mul_lo_u32 v5, v1, s0
	v_mul_lo_u32 v6, v1, s1
	v_lshrrev_b32_e32 v1, s13, v4
	v_mul_lo_u32 v4, v1, s11
	v_mul_hi_u32 v7, s15, v1
	v_sub_u32_e32 v3, v3, v4
	v_add_u32_e32 v4, v1, v7
	v_lshrrev_b32_e32 v4, s28, v4
	v_mul_hi_u32 v8, s30, v4
	v_mul_lo_u32 v9, v4, s14
	v_mul_lo_u32 v7, v3, s2
	;; [unrolled: 1-line block ×3, first 2 shown]
	v_sub_u32_e32 v9, v1, v9
	v_add_u32_e32 v1, v4, v8
	v_lshrrev_b32_e32 v1, s31, v1
	v_mul_lo_u32 v8, v1, s29
	v_mul_lo_u32 v10, v9, s4
	;; [unrolled: 1-line block ×3, first 2 shown]
	v_add3_u32 v0, v5, v0, v7
	v_sub_u32_e32 v4, v4, v8
	v_mul_lo_u32 v8, v4, s6
	v_mul_lo_u32 v4, v4, s7
	v_add3_u32 v2, v6, v2, v3
	v_add3_u32 v0, v10, v0, v8
	;; [unrolled: 1-line block ×3, first 2 shown]
	s_cbranch_scc0 .LBB21_126
	s_branch .LBB21_131
.LBB21_127:
	s_waitcnt vmcnt(0)
	v_cmp_gt_i16_e32 vcc, s41, v1
	s_andn2_b64 s[2:3], s[2:3], exec
	s_and_b64 s[4:5], vcc, exec
	s_or_b64 s[2:3], s[2:3], s[4:5]
	s_cbranch_execz .LBB21_120
	s_branch .LBB21_121
.LBB21_128:
                                        ; implicit-def: $vgpr0
                                        ; implicit-def: $vgpr2
	s_branch .LBB21_135
.LBB21_129:
	v_mov_b32_e32 v0, 0
	v_mov_b32_e32 v2, 0
	s_branch .LBB21_134
.LBB21_130:
	s_mov_b32 s59, 0
	v_mov_b32_e32 v0, 0
	v_mov_b32_e32 v2, 0
	;; [unrolled: 1-line block ×3, first 2 shown]
.LBB21_131:
	s_and_b32 s4, s60, 3
	s_cmp_eq_u32 s4, 0
	s_cbranch_scc1 .LBB21_134
; %bb.132:
	s_lshl_b32 s0, s59, 3
	s_add_u32 s0, s34, s0
	s_addc_u32 s1, s35, 0
	s_add_u32 s0, s0, 0xc4
	s_addc_u32 s1, s1, 0
	s_mul_i32 s2, s59, 12
	s_add_u32 s2, s34, s2
	s_addc_u32 s3, s35, 0
.LBB21_133:                             ; =>This Inner Loop Header: Depth=1
	s_load_dwordx2 s[6:7], s[2:3], 0x4
	s_load_dword s5, s[2:3], 0xc
	s_load_dwordx2 s[8:9], s[0:1], 0x0
	s_add_u32 s2, s2, 12
	s_addc_u32 s3, s3, 0
	s_waitcnt lgkmcnt(0)
	v_mul_hi_u32 v3, s7, v1
	s_add_u32 s0, s0, 8
	s_addc_u32 s1, s1, 0
	s_add_i32 s4, s4, -1
	v_add_u32_e32 v3, v1, v3
	v_lshrrev_b32_e32 v4, s5, v3
	v_mul_lo_u32 v3, v4, s6
	s_cmp_lg_u32 s4, 0
	v_sub_u32_e32 v3, v1, v3
	v_mad_u64_u32 v[0:1], s[6:7], v3, s8, v[0:1]
	v_mad_u64_u32 v[2:3], s[6:7], v3, s9, v[2:3]
	v_mov_b32_e32 v1, v4
	s_cbranch_scc1 .LBB21_133
.LBB21_134:
	s_cbranch_execnz .LBB21_137
.LBB21_135:
	v_mul_hi_u32 v0, s21, v15
	s_andn2_b64 vcc, exec, s[44:45]
	v_add_u32_e32 v0, v15, v0
	v_lshrrev_b32_e32 v1, s22, v0
	v_mul_lo_u32 v0, v1, s20
	v_sub_u32_e32 v2, v15, v0
	v_mul_lo_u32 v0, v2, s24
	v_mul_lo_u32 v2, v2, s25
	s_cbranch_vccnz .LBB21_137
; %bb.136:
	v_mul_hi_u32 v3, s42, v1
	v_add_u32_e32 v3, v1, v3
	v_lshrrev_b32_e32 v3, s43, v3
	v_mul_lo_u32 v3, v3, s23
	v_sub_u32_e32 v3, v1, v3
	v_mad_u64_u32 v[0:1], s[0:1], v3, s26, v[0:1]
	v_mad_u64_u32 v[2:3], s[0:1], v3, s27, v[2:3]
.LBB21_137:
	global_load_sbyte v1, v2, s[18:19]
	s_cmp_lt_i32 s40, 1
	s_mov_b64 s[0:1], 0
	s_cbranch_scc1 .LBB21_141
; %bb.138:
	s_cmp_gt_i32 s40, 1
	s_cbranch_scc0 .LBB21_142
; %bb.139:
	s_cmp_eq_u32 s40, 2
	s_cbranch_scc0 .LBB21_474
; %bb.140:
	s_waitcnt vmcnt(0)
	v_cmp_ge_i16_e64 s[2:3], s41, v1
	s_mov_b64 s[4:5], 0
	s_branch .LBB21_144
.LBB21_141:
                                        ; implicit-def: $sgpr2_sgpr3
	s_mov_b64 s[4:5], 0
	s_cbranch_execnz .LBB21_145
	s_branch .LBB21_146
.LBB21_142:
	s_mov_b64 s[4:5], 0
                                        ; implicit-def: $sgpr2_sgpr3
	s_cbranch_execz .LBB21_144
; %bb.143:
	s_waitcnt vmcnt(0)
	v_cmp_lt_i16_e32 vcc, s41, v1
	s_andn2_b64 s[2:3], s[2:3], exec
	s_and_b64 s[6:7], vcc, exec
	s_or_b64 s[2:3], s[2:3], s[6:7]
.LBB21_144:
	s_branch .LBB21_146
.LBB21_145:
	s_cmp_lg_u32 s40, 0
	s_mov_b64 s[0:1], -1
	s_cselect_b64 s[4:5], -1, 0
.LBB21_146:
	s_andn2_b64 vcc, exec, s[4:5]
	s_cbranch_vccz .LBB21_155
; %bb.147:
	s_andn2_b64 vcc, exec, s[0:1]
	s_cbranch_vccnz .LBB21_149
.LBB21_148:
	s_waitcnt vmcnt(0)
	v_cmp_le_i16_e32 vcc, s41, v1
	s_andn2_b64 s[0:1], s[2:3], exec
	s_and_b64 s[2:3], vcc, exec
	s_or_b64 s[2:3], s[0:1], s[2:3]
.LBB21_149:
	s_waitcnt vmcnt(0)
	v_cndmask_b32_e64 v1, 0, 1, s[2:3]
	v_add_u32_e32 v15, 0x80, v15
	global_store_byte v0, v1, s[16:17]
	s_or_b64 exec, exec, s[50:51]
	v_cmp_gt_i32_e32 vcc, s57, v15
	s_and_saveexec_b64 s[50:51], vcc
	s_cbranch_execz .LBB21_7
.LBB21_150:
	s_andn2_b64 vcc, exec, s[36:37]
	s_cbranch_vccnz .LBB21_156
; %bb.151:
	s_andn2_b64 vcc, exec, s[48:49]
	s_cbranch_vccnz .LBB21_157
; %bb.152:
	s_add_i32 s60, s58, 1
	s_cmp_eq_u32 s56, 2
	s_cbranch_scc1 .LBB21_158
; %bb.153:
	s_and_b32 s59, s60, 28
	v_mov_b32_e32 v2, 0
	s_mov_b32 s61, 0
	s_mov_b64 s[52:53], s[34:35]
	s_mov_b64 s[54:55], s[46:47]
	v_mov_b32_e32 v0, 0
	v_mov_b32_e32 v1, v15
.LBB21_154:                             ; =>This Inner Loop Header: Depth=1
	s_load_dwordx8 s[8:15], s[52:53], 0x4
	s_load_dwordx4 s[28:31], s[52:53], 0x24
	s_load_dwordx8 s[0:7], s[54:55], 0x0
	s_add_u32 s52, s52, 48
	s_addc_u32 s53, s53, 0
	s_waitcnt lgkmcnt(0)
	v_mul_hi_u32 v3, s9, v1
	s_add_i32 s61, s61, 4
	s_add_u32 s54, s54, 32
	s_addc_u32 s55, s55, 0
	v_add_u32_e32 v3, v1, v3
	v_lshrrev_b32_e32 v3, s10, v3
	v_mul_lo_u32 v4, v3, s8
	v_mul_hi_u32 v5, s12, v3
	s_cmp_eq_u32 s59, s61
	v_sub_u32_e32 v1, v1, v4
	v_add_u32_e32 v4, v3, v5
	v_mul_lo_u32 v5, v1, s0
	v_mul_lo_u32 v6, v1, s1
	v_lshrrev_b32_e32 v1, s13, v4
	v_mul_lo_u32 v4, v1, s11
	v_mul_hi_u32 v7, s15, v1
	v_sub_u32_e32 v3, v3, v4
	v_add_u32_e32 v4, v1, v7
	v_lshrrev_b32_e32 v4, s28, v4
	v_mul_hi_u32 v8, s30, v4
	v_mul_lo_u32 v9, v4, s14
	v_mul_lo_u32 v7, v3, s2
	;; [unrolled: 1-line block ×3, first 2 shown]
	v_sub_u32_e32 v9, v1, v9
	v_add_u32_e32 v1, v4, v8
	v_lshrrev_b32_e32 v1, s31, v1
	v_mul_lo_u32 v8, v1, s29
	v_mul_lo_u32 v10, v9, s4
	;; [unrolled: 1-line block ×3, first 2 shown]
	v_add3_u32 v0, v5, v0, v7
	v_sub_u32_e32 v4, v4, v8
	v_mul_lo_u32 v8, v4, s6
	v_mul_lo_u32 v4, v4, s7
	v_add3_u32 v2, v6, v2, v3
	v_add3_u32 v0, v10, v0, v8
	v_add3_u32 v2, v9, v2, v4
	s_cbranch_scc0 .LBB21_154
	s_branch .LBB21_159
.LBB21_155:
	s_waitcnt vmcnt(0)
	v_cmp_gt_i16_e32 vcc, s41, v1
	s_andn2_b64 s[2:3], s[2:3], exec
	s_and_b64 s[4:5], vcc, exec
	s_or_b64 s[2:3], s[2:3], s[4:5]
	s_cbranch_execz .LBB21_148
	s_branch .LBB21_149
.LBB21_156:
                                        ; implicit-def: $vgpr0
                                        ; implicit-def: $vgpr2
	s_branch .LBB21_163
.LBB21_157:
	v_mov_b32_e32 v0, 0
	v_mov_b32_e32 v2, 0
	s_branch .LBB21_162
.LBB21_158:
	s_mov_b32 s59, 0
	v_mov_b32_e32 v0, 0
	v_mov_b32_e32 v2, 0
	;; [unrolled: 1-line block ×3, first 2 shown]
.LBB21_159:
	s_and_b32 s4, s60, 3
	s_cmp_eq_u32 s4, 0
	s_cbranch_scc1 .LBB21_162
; %bb.160:
	s_lshl_b32 s0, s59, 3
	s_add_u32 s0, s34, s0
	s_addc_u32 s1, s35, 0
	s_add_u32 s0, s0, 0xc4
	s_addc_u32 s1, s1, 0
	s_mul_i32 s2, s59, 12
	s_add_u32 s2, s34, s2
	s_addc_u32 s3, s35, 0
.LBB21_161:                             ; =>This Inner Loop Header: Depth=1
	s_load_dwordx2 s[6:7], s[2:3], 0x4
	s_load_dword s5, s[2:3], 0xc
	s_load_dwordx2 s[8:9], s[0:1], 0x0
	s_add_u32 s2, s2, 12
	s_addc_u32 s3, s3, 0
	s_waitcnt lgkmcnt(0)
	v_mul_hi_u32 v3, s7, v1
	s_add_u32 s0, s0, 8
	s_addc_u32 s1, s1, 0
	s_add_i32 s4, s4, -1
	v_add_u32_e32 v3, v1, v3
	v_lshrrev_b32_e32 v4, s5, v3
	v_mul_lo_u32 v3, v4, s6
	s_cmp_lg_u32 s4, 0
	v_sub_u32_e32 v3, v1, v3
	v_mad_u64_u32 v[0:1], s[6:7], v3, s8, v[0:1]
	v_mad_u64_u32 v[2:3], s[6:7], v3, s9, v[2:3]
	v_mov_b32_e32 v1, v4
	s_cbranch_scc1 .LBB21_161
.LBB21_162:
	s_cbranch_execnz .LBB21_165
.LBB21_163:
	v_mul_hi_u32 v0, s21, v15
	s_andn2_b64 vcc, exec, s[44:45]
	v_add_u32_e32 v0, v15, v0
	v_lshrrev_b32_e32 v1, s22, v0
	v_mul_lo_u32 v0, v1, s20
	v_sub_u32_e32 v2, v15, v0
	v_mul_lo_u32 v0, v2, s24
	v_mul_lo_u32 v2, v2, s25
	s_cbranch_vccnz .LBB21_165
; %bb.164:
	v_mul_hi_u32 v3, s42, v1
	v_add_u32_e32 v3, v1, v3
	v_lshrrev_b32_e32 v3, s43, v3
	v_mul_lo_u32 v3, v3, s23
	v_sub_u32_e32 v3, v1, v3
	v_mad_u64_u32 v[0:1], s[0:1], v3, s26, v[0:1]
	v_mad_u64_u32 v[2:3], s[0:1], v3, s27, v[2:3]
.LBB21_165:
	global_load_sbyte v1, v2, s[18:19]
	s_cmp_lt_i32 s40, 1
	s_mov_b64 s[0:1], 0
	s_cbranch_scc1 .LBB21_169
; %bb.166:
	s_cmp_gt_i32 s40, 1
	s_cbranch_scc0 .LBB21_170
; %bb.167:
	s_cmp_eq_u32 s40, 2
	s_cbranch_scc0 .LBB21_475
; %bb.168:
	s_waitcnt vmcnt(0)
	v_cmp_ge_i16_e64 s[2:3], s41, v1
	s_mov_b64 s[4:5], 0
	s_branch .LBB21_172
.LBB21_169:
                                        ; implicit-def: $sgpr2_sgpr3
	s_mov_b64 s[4:5], 0
	s_cbranch_execnz .LBB21_173
	s_branch .LBB21_174
.LBB21_170:
	s_mov_b64 s[4:5], 0
                                        ; implicit-def: $sgpr2_sgpr3
	s_cbranch_execz .LBB21_172
; %bb.171:
	s_waitcnt vmcnt(0)
	v_cmp_lt_i16_e32 vcc, s41, v1
	s_andn2_b64 s[2:3], s[2:3], exec
	s_and_b64 s[6:7], vcc, exec
	s_or_b64 s[2:3], s[2:3], s[6:7]
.LBB21_172:
	s_branch .LBB21_174
.LBB21_173:
	s_cmp_lg_u32 s40, 0
	s_mov_b64 s[0:1], -1
	s_cselect_b64 s[4:5], -1, 0
.LBB21_174:
	s_andn2_b64 vcc, exec, s[4:5]
	s_cbranch_vccz .LBB21_183
; %bb.175:
	s_andn2_b64 vcc, exec, s[0:1]
	s_cbranch_vccnz .LBB21_177
.LBB21_176:
	s_waitcnt vmcnt(0)
	v_cmp_le_i16_e32 vcc, s41, v1
	s_andn2_b64 s[0:1], s[2:3], exec
	s_and_b64 s[2:3], vcc, exec
	s_or_b64 s[2:3], s[0:1], s[2:3]
.LBB21_177:
	s_waitcnt vmcnt(0)
	v_cndmask_b32_e64 v1, 0, 1, s[2:3]
	v_add_u32_e32 v15, 0x80, v15
	global_store_byte v0, v1, s[16:17]
	s_or_b64 exec, exec, s[50:51]
	v_cmp_gt_i32_e32 vcc, s57, v15
	s_and_saveexec_b64 s[50:51], vcc
	s_cbranch_execz .LBB21_8
.LBB21_178:
	s_andn2_b64 vcc, exec, s[36:37]
	s_cbranch_vccnz .LBB21_184
; %bb.179:
	s_andn2_b64 vcc, exec, s[48:49]
	s_cbranch_vccnz .LBB21_185
; %bb.180:
	s_add_i32 s60, s58, 1
	s_cmp_eq_u32 s56, 2
	s_cbranch_scc1 .LBB21_186
; %bb.181:
	s_and_b32 s59, s60, 28
	v_mov_b32_e32 v2, 0
	s_mov_b32 s61, 0
	s_mov_b64 s[52:53], s[34:35]
	s_mov_b64 s[54:55], s[46:47]
	v_mov_b32_e32 v0, 0
	v_mov_b32_e32 v1, v15
.LBB21_182:                             ; =>This Inner Loop Header: Depth=1
	s_load_dwordx8 s[8:15], s[52:53], 0x4
	s_load_dwordx4 s[28:31], s[52:53], 0x24
	s_load_dwordx8 s[0:7], s[54:55], 0x0
	s_add_u32 s52, s52, 48
	s_addc_u32 s53, s53, 0
	s_waitcnt lgkmcnt(0)
	v_mul_hi_u32 v3, s9, v1
	s_add_i32 s61, s61, 4
	s_add_u32 s54, s54, 32
	s_addc_u32 s55, s55, 0
	v_add_u32_e32 v3, v1, v3
	v_lshrrev_b32_e32 v3, s10, v3
	v_mul_lo_u32 v4, v3, s8
	v_mul_hi_u32 v5, s12, v3
	s_cmp_eq_u32 s59, s61
	v_sub_u32_e32 v1, v1, v4
	v_add_u32_e32 v4, v3, v5
	v_mul_lo_u32 v5, v1, s0
	v_mul_lo_u32 v6, v1, s1
	v_lshrrev_b32_e32 v1, s13, v4
	v_mul_lo_u32 v4, v1, s11
	v_mul_hi_u32 v7, s15, v1
	v_sub_u32_e32 v3, v3, v4
	v_add_u32_e32 v4, v1, v7
	v_lshrrev_b32_e32 v4, s28, v4
	v_mul_hi_u32 v8, s30, v4
	v_mul_lo_u32 v9, v4, s14
	v_mul_lo_u32 v7, v3, s2
	;; [unrolled: 1-line block ×3, first 2 shown]
	v_sub_u32_e32 v9, v1, v9
	v_add_u32_e32 v1, v4, v8
	v_lshrrev_b32_e32 v1, s31, v1
	v_mul_lo_u32 v8, v1, s29
	v_mul_lo_u32 v10, v9, s4
	;; [unrolled: 1-line block ×3, first 2 shown]
	v_add3_u32 v0, v5, v0, v7
	v_sub_u32_e32 v4, v4, v8
	v_mul_lo_u32 v8, v4, s6
	v_mul_lo_u32 v4, v4, s7
	v_add3_u32 v2, v6, v2, v3
	v_add3_u32 v0, v10, v0, v8
	;; [unrolled: 1-line block ×3, first 2 shown]
	s_cbranch_scc0 .LBB21_182
	s_branch .LBB21_187
.LBB21_183:
	s_waitcnt vmcnt(0)
	v_cmp_gt_i16_e32 vcc, s41, v1
	s_andn2_b64 s[2:3], s[2:3], exec
	s_and_b64 s[4:5], vcc, exec
	s_or_b64 s[2:3], s[2:3], s[4:5]
	s_cbranch_execz .LBB21_176
	s_branch .LBB21_177
.LBB21_184:
                                        ; implicit-def: $vgpr0
                                        ; implicit-def: $vgpr2
	s_branch .LBB21_191
.LBB21_185:
	v_mov_b32_e32 v0, 0
	v_mov_b32_e32 v2, 0
	s_branch .LBB21_190
.LBB21_186:
	s_mov_b32 s59, 0
	v_mov_b32_e32 v0, 0
	v_mov_b32_e32 v2, 0
	v_mov_b32_e32 v1, v15
.LBB21_187:
	s_and_b32 s4, s60, 3
	s_cmp_eq_u32 s4, 0
	s_cbranch_scc1 .LBB21_190
; %bb.188:
	s_lshl_b32 s0, s59, 3
	s_add_u32 s0, s34, s0
	s_addc_u32 s1, s35, 0
	s_add_u32 s0, s0, 0xc4
	s_addc_u32 s1, s1, 0
	s_mul_i32 s2, s59, 12
	s_add_u32 s2, s34, s2
	s_addc_u32 s3, s35, 0
.LBB21_189:                             ; =>This Inner Loop Header: Depth=1
	s_load_dwordx2 s[6:7], s[2:3], 0x4
	s_load_dword s5, s[2:3], 0xc
	s_load_dwordx2 s[8:9], s[0:1], 0x0
	s_add_u32 s2, s2, 12
	s_addc_u32 s3, s3, 0
	s_waitcnt lgkmcnt(0)
	v_mul_hi_u32 v3, s7, v1
	s_add_u32 s0, s0, 8
	s_addc_u32 s1, s1, 0
	s_add_i32 s4, s4, -1
	v_add_u32_e32 v3, v1, v3
	v_lshrrev_b32_e32 v4, s5, v3
	v_mul_lo_u32 v3, v4, s6
	s_cmp_lg_u32 s4, 0
	v_sub_u32_e32 v3, v1, v3
	v_mad_u64_u32 v[0:1], s[6:7], v3, s8, v[0:1]
	v_mad_u64_u32 v[2:3], s[6:7], v3, s9, v[2:3]
	v_mov_b32_e32 v1, v4
	s_cbranch_scc1 .LBB21_189
.LBB21_190:
	s_cbranch_execnz .LBB21_193
.LBB21_191:
	v_mul_hi_u32 v0, s21, v15
	s_andn2_b64 vcc, exec, s[44:45]
	v_add_u32_e32 v0, v15, v0
	v_lshrrev_b32_e32 v1, s22, v0
	v_mul_lo_u32 v0, v1, s20
	v_sub_u32_e32 v2, v15, v0
	v_mul_lo_u32 v0, v2, s24
	v_mul_lo_u32 v2, v2, s25
	s_cbranch_vccnz .LBB21_193
; %bb.192:
	v_mul_hi_u32 v3, s42, v1
	v_add_u32_e32 v3, v1, v3
	v_lshrrev_b32_e32 v3, s43, v3
	v_mul_lo_u32 v3, v3, s23
	v_sub_u32_e32 v3, v1, v3
	v_mad_u64_u32 v[0:1], s[0:1], v3, s26, v[0:1]
	v_mad_u64_u32 v[2:3], s[0:1], v3, s27, v[2:3]
.LBB21_193:
	global_load_sbyte v1, v2, s[18:19]
	s_cmp_lt_i32 s40, 1
	s_mov_b64 s[0:1], 0
	s_cbranch_scc1 .LBB21_197
; %bb.194:
	s_cmp_gt_i32 s40, 1
	s_cbranch_scc0 .LBB21_198
; %bb.195:
	s_cmp_eq_u32 s40, 2
	s_cbranch_scc0 .LBB21_476
; %bb.196:
	s_waitcnt vmcnt(0)
	v_cmp_ge_i16_e64 s[2:3], s41, v1
	s_mov_b64 s[4:5], 0
	s_branch .LBB21_200
.LBB21_197:
                                        ; implicit-def: $sgpr2_sgpr3
	s_mov_b64 s[4:5], 0
	s_cbranch_execnz .LBB21_201
	s_branch .LBB21_202
.LBB21_198:
	s_mov_b64 s[4:5], 0
                                        ; implicit-def: $sgpr2_sgpr3
	s_cbranch_execz .LBB21_200
; %bb.199:
	s_waitcnt vmcnt(0)
	v_cmp_lt_i16_e32 vcc, s41, v1
	s_andn2_b64 s[2:3], s[2:3], exec
	s_and_b64 s[6:7], vcc, exec
	s_or_b64 s[2:3], s[2:3], s[6:7]
.LBB21_200:
	s_branch .LBB21_202
.LBB21_201:
	s_cmp_lg_u32 s40, 0
	s_mov_b64 s[0:1], -1
	s_cselect_b64 s[4:5], -1, 0
.LBB21_202:
	s_andn2_b64 vcc, exec, s[4:5]
	s_cbranch_vccz .LBB21_211
; %bb.203:
	s_andn2_b64 vcc, exec, s[0:1]
	s_cbranch_vccnz .LBB21_205
.LBB21_204:
	s_waitcnt vmcnt(0)
	v_cmp_le_i16_e32 vcc, s41, v1
	s_andn2_b64 s[0:1], s[2:3], exec
	s_and_b64 s[2:3], vcc, exec
	s_or_b64 s[2:3], s[0:1], s[2:3]
.LBB21_205:
	s_waitcnt vmcnt(0)
	v_cndmask_b32_e64 v1, 0, 1, s[2:3]
	v_add_u32_e32 v15, 0x80, v15
	global_store_byte v0, v1, s[16:17]
	s_or_b64 exec, exec, s[50:51]
	v_cmp_gt_i32_e32 vcc, s57, v15
	s_and_saveexec_b64 s[50:51], vcc
	s_cbranch_execz .LBB21_234
.LBB21_206:
	s_andn2_b64 vcc, exec, s[36:37]
	s_cbranch_vccnz .LBB21_212
; %bb.207:
	s_andn2_b64 vcc, exec, s[48:49]
	s_cbranch_vccnz .LBB21_213
; %bb.208:
	s_add_i32 s58, s58, 1
	s_cmp_eq_u32 s56, 2
	s_cbranch_scc1 .LBB21_214
; %bb.209:
	s_and_b32 s52, s58, 28
	v_mov_b32_e32 v2, 0
	s_mov_b32 s53, 0
	s_mov_b64 s[48:49], s[34:35]
	v_mov_b32_e32 v0, 0
	v_mov_b32_e32 v1, v15
.LBB21_210:                             ; =>This Inner Loop Header: Depth=1
	s_load_dwordx8 s[8:15], s[48:49], 0x4
	s_load_dwordx4 s[28:31], s[48:49], 0x24
	s_load_dwordx8 s[0:7], s[46:47], 0x0
	s_add_u32 s48, s48, 48
	s_addc_u32 s49, s49, 0
	s_waitcnt lgkmcnt(0)
	v_mul_hi_u32 v3, s9, v1
	s_add_i32 s53, s53, 4
	s_add_u32 s46, s46, 32
	s_addc_u32 s47, s47, 0
	v_add_u32_e32 v3, v1, v3
	v_lshrrev_b32_e32 v3, s10, v3
	v_mul_lo_u32 v4, v3, s8
	v_mul_hi_u32 v5, s12, v3
	s_cmp_eq_u32 s52, s53
	v_sub_u32_e32 v1, v1, v4
	v_add_u32_e32 v4, v3, v5
	v_mul_lo_u32 v5, v1, s0
	v_mul_lo_u32 v6, v1, s1
	v_lshrrev_b32_e32 v1, s13, v4
	v_mul_lo_u32 v4, v1, s11
	v_mul_hi_u32 v7, s15, v1
	v_sub_u32_e32 v3, v3, v4
	v_add_u32_e32 v4, v1, v7
	v_lshrrev_b32_e32 v4, s28, v4
	v_mul_hi_u32 v8, s30, v4
	v_mul_lo_u32 v9, v4, s14
	v_mul_lo_u32 v7, v3, s2
	;; [unrolled: 1-line block ×3, first 2 shown]
	v_sub_u32_e32 v9, v1, v9
	v_add_u32_e32 v1, v4, v8
	v_lshrrev_b32_e32 v1, s31, v1
	v_mul_lo_u32 v8, v1, s29
	v_mul_lo_u32 v10, v9, s4
	;; [unrolled: 1-line block ×3, first 2 shown]
	v_add3_u32 v0, v5, v0, v7
	v_sub_u32_e32 v4, v4, v8
	v_mul_lo_u32 v8, v4, s6
	v_mul_lo_u32 v4, v4, s7
	v_add3_u32 v2, v6, v2, v3
	v_add3_u32 v0, v10, v0, v8
	;; [unrolled: 1-line block ×3, first 2 shown]
	s_cbranch_scc0 .LBB21_210
	s_branch .LBB21_215
.LBB21_211:
	s_waitcnt vmcnt(0)
	v_cmp_gt_i16_e32 vcc, s41, v1
	s_andn2_b64 s[2:3], s[2:3], exec
	s_and_b64 s[4:5], vcc, exec
	s_or_b64 s[2:3], s[2:3], s[4:5]
	s_cbranch_execz .LBB21_204
	s_branch .LBB21_205
.LBB21_212:
                                        ; implicit-def: $vgpr0
                                        ; implicit-def: $vgpr2
	s_branch .LBB21_219
.LBB21_213:
	v_mov_b32_e32 v0, 0
	v_mov_b32_e32 v2, 0
	s_branch .LBB21_218
.LBB21_214:
	s_mov_b32 s52, 0
	v_mov_b32_e32 v0, 0
	v_mov_b32_e32 v2, 0
	;; [unrolled: 1-line block ×3, first 2 shown]
.LBB21_215:
	s_and_b32 s4, s58, 3
	s_cmp_eq_u32 s4, 0
	s_cbranch_scc1 .LBB21_218
; %bb.216:
	s_lshl_b32 s0, s52, 3
	s_add_u32 s0, s34, s0
	s_addc_u32 s1, s35, 0
	s_add_u32 s0, s0, 0xc4
	s_addc_u32 s1, s1, 0
	s_mul_i32 s2, s52, 12
	s_add_u32 s2, s34, s2
	s_addc_u32 s3, s35, 0
.LBB21_217:                             ; =>This Inner Loop Header: Depth=1
	s_load_dwordx2 s[6:7], s[2:3], 0x4
	s_load_dword s5, s[2:3], 0xc
	s_load_dwordx2 s[8:9], s[0:1], 0x0
	s_add_u32 s2, s2, 12
	s_addc_u32 s3, s3, 0
	s_waitcnt lgkmcnt(0)
	v_mul_hi_u32 v3, s7, v1
	s_add_u32 s0, s0, 8
	s_addc_u32 s1, s1, 0
	s_add_i32 s4, s4, -1
	v_add_u32_e32 v3, v1, v3
	v_lshrrev_b32_e32 v4, s5, v3
	v_mul_lo_u32 v3, v4, s6
	s_cmp_lg_u32 s4, 0
	v_sub_u32_e32 v3, v1, v3
	v_mad_u64_u32 v[0:1], s[6:7], v3, s8, v[0:1]
	v_mad_u64_u32 v[2:3], s[6:7], v3, s9, v[2:3]
	v_mov_b32_e32 v1, v4
	s_cbranch_scc1 .LBB21_217
.LBB21_218:
	s_cbranch_execnz .LBB21_221
.LBB21_219:
	v_mul_hi_u32 v0, s21, v15
	s_andn2_b64 vcc, exec, s[44:45]
	v_add_u32_e32 v0, v15, v0
	v_lshrrev_b32_e32 v1, s22, v0
	v_mul_lo_u32 v0, v1, s20
	v_sub_u32_e32 v2, v15, v0
	v_mul_lo_u32 v0, v2, s24
	v_mul_lo_u32 v2, v2, s25
	s_cbranch_vccnz .LBB21_221
; %bb.220:
	v_mul_hi_u32 v3, s42, v1
	v_add_u32_e32 v3, v1, v3
	v_lshrrev_b32_e32 v3, s43, v3
	v_mul_lo_u32 v3, v3, s23
	v_sub_u32_e32 v3, v1, v3
	v_mad_u64_u32 v[0:1], s[0:1], v3, s26, v[0:1]
	v_mad_u64_u32 v[2:3], s[0:1], v3, s27, v[2:3]
.LBB21_221:
	global_load_sbyte v1, v2, s[18:19]
	s_cmp_lt_i32 s40, 1
	s_mov_b64 s[0:1], 0
	s_cbranch_scc1 .LBB21_225
; %bb.222:
	s_cmp_gt_i32 s40, 1
	s_cbranch_scc0 .LBB21_226
; %bb.223:
	s_cmp_eq_u32 s40, 2
	s_cbranch_scc0 .LBB21_477
; %bb.224:
	s_waitcnt vmcnt(0)
	v_cmp_ge_i16_e64 s[2:3], s41, v1
	s_mov_b64 s[4:5], 0
	s_branch .LBB21_228
.LBB21_225:
                                        ; implicit-def: $sgpr2_sgpr3
	s_mov_b64 s[4:5], 0
	s_cbranch_execnz .LBB21_229
	s_branch .LBB21_230
.LBB21_226:
	s_mov_b64 s[4:5], 0
                                        ; implicit-def: $sgpr2_sgpr3
	s_cbranch_execz .LBB21_228
; %bb.227:
	s_waitcnt vmcnt(0)
	v_cmp_lt_i16_e32 vcc, s41, v1
	s_andn2_b64 s[2:3], s[2:3], exec
	s_and_b64 s[6:7], vcc, exec
	s_or_b64 s[2:3], s[2:3], s[6:7]
.LBB21_228:
	s_branch .LBB21_230
.LBB21_229:
	s_cmp_lg_u32 s40, 0
	s_mov_b64 s[0:1], -1
	s_cselect_b64 s[4:5], -1, 0
.LBB21_230:
	s_andn2_b64 vcc, exec, s[4:5]
	s_cbranch_vccz .LBB21_244
; %bb.231:
	s_andn2_b64 vcc, exec, s[0:1]
	s_cbranch_vccnz .LBB21_233
.LBB21_232:
	s_waitcnt vmcnt(0)
	v_cmp_le_i16_e32 vcc, s41, v1
	s_andn2_b64 s[0:1], s[2:3], exec
	s_and_b64 s[2:3], vcc, exec
	s_or_b64 s[2:3], s[0:1], s[2:3]
.LBB21_233:
	s_waitcnt vmcnt(0)
	v_cndmask_b32_e64 v1, 0, 1, s[2:3]
	global_store_byte v0, v1, s[16:17]
.LBB21_234:
	s_or_b64 exec, exec, s[50:51]
                                        ; implicit-def: $vgpr22
                                        ; implicit-def: $vgpr15
.LBB21_235:
	s_andn2_saveexec_b64 s[0:1], s[38:39]
	s_cbranch_execz .LBB21_242
; %bb.236:
	v_cndmask_b32_e64 v0, 0, 1, s[36:37]
	v_cmp_ne_u32_e64 s[0:1], 1, v0
	s_andn2_b64 vcc, exec, s[36:37]
	s_cbranch_vccnz .LBB21_243
; %bb.237:
	s_cmp_lg_u32 s33, 0
	s_mov_b32 s26, 0
	s_cbranch_scc0 .LBB21_245
; %bb.238:
	s_min_u32 s27, s56, 15
	s_add_i32 s27, s27, 1
	s_cmp_eq_u32 s56, 2
	s_cbranch_scc1 .LBB21_246
; %bb.239:
	s_and_b32 s26, s27, 28
	s_add_u32 s2, s34, 0xc4
	s_addc_u32 s3, s35, 0
	v_mov_b32_e32 v5, 0
	s_mov_b32 s28, 0
	s_mov_b64 s[24:25], s[34:35]
	v_mov_b32_e32 v0, 0
	v_mov_b32_e32 v1, v15
.LBB21_240:                             ; =>This Inner Loop Header: Depth=1
	s_load_dwordx8 s[12:19], s[24:25], 0x4
	s_load_dwordx4 s[20:23], s[24:25], 0x24
	s_load_dwordx8 s[4:11], s[2:3], 0x0
	s_add_u32 s24, s24, 48
	s_addc_u32 s25, s25, 0
	s_waitcnt lgkmcnt(0)
	v_mul_hi_u32 v2, s13, v1
	s_add_i32 s28, s28, 4
	s_add_u32 s2, s2, 32
	s_addc_u32 s3, s3, 0
	v_add_u32_e32 v2, v1, v2
	v_lshrrev_b32_e32 v2, s14, v2
	v_mul_lo_u32 v3, v2, s12
	v_mul_hi_u32 v4, s16, v2
	s_cmp_lg_u32 s26, s28
	v_sub_u32_e32 v1, v1, v3
	v_add_u32_e32 v3, v2, v4
	v_mul_lo_u32 v4, v1, s4
	v_mul_lo_u32 v6, v1, s5
	v_lshrrev_b32_e32 v1, s17, v3
	v_mul_lo_u32 v3, v1, s15
	v_mul_hi_u32 v7, s19, v1
	v_sub_u32_e32 v2, v2, v3
	v_add_u32_e32 v3, v1, v7
	v_lshrrev_b32_e32 v3, s20, v3
	v_mul_hi_u32 v8, s22, v3
	v_mul_lo_u32 v9, v3, s18
	v_mul_lo_u32 v7, v2, s6
	;; [unrolled: 1-line block ×3, first 2 shown]
	v_sub_u32_e32 v9, v1, v9
	v_add_u32_e32 v1, v3, v8
	v_lshrrev_b32_e32 v1, s23, v1
	v_mul_lo_u32 v8, v1, s21
	v_mul_lo_u32 v10, v9, s8
	;; [unrolled: 1-line block ×3, first 2 shown]
	v_add3_u32 v0, v4, v0, v7
	v_sub_u32_e32 v3, v3, v8
	v_mul_lo_u32 v8, v3, s10
	v_mul_lo_u32 v3, v3, s11
	v_add3_u32 v2, v6, v5, v2
	v_add3_u32 v0, v10, v0, v8
	;; [unrolled: 1-line block ×3, first 2 shown]
	s_cbranch_scc1 .LBB21_240
; %bb.241:
	s_and_b32 s6, s27, 3
	s_cmp_eq_u32 s6, 0
	s_cbranch_scc0 .LBB21_247
	s_branch .LBB21_249
.LBB21_242:
	s_endpgm
.LBB21_243:
                                        ; implicit-def: $vgpr0
                                        ; implicit-def: $vgpr5
	s_branch .LBB21_250
.LBB21_244:
	s_waitcnt vmcnt(0)
	v_cmp_gt_i16_e32 vcc, s41, v1
	s_andn2_b64 s[2:3], s[2:3], exec
	s_and_b64 s[4:5], vcc, exec
	s_or_b64 s[2:3], s[2:3], s[4:5]
	s_cbranch_execz .LBB21_232
	s_branch .LBB21_233
.LBB21_245:
	v_mov_b32_e32 v0, 0
	v_mov_b32_e32 v5, 0
	s_branch .LBB21_249
.LBB21_246:
	v_mov_b32_e32 v0, 0
	v_mov_b32_e32 v5, 0
	;; [unrolled: 1-line block ×3, first 2 shown]
	s_and_b32 s6, s27, 3
	s_cmp_eq_u32 s6, 0
	s_cbranch_scc1 .LBB21_249
.LBB21_247:
	s_lshl_b32 s2, s26, 3
	s_add_u32 s2, s34, s2
	s_addc_u32 s3, s35, 0
	s_add_u32 s2, s2, 0xc4
	s_addc_u32 s3, s3, 0
	s_mul_i32 s4, s26, 12
	s_add_u32 s4, s34, s4
	s_addc_u32 s5, s35, 0
.LBB21_248:                             ; =>This Inner Loop Header: Depth=1
	s_load_dwordx2 s[8:9], s[4:5], 0x4
	s_load_dword s7, s[4:5], 0xc
	s_load_dwordx2 s[10:11], s[2:3], 0x0
	s_add_u32 s4, s4, 12
	s_addc_u32 s5, s5, 0
	s_waitcnt lgkmcnt(0)
	v_mul_hi_u32 v2, s9, v1
	s_add_u32 s2, s2, 8
	s_addc_u32 s3, s3, 0
	s_add_i32 s6, s6, -1
	v_add_u32_e32 v2, v1, v2
	v_lshrrev_b32_e32 v2, s7, v2
	v_mul_lo_u32 v3, v2, s8
	s_cmp_lg_u32 s6, 0
	v_sub_u32_e32 v3, v1, v3
	v_mad_u64_u32 v[0:1], s[8:9], v3, s10, v[0:1]
	v_mad_u64_u32 v[5:6], s[8:9], v3, s11, v[5:6]
	v_mov_b32_e32 v1, v2
	s_cbranch_scc1 .LBB21_248
.LBB21_249:
	s_cbranch_execnz .LBB21_252
.LBB21_250:
	s_load_dwordx4 s[4:7], s[34:35], 0x4
	s_load_dwordx2 s[2:3], s[34:35], 0xc4
	s_cmp_lt_u32 s33, 2
	s_waitcnt lgkmcnt(0)
	v_mul_hi_u32 v0, s5, v15
	v_add_u32_e32 v0, v15, v0
	v_lshrrev_b32_e32 v1, s6, v0
	v_mul_lo_u32 v0, v1, s4
	v_sub_u32_e32 v2, v15, v0
	v_mul_lo_u32 v0, v2, s2
	v_mul_lo_u32 v5, v2, s3
	s_cbranch_scc1 .LBB21_252
; %bb.251:
	s_load_dwordx4 s[4:7], s[34:35], 0x10
	s_load_dwordx2 s[2:3], s[34:35], 0xcc
	s_waitcnt lgkmcnt(0)
	v_mul_hi_u32 v2, s5, v1
	v_add_u32_e32 v2, v1, v2
	v_lshrrev_b32_e32 v2, s6, v2
	v_mul_lo_u32 v2, v2, s4
	v_sub_u32_e32 v2, v1, v2
	v_mad_u64_u32 v[0:1], s[4:5], v2, s2, v[0:1]
	v_mad_u64_u32 v[5:6], s[2:3], v2, s3, v[5:6]
.LBB21_252:
	s_and_b64 vcc, exec, s[0:1]
	v_add_u32_e32 v3, 0x80, v15
	s_cbranch_vccnz .LBB21_258
; %bb.253:
	s_cmp_lg_u32 s33, 0
	s_mov_b32 s26, 0
	s_cbranch_scc0 .LBB21_259
; %bb.254:
	s_min_u32 s27, s56, 15
	s_add_i32 s27, s27, 1
	s_cmp_eq_u32 s56, 2
	s_cbranch_scc1 .LBB21_260
; %bb.255:
	s_and_b32 s26, s27, 28
	s_add_u32 s2, s34, 0xc4
	s_addc_u32 s3, s35, 0
	v_mov_b32_e32 v6, 0
	s_mov_b32 s28, 0
	s_mov_b64 s[24:25], s[34:35]
	v_mov_b32_e32 v1, 0
	v_mov_b32_e32 v2, v3
.LBB21_256:                             ; =>This Inner Loop Header: Depth=1
	s_load_dwordx8 s[12:19], s[24:25], 0x4
	s_load_dwordx4 s[20:23], s[24:25], 0x24
	s_load_dwordx8 s[4:11], s[2:3], 0x0
	s_add_u32 s24, s24, 48
	s_addc_u32 s25, s25, 0
	s_waitcnt lgkmcnt(0)
	v_mul_hi_u32 v4, s13, v2
	s_add_i32 s28, s28, 4
	s_add_u32 s2, s2, 32
	s_addc_u32 s3, s3, 0
	v_add_u32_e32 v4, v2, v4
	v_lshrrev_b32_e32 v4, s14, v4
	v_mul_lo_u32 v7, v4, s12
	v_mul_hi_u32 v8, s16, v4
	s_cmp_lg_u32 s26, s28
	v_sub_u32_e32 v2, v2, v7
	v_add_u32_e32 v7, v4, v8
	v_mul_lo_u32 v8, v2, s4
	v_mul_lo_u32 v9, v2, s5
	v_lshrrev_b32_e32 v2, s17, v7
	v_mul_lo_u32 v7, v2, s15
	v_mul_hi_u32 v10, s19, v2
	v_sub_u32_e32 v4, v4, v7
	v_add_u32_e32 v7, v2, v10
	v_lshrrev_b32_e32 v7, s20, v7
	v_mul_hi_u32 v11, s22, v7
	v_mul_lo_u32 v12, v7, s18
	v_mul_lo_u32 v10, v4, s6
	;; [unrolled: 1-line block ×3, first 2 shown]
	v_sub_u32_e32 v12, v2, v12
	v_add_u32_e32 v2, v7, v11
	v_lshrrev_b32_e32 v2, s23, v2
	v_mul_lo_u32 v11, v2, s21
	v_mul_lo_u32 v13, v12, s8
	;; [unrolled: 1-line block ×3, first 2 shown]
	v_add3_u32 v1, v8, v1, v10
	v_sub_u32_e32 v7, v7, v11
	v_mul_lo_u32 v11, v7, s10
	v_mul_lo_u32 v7, v7, s11
	v_add3_u32 v4, v9, v6, v4
	v_add3_u32 v1, v13, v1, v11
	;; [unrolled: 1-line block ×3, first 2 shown]
	s_cbranch_scc1 .LBB21_256
; %bb.257:
	s_and_b32 s6, s27, 3
	s_cmp_eq_u32 s6, 0
	s_cbranch_scc0 .LBB21_261
	s_branch .LBB21_263
.LBB21_258:
                                        ; implicit-def: $vgpr1
                                        ; implicit-def: $vgpr6
	s_branch .LBB21_264
.LBB21_259:
	v_mov_b32_e32 v1, 0
	v_mov_b32_e32 v6, 0
	s_branch .LBB21_263
.LBB21_260:
	v_mov_b32_e32 v1, 0
	v_mov_b32_e32 v6, 0
	;; [unrolled: 1-line block ×3, first 2 shown]
	s_and_b32 s6, s27, 3
	s_cmp_eq_u32 s6, 0
	s_cbranch_scc1 .LBB21_263
.LBB21_261:
	s_lshl_b32 s2, s26, 3
	s_add_u32 s2, s34, s2
	s_addc_u32 s3, s35, 0
	s_add_u32 s2, s2, 0xc4
	s_addc_u32 s3, s3, 0
	s_mul_i32 s4, s26, 12
	s_add_u32 s4, s34, s4
	s_addc_u32 s5, s35, 0
.LBB21_262:                             ; =>This Inner Loop Header: Depth=1
	s_load_dwordx2 s[8:9], s[4:5], 0x4
	s_load_dword s7, s[4:5], 0xc
	s_load_dwordx2 s[10:11], s[2:3], 0x0
	s_add_u32 s4, s4, 12
	s_addc_u32 s5, s5, 0
	s_waitcnt lgkmcnt(0)
	v_mul_hi_u32 v4, s9, v2
	s_add_u32 s2, s2, 8
	s_addc_u32 s3, s3, 0
	s_add_i32 s6, s6, -1
	v_add_u32_e32 v4, v2, v4
	v_lshrrev_b32_e32 v4, s7, v4
	v_mul_lo_u32 v7, v4, s8
	s_cmp_lg_u32 s6, 0
	v_sub_u32_e32 v7, v2, v7
	v_mad_u64_u32 v[1:2], s[8:9], v7, s10, v[1:2]
	v_mad_u64_u32 v[6:7], s[8:9], v7, s11, v[6:7]
	v_mov_b32_e32 v2, v4
	s_cbranch_scc1 .LBB21_262
.LBB21_263:
	s_cbranch_execnz .LBB21_266
.LBB21_264:
	s_load_dwordx4 s[4:7], s[34:35], 0x4
	s_load_dwordx2 s[2:3], s[34:35], 0xc4
	s_cmp_lt_u32 s33, 2
	s_waitcnt lgkmcnt(0)
	v_mul_hi_u32 v1, s5, v3
	v_add_u32_e32 v1, v3, v1
	v_lshrrev_b32_e32 v2, s6, v1
	v_mul_lo_u32 v1, v2, s4
	v_sub_u32_e32 v3, v3, v1
	v_mul_lo_u32 v1, v3, s2
	v_mul_lo_u32 v6, v3, s3
	s_cbranch_scc1 .LBB21_266
; %bb.265:
	s_load_dwordx4 s[4:7], s[34:35], 0x10
	s_load_dwordx2 s[2:3], s[34:35], 0xcc
	s_waitcnt lgkmcnt(0)
	v_mul_hi_u32 v3, s5, v2
	v_add_u32_e32 v3, v2, v3
	v_lshrrev_b32_e32 v3, s6, v3
	v_mul_lo_u32 v3, v3, s4
	v_sub_u32_e32 v3, v2, v3
	v_mad_u64_u32 v[1:2], s[4:5], v3, s2, v[1:2]
	v_mad_u64_u32 v[6:7], s[2:3], v3, s3, v[6:7]
.LBB21_266:
	s_and_b64 vcc, exec, s[0:1]
	v_add_u32_e32 v4, 0x100, v15
	s_cbranch_vccnz .LBB21_272
; %bb.267:
	s_cmp_lg_u32 s33, 0
	s_mov_b32 s26, 0
	s_cbranch_scc0 .LBB21_273
; %bb.268:
	s_min_u32 s27, s56, 15
	s_add_i32 s27, s27, 1
	s_cmp_eq_u32 s56, 2
	s_cbranch_scc1 .LBB21_274
; %bb.269:
	s_and_b32 s26, s27, 28
	s_add_u32 s2, s34, 0xc4
	s_addc_u32 s3, s35, 0
	v_mov_b32_e32 v9, 0
	s_mov_b32 s28, 0
	s_mov_b64 s[24:25], s[34:35]
	v_mov_b32_e32 v2, 0
	v_mov_b32_e32 v3, v4
.LBB21_270:                             ; =>This Inner Loop Header: Depth=1
	s_load_dwordx8 s[12:19], s[24:25], 0x4
	s_load_dwordx4 s[20:23], s[24:25], 0x24
	s_load_dwordx8 s[4:11], s[2:3], 0x0
	s_add_u32 s24, s24, 48
	s_addc_u32 s25, s25, 0
	s_waitcnt lgkmcnt(0)
	v_mul_hi_u32 v7, s13, v3
	s_add_i32 s28, s28, 4
	s_add_u32 s2, s2, 32
	s_addc_u32 s3, s3, 0
	v_add_u32_e32 v7, v3, v7
	v_lshrrev_b32_e32 v7, s14, v7
	v_mul_lo_u32 v8, v7, s12
	v_mul_hi_u32 v10, s16, v7
	s_cmp_lg_u32 s26, s28
	v_sub_u32_e32 v3, v3, v8
	v_add_u32_e32 v8, v7, v10
	v_mul_lo_u32 v10, v3, s4
	v_mul_lo_u32 v11, v3, s5
	v_lshrrev_b32_e32 v3, s17, v8
	v_mul_lo_u32 v8, v3, s15
	v_mul_hi_u32 v12, s19, v3
	v_sub_u32_e32 v7, v7, v8
	v_add_u32_e32 v8, v3, v12
	v_lshrrev_b32_e32 v8, s20, v8
	v_mul_hi_u32 v13, s22, v8
	v_mul_lo_u32 v14, v8, s18
	v_mul_lo_u32 v12, v7, s6
	;; [unrolled: 1-line block ×3, first 2 shown]
	v_sub_u32_e32 v14, v3, v14
	v_add_u32_e32 v3, v8, v13
	v_lshrrev_b32_e32 v3, s23, v3
	v_mul_lo_u32 v13, v3, s21
	v_mul_lo_u32 v16, v14, s8
	;; [unrolled: 1-line block ×3, first 2 shown]
	v_add3_u32 v2, v10, v2, v12
	v_sub_u32_e32 v8, v8, v13
	v_mul_lo_u32 v13, v8, s10
	v_mul_lo_u32 v8, v8, s11
	v_add3_u32 v7, v11, v9, v7
	v_add3_u32 v2, v16, v2, v13
	;; [unrolled: 1-line block ×3, first 2 shown]
	s_cbranch_scc1 .LBB21_270
; %bb.271:
	s_and_b32 s6, s27, 3
	s_cmp_eq_u32 s6, 0
	s_cbranch_scc0 .LBB21_275
	s_branch .LBB21_277
.LBB21_272:
                                        ; implicit-def: $vgpr2
                                        ; implicit-def: $vgpr9
	s_branch .LBB21_278
.LBB21_273:
	v_mov_b32_e32 v2, 0
	v_mov_b32_e32 v9, 0
	s_branch .LBB21_277
.LBB21_274:
	v_mov_b32_e32 v2, 0
	v_mov_b32_e32 v9, 0
	;; [unrolled: 1-line block ×3, first 2 shown]
	s_and_b32 s6, s27, 3
	s_cmp_eq_u32 s6, 0
	s_cbranch_scc1 .LBB21_277
.LBB21_275:
	s_lshl_b32 s2, s26, 3
	s_add_u32 s2, s34, s2
	s_addc_u32 s3, s35, 0
	s_add_u32 s2, s2, 0xc4
	s_addc_u32 s3, s3, 0
	s_mul_i32 s4, s26, 12
	s_add_u32 s4, s34, s4
	s_addc_u32 s5, s35, 0
.LBB21_276:                             ; =>This Inner Loop Header: Depth=1
	s_load_dwordx2 s[8:9], s[4:5], 0x4
	s_load_dword s7, s[4:5], 0xc
	s_load_dwordx2 s[10:11], s[2:3], 0x0
	s_add_u32 s4, s4, 12
	s_addc_u32 s5, s5, 0
	s_waitcnt lgkmcnt(0)
	v_mul_hi_u32 v7, s9, v3
	s_add_u32 s2, s2, 8
	s_addc_u32 s3, s3, 0
	s_add_i32 s6, s6, -1
	v_add_u32_e32 v7, v3, v7
	v_lshrrev_b32_e32 v7, s7, v7
	v_mul_lo_u32 v8, v7, s8
	s_cmp_lg_u32 s6, 0
	v_sub_u32_e32 v8, v3, v8
	v_mad_u64_u32 v[2:3], s[8:9], v8, s10, v[2:3]
	v_mad_u64_u32 v[9:10], s[8:9], v8, s11, v[9:10]
	v_mov_b32_e32 v3, v7
	s_cbranch_scc1 .LBB21_276
.LBB21_277:
	s_cbranch_execnz .LBB21_280
.LBB21_278:
	s_load_dwordx4 s[4:7], s[34:35], 0x4
	s_load_dwordx2 s[2:3], s[34:35], 0xc4
	s_cmp_lt_u32 s33, 2
	s_waitcnt lgkmcnt(0)
	v_mul_hi_u32 v2, s5, v4
	v_add_u32_e32 v2, v4, v2
	v_lshrrev_b32_e32 v3, s6, v2
	v_mul_lo_u32 v2, v3, s4
	v_sub_u32_e32 v4, v4, v2
	v_mul_lo_u32 v2, v4, s2
	v_mul_lo_u32 v9, v4, s3
	s_cbranch_scc1 .LBB21_280
; %bb.279:
	s_load_dwordx4 s[4:7], s[34:35], 0x10
	s_load_dwordx2 s[2:3], s[34:35], 0xcc
	s_waitcnt lgkmcnt(0)
	v_mul_hi_u32 v4, s5, v3
	v_add_u32_e32 v4, v3, v4
	v_lshrrev_b32_e32 v4, s6, v4
	v_mul_lo_u32 v4, v4, s4
	v_sub_u32_e32 v4, v3, v4
	v_mad_u64_u32 v[2:3], s[4:5], v4, s2, v[2:3]
	v_mad_u64_u32 v[9:10], s[2:3], v4, s3, v[9:10]
.LBB21_280:
	s_and_b64 vcc, exec, s[0:1]
	v_add_u32_e32 v7, 0x180, v15
	s_cbranch_vccnz .LBB21_286
; %bb.281:
	s_cmp_lg_u32 s33, 0
	s_mov_b32 s26, 0
	s_cbranch_scc0 .LBB21_287
; %bb.282:
	s_min_u32 s27, s56, 15
	s_add_i32 s27, s27, 1
	s_cmp_eq_u32 s56, 2
	s_cbranch_scc1 .LBB21_288
; %bb.283:
	s_and_b32 s26, s27, 28
	s_add_u32 s2, s34, 0xc4
	s_addc_u32 s3, s35, 0
	v_mov_b32_e32 v12, 0
	s_mov_b32 s28, 0
	s_mov_b64 s[24:25], s[34:35]
	v_mov_b32_e32 v3, 0
	v_mov_b32_e32 v4, v7
.LBB21_284:                             ; =>This Inner Loop Header: Depth=1
	s_load_dwordx8 s[12:19], s[24:25], 0x4
	s_load_dwordx4 s[20:23], s[24:25], 0x24
	s_load_dwordx8 s[4:11], s[2:3], 0x0
	s_add_u32 s24, s24, 48
	s_addc_u32 s25, s25, 0
	s_waitcnt lgkmcnt(0)
	v_mul_hi_u32 v8, s13, v4
	s_add_i32 s28, s28, 4
	s_add_u32 s2, s2, 32
	s_addc_u32 s3, s3, 0
	v_add_u32_e32 v8, v4, v8
	v_lshrrev_b32_e32 v8, s14, v8
	v_mul_lo_u32 v10, v8, s12
	v_mul_hi_u32 v11, s16, v8
	s_cmp_lg_u32 s26, s28
	v_sub_u32_e32 v4, v4, v10
	v_add_u32_e32 v10, v8, v11
	v_mul_lo_u32 v11, v4, s4
	v_mul_lo_u32 v13, v4, s5
	v_lshrrev_b32_e32 v4, s17, v10
	v_mul_lo_u32 v10, v4, s15
	v_mul_hi_u32 v14, s19, v4
	v_sub_u32_e32 v8, v8, v10
	v_add_u32_e32 v10, v4, v14
	v_lshrrev_b32_e32 v10, s20, v10
	v_mul_hi_u32 v16, s22, v10
	v_mul_lo_u32 v17, v10, s18
	v_mul_lo_u32 v14, v8, s6
	;; [unrolled: 1-line block ×3, first 2 shown]
	v_sub_u32_e32 v17, v4, v17
	v_add_u32_e32 v4, v10, v16
	v_lshrrev_b32_e32 v4, s23, v4
	v_mul_lo_u32 v16, v4, s21
	v_mul_lo_u32 v18, v17, s8
	;; [unrolled: 1-line block ×3, first 2 shown]
	v_add3_u32 v3, v11, v3, v14
	v_sub_u32_e32 v10, v10, v16
	v_mul_lo_u32 v16, v10, s10
	v_mul_lo_u32 v10, v10, s11
	v_add3_u32 v8, v13, v12, v8
	v_add3_u32 v3, v18, v3, v16
	;; [unrolled: 1-line block ×3, first 2 shown]
	s_cbranch_scc1 .LBB21_284
; %bb.285:
	s_and_b32 s6, s27, 3
	s_cmp_eq_u32 s6, 0
	s_cbranch_scc0 .LBB21_289
	s_branch .LBB21_291
.LBB21_286:
                                        ; implicit-def: $vgpr3
                                        ; implicit-def: $vgpr12
	s_branch .LBB21_292
.LBB21_287:
	v_mov_b32_e32 v3, 0
	v_mov_b32_e32 v12, 0
	s_branch .LBB21_291
.LBB21_288:
	v_mov_b32_e32 v3, 0
	v_mov_b32_e32 v12, 0
	;; [unrolled: 1-line block ×3, first 2 shown]
	s_and_b32 s6, s27, 3
	s_cmp_eq_u32 s6, 0
	s_cbranch_scc1 .LBB21_291
.LBB21_289:
	s_lshl_b32 s2, s26, 3
	s_add_u32 s2, s34, s2
	s_addc_u32 s3, s35, 0
	s_add_u32 s2, s2, 0xc4
	s_addc_u32 s3, s3, 0
	s_mul_i32 s4, s26, 12
	s_add_u32 s4, s34, s4
	s_addc_u32 s5, s35, 0
.LBB21_290:                             ; =>This Inner Loop Header: Depth=1
	s_load_dwordx2 s[8:9], s[4:5], 0x4
	s_load_dword s7, s[4:5], 0xc
	s_load_dwordx2 s[10:11], s[2:3], 0x0
	s_add_u32 s4, s4, 12
	s_addc_u32 s5, s5, 0
	s_waitcnt lgkmcnt(0)
	v_mul_hi_u32 v8, s9, v4
	s_add_u32 s2, s2, 8
	s_addc_u32 s3, s3, 0
	s_add_i32 s6, s6, -1
	v_add_u32_e32 v8, v4, v8
	v_lshrrev_b32_e32 v8, s7, v8
	v_mul_lo_u32 v10, v8, s8
	s_cmp_lg_u32 s6, 0
	v_sub_u32_e32 v10, v4, v10
	v_mad_u64_u32 v[3:4], s[8:9], v10, s10, v[3:4]
	v_mad_u64_u32 v[12:13], s[8:9], v10, s11, v[12:13]
	v_mov_b32_e32 v4, v8
	s_cbranch_scc1 .LBB21_290
.LBB21_291:
	s_cbranch_execnz .LBB21_294
.LBB21_292:
	s_load_dwordx4 s[4:7], s[34:35], 0x4
	s_load_dwordx2 s[2:3], s[34:35], 0xc4
	s_cmp_lt_u32 s33, 2
	s_waitcnt lgkmcnt(0)
	v_mul_hi_u32 v3, s5, v7
	v_add_u32_e32 v3, v7, v3
	v_lshrrev_b32_e32 v4, s6, v3
	v_mul_lo_u32 v3, v4, s4
	v_sub_u32_e32 v7, v7, v3
	v_mul_lo_u32 v3, v7, s2
	v_mul_lo_u32 v12, v7, s3
	s_cbranch_scc1 .LBB21_294
; %bb.293:
	s_load_dwordx4 s[4:7], s[34:35], 0x10
	s_load_dwordx2 s[2:3], s[34:35], 0xcc
	s_waitcnt lgkmcnt(0)
	v_mul_hi_u32 v7, s5, v4
	v_add_u32_e32 v7, v4, v7
	v_lshrrev_b32_e32 v7, s6, v7
	v_mul_lo_u32 v7, v7, s4
	v_sub_u32_e32 v7, v4, v7
	v_mad_u64_u32 v[3:4], s[4:5], v7, s2, v[3:4]
	v_mad_u64_u32 v[12:13], s[2:3], v7, s3, v[12:13]
.LBB21_294:
	s_and_b64 vcc, exec, s[0:1]
	v_add_u32_e32 v4, 0x200, v15
	s_cbranch_vccnz .LBB21_300
; %bb.295:
	s_cmp_lg_u32 s33, 0
	s_mov_b32 s26, 0
	s_cbranch_scc0 .LBB21_301
; %bb.296:
	s_min_u32 s27, s56, 15
	s_add_i32 s27, s27, 1
	s_cmp_eq_u32 s56, 2
	s_cbranch_scc1 .LBB21_302
; %bb.297:
	s_and_b32 s26, s27, 28
	s_add_u32 s2, s34, 0xc4
	s_addc_u32 s3, s35, 0
	v_mov_b32_e32 v13, 0
	s_mov_b32 s28, 0
	s_mov_b64 s[24:25], s[34:35]
	v_mov_b32_e32 v7, 0
	v_mov_b32_e32 v8, v4
.LBB21_298:                             ; =>This Inner Loop Header: Depth=1
	s_load_dwordx8 s[12:19], s[24:25], 0x4
	s_load_dwordx4 s[20:23], s[24:25], 0x24
	s_load_dwordx8 s[4:11], s[2:3], 0x0
	s_add_u32 s24, s24, 48
	s_addc_u32 s25, s25, 0
	s_waitcnt lgkmcnt(0)
	v_mul_hi_u32 v10, s13, v8
	s_add_i32 s28, s28, 4
	s_add_u32 s2, s2, 32
	s_addc_u32 s3, s3, 0
	v_add_u32_e32 v10, v8, v10
	v_lshrrev_b32_e32 v10, s14, v10
	v_mul_lo_u32 v11, v10, s12
	v_mul_hi_u32 v14, s16, v10
	s_cmp_lg_u32 s26, s28
	v_sub_u32_e32 v8, v8, v11
	v_add_u32_e32 v11, v10, v14
	v_mul_lo_u32 v14, v8, s4
	v_mul_lo_u32 v16, v8, s5
	v_lshrrev_b32_e32 v8, s17, v11
	v_mul_lo_u32 v11, v8, s15
	v_mul_hi_u32 v17, s19, v8
	v_sub_u32_e32 v10, v10, v11
	v_add_u32_e32 v11, v8, v17
	v_lshrrev_b32_e32 v11, s20, v11
	v_mul_hi_u32 v18, s22, v11
	v_mul_lo_u32 v19, v11, s18
	v_mul_lo_u32 v17, v10, s6
	v_mul_lo_u32 v10, v10, s7
	v_sub_u32_e32 v19, v8, v19
	v_add_u32_e32 v8, v11, v18
	v_lshrrev_b32_e32 v8, s23, v8
	v_mul_lo_u32 v18, v8, s21
	v_mul_lo_u32 v20, v19, s8
	;; [unrolled: 1-line block ×3, first 2 shown]
	v_add3_u32 v7, v14, v7, v17
	v_sub_u32_e32 v11, v11, v18
	v_mul_lo_u32 v18, v11, s10
	v_mul_lo_u32 v11, v11, s11
	v_add3_u32 v10, v16, v13, v10
	v_add3_u32 v7, v20, v7, v18
	;; [unrolled: 1-line block ×3, first 2 shown]
	s_cbranch_scc1 .LBB21_298
; %bb.299:
	s_and_b32 s6, s27, 3
	s_cmp_eq_u32 s6, 0
	s_cbranch_scc0 .LBB21_303
	s_branch .LBB21_305
.LBB21_300:
                                        ; implicit-def: $vgpr7
                                        ; implicit-def: $vgpr13
	s_branch .LBB21_306
.LBB21_301:
	v_mov_b32_e32 v7, 0
	v_mov_b32_e32 v13, 0
	s_branch .LBB21_305
.LBB21_302:
	v_mov_b32_e32 v7, 0
	v_mov_b32_e32 v13, 0
	;; [unrolled: 1-line block ×3, first 2 shown]
	s_and_b32 s6, s27, 3
	s_cmp_eq_u32 s6, 0
	s_cbranch_scc1 .LBB21_305
.LBB21_303:
	s_lshl_b32 s2, s26, 3
	s_add_u32 s2, s34, s2
	s_addc_u32 s3, s35, 0
	s_add_u32 s2, s2, 0xc4
	s_addc_u32 s3, s3, 0
	s_mul_i32 s4, s26, 12
	s_add_u32 s4, s34, s4
	s_addc_u32 s5, s35, 0
.LBB21_304:                             ; =>This Inner Loop Header: Depth=1
	s_load_dwordx2 s[8:9], s[4:5], 0x4
	s_load_dword s7, s[4:5], 0xc
	s_load_dwordx2 s[10:11], s[2:3], 0x0
	s_add_u32 s4, s4, 12
	s_addc_u32 s5, s5, 0
	s_waitcnt lgkmcnt(0)
	v_mul_hi_u32 v10, s9, v8
	s_add_u32 s2, s2, 8
	s_addc_u32 s3, s3, 0
	s_add_i32 s6, s6, -1
	v_add_u32_e32 v10, v8, v10
	v_lshrrev_b32_e32 v10, s7, v10
	v_mul_lo_u32 v11, v10, s8
	s_cmp_lg_u32 s6, 0
	v_sub_u32_e32 v11, v8, v11
	v_mad_u64_u32 v[7:8], s[8:9], v11, s10, v[7:8]
	v_mad_u64_u32 v[13:14], s[8:9], v11, s11, v[13:14]
	v_mov_b32_e32 v8, v10
	s_cbranch_scc1 .LBB21_304
.LBB21_305:
	s_cbranch_execnz .LBB21_308
.LBB21_306:
	s_load_dwordx4 s[4:7], s[34:35], 0x4
	s_load_dwordx2 s[2:3], s[34:35], 0xc4
	s_cmp_lt_u32 s33, 2
	s_waitcnt lgkmcnt(0)
	v_mul_hi_u32 v7, s5, v4
	v_add_u32_e32 v7, v4, v7
	v_lshrrev_b32_e32 v8, s6, v7
	v_mul_lo_u32 v7, v8, s4
	v_sub_u32_e32 v4, v4, v7
	v_mul_lo_u32 v7, v4, s2
	v_mul_lo_u32 v13, v4, s3
	s_cbranch_scc1 .LBB21_308
; %bb.307:
	s_load_dwordx4 s[4:7], s[34:35], 0x10
	s_load_dwordx2 s[2:3], s[34:35], 0xcc
	s_waitcnt lgkmcnt(0)
	v_mul_hi_u32 v4, s5, v8
	v_add_u32_e32 v4, v8, v4
	v_lshrrev_b32_e32 v4, s6, v4
	v_mul_lo_u32 v4, v4, s4
	v_sub_u32_e32 v4, v8, v4
	v_mad_u64_u32 v[7:8], s[4:5], v4, s2, v[7:8]
	v_mad_u64_u32 v[13:14], s[2:3], v4, s3, v[13:14]
.LBB21_308:
	s_and_b64 vcc, exec, s[0:1]
	v_add_u32_e32 v4, 0x280, v15
	s_cbranch_vccnz .LBB21_314
; %bb.309:
	s_cmp_lg_u32 s33, 0
	s_mov_b32 s26, 0
	s_cbranch_scc0 .LBB21_315
; %bb.310:
	s_min_u32 s27, s56, 15
	s_add_i32 s27, s27, 1
	s_cmp_eq_u32 s56, 2
	s_cbranch_scc1 .LBB21_316
; %bb.311:
	s_and_b32 s26, s27, 28
	s_add_u32 s2, s34, 0xc4
	s_addc_u32 s3, s35, 0
	v_mov_b32_e32 v16, 0
	s_mov_b32 s28, 0
	s_mov_b64 s[24:25], s[34:35]
	v_mov_b32_e32 v10, 0
	v_mov_b32_e32 v8, v4
.LBB21_312:                             ; =>This Inner Loop Header: Depth=1
	s_load_dwordx8 s[12:19], s[24:25], 0x4
	s_load_dwordx4 s[20:23], s[24:25], 0x24
	s_load_dwordx8 s[4:11], s[2:3], 0x0
	s_add_u32 s24, s24, 48
	s_addc_u32 s25, s25, 0
	s_waitcnt lgkmcnt(0)
	v_mul_hi_u32 v11, s13, v8
	s_add_i32 s28, s28, 4
	s_add_u32 s2, s2, 32
	s_addc_u32 s3, s3, 0
	v_add_u32_e32 v11, v8, v11
	v_lshrrev_b32_e32 v11, s14, v11
	v_mul_lo_u32 v14, v11, s12
	v_mul_hi_u32 v17, s16, v11
	s_cmp_lg_u32 s26, s28
	v_sub_u32_e32 v8, v8, v14
	v_add_u32_e32 v14, v11, v17
	v_mul_lo_u32 v17, v8, s4
	v_mul_lo_u32 v18, v8, s5
	v_lshrrev_b32_e32 v8, s17, v14
	v_mul_lo_u32 v14, v8, s15
	v_mul_hi_u32 v19, s19, v8
	v_sub_u32_e32 v11, v11, v14
	v_add_u32_e32 v14, v8, v19
	v_lshrrev_b32_e32 v14, s20, v14
	v_mul_hi_u32 v20, s22, v14
	v_mul_lo_u32 v21, v14, s18
	v_mul_lo_u32 v19, v11, s6
	;; [unrolled: 1-line block ×3, first 2 shown]
	v_sub_u32_e32 v21, v8, v21
	v_add_u32_e32 v8, v14, v20
	v_lshrrev_b32_e32 v8, s23, v8
	v_mul_lo_u32 v20, v8, s21
	v_mul_lo_u32 v23, v21, s8
	;; [unrolled: 1-line block ×3, first 2 shown]
	v_add3_u32 v10, v17, v10, v19
	v_sub_u32_e32 v14, v14, v20
	v_mul_lo_u32 v20, v14, s10
	v_mul_lo_u32 v14, v14, s11
	v_add3_u32 v11, v18, v16, v11
	v_add3_u32 v10, v23, v10, v20
	;; [unrolled: 1-line block ×3, first 2 shown]
	s_cbranch_scc1 .LBB21_312
; %bb.313:
	s_and_b32 s6, s27, 3
	s_cmp_eq_u32 s6, 0
	s_cbranch_scc0 .LBB21_317
	s_branch .LBB21_319
.LBB21_314:
                                        ; implicit-def: $vgpr10
                                        ; implicit-def: $vgpr16
	s_branch .LBB21_320
.LBB21_315:
	v_mov_b32_e32 v10, 0
	v_mov_b32_e32 v16, 0
	s_branch .LBB21_319
.LBB21_316:
	v_mov_b32_e32 v10, 0
	v_mov_b32_e32 v16, 0
	;; [unrolled: 1-line block ×3, first 2 shown]
	s_and_b32 s6, s27, 3
	s_cmp_eq_u32 s6, 0
	s_cbranch_scc1 .LBB21_319
.LBB21_317:
	s_lshl_b32 s2, s26, 3
	s_add_u32 s2, s34, s2
	s_addc_u32 s3, s35, 0
	s_add_u32 s2, s2, 0xc4
	s_addc_u32 s3, s3, 0
	s_mul_i32 s4, s26, 12
	s_add_u32 s4, s34, s4
	s_addc_u32 s5, s35, 0
.LBB21_318:                             ; =>This Inner Loop Header: Depth=1
	s_load_dwordx2 s[8:9], s[4:5], 0x4
	s_load_dword s7, s[4:5], 0xc
	s_load_dwordx2 s[10:11], s[2:3], 0x0
	s_add_u32 s4, s4, 12
	s_addc_u32 s5, s5, 0
	s_waitcnt lgkmcnt(0)
	v_mul_hi_u32 v11, s9, v8
	s_add_u32 s2, s2, 8
	s_addc_u32 s3, s3, 0
	s_add_i32 s6, s6, -1
	v_add_u32_e32 v11, v8, v11
	v_lshrrev_b32_e32 v14, s7, v11
	v_mul_lo_u32 v11, v14, s8
	s_cmp_lg_u32 s6, 0
	v_sub_u32_e32 v8, v8, v11
	v_mad_u64_u32 v[10:11], s[8:9], v8, s10, v[10:11]
	v_mad_u64_u32 v[16:17], s[8:9], v8, s11, v[16:17]
	v_mov_b32_e32 v8, v14
	s_cbranch_scc1 .LBB21_318
.LBB21_319:
	s_cbranch_execnz .LBB21_322
.LBB21_320:
	s_load_dwordx4 s[4:7], s[34:35], 0x4
	s_load_dwordx2 s[2:3], s[34:35], 0xc4
	s_cmp_lt_u32 s33, 2
	s_waitcnt lgkmcnt(0)
	v_mul_hi_u32 v8, s5, v4
	v_add_u32_e32 v8, v4, v8
	v_lshrrev_b32_e32 v8, s6, v8
	v_mul_lo_u32 v10, v8, s4
	v_sub_u32_e32 v4, v4, v10
	v_mul_lo_u32 v10, v4, s2
	v_mul_lo_u32 v16, v4, s3
	s_cbranch_scc1 .LBB21_322
; %bb.321:
	s_load_dwordx4 s[4:7], s[34:35], 0x10
	s_load_dwordx2 s[2:3], s[34:35], 0xcc
	s_waitcnt lgkmcnt(0)
	v_mul_hi_u32 v4, s5, v8
	v_add_u32_e32 v4, v8, v4
	v_lshrrev_b32_e32 v4, s6, v4
	v_mul_lo_u32 v4, v4, s4
	v_sub_u32_e32 v4, v8, v4
	v_mad_u64_u32 v[10:11], s[4:5], v4, s2, v[10:11]
	v_mad_u64_u32 v[16:17], s[2:3], v4, s3, v[16:17]
.LBB21_322:
	s_and_b64 vcc, exec, s[0:1]
	v_add_u32_e32 v4, 0x300, v15
	s_cbranch_vccnz .LBB21_328
; %bb.323:
	s_cmp_lg_u32 s33, 0
	s_mov_b32 s26, 0
	s_cbranch_scc0 .LBB21_329
; %bb.324:
	s_min_u32 s27, s56, 15
	s_add_i32 s27, s27, 1
	s_cmp_eq_u32 s56, 2
	s_cbranch_scc1 .LBB21_330
; %bb.325:
	s_and_b32 s26, s27, 28
	s_add_u32 s2, s34, 0xc4
	s_addc_u32 s3, s35, 0
	v_mov_b32_e32 v17, 0
	s_mov_b32 s28, 0
	s_mov_b64 s[24:25], s[34:35]
	v_mov_b32_e32 v14, 0
	v_mov_b32_e32 v8, v4
.LBB21_326:                             ; =>This Inner Loop Header: Depth=1
	s_load_dwordx8 s[12:19], s[24:25], 0x4
	s_load_dwordx4 s[20:23], s[24:25], 0x24
	s_load_dwordx8 s[4:11], s[2:3], 0x0
	s_add_u32 s24, s24, 48
	s_addc_u32 s25, s25, 0
	s_waitcnt lgkmcnt(0)
	v_mul_hi_u32 v11, s13, v8
	s_add_i32 s28, s28, 4
	s_add_u32 s2, s2, 32
	s_addc_u32 s3, s3, 0
	v_add_u32_e32 v11, v8, v11
	v_lshrrev_b32_e32 v11, s14, v11
	v_mul_lo_u32 v15, v11, s12
	v_mul_hi_u32 v18, s16, v11
	s_cmp_lg_u32 s26, s28
	v_sub_u32_e32 v8, v8, v15
	v_add_u32_e32 v15, v11, v18
	v_mul_lo_u32 v18, v8, s4
	v_mul_lo_u32 v19, v8, s5
	v_lshrrev_b32_e32 v8, s17, v15
	v_mul_lo_u32 v15, v8, s15
	v_mul_hi_u32 v20, s19, v8
	v_sub_u32_e32 v11, v11, v15
	v_add_u32_e32 v15, v8, v20
	v_lshrrev_b32_e32 v15, s20, v15
	v_mul_hi_u32 v21, s22, v15
	v_mul_lo_u32 v23, v15, s18
	v_mul_lo_u32 v20, v11, s6
	;; [unrolled: 1-line block ×3, first 2 shown]
	v_sub_u32_e32 v23, v8, v23
	v_add_u32_e32 v8, v15, v21
	v_lshrrev_b32_e32 v8, s23, v8
	v_mul_lo_u32 v21, v8, s21
	v_mul_lo_u32 v24, v23, s8
	;; [unrolled: 1-line block ×3, first 2 shown]
	v_add3_u32 v14, v18, v14, v20
	v_sub_u32_e32 v15, v15, v21
	v_mul_lo_u32 v21, v15, s10
	v_mul_lo_u32 v15, v15, s11
	v_add3_u32 v11, v19, v17, v11
	v_add3_u32 v14, v24, v14, v21
	;; [unrolled: 1-line block ×3, first 2 shown]
	s_cbranch_scc1 .LBB21_326
; %bb.327:
	s_and_b32 s6, s27, 3
	s_cmp_eq_u32 s6, 0
	s_cbranch_scc0 .LBB21_331
	s_branch .LBB21_333
.LBB21_328:
                                        ; implicit-def: $vgpr14
                                        ; implicit-def: $vgpr17
	s_branch .LBB21_334
.LBB21_329:
	v_mov_b32_e32 v14, 0
	v_mov_b32_e32 v17, 0
	s_branch .LBB21_333
.LBB21_330:
	v_mov_b32_e32 v14, 0
	v_mov_b32_e32 v17, 0
	;; [unrolled: 1-line block ×3, first 2 shown]
	s_and_b32 s6, s27, 3
	s_cmp_eq_u32 s6, 0
	s_cbranch_scc1 .LBB21_333
.LBB21_331:
	s_lshl_b32 s2, s26, 3
	s_add_u32 s2, s34, s2
	s_addc_u32 s3, s35, 0
	s_add_u32 s2, s2, 0xc4
	s_addc_u32 s3, s3, 0
	s_mul_i32 s4, s26, 12
	s_add_u32 s4, s34, s4
	s_addc_u32 s5, s35, 0
.LBB21_332:                             ; =>This Inner Loop Header: Depth=1
	s_load_dwordx2 s[8:9], s[4:5], 0x4
	s_load_dword s7, s[4:5], 0xc
	s_load_dwordx2 s[10:11], s[2:3], 0x0
	s_add_u32 s4, s4, 12
	s_addc_u32 s5, s5, 0
	s_waitcnt lgkmcnt(0)
	v_mul_hi_u32 v11, s9, v8
	s_add_u32 s2, s2, 8
	s_addc_u32 s3, s3, 0
	s_add_i32 s6, s6, -1
	v_add_u32_e32 v11, v8, v11
	v_lshrrev_b32_e32 v11, s7, v11
	v_mul_lo_u32 v15, v11, s8
	s_cmp_lg_u32 s6, 0
	v_sub_u32_e32 v8, v8, v15
	v_mad_u64_u32 v[14:15], s[8:9], v8, s10, v[14:15]
	v_mad_u64_u32 v[17:18], s[8:9], v8, s11, v[17:18]
	v_mov_b32_e32 v8, v11
	s_cbranch_scc1 .LBB21_332
.LBB21_333:
	s_cbranch_execnz .LBB21_336
.LBB21_334:
	s_load_dwordx4 s[4:7], s[34:35], 0x4
	s_load_dwordx2 s[2:3], s[34:35], 0xc4
	s_cmp_lt_u32 s33, 2
	s_waitcnt lgkmcnt(0)
	v_mul_hi_u32 v8, s5, v4
	v_add_u32_e32 v8, v4, v8
	v_lshrrev_b32_e32 v8, s6, v8
	v_mul_lo_u32 v11, v8, s4
	v_sub_u32_e32 v4, v4, v11
	v_mul_lo_u32 v14, v4, s2
	v_mul_lo_u32 v17, v4, s3
	s_cbranch_scc1 .LBB21_336
; %bb.335:
	s_load_dwordx4 s[4:7], s[34:35], 0x10
	s_load_dwordx2 s[2:3], s[34:35], 0xcc
	s_waitcnt lgkmcnt(0)
	v_mul_hi_u32 v4, s5, v8
	v_add_u32_e32 v4, v8, v4
	v_lshrrev_b32_e32 v4, s6, v4
	v_mul_lo_u32 v4, v4, s4
	v_sub_u32_e32 v4, v8, v4
	v_mad_u64_u32 v[14:15], s[4:5], v4, s2, v[14:15]
	v_mad_u64_u32 v[17:18], s[2:3], v4, s3, v[17:18]
.LBB21_336:
	s_and_b64 vcc, exec, s[0:1]
	s_cbranch_vccnz .LBB21_342
; %bb.337:
	s_cmp_lg_u32 s33, 0
	s_mov_b32 s24, 0
	s_cbranch_scc0 .LBB21_343
; %bb.338:
	s_min_u32 s25, s56, 15
	s_add_i32 s25, s25, 1
	s_cmp_eq_u32 s56, 2
	s_cbranch_scc1 .LBB21_344
; %bb.339:
	s_and_b32 s24, s25, 28
	s_add_u32 s20, s34, 0xc4
	s_addc_u32 s21, s35, 0
	v_mov_b32_e32 v20, 0
	s_mov_b32 s26, 0
	s_mov_b64 s[22:23], s[34:35]
	v_mov_b32_e32 v18, 0
	v_mov_b32_e32 v4, v22
.LBB21_340:                             ; =>This Inner Loop Header: Depth=1
	s_load_dwordx8 s[8:15], s[22:23], 0x4
	s_load_dwordx4 s[16:19], s[22:23], 0x24
	s_load_dwordx8 s[0:7], s[20:21], 0x0
	s_add_u32 s22, s22, 48
	s_addc_u32 s23, s23, 0
	s_waitcnt lgkmcnt(0)
	v_mul_hi_u32 v8, s9, v4
	s_add_i32 s26, s26, 4
	s_add_u32 s20, s20, 32
	s_addc_u32 s21, s21, 0
	v_add_u32_e32 v8, v4, v8
	v_lshrrev_b32_e32 v8, s10, v8
	v_mul_lo_u32 v11, v8, s8
	v_mul_hi_u32 v15, s12, v8
	s_cmp_lg_u32 s24, s26
	v_sub_u32_e32 v4, v4, v11
	v_add_u32_e32 v11, v8, v15
	v_mul_lo_u32 v15, v4, s0
	v_mul_lo_u32 v19, v4, s1
	v_lshrrev_b32_e32 v4, s13, v11
	v_mul_lo_u32 v11, v4, s11
	v_mul_hi_u32 v21, s15, v4
	v_sub_u32_e32 v8, v8, v11
	v_add_u32_e32 v11, v4, v21
	v_lshrrev_b32_e32 v11, s16, v11
	v_mul_hi_u32 v23, s18, v11
	v_mul_lo_u32 v24, v11, s14
	v_mul_lo_u32 v21, v8, s2
	;; [unrolled: 1-line block ×3, first 2 shown]
	v_sub_u32_e32 v24, v4, v24
	v_add_u32_e32 v4, v11, v23
	v_lshrrev_b32_e32 v4, s19, v4
	v_mul_lo_u32 v23, v4, s17
	v_mul_lo_u32 v25, v24, s4
	;; [unrolled: 1-line block ×3, first 2 shown]
	v_add3_u32 v15, v15, v18, v21
	v_sub_u32_e32 v11, v11, v23
	v_mul_lo_u32 v23, v11, s6
	v_mul_lo_u32 v11, v11, s7
	v_add3_u32 v8, v19, v20, v8
	v_add3_u32 v18, v25, v15, v23
	;; [unrolled: 1-line block ×3, first 2 shown]
	s_cbranch_scc1 .LBB21_340
; %bb.341:
	s_and_b32 s4, s25, 3
	s_cmp_eq_u32 s4, 0
	s_cbranch_scc0 .LBB21_345
	s_branch .LBB21_347
.LBB21_342:
                                        ; implicit-def: $vgpr18
                                        ; implicit-def: $vgpr20
	s_branch .LBB21_348
.LBB21_343:
	v_mov_b32_e32 v18, 0
	v_mov_b32_e32 v20, 0
	s_branch .LBB21_347
.LBB21_344:
	v_mov_b32_e32 v18, 0
	v_mov_b32_e32 v20, 0
	;; [unrolled: 1-line block ×3, first 2 shown]
	s_and_b32 s4, s25, 3
	s_cmp_eq_u32 s4, 0
	s_cbranch_scc1 .LBB21_347
.LBB21_345:
	s_lshl_b32 s0, s24, 3
	s_add_u32 s0, s34, s0
	s_addc_u32 s1, s35, 0
	s_add_u32 s0, s0, 0xc4
	s_addc_u32 s1, s1, 0
	s_mul_i32 s2, s24, 12
	s_add_u32 s2, s34, s2
	s_addc_u32 s3, s35, 0
.LBB21_346:                             ; =>This Inner Loop Header: Depth=1
	s_load_dwordx2 s[6:7], s[2:3], 0x4
	s_load_dword s5, s[2:3], 0xc
	s_load_dwordx2 s[8:9], s[0:1], 0x0
	s_add_u32 s2, s2, 12
	s_addc_u32 s3, s3, 0
	s_waitcnt lgkmcnt(0)
	v_mul_hi_u32 v8, s7, v4
	s_add_u32 s0, s0, 8
	s_addc_u32 s1, s1, 0
	s_add_i32 s4, s4, -1
	v_add_u32_e32 v8, v4, v8
	v_lshrrev_b32_e32 v8, s5, v8
	v_mul_lo_u32 v11, v8, s6
	s_cmp_lg_u32 s4, 0
	v_sub_u32_e32 v4, v4, v11
	v_mad_u64_u32 v[18:19], s[6:7], v4, s8, v[18:19]
	v_mad_u64_u32 v[20:21], s[6:7], v4, s9, v[20:21]
	v_mov_b32_e32 v4, v8
	s_cbranch_scc1 .LBB21_346
.LBB21_347:
	s_cbranch_execnz .LBB21_350
.LBB21_348:
	s_load_dwordx4 s[0:3], s[34:35], 0x4
	s_load_dwordx2 s[4:5], s[34:35], 0xc4
	s_cmp_lt_u32 s33, 2
	s_waitcnt lgkmcnt(0)
	v_mul_hi_u32 v4, s1, v22
	v_add_u32_e32 v4, v22, v4
	v_lshrrev_b32_e32 v4, s2, v4
	v_mul_lo_u32 v8, v4, s0
	v_sub_u32_e32 v8, v22, v8
	v_mul_lo_u32 v18, v8, s4
	v_mul_lo_u32 v20, v8, s5
	s_cbranch_scc1 .LBB21_350
; %bb.349:
	s_load_dwordx4 s[0:3], s[34:35], 0x10
	s_load_dwordx2 s[4:5], s[34:35], 0xcc
	s_waitcnt lgkmcnt(0)
	v_mul_hi_u32 v8, s1, v4
	v_add_u32_e32 v8, v4, v8
	v_lshrrev_b32_e32 v8, s2, v8
	v_mul_lo_u32 v8, v8, s0
	v_sub_u32_e32 v4, v4, v8
	v_mad_u64_u32 v[18:19], s[0:1], v4, s4, v[18:19]
	v_mad_u64_u32 v[20:21], s[0:1], v4, s5, v[20:21]
.LBB21_350:
	s_load_dwordx4 s[0:3], s[34:35], 0x148
	s_load_dwordx2 s[6:7], s[34:35], 0x158
	s_mov_b64 s[8:9], 0
	s_waitcnt lgkmcnt(0)
	global_load_sbyte v4, v5, s[2:3]
	s_sext_i32_i8 s7, s7
	s_cmp_lt_i32 s6, 1
	s_cbranch_scc1 .LBB21_354
; %bb.351:
	s_cmp_gt_i32 s6, 1
	s_cbranch_scc0 .LBB21_355
; %bb.352:
	s_cmp_eq_u32 s6, 2
	s_cbranch_scc0 .LBB21_356
; %bb.353:
	s_waitcnt vmcnt(0)
	v_cmp_ge_i16_e64 s[4:5], s7, v4
	s_mov_b64 s[10:11], 0
	s_branch .LBB21_357
.LBB21_354:
                                        ; implicit-def: $sgpr4_sgpr5
	s_mov_b64 s[10:11], 0
	s_cbranch_execnz .LBB21_360
	s_branch .LBB21_361
.LBB21_355:
	s_mov_b64 s[10:11], 0
                                        ; implicit-def: $sgpr4_sgpr5
	s_cbranch_execnz .LBB21_358
	s_branch .LBB21_359
.LBB21_356:
	s_mov_b64 s[10:11], -1
                                        ; implicit-def: $sgpr4_sgpr5
.LBB21_357:
	s_branch .LBB21_359
.LBB21_358:
	s_waitcnt vmcnt(0)
	v_cmp_lt_i16_e32 vcc, s7, v4
	s_andn2_b64 s[4:5], s[4:5], exec
	s_and_b64 s[12:13], vcc, exec
	s_or_b64 s[4:5], s[4:5], s[12:13]
.LBB21_359:
	s_branch .LBB21_361
.LBB21_360:
	s_cmp_lg_u32 s6, 0
	s_mov_b64 s[8:9], -1
	s_cselect_b64 s[10:11], -1, 0
.LBB21_361:
	s_andn2_b64 vcc, exec, s[10:11]
	s_cbranch_vccz .LBB21_367
; %bb.362:
	s_andn2_b64 vcc, exec, s[8:9]
	s_cbranch_vccz .LBB21_368
.LBB21_363:
	global_load_sbyte v4, v6, s[2:3]
	s_cmp_lt_i32 s6, 1
	s_mov_b64 s[10:11], 0
	s_cbranch_scc1 .LBB21_369
.LBB21_364:
	s_cmp_gt_i32 s6, 1
	s_cbranch_scc0 .LBB21_370
; %bb.365:
	s_cmp_eq_u32 s6, 2
	s_cbranch_scc0 .LBB21_371
; %bb.366:
	s_waitcnt vmcnt(0)
	v_cmp_ge_i16_e64 s[8:9], s7, v4
	s_mov_b64 s[12:13], 0
	s_branch .LBB21_372
.LBB21_367:
	s_waitcnt vmcnt(0)
	v_cmp_gt_i16_e32 vcc, s7, v4
	s_andn2_b64 s[4:5], s[4:5], exec
	s_and_b64 s[10:11], vcc, exec
	s_or_b64 s[4:5], s[4:5], s[10:11]
	s_cbranch_execnz .LBB21_363
.LBB21_368:
	s_waitcnt vmcnt(0)
	v_cmp_le_i16_e32 vcc, s7, v4
	s_andn2_b64 s[4:5], s[4:5], exec
	s_and_b64 s[8:9], vcc, exec
	s_or_b64 s[4:5], s[4:5], s[8:9]
	global_load_sbyte v4, v6, s[2:3]
	s_cmp_lt_i32 s6, 1
	s_mov_b64 s[10:11], 0
	s_cbranch_scc0 .LBB21_364
.LBB21_369:
                                        ; implicit-def: $sgpr8_sgpr9
	s_mov_b64 s[12:13], 0
	s_cbranch_execnz .LBB21_375
	s_branch .LBB21_376
.LBB21_370:
	s_mov_b64 s[12:13], 0
                                        ; implicit-def: $sgpr8_sgpr9
	s_cbranch_execnz .LBB21_373
	s_branch .LBB21_374
.LBB21_371:
	s_mov_b64 s[12:13], -1
                                        ; implicit-def: $sgpr8_sgpr9
.LBB21_372:
	s_branch .LBB21_374
.LBB21_373:
	s_waitcnt vmcnt(0)
	v_cmp_lt_i16_e32 vcc, s7, v4
	s_andn2_b64 s[8:9], s[8:9], exec
	s_and_b64 s[14:15], vcc, exec
	s_or_b64 s[8:9], s[8:9], s[14:15]
.LBB21_374:
	s_branch .LBB21_376
.LBB21_375:
	s_cmp_lg_u32 s6, 0
	s_mov_b64 s[10:11], -1
	s_cselect_b64 s[12:13], -1, 0
.LBB21_376:
	s_andn2_b64 vcc, exec, s[12:13]
	s_cbranch_vccz .LBB21_382
; %bb.377:
	s_andn2_b64 vcc, exec, s[10:11]
	s_cbranch_vccz .LBB21_383
.LBB21_378:
	global_load_sbyte v4, v9, s[2:3]
	s_cmp_lt_i32 s6, 1
	s_mov_b64 s[12:13], 0
	s_cbranch_scc1 .LBB21_384
.LBB21_379:
	s_cmp_gt_i32 s6, 1
	s_cbranch_scc0 .LBB21_385
; %bb.380:
	s_cmp_eq_u32 s6, 2
	s_cbranch_scc0 .LBB21_386
; %bb.381:
	s_waitcnt vmcnt(0)
	v_cmp_ge_i16_e64 s[10:11], s7, v4
	s_mov_b64 s[14:15], 0
	s_branch .LBB21_387
.LBB21_382:
	s_waitcnt vmcnt(0)
	v_cmp_gt_i16_e32 vcc, s7, v4
	s_andn2_b64 s[8:9], s[8:9], exec
	s_and_b64 s[12:13], vcc, exec
	s_or_b64 s[8:9], s[8:9], s[12:13]
	s_cbranch_execnz .LBB21_378
.LBB21_383:
	s_waitcnt vmcnt(0)
	v_cmp_le_i16_e32 vcc, s7, v4
	s_andn2_b64 s[8:9], s[8:9], exec
	s_and_b64 s[10:11], vcc, exec
	s_or_b64 s[8:9], s[8:9], s[10:11]
	global_load_sbyte v4, v9, s[2:3]
	s_cmp_lt_i32 s6, 1
	s_mov_b64 s[12:13], 0
	s_cbranch_scc0 .LBB21_379
.LBB21_384:
                                        ; implicit-def: $sgpr10_sgpr11
	s_mov_b64 s[14:15], 0
	s_cbranch_execnz .LBB21_390
	s_branch .LBB21_391
.LBB21_385:
	s_mov_b64 s[14:15], 0
                                        ; implicit-def: $sgpr10_sgpr11
	s_cbranch_execnz .LBB21_388
	s_branch .LBB21_389
.LBB21_386:
	s_mov_b64 s[14:15], -1
                                        ; implicit-def: $sgpr10_sgpr11
.LBB21_387:
	s_branch .LBB21_389
.LBB21_388:
	s_waitcnt vmcnt(0)
	v_cmp_lt_i16_e32 vcc, s7, v4
	s_andn2_b64 s[10:11], s[10:11], exec
	s_and_b64 s[16:17], vcc, exec
	s_or_b64 s[10:11], s[10:11], s[16:17]
.LBB21_389:
	s_branch .LBB21_391
.LBB21_390:
	s_cmp_lg_u32 s6, 0
	s_mov_b64 s[12:13], -1
	s_cselect_b64 s[14:15], -1, 0
.LBB21_391:
	s_andn2_b64 vcc, exec, s[14:15]
	s_cbranch_vccz .LBB21_397
; %bb.392:
	s_andn2_b64 vcc, exec, s[12:13]
	s_cbranch_vccz .LBB21_398
.LBB21_393:
	global_load_sbyte v4, v12, s[2:3]
	s_cmp_lt_i32 s6, 1
	s_mov_b64 s[14:15], 0
	s_cbranch_scc1 .LBB21_399
.LBB21_394:
	s_cmp_gt_i32 s6, 1
	s_cbranch_scc0 .LBB21_400
; %bb.395:
	s_cmp_eq_u32 s6, 2
	s_cbranch_scc0 .LBB21_401
; %bb.396:
	s_waitcnt vmcnt(0)
	v_cmp_ge_i16_e64 s[12:13], s7, v4
	s_mov_b64 s[16:17], 0
	s_branch .LBB21_402
.LBB21_397:
	s_waitcnt vmcnt(0)
	v_cmp_gt_i16_e32 vcc, s7, v4
	s_andn2_b64 s[10:11], s[10:11], exec
	s_and_b64 s[14:15], vcc, exec
	s_or_b64 s[10:11], s[10:11], s[14:15]
	s_cbranch_execnz .LBB21_393
.LBB21_398:
	s_waitcnt vmcnt(0)
	v_cmp_le_i16_e32 vcc, s7, v4
	s_andn2_b64 s[10:11], s[10:11], exec
	s_and_b64 s[12:13], vcc, exec
	s_or_b64 s[10:11], s[10:11], s[12:13]
	global_load_sbyte v4, v12, s[2:3]
	s_cmp_lt_i32 s6, 1
	s_mov_b64 s[14:15], 0
	s_cbranch_scc0 .LBB21_394
.LBB21_399:
                                        ; implicit-def: $sgpr12_sgpr13
	s_mov_b64 s[16:17], 0
	s_cbranch_execnz .LBB21_405
	s_branch .LBB21_406
.LBB21_400:
	s_mov_b64 s[16:17], 0
                                        ; implicit-def: $sgpr12_sgpr13
	s_cbranch_execnz .LBB21_403
	s_branch .LBB21_404
.LBB21_401:
	s_mov_b64 s[16:17], -1
                                        ; implicit-def: $sgpr12_sgpr13
.LBB21_402:
	s_branch .LBB21_404
.LBB21_403:
	s_waitcnt vmcnt(0)
	v_cmp_lt_i16_e32 vcc, s7, v4
	s_andn2_b64 s[12:13], s[12:13], exec
	s_and_b64 s[18:19], vcc, exec
	s_or_b64 s[12:13], s[12:13], s[18:19]
.LBB21_404:
	s_branch .LBB21_406
.LBB21_405:
	s_cmp_lg_u32 s6, 0
	s_mov_b64 s[14:15], -1
	s_cselect_b64 s[16:17], -1, 0
.LBB21_406:
	s_andn2_b64 vcc, exec, s[16:17]
	s_cbranch_vccz .LBB21_412
; %bb.407:
	s_andn2_b64 vcc, exec, s[14:15]
	s_cbranch_vccz .LBB21_413
.LBB21_408:
	global_load_sbyte v4, v13, s[2:3]
	s_cmp_lt_i32 s6, 1
	s_mov_b64 s[16:17], 0
	s_cbranch_scc1 .LBB21_414
.LBB21_409:
	s_cmp_gt_i32 s6, 1
	s_cbranch_scc0 .LBB21_415
; %bb.410:
	s_cmp_eq_u32 s6, 2
	s_cbranch_scc0 .LBB21_416
; %bb.411:
	s_waitcnt vmcnt(0)
	v_cmp_ge_i16_e64 s[14:15], s7, v4
	s_mov_b64 s[18:19], 0
	s_branch .LBB21_417
.LBB21_412:
	s_waitcnt vmcnt(0)
	v_cmp_gt_i16_e32 vcc, s7, v4
	s_andn2_b64 s[12:13], s[12:13], exec
	s_and_b64 s[16:17], vcc, exec
	s_or_b64 s[12:13], s[12:13], s[16:17]
	s_cbranch_execnz .LBB21_408
.LBB21_413:
	s_waitcnt vmcnt(0)
	v_cmp_le_i16_e32 vcc, s7, v4
	s_andn2_b64 s[12:13], s[12:13], exec
	s_and_b64 s[14:15], vcc, exec
	s_or_b64 s[12:13], s[12:13], s[14:15]
	global_load_sbyte v4, v13, s[2:3]
	s_cmp_lt_i32 s6, 1
	s_mov_b64 s[16:17], 0
	s_cbranch_scc0 .LBB21_409
.LBB21_414:
                                        ; implicit-def: $sgpr14_sgpr15
	s_mov_b64 s[18:19], 0
	s_cbranch_execnz .LBB21_420
	s_branch .LBB21_421
.LBB21_415:
	s_mov_b64 s[18:19], 0
                                        ; implicit-def: $sgpr14_sgpr15
	s_cbranch_execnz .LBB21_418
	s_branch .LBB21_419
.LBB21_416:
	s_mov_b64 s[18:19], -1
                                        ; implicit-def: $sgpr14_sgpr15
.LBB21_417:
	s_branch .LBB21_419
.LBB21_418:
	s_waitcnt vmcnt(0)
	v_cmp_lt_i16_e32 vcc, s7, v4
	s_andn2_b64 s[14:15], s[14:15], exec
	s_and_b64 s[20:21], vcc, exec
	s_or_b64 s[14:15], s[14:15], s[20:21]
.LBB21_419:
	s_branch .LBB21_421
.LBB21_420:
	s_cmp_lg_u32 s6, 0
	s_mov_b64 s[16:17], -1
	s_cselect_b64 s[18:19], -1, 0
.LBB21_421:
	s_andn2_b64 vcc, exec, s[18:19]
	s_cbranch_vccz .LBB21_427
; %bb.422:
	s_andn2_b64 vcc, exec, s[16:17]
	s_cbranch_vccz .LBB21_428
.LBB21_423:
	global_load_sbyte v4, v16, s[2:3]
	s_cmp_lt_i32 s6, 1
	s_mov_b64 s[18:19], 0
	s_cbranch_scc1 .LBB21_429
.LBB21_424:
	s_cmp_gt_i32 s6, 1
	s_cbranch_scc0 .LBB21_430
; %bb.425:
	s_cmp_eq_u32 s6, 2
	s_cbranch_scc0 .LBB21_431
; %bb.426:
	s_waitcnt vmcnt(0)
	v_cmp_ge_i16_e64 s[16:17], s7, v4
	s_mov_b64 s[20:21], 0
	s_branch .LBB21_432
.LBB21_427:
	s_waitcnt vmcnt(0)
	v_cmp_gt_i16_e32 vcc, s7, v4
	s_andn2_b64 s[14:15], s[14:15], exec
	s_and_b64 s[18:19], vcc, exec
	s_or_b64 s[14:15], s[14:15], s[18:19]
	s_cbranch_execnz .LBB21_423
.LBB21_428:
	s_waitcnt vmcnt(0)
	v_cmp_le_i16_e32 vcc, s7, v4
	s_andn2_b64 s[14:15], s[14:15], exec
	s_and_b64 s[16:17], vcc, exec
	s_or_b64 s[14:15], s[14:15], s[16:17]
	global_load_sbyte v4, v16, s[2:3]
	s_cmp_lt_i32 s6, 1
	s_mov_b64 s[18:19], 0
	s_cbranch_scc0 .LBB21_424
.LBB21_429:
                                        ; implicit-def: $sgpr16_sgpr17
	s_mov_b64 s[20:21], 0
	s_cbranch_execnz .LBB21_435
	s_branch .LBB21_436
.LBB21_430:
	s_mov_b64 s[20:21], 0
                                        ; implicit-def: $sgpr16_sgpr17
	s_cbranch_execnz .LBB21_433
	s_branch .LBB21_434
.LBB21_431:
	s_mov_b64 s[20:21], -1
                                        ; implicit-def: $sgpr16_sgpr17
.LBB21_432:
	s_branch .LBB21_434
.LBB21_433:
	s_waitcnt vmcnt(0)
	v_cmp_lt_i16_e32 vcc, s7, v4
	s_andn2_b64 s[16:17], s[16:17], exec
	s_and_b64 s[22:23], vcc, exec
	s_or_b64 s[16:17], s[16:17], s[22:23]
.LBB21_434:
	s_branch .LBB21_436
.LBB21_435:
	s_cmp_lg_u32 s6, 0
	s_mov_b64 s[18:19], -1
	s_cselect_b64 s[20:21], -1, 0
.LBB21_436:
	s_andn2_b64 vcc, exec, s[20:21]
	s_cbranch_vccz .LBB21_442
; %bb.437:
	s_andn2_b64 vcc, exec, s[18:19]
	s_cbranch_vccz .LBB21_443
.LBB21_438:
	global_load_sbyte v4, v17, s[2:3]
	s_cmp_lt_i32 s6, 1
	s_mov_b64 s[20:21], 0
	s_cbranch_scc1 .LBB21_444
.LBB21_439:
	s_cmp_gt_i32 s6, 1
	s_cbranch_scc0 .LBB21_445
; %bb.440:
	s_cmp_eq_u32 s6, 2
	s_cbranch_scc0 .LBB21_446
; %bb.441:
	s_waitcnt vmcnt(0)
	v_cmp_ge_i16_e64 s[18:19], s7, v4
	s_mov_b64 s[22:23], 0
	s_branch .LBB21_447
.LBB21_442:
	s_waitcnt vmcnt(0)
	v_cmp_gt_i16_e32 vcc, s7, v4
	s_andn2_b64 s[16:17], s[16:17], exec
	s_and_b64 s[20:21], vcc, exec
	s_or_b64 s[16:17], s[16:17], s[20:21]
	s_cbranch_execnz .LBB21_438
.LBB21_443:
	s_waitcnt vmcnt(0)
	v_cmp_le_i16_e32 vcc, s7, v4
	s_andn2_b64 s[16:17], s[16:17], exec
	s_and_b64 s[18:19], vcc, exec
	s_or_b64 s[16:17], s[16:17], s[18:19]
	global_load_sbyte v4, v17, s[2:3]
	s_cmp_lt_i32 s6, 1
	s_mov_b64 s[20:21], 0
	s_cbranch_scc0 .LBB21_439
.LBB21_444:
                                        ; implicit-def: $sgpr18_sgpr19
	s_mov_b64 s[22:23], 0
	s_cbranch_execnz .LBB21_450
	s_branch .LBB21_451
.LBB21_445:
	s_mov_b64 s[22:23], 0
                                        ; implicit-def: $sgpr18_sgpr19
	s_cbranch_execnz .LBB21_448
	s_branch .LBB21_449
.LBB21_446:
	s_mov_b64 s[22:23], -1
                                        ; implicit-def: $sgpr18_sgpr19
.LBB21_447:
	s_branch .LBB21_449
.LBB21_448:
	s_waitcnt vmcnt(0)
	v_cmp_lt_i16_e32 vcc, s7, v4
	s_andn2_b64 s[18:19], s[18:19], exec
	s_and_b64 s[24:25], vcc, exec
	s_or_b64 s[18:19], s[18:19], s[24:25]
.LBB21_449:
	s_branch .LBB21_451
.LBB21_450:
	s_cmp_lg_u32 s6, 0
	s_mov_b64 s[20:21], -1
	s_cselect_b64 s[22:23], -1, 0
.LBB21_451:
	s_andn2_b64 vcc, exec, s[22:23]
	s_cbranch_vccz .LBB21_457
; %bb.452:
	s_andn2_b64 vcc, exec, s[20:21]
	s_cbranch_vccz .LBB21_458
.LBB21_453:
	global_load_sbyte v4, v20, s[2:3]
	s_cmp_lt_i32 s6, 1
	s_mov_b64 s[20:21], 0
	s_cbranch_scc1 .LBB21_459
.LBB21_454:
	s_cmp_gt_i32 s6, 1
	s_cbranch_scc0 .LBB21_460
; %bb.455:
	s_cmp_eq_u32 s6, 2
	s_cbranch_scc0 .LBB21_461
; %bb.456:
	s_waitcnt vmcnt(0)
	v_cmp_ge_i16_e64 s[2:3], s7, v4
	s_mov_b64 s[22:23], 0
	s_branch .LBB21_462
.LBB21_457:
	s_waitcnt vmcnt(0)
	v_cmp_gt_i16_e32 vcc, s7, v4
	s_andn2_b64 s[18:19], s[18:19], exec
	s_and_b64 s[22:23], vcc, exec
	s_or_b64 s[18:19], s[18:19], s[22:23]
	s_cbranch_execnz .LBB21_453
.LBB21_458:
	s_waitcnt vmcnt(0)
	v_cmp_le_i16_e32 vcc, s7, v4
	s_andn2_b64 s[18:19], s[18:19], exec
	s_and_b64 s[20:21], vcc, exec
	s_or_b64 s[18:19], s[18:19], s[20:21]
	global_load_sbyte v4, v20, s[2:3]
	s_cmp_lt_i32 s6, 1
	s_mov_b64 s[20:21], 0
	s_cbranch_scc0 .LBB21_454
.LBB21_459:
                                        ; implicit-def: $sgpr2_sgpr3
	s_mov_b64 s[22:23], 0
	s_cbranch_execnz .LBB21_465
	s_branch .LBB21_466
.LBB21_460:
	s_mov_b64 s[22:23], 0
                                        ; implicit-def: $sgpr2_sgpr3
	s_cbranch_execnz .LBB21_463
	s_branch .LBB21_464
.LBB21_461:
	s_mov_b64 s[22:23], -1
                                        ; implicit-def: $sgpr2_sgpr3
.LBB21_462:
	s_branch .LBB21_464
.LBB21_463:
	s_waitcnt vmcnt(0)
	v_cmp_lt_i16_e32 vcc, s7, v4
	s_andn2_b64 s[2:3], s[2:3], exec
	s_and_b64 s[24:25], vcc, exec
	s_or_b64 s[2:3], s[2:3], s[24:25]
.LBB21_464:
	s_branch .LBB21_466
.LBB21_465:
	s_cmp_lg_u32 s6, 0
	s_mov_b64 s[20:21], -1
	s_cselect_b64 s[22:23], -1, 0
.LBB21_466:
	s_andn2_b64 vcc, exec, s[22:23]
	s_cbranch_vccz .LBB21_470
; %bb.467:
	s_andn2_b64 vcc, exec, s[20:21]
	s_cbranch_vccnz .LBB21_469
.LBB21_468:
	s_waitcnt vmcnt(0)
	v_cmp_le_i16_e32 vcc, s7, v4
	s_andn2_b64 s[2:3], s[2:3], exec
	s_and_b64 s[6:7], vcc, exec
	s_or_b64 s[2:3], s[2:3], s[6:7]
.LBB21_469:
	v_cndmask_b32_e64 v12, 0, 1, s[4:5]
	s_waitcnt vmcnt(0)
	v_cndmask_b32_e64 v4, 0, 1, s[18:19]
	v_cndmask_b32_e64 v5, 0, 1, s[16:17]
	;; [unrolled: 1-line block ×7, first 2 shown]
	global_store_byte v0, v12, s[0:1]
	global_store_byte v1, v11, s[0:1]
	;; [unrolled: 1-line block ×8, first 2 shown]
	s_endpgm
.LBB21_470:
	s_waitcnt vmcnt(0)
	v_cmp_gt_i16_e32 vcc, s7, v4
	s_andn2_b64 s[2:3], s[2:3], exec
	s_and_b64 s[22:23], vcc, exec
	s_or_b64 s[2:3], s[2:3], s[22:23]
	s_cbranch_execz .LBB21_468
	s_branch .LBB21_469
.LBB21_471:
	s_mov_b64 s[4:5], -1
                                        ; implicit-def: $sgpr2_sgpr3
	s_branch .LBB21_60
.LBB21_472:
	s_mov_b64 s[4:5], -1
                                        ; implicit-def: $sgpr2_sgpr3
	s_branch .LBB21_88
.LBB21_473:
	s_mov_b64 s[4:5], -1
                                        ; implicit-def: $sgpr2_sgpr3
	s_branch .LBB21_116
.LBB21_474:
	s_mov_b64 s[4:5], -1
                                        ; implicit-def: $sgpr2_sgpr3
	s_branch .LBB21_144
.LBB21_475:
	s_mov_b64 s[4:5], -1
                                        ; implicit-def: $sgpr2_sgpr3
	s_branch .LBB21_172
.LBB21_476:
	s_mov_b64 s[4:5], -1
                                        ; implicit-def: $sgpr2_sgpr3
	s_branch .LBB21_200
.LBB21_477:
	s_mov_b64 s[4:5], -1
                                        ; implicit-def: $sgpr2_sgpr3
	s_branch .LBB21_228
	.section	.rodata,"a",@progbits
	.p2align	6, 0x0
	.amdhsa_kernel _ZN2at6native32elementwise_kernel_manual_unrollILi128ELi8EZNS0_22gpu_kernel_impl_nocastIZNS0_21compare_scalar_kernelIaEEvRNS_18TensorIteratorBaseENS0_12_GLOBAL__N_16OpTypeET_EUlaE_EEvS5_RKS8_EUlibE_EEviT1_
		.amdhsa_group_segment_fixed_size 0
		.amdhsa_private_segment_fixed_size 0
		.amdhsa_kernarg_size 360
		.amdhsa_user_sgpr_count 6
		.amdhsa_user_sgpr_private_segment_buffer 1
		.amdhsa_user_sgpr_dispatch_ptr 0
		.amdhsa_user_sgpr_queue_ptr 0
		.amdhsa_user_sgpr_kernarg_segment_ptr 1
		.amdhsa_user_sgpr_dispatch_id 0
		.amdhsa_user_sgpr_flat_scratch_init 0
		.amdhsa_user_sgpr_private_segment_size 0
		.amdhsa_uses_dynamic_stack 0
		.amdhsa_system_sgpr_private_segment_wavefront_offset 0
		.amdhsa_system_sgpr_workgroup_id_x 1
		.amdhsa_system_sgpr_workgroup_id_y 0
		.amdhsa_system_sgpr_workgroup_id_z 0
		.amdhsa_system_sgpr_workgroup_info 0
		.amdhsa_system_vgpr_workitem_id 0
		.amdhsa_next_free_vgpr 26
		.amdhsa_next_free_sgpr 62
		.amdhsa_reserve_vcc 1
		.amdhsa_reserve_flat_scratch 0
		.amdhsa_float_round_mode_32 0
		.amdhsa_float_round_mode_16_64 0
		.amdhsa_float_denorm_mode_32 3
		.amdhsa_float_denorm_mode_16_64 3
		.amdhsa_dx10_clamp 1
		.amdhsa_ieee_mode 1
		.amdhsa_fp16_overflow 0
		.amdhsa_exception_fp_ieee_invalid_op 0
		.amdhsa_exception_fp_denorm_src 0
		.amdhsa_exception_fp_ieee_div_zero 0
		.amdhsa_exception_fp_ieee_overflow 0
		.amdhsa_exception_fp_ieee_underflow 0
		.amdhsa_exception_fp_ieee_inexact 0
		.amdhsa_exception_int_div_zero 0
	.end_amdhsa_kernel
	.section	.text._ZN2at6native32elementwise_kernel_manual_unrollILi128ELi8EZNS0_22gpu_kernel_impl_nocastIZNS0_21compare_scalar_kernelIaEEvRNS_18TensorIteratorBaseENS0_12_GLOBAL__N_16OpTypeET_EUlaE_EEvS5_RKS8_EUlibE_EEviT1_,"axG",@progbits,_ZN2at6native32elementwise_kernel_manual_unrollILi128ELi8EZNS0_22gpu_kernel_impl_nocastIZNS0_21compare_scalar_kernelIaEEvRNS_18TensorIteratorBaseENS0_12_GLOBAL__N_16OpTypeET_EUlaE_EEvS5_RKS8_EUlibE_EEviT1_,comdat
.Lfunc_end21:
	.size	_ZN2at6native32elementwise_kernel_manual_unrollILi128ELi8EZNS0_22gpu_kernel_impl_nocastIZNS0_21compare_scalar_kernelIaEEvRNS_18TensorIteratorBaseENS0_12_GLOBAL__N_16OpTypeET_EUlaE_EEvS5_RKS8_EUlibE_EEviT1_, .Lfunc_end21-_ZN2at6native32elementwise_kernel_manual_unrollILi128ELi8EZNS0_22gpu_kernel_impl_nocastIZNS0_21compare_scalar_kernelIaEEvRNS_18TensorIteratorBaseENS0_12_GLOBAL__N_16OpTypeET_EUlaE_EEvS5_RKS8_EUlibE_EEviT1_
                                        ; -- End function
	.set _ZN2at6native32elementwise_kernel_manual_unrollILi128ELi8EZNS0_22gpu_kernel_impl_nocastIZNS0_21compare_scalar_kernelIaEEvRNS_18TensorIteratorBaseENS0_12_GLOBAL__N_16OpTypeET_EUlaE_EEvS5_RKS8_EUlibE_EEviT1_.num_vgpr, 26
	.set _ZN2at6native32elementwise_kernel_manual_unrollILi128ELi8EZNS0_22gpu_kernel_impl_nocastIZNS0_21compare_scalar_kernelIaEEvRNS_18TensorIteratorBaseENS0_12_GLOBAL__N_16OpTypeET_EUlaE_EEvS5_RKS8_EUlibE_EEviT1_.num_agpr, 0
	.set _ZN2at6native32elementwise_kernel_manual_unrollILi128ELi8EZNS0_22gpu_kernel_impl_nocastIZNS0_21compare_scalar_kernelIaEEvRNS_18TensorIteratorBaseENS0_12_GLOBAL__N_16OpTypeET_EUlaE_EEvS5_RKS8_EUlibE_EEviT1_.numbered_sgpr, 62
	.set _ZN2at6native32elementwise_kernel_manual_unrollILi128ELi8EZNS0_22gpu_kernel_impl_nocastIZNS0_21compare_scalar_kernelIaEEvRNS_18TensorIteratorBaseENS0_12_GLOBAL__N_16OpTypeET_EUlaE_EEvS5_RKS8_EUlibE_EEviT1_.num_named_barrier, 0
	.set _ZN2at6native32elementwise_kernel_manual_unrollILi128ELi8EZNS0_22gpu_kernel_impl_nocastIZNS0_21compare_scalar_kernelIaEEvRNS_18TensorIteratorBaseENS0_12_GLOBAL__N_16OpTypeET_EUlaE_EEvS5_RKS8_EUlibE_EEviT1_.private_seg_size, 0
	.set _ZN2at6native32elementwise_kernel_manual_unrollILi128ELi8EZNS0_22gpu_kernel_impl_nocastIZNS0_21compare_scalar_kernelIaEEvRNS_18TensorIteratorBaseENS0_12_GLOBAL__N_16OpTypeET_EUlaE_EEvS5_RKS8_EUlibE_EEviT1_.uses_vcc, 1
	.set _ZN2at6native32elementwise_kernel_manual_unrollILi128ELi8EZNS0_22gpu_kernel_impl_nocastIZNS0_21compare_scalar_kernelIaEEvRNS_18TensorIteratorBaseENS0_12_GLOBAL__N_16OpTypeET_EUlaE_EEvS5_RKS8_EUlibE_EEviT1_.uses_flat_scratch, 0
	.set _ZN2at6native32elementwise_kernel_manual_unrollILi128ELi8EZNS0_22gpu_kernel_impl_nocastIZNS0_21compare_scalar_kernelIaEEvRNS_18TensorIteratorBaseENS0_12_GLOBAL__N_16OpTypeET_EUlaE_EEvS5_RKS8_EUlibE_EEviT1_.has_dyn_sized_stack, 0
	.set _ZN2at6native32elementwise_kernel_manual_unrollILi128ELi8EZNS0_22gpu_kernel_impl_nocastIZNS0_21compare_scalar_kernelIaEEvRNS_18TensorIteratorBaseENS0_12_GLOBAL__N_16OpTypeET_EUlaE_EEvS5_RKS8_EUlibE_EEviT1_.has_recursion, 0
	.set _ZN2at6native32elementwise_kernel_manual_unrollILi128ELi8EZNS0_22gpu_kernel_impl_nocastIZNS0_21compare_scalar_kernelIaEEvRNS_18TensorIteratorBaseENS0_12_GLOBAL__N_16OpTypeET_EUlaE_EEvS5_RKS8_EUlibE_EEviT1_.has_indirect_call, 0
	.section	.AMDGPU.csdata,"",@progbits
; Kernel info:
; codeLenInByte = 14176
; TotalNumSgprs: 66
; NumVgprs: 26
; ScratchSize: 0
; MemoryBound: 0
; FloatMode: 240
; IeeeMode: 1
; LDSByteSize: 0 bytes/workgroup (compile time only)
; SGPRBlocks: 8
; VGPRBlocks: 6
; NumSGPRsForWavesPerEU: 66
; NumVGPRsForWavesPerEU: 26
; Occupancy: 9
; WaveLimiterHint : 1
; COMPUTE_PGM_RSRC2:SCRATCH_EN: 0
; COMPUTE_PGM_RSRC2:USER_SGPR: 6
; COMPUTE_PGM_RSRC2:TRAP_HANDLER: 0
; COMPUTE_PGM_RSRC2:TGID_X_EN: 1
; COMPUTE_PGM_RSRC2:TGID_Y_EN: 0
; COMPUTE_PGM_RSRC2:TGID_Z_EN: 0
; COMPUTE_PGM_RSRC2:TIDIG_COMP_CNT: 0
	.section	.text._ZN2at6native32elementwise_kernel_manual_unrollILi128ELi4EZNS0_15gpu_kernel_implIZNS0_21compare_scalar_kernelIaEEvRNS_18TensorIteratorBaseENS0_12_GLOBAL__N_16OpTypeET_EUlaE_EEvS5_RKS8_EUlibE_EEviT1_,"axG",@progbits,_ZN2at6native32elementwise_kernel_manual_unrollILi128ELi4EZNS0_15gpu_kernel_implIZNS0_21compare_scalar_kernelIaEEvRNS_18TensorIteratorBaseENS0_12_GLOBAL__N_16OpTypeET_EUlaE_EEvS5_RKS8_EUlibE_EEviT1_,comdat
	.globl	_ZN2at6native32elementwise_kernel_manual_unrollILi128ELi4EZNS0_15gpu_kernel_implIZNS0_21compare_scalar_kernelIaEEvRNS_18TensorIteratorBaseENS0_12_GLOBAL__N_16OpTypeET_EUlaE_EEvS5_RKS8_EUlibE_EEviT1_ ; -- Begin function _ZN2at6native32elementwise_kernel_manual_unrollILi128ELi4EZNS0_15gpu_kernel_implIZNS0_21compare_scalar_kernelIaEEvRNS_18TensorIteratorBaseENS0_12_GLOBAL__N_16OpTypeET_EUlaE_EEvS5_RKS8_EUlibE_EEviT1_
	.p2align	8
	.type	_ZN2at6native32elementwise_kernel_manual_unrollILi128ELi4EZNS0_15gpu_kernel_implIZNS0_21compare_scalar_kernelIaEEvRNS_18TensorIteratorBaseENS0_12_GLOBAL__N_16OpTypeET_EUlaE_EEvS5_RKS8_EUlibE_EEviT1_,@function
_ZN2at6native32elementwise_kernel_manual_unrollILi128ELi4EZNS0_15gpu_kernel_implIZNS0_21compare_scalar_kernelIaEEvRNS_18TensorIteratorBaseENS0_12_GLOBAL__N_16OpTypeET_EUlaE_EEvS5_RKS8_EUlibE_EEviT1_: ; @_ZN2at6native32elementwise_kernel_manual_unrollILi128ELi4EZNS0_15gpu_kernel_implIZNS0_21compare_scalar_kernelIaEEvRNS_18TensorIteratorBaseENS0_12_GLOBAL__N_16OpTypeET_EUlaE_EEvS5_RKS8_EUlibE_EEviT1_
; %bb.0:
	s_load_dwordx2 s[2:3], s[4:5], 0x24
	s_load_dword s33, s[4:5], 0x0
	s_load_dwordx8 s[8:15], s[4:5], 0x8
	v_lshl_or_b32 v4, s6, 9, v0
	v_or_b32_e32 v0, 0x180, v4
	s_waitcnt lgkmcnt(0)
	s_sext_i32_i8 s2, s2
	s_bfe_u32 s15, s3, 0x80008
	v_cmp_le_i32_e32 vcc, s33, v0
	s_mov_b64 s[4:5], 0
	s_mov_b64 s[16:17], 0
	s_and_saveexec_b64 s[0:1], vcc
	s_xor_b64 s[6:7], exec, s[0:1]
	s_cbranch_execz .LBB22_1076
; %bb.1:
	v_cmp_gt_i32_e32 vcc, s33, v4
	s_mov_b64 s[22:23], -1
	s_mov_b64 s[24:25], 0
	s_mov_b64 s[18:19], 0
	s_and_saveexec_b64 s[20:21], vcc
	s_cbranch_execz .LBB22_264
; %bb.2:
	v_mul_lo_u32 v0, v4, s13
	v_mov_b32_e32 v1, s11
	s_and_b32 s22, 0xffff, s15
	s_cmp_lt_i32 s22, 11
	v_ashrrev_i32_e32 v2, 31, v0
	v_add_co_u32_e32 v0, vcc, s10, v0
	v_addc_co_u32_e32 v1, vcc, v1, v2, vcc
	s_cbranch_scc1 .LBB22_9
; %bb.3:
	s_cmp_gt_i32 s22, 25
	s_cbranch_scc0 .LBB22_15
; %bb.4:
	s_cmp_gt_i32 s22, 28
	s_cbranch_scc0 .LBB22_17
	;; [unrolled: 3-line block ×4, first 2 shown]
; %bb.7:
	s_cmp_eq_u32 s22, 46
	s_cbranch_scc0 .LBB22_44
; %bb.8:
	global_load_dword v2, v[0:1], off
	s_mov_b64 s[0:1], -1
	s_waitcnt vmcnt(0)
	v_lshlrev_b32_e32 v2, 16, v2
	v_cvt_i32_f32_e32 v2, v2
	s_branch .LBB22_46
.LBB22_9:
                                        ; implicit-def: $vgpr2
	s_mov_b64 s[0:1], 0
	s_cbranch_execnz .LBB22_215
.LBB22_10:
	s_andn2_b64 vcc, exec, s[0:1]
	s_cbranch_vccnz .LBB22_262
.LBB22_11:
	s_cmp_lt_i32 s14, 1
	s_mov_b64 s[0:1], 0
	s_cbranch_scc1 .LBB22_16
; %bb.12:
	s_cmp_gt_i32 s14, 1
	s_cbranch_scc0 .LBB22_18
; %bb.13:
	s_cmp_eq_u32 s14, 2
	s_cbranch_scc0 .LBB22_20
; %bb.14:
	s_waitcnt vmcnt(0)
	v_cmp_le_i16_sdwa s[16:17], sext(v2), s2 src0_sel:BYTE_0 src1_sel:DWORD
	s_mov_b64 s[22:23], 0
	s_branch .LBB22_21
.LBB22_15:
	s_mov_b64 s[0:1], 0
                                        ; implicit-def: $vgpr2
	s_cbranch_execnz .LBB22_182
	s_branch .LBB22_214
.LBB22_16:
                                        ; implicit-def: $sgpr16_sgpr17
	s_mov_b64 s[22:23], 0
	s_cbranch_execnz .LBB22_25
	s_branch .LBB22_26
.LBB22_17:
	s_mov_b64 s[16:17], -1
	s_mov_b64 s[0:1], 0
                                        ; implicit-def: $vgpr2
	s_branch .LBB22_165
.LBB22_18:
	s_mov_b64 s[26:27], -1
	s_mov_b64 s[22:23], 0
                                        ; implicit-def: $sgpr16_sgpr17
	s_branch .LBB22_22
.LBB22_19:
	s_mov_b64 s[16:17], -1
	s_mov_b64 s[0:1], 0
                                        ; implicit-def: $vgpr2
	s_branch .LBB22_160
.LBB22_20:
	s_mov_b64 s[22:23], -1
                                        ; implicit-def: $sgpr16_sgpr17
.LBB22_21:
	s_mov_b64 s[26:27], 0
.LBB22_22:
	s_and_b64 vcc, exec, s[26:27]
	s_cbranch_vccz .LBB22_24
; %bb.23:
	s_waitcnt vmcnt(0)
	v_cmp_gt_i16_sdwa s[26:27], sext(v2), s2 src0_sel:BYTE_0 src1_sel:DWORD
	s_andn2_b64 s[16:17], s[16:17], exec
	s_and_b64 s[26:27], s[26:27], exec
	s_or_b64 s[16:17], s[16:17], s[26:27]
.LBB22_24:
	s_branch .LBB22_26
.LBB22_25:
	s_cmp_lg_u32 s14, 0
	s_mov_b64 s[0:1], -1
	s_cselect_b64 s[22:23], -1, 0
.LBB22_26:
	s_andn2_b64 vcc, exec, s[22:23]
	s_cbranch_vccnz .LBB22_28
; %bb.27:
	s_waitcnt vmcnt(0)
	v_cmp_lt_i16_sdwa s[22:23], sext(v2), s2 src0_sel:BYTE_0 src1_sel:DWORD
	s_andn2_b64 s[16:17], s[16:17], exec
	s_and_b64 s[22:23], s[22:23], exec
	s_or_b64 s[16:17], s[16:17], s[22:23]
	s_cbranch_execz .LBB22_29
	s_branch .LBB22_30
.LBB22_28:
	s_andn2_b64 vcc, exec, s[0:1]
	s_cbranch_vccnz .LBB22_30
.LBB22_29:
	s_waitcnt vmcnt(0)
	v_cmp_ge_i16_sdwa s[0:1], sext(v2), s2 src0_sel:BYTE_0 src1_sel:DWORD
	s_andn2_b64 s[16:17], s[16:17], exec
	s_and_b64 s[0:1], s[0:1], exec
	s_or_b64 s[16:17], s[16:17], s[0:1]
.LBB22_30:
	v_mul_lo_u32 v0, v4, s12
	v_mov_b32_e32 v1, s9
	s_and_b32 s30, s3, 0xff
	s_cmp_lt_i32 s30, 11
	s_waitcnt vmcnt(0)
	v_ashrrev_i32_e32 v2, 31, v0
	v_add_co_u32_e32 v0, vcc, s8, v0
	v_addc_co_u32_e32 v1, vcc, v1, v2, vcc
	s_cbranch_scc1 .LBB22_37
; %bb.31:
	s_and_b32 s31, 0xffff, s30
	s_cmp_gt_i32 s31, 25
	s_cbranch_scc0 .LBB22_40
; %bb.32:
	s_cmp_gt_i32 s31, 28
	s_cbranch_scc0 .LBB22_41
; %bb.33:
	s_cmp_gt_i32 s31, 43
	s_cbranch_scc0 .LBB22_43
; %bb.34:
	s_cmp_gt_i32 s31, 45
	s_cbranch_scc0 .LBB22_49
; %bb.35:
	s_mov_b64 s[26:27], 0
	s_mov_b64 s[0:1], -1
	s_cmp_eq_u32 s31, 46
	s_mov_b64 s[22:23], 0
	s_cbranch_scc0 .LBB22_50
; %bb.36:
	v_cndmask_b32_e64 v2, 0, 1.0, s[16:17]
	v_bfe_u32 v3, v2, 16, 1
	s_movk_i32 s0, 0x7fff
	v_add3_u32 v2, v2, v3, s0
	v_lshrrev_b32_e32 v2, 16, v2
	global_store_dword v[0:1], v2, off
	s_mov_b64 s[22:23], -1
	s_mov_b64 s[0:1], 0
	s_branch .LBB22_50
.LBB22_37:
	s_mov_b64 s[0:1], 0
	s_mov_b64 s[22:23], 0
	s_cbranch_execnz .LBB22_119
.LBB22_38:
	s_andn2_b64 vcc, exec, s[22:23]
	s_cbranch_vccnz .LBB22_157
.LBB22_39:
	v_add_u32_e32 v4, 0x80, v4
	s_mov_b64 s[22:23], -1
	s_branch .LBB22_263
.LBB22_40:
	s_mov_b64 s[26:27], -1
	s_mov_b64 s[0:1], 0
	s_mov_b64 s[22:23], 0
	s_branch .LBB22_77
.LBB22_41:
	s_mov_b64 s[26:27], -1
	s_mov_b64 s[0:1], 0
	s_mov_b64 s[22:23], 0
	s_branch .LBB22_60
.LBB22_42:
	s_mov_b64 s[16:17], -1
	s_branch .LBB22_45
.LBB22_43:
	s_mov_b64 s[26:27], -1
	s_mov_b64 s[0:1], 0
	s_mov_b64 s[22:23], 0
	s_branch .LBB22_56
.LBB22_44:
	s_mov_b64 s[18:19], -1
.LBB22_45:
	s_mov_b64 s[0:1], 0
                                        ; implicit-def: $vgpr2
.LBB22_46:
	s_and_b64 vcc, exec, s[16:17]
	s_cbranch_vccz .LBB22_159
; %bb.47:
	s_cmp_eq_u32 s22, 44
	s_cbranch_scc0 .LBB22_158
; %bb.48:
	global_load_ubyte v2, v[0:1], off
	s_mov_b64 s[0:1], -1
	s_mov_b64 s[18:19], 0
	s_waitcnt vmcnt(0)
	v_lshlrev_b32_e32 v3, 23, v2
	v_cvt_i32_f32_e32 v3, v3
	v_cmp_ne_u32_e32 vcc, 0, v2
	v_cndmask_b32_e32 v2, 0, v3, vcc
	s_branch .LBB22_159
.LBB22_49:
	s_mov_b64 s[26:27], -1
	s_mov_b64 s[0:1], 0
	s_mov_b64 s[22:23], 0
.LBB22_50:
	s_and_b64 vcc, exec, s[26:27]
	s_cbranch_vccz .LBB22_55
; %bb.51:
	s_cmp_eq_u32 s31, 44
	s_mov_b64 s[0:1], -1
	s_cbranch_scc0 .LBB22_55
; %bb.52:
	v_cndmask_b32_e64 v3, 0, 1.0, s[16:17]
	v_lshrrev_b32_e32 v2, 23, v3
	s_movk_i32 s0, 0xff
	v_cmp_ne_u32_e32 vcc, s0, v2
	v_mov_b32_e32 v5, 0xff
	s_and_saveexec_b64 s[22:23], vcc
; %bb.53:
	s_mov_b32 s0, 0x3fffff
	v_and_b32_e32 v5, 0x400000, v3
	v_and_or_b32 v3, v3, s0, v2
	v_cmp_ne_u32_e32 vcc, 0, v5
	v_cmp_ne_u32_e64 s[0:1], 0, v3
	s_and_b64 s[0:1], vcc, s[0:1]
	v_cndmask_b32_e64 v3, 0, 1, s[0:1]
	v_add_u32_e32 v5, v2, v3
; %bb.54:
	s_or_b64 exec, exec, s[22:23]
	s_mov_b64 s[22:23], -1
	s_mov_b64 s[0:1], 0
	global_store_byte v[0:1], v5, off
.LBB22_55:
	s_mov_b64 s[26:27], 0
.LBB22_56:
	s_and_b64 vcc, exec, s[26:27]
	s_cbranch_vccz .LBB22_59
; %bb.57:
	s_cmp_eq_u32 s31, 29
	s_mov_b64 s[0:1], -1
	s_cbranch_scc0 .LBB22_59
; %bb.58:
	s_mov_b32 s0, 0
	v_cndmask_b32_e64 v2, 0, 1, s[16:17]
	v_mov_b32_e32 v3, s0
	global_store_dwordx2 v[0:1], v[2:3], off
	s_mov_b64 s[22:23], -1
	s_mov_b64 s[0:1], 0
.LBB22_59:
	s_mov_b64 s[26:27], 0
.LBB22_60:
	s_and_b64 vcc, exec, s[26:27]
	s_cbranch_vccz .LBB22_76
; %bb.61:
	s_cmp_lt_i32 s31, 27
	s_mov_b64 s[22:23], -1
	s_cbranch_scc1 .LBB22_67
; %bb.62:
	s_cmp_gt_i32 s31, 27
	s_cbranch_scc0 .LBB22_64
; %bb.63:
	v_cndmask_b32_e64 v2, 0, 1, s[16:17]
	s_mov_b64 s[22:23], 0
	global_store_dword v[0:1], v2, off
.LBB22_64:
	s_andn2_b64 vcc, exec, s[22:23]
	s_cbranch_vccnz .LBB22_66
; %bb.65:
	v_cndmask_b32_e64 v2, 0, 1, s[16:17]
	global_store_short v[0:1], v2, off
.LBB22_66:
	s_mov_b64 s[22:23], 0
.LBB22_67:
	s_andn2_b64 vcc, exec, s[22:23]
	s_cbranch_vccnz .LBB22_75
; %bb.68:
	v_cndmask_b32_e64 v3, 0, 1.0, s[16:17]
	s_mov_b32 s22, 0x43800000
	v_cmp_gt_u32_e32 vcc, s22, v3
	v_mov_b32_e32 v5, 0x80
	s_and_saveexec_b64 s[22:23], vcc
	s_cbranch_execz .LBB22_74
; %bb.69:
	s_mov_b32 s26, 0x3bffffff
	v_cmp_lt_u32_e32 vcc, s26, v3
	s_mov_b64 s[26:27], 0
                                        ; implicit-def: $vgpr2
	s_and_saveexec_b64 s[28:29], vcc
	s_xor_b64 s[28:29], exec, s[28:29]
	s_cbranch_execz .LBB22_307
; %bb.70:
	v_bfe_u32 v2, v3, 20, 1
	s_mov_b32 s34, 0x487ffff
	v_add3_u32 v2, v3, v2, s34
	s_mov_b64 s[26:27], exec
	v_lshrrev_b32_e32 v2, 20, v2
                                        ; implicit-def: $vgpr3
	s_andn2_saveexec_b64 s[28:29], s[28:29]
	s_cbranch_execnz .LBB22_308
.LBB22_71:
	s_or_b64 exec, exec, s[28:29]
	v_mov_b32_e32 v5, 0
	s_and_saveexec_b64 s[28:29], s[26:27]
.LBB22_72:
	v_mov_b32_e32 v5, v2
.LBB22_73:
	s_or_b64 exec, exec, s[28:29]
.LBB22_74:
	s_or_b64 exec, exec, s[22:23]
	global_store_byte v[0:1], v5, off
.LBB22_75:
	s_mov_b64 s[22:23], -1
.LBB22_76:
	s_mov_b64 s[26:27], 0
.LBB22_77:
	s_and_b64 vcc, exec, s[26:27]
	s_cbranch_vccz .LBB22_118
; %bb.78:
	s_cmp_gt_i32 s31, 22
	s_mov_b64 s[26:27], -1
	s_cbranch_scc0 .LBB22_110
; %bb.79:
	s_cmp_lt_i32 s31, 24
	s_mov_b64 s[22:23], -1
	s_cbranch_scc1 .LBB22_99
; %bb.80:
	s_cmp_gt_i32 s31, 24
	s_cbranch_scc0 .LBB22_88
; %bb.81:
	v_cndmask_b32_e64 v3, 0, 1.0, s[16:17]
	s_mov_b32 s22, 0x47800000
	v_cmp_gt_u32_e32 vcc, s22, v3
	v_mov_b32_e32 v5, 0x80
	s_and_saveexec_b64 s[22:23], vcc
	s_cbranch_execz .LBB22_87
; %bb.82:
	s_mov_b32 s26, 0x37ffffff
	v_cmp_lt_u32_e32 vcc, s26, v3
	s_mov_b64 s[26:27], 0
                                        ; implicit-def: $vgpr2
	s_and_saveexec_b64 s[28:29], vcc
	s_xor_b64 s[28:29], exec, s[28:29]
	s_cbranch_execz .LBB22_311
; %bb.83:
	v_bfe_u32 v2, v3, 21, 1
	s_mov_b32 s34, 0x88fffff
	v_add3_u32 v2, v3, v2, s34
	s_mov_b64 s[26:27], exec
	v_lshrrev_b32_e32 v2, 21, v2
                                        ; implicit-def: $vgpr3
	s_andn2_saveexec_b64 s[28:29], s[28:29]
	s_cbranch_execnz .LBB22_312
.LBB22_84:
	s_or_b64 exec, exec, s[28:29]
	v_mov_b32_e32 v5, 0
	s_and_saveexec_b64 s[28:29], s[26:27]
.LBB22_85:
	v_mov_b32_e32 v5, v2
.LBB22_86:
	s_or_b64 exec, exec, s[28:29]
.LBB22_87:
	s_or_b64 exec, exec, s[22:23]
	s_mov_b64 s[22:23], 0
	global_store_byte v[0:1], v5, off
.LBB22_88:
	s_and_b64 vcc, exec, s[22:23]
	s_cbranch_vccz .LBB22_98
; %bb.89:
	v_cndmask_b32_e64 v2, 0, 1.0, s[16:17]
	s_mov_b32 s22, 0x43f00000
	v_cmp_gt_u32_e32 vcc, s22, v2
                                        ; implicit-def: $vgpr3
	s_and_saveexec_b64 s[22:23], vcc
	s_xor_b64 s[22:23], exec, s[22:23]
	s_cbranch_execz .LBB22_95
; %bb.90:
	s_mov_b32 s26, 0x3c7fffff
	v_cmp_lt_u32_e32 vcc, s26, v2
                                        ; implicit-def: $vgpr3
	s_and_saveexec_b64 s[26:27], vcc
	s_xor_b64 s[26:27], exec, s[26:27]
; %bb.91:
	v_bfe_u32 v3, v2, 20, 1
	s_mov_b32 s28, 0x407ffff
	v_add3_u32 v2, v2, v3, s28
	v_lshrrev_b32_e32 v3, 20, v2
	v_and_b32_e32 v2, 0xff00000, v2
	s_mov_b32 s28, 0x7f00000
	v_mov_b32_e32 v5, 0x7e
	v_cmp_ne_u32_e32 vcc, s28, v2
	v_cndmask_b32_e32 v3, v5, v3, vcc
                                        ; implicit-def: $vgpr2
; %bb.92:
	s_andn2_saveexec_b64 s[26:27], s[26:27]
; %bb.93:
	v_add_f32_e32 v3, 0x46800000, v2
; %bb.94:
	s_or_b64 exec, exec, s[26:27]
                                        ; implicit-def: $vgpr2
.LBB22_95:
	s_andn2_saveexec_b64 s[22:23], s[22:23]
; %bb.96:
	s_mov_b32 s26, 0x7f800000
	v_mov_b32_e32 v3, 0x7e
	v_mov_b32_e32 v5, 0x7f
	v_cmp_lt_u32_e32 vcc, s26, v2
	v_cndmask_b32_e32 v3, v3, v5, vcc
; %bb.97:
	s_or_b64 exec, exec, s[22:23]
	global_store_byte v[0:1], v3, off
.LBB22_98:
	s_mov_b64 s[22:23], 0
.LBB22_99:
	s_andn2_b64 vcc, exec, s[22:23]
	s_cbranch_vccnz .LBB22_109
; %bb.100:
	v_cndmask_b32_e64 v2, 0, 1.0, s[16:17]
	s_mov_b32 s22, 0x47800000
	v_cmp_gt_u32_e32 vcc, s22, v2
                                        ; implicit-def: $vgpr3
	s_and_saveexec_b64 s[22:23], vcc
	s_xor_b64 s[22:23], exec, s[22:23]
	s_cbranch_execz .LBB22_106
; %bb.101:
	s_mov_b32 s26, 0x387fffff
	v_cmp_lt_u32_e32 vcc, s26, v2
                                        ; implicit-def: $vgpr3
	s_and_saveexec_b64 s[26:27], vcc
	s_xor_b64 s[26:27], exec, s[26:27]
; %bb.102:
	v_bfe_u32 v3, v2, 21, 1
	s_mov_b32 s28, 0x80fffff
	v_add3_u32 v2, v2, v3, s28
	v_lshrrev_b32_e32 v3, 21, v2
                                        ; implicit-def: $vgpr2
; %bb.103:
	s_andn2_saveexec_b64 s[26:27], s[26:27]
; %bb.104:
	v_add_f32_e32 v3, 0x43000000, v2
; %bb.105:
	s_or_b64 exec, exec, s[26:27]
                                        ; implicit-def: $vgpr2
.LBB22_106:
	s_andn2_saveexec_b64 s[22:23], s[22:23]
; %bb.107:
	s_mov_b32 s26, 0x7f800000
	v_mov_b32_e32 v3, 0x7c
	v_mov_b32_e32 v5, 0x7f
	v_cmp_lt_u32_e32 vcc, s26, v2
	v_cndmask_b32_e32 v3, v3, v5, vcc
; %bb.108:
	s_or_b64 exec, exec, s[22:23]
	global_store_byte v[0:1], v3, off
.LBB22_109:
	s_mov_b64 s[26:27], 0
	s_mov_b64 s[22:23], -1
.LBB22_110:
	s_andn2_b64 vcc, exec, s[26:27]
	s_cbranch_vccnz .LBB22_118
; %bb.111:
	s_cmp_gt_i32 s31, 14
	s_mov_b64 s[26:27], -1
	s_cbranch_scc0 .LBB22_115
; %bb.112:
	s_cmp_eq_u32 s31, 15
	s_mov_b64 s[0:1], -1
	s_cbranch_scc0 .LBB22_114
; %bb.113:
	v_cndmask_b32_e64 v2, 0, 1.0, s[16:17]
	v_bfe_u32 v3, v2, 16, 1
	s_movk_i32 s0, 0x7fff
	v_add3_u32 v2, v2, v3, s0
	global_store_short_d16_hi v[0:1], v2, off
	s_mov_b64 s[22:23], -1
	s_mov_b64 s[0:1], 0
.LBB22_114:
	s_mov_b64 s[26:27], 0
.LBB22_115:
	s_and_b64 vcc, exec, s[26:27]
	s_cbranch_vccz .LBB22_118
; %bb.116:
	s_cmp_eq_u32 s31, 11
	s_mov_b64 s[0:1], -1
	s_cbranch_scc0 .LBB22_118
; %bb.117:
	v_cndmask_b32_e64 v2, 0, 1, s[16:17]
	s_mov_b64 s[22:23], -1
	s_mov_b64 s[0:1], 0
	global_store_byte v[0:1], v2, off
.LBB22_118:
	s_branch .LBB22_38
.LBB22_119:
	s_and_b32 s26, 0xffff, s30
	s_cmp_lt_i32 s26, 5
	s_mov_b64 s[22:23], -1
	s_cbranch_scc1 .LBB22_140
; %bb.120:
	s_cmp_lt_i32 s26, 8
	s_cbranch_scc1 .LBB22_130
; %bb.121:
	s_cmp_lt_i32 s26, 9
	s_cbranch_scc1 .LBB22_127
; %bb.122:
	s_cmp_gt_i32 s26, 9
	s_cbranch_scc0 .LBB22_124
; %bb.123:
	v_cndmask_b32_e64 v2, 0, 1, s[16:17]
	v_cvt_f64_u32_e32 v[5:6], v2
	v_mov_b32_e32 v7, 0
	v_mov_b32_e32 v8, v7
	s_mov_b64 s[22:23], 0
	global_store_dwordx4 v[0:1], v[5:8], off
.LBB22_124:
	s_andn2_b64 vcc, exec, s[22:23]
	s_cbranch_vccnz .LBB22_126
; %bb.125:
	v_cndmask_b32_e64 v2, 0, 1.0, s[16:17]
	v_mov_b32_e32 v3, 0
	global_store_dwordx2 v[0:1], v[2:3], off
.LBB22_126:
	s_mov_b64 s[22:23], 0
.LBB22_127:
	s_andn2_b64 vcc, exec, s[22:23]
	s_cbranch_vccnz .LBB22_129
; %bb.128:
	v_cndmask_b32_e64 v2, 0, 1.0, s[16:17]
	v_cvt_f16_f32_e32 v2, v2
	global_store_dword v[0:1], v2, off
.LBB22_129:
	s_mov_b64 s[22:23], 0
.LBB22_130:
	s_andn2_b64 vcc, exec, s[22:23]
	s_cbranch_vccnz .LBB22_139
; %bb.131:
	s_cmp_lt_i32 s26, 6
	s_mov_b64 s[22:23], -1
	s_cbranch_scc1 .LBB22_137
; %bb.132:
	s_cmp_gt_i32 s26, 6
	s_cbranch_scc0 .LBB22_134
; %bb.133:
	v_cndmask_b32_e64 v2, 0, 1, s[16:17]
	v_cvt_f64_u32_e32 v[2:3], v2
	s_mov_b64 s[22:23], 0
	global_store_dwordx2 v[0:1], v[2:3], off
.LBB22_134:
	s_andn2_b64 vcc, exec, s[22:23]
	s_cbranch_vccnz .LBB22_136
; %bb.135:
	v_cndmask_b32_e64 v2, 0, 1.0, s[16:17]
	global_store_dword v[0:1], v2, off
.LBB22_136:
	s_mov_b64 s[22:23], 0
.LBB22_137:
	s_andn2_b64 vcc, exec, s[22:23]
	s_cbranch_vccnz .LBB22_139
; %bb.138:
	v_cndmask_b32_e64 v2, 0, 1.0, s[16:17]
	v_cvt_f16_f32_e32 v2, v2
	global_store_short v[0:1], v2, off
.LBB22_139:
	s_mov_b64 s[22:23], 0
.LBB22_140:
	s_andn2_b64 vcc, exec, s[22:23]
	s_cbranch_vccnz .LBB22_156
; %bb.141:
	s_cmp_lt_i32 s26, 2
	s_mov_b64 s[22:23], -1
	s_cbranch_scc1 .LBB22_151
; %bb.142:
	s_cmp_lt_i32 s26, 3
	s_cbranch_scc1 .LBB22_148
; %bb.143:
	s_cmp_gt_i32 s26, 3
	s_cbranch_scc0 .LBB22_145
; %bb.144:
	s_mov_b32 s22, 0
	v_cndmask_b32_e64 v2, 0, 1, s[16:17]
	v_mov_b32_e32 v3, s22
	global_store_dwordx2 v[0:1], v[2:3], off
	s_mov_b64 s[22:23], 0
.LBB22_145:
	s_andn2_b64 vcc, exec, s[22:23]
	s_cbranch_vccnz .LBB22_147
; %bb.146:
	v_cndmask_b32_e64 v2, 0, 1, s[16:17]
	global_store_dword v[0:1], v2, off
.LBB22_147:
	s_mov_b64 s[22:23], 0
.LBB22_148:
	s_andn2_b64 vcc, exec, s[22:23]
	s_cbranch_vccnz .LBB22_150
; %bb.149:
	v_cndmask_b32_e64 v2, 0, 1, s[16:17]
	global_store_short v[0:1], v2, off
.LBB22_150:
	s_mov_b64 s[22:23], 0
.LBB22_151:
	s_andn2_b64 vcc, exec, s[22:23]
	s_cbranch_vccnz .LBB22_156
; %bb.152:
	s_mov_b64 s[22:23], -1
	s_cmp_gt_i32 s26, 0
	v_cndmask_b32_e64 v2, 0, 1, s[16:17]
	s_cbranch_scc0 .LBB22_154
; %bb.153:
	global_store_byte v[0:1], v2, off
	s_mov_b64 s[22:23], 0
.LBB22_154:
	s_andn2_b64 vcc, exec, s[22:23]
	s_cbranch_vccnz .LBB22_156
; %bb.155:
	global_store_byte v[0:1], v2, off
.LBB22_156:
	s_branch .LBB22_39
.LBB22_157:
	s_mov_b64 s[22:23], 0
                                        ; implicit-def: $vgpr4
	s_branch .LBB22_263
.LBB22_158:
	s_mov_b64 s[18:19], -1
                                        ; implicit-def: $vgpr2
.LBB22_159:
	s_mov_b64 s[16:17], 0
.LBB22_160:
	s_and_b64 vcc, exec, s[16:17]
	s_cbranch_vccz .LBB22_164
; %bb.161:
	s_cmp_eq_u32 s22, 29
	s_cbranch_scc0 .LBB22_163
; %bb.162:
	global_load_dwordx2 v[2:3], v[0:1], off
	s_mov_b64 s[0:1], -1
	s_mov_b64 s[18:19], 0
	s_branch .LBB22_164
.LBB22_163:
	s_mov_b64 s[18:19], -1
                                        ; implicit-def: $vgpr2
.LBB22_164:
	s_mov_b64 s[16:17], 0
.LBB22_165:
	s_and_b64 vcc, exec, s[16:17]
	s_cbranch_vccz .LBB22_181
; %bb.166:
	s_cmp_lt_i32 s22, 27
	s_cbranch_scc1 .LBB22_169
; %bb.167:
	s_cmp_gt_i32 s22, 27
	s_cbranch_scc0 .LBB22_170
; %bb.168:
	global_load_dword v2, v[0:1], off
	s_mov_b64 s[0:1], 0
	s_branch .LBB22_171
.LBB22_169:
	s_mov_b64 s[0:1], -1
                                        ; implicit-def: $vgpr2
	s_branch .LBB22_174
.LBB22_170:
	s_mov_b64 s[0:1], -1
                                        ; implicit-def: $vgpr2
.LBB22_171:
	s_andn2_b64 vcc, exec, s[0:1]
	s_cbranch_vccnz .LBB22_173
; %bb.172:
	global_load_ushort v2, v[0:1], off
.LBB22_173:
	s_mov_b64 s[0:1], 0
.LBB22_174:
	s_andn2_b64 vcc, exec, s[0:1]
	s_cbranch_vccnz .LBB22_180
; %bb.175:
	global_load_ubyte v3, v[0:1], off
	s_movk_i32 s0, 0x7f
	s_mov_b64 s[16:17], 0
	s_waitcnt vmcnt(0)
	v_cmp_lt_i16_e32 vcc, s0, v3
	s_and_saveexec_b64 s[0:1], vcc
	s_xor_b64 s[0:1], exec, s[0:1]
	s_cbranch_execz .LBB22_191
; %bb.176:
	s_movk_i32 s16, 0x80
	v_cmp_ne_u16_e32 vcc, s16, v3
	s_and_b64 s[16:17], vcc, exec
	s_andn2_saveexec_b64 s[0:1], s[0:1]
	s_cbranch_execnz .LBB22_192
.LBB22_177:
	s_or_b64 exec, exec, s[0:1]
	v_mov_b32_e32 v2, 0
	s_and_saveexec_b64 s[0:1], s[16:17]
	s_cbranch_execz .LBB22_179
.LBB22_178:
	v_lshlrev_b32_e32 v2, 24, v3
	v_and_b32_e32 v3, 0xffff, v3
	v_and_b32_e32 v5, 7, v3
	v_ffbh_u32_e32 v7, v5
	v_min_u32_e32 v7, 32, v7
	v_subrev_u32_e32 v8, 28, v7
	v_bfe_u32 v6, v3, 3, 4
	v_lshlrev_b32_e32 v3, v8, v3
	v_sub_u32_e32 v7, 29, v7
	v_and_b32_e32 v3, 7, v3
	v_cmp_eq_u32_e32 vcc, 0, v6
	v_cndmask_b32_e32 v6, v6, v7, vcc
	v_cndmask_b32_e32 v3, v5, v3, vcc
	v_mov_b32_e32 v5, 0x3b800000
	v_lshlrev_b32_e32 v3, 20, v3
	v_and_b32_e32 v2, 0x80000000, v2
	v_lshl_add_u32 v5, v6, 23, v5
	v_or3_b32 v2, v2, v5, v3
	v_cvt_i32_f32_e32 v2, v2
.LBB22_179:
	s_or_b64 exec, exec, s[0:1]
.LBB22_180:
	s_mov_b64 s[0:1], -1
.LBB22_181:
	s_branch .LBB22_214
.LBB22_182:
	s_cmp_gt_i32 s22, 22
	s_cbranch_scc0 .LBB22_190
; %bb.183:
	s_cmp_lt_i32 s22, 24
	s_cbranch_scc1 .LBB22_193
; %bb.184:
	s_cmp_gt_i32 s22, 24
	s_cbranch_scc0 .LBB22_194
; %bb.185:
	global_load_ubyte v3, v[0:1], off
	s_movk_i32 s0, 0x7f
	s_mov_b64 s[16:17], 0
	s_waitcnt vmcnt(0)
	v_cmp_lt_i16_e32 vcc, s0, v3
	s_and_saveexec_b64 s[0:1], vcc
	s_xor_b64 s[0:1], exec, s[0:1]
	s_cbranch_execz .LBB22_206
; %bb.186:
	s_movk_i32 s16, 0x80
	v_cmp_ne_u16_e32 vcc, s16, v3
	s_and_b64 s[16:17], vcc, exec
	s_andn2_saveexec_b64 s[0:1], s[0:1]
	s_cbranch_execnz .LBB22_207
.LBB22_187:
	s_or_b64 exec, exec, s[0:1]
	v_mov_b32_e32 v2, 0
	s_and_saveexec_b64 s[0:1], s[16:17]
	s_cbranch_execz .LBB22_189
.LBB22_188:
	v_lshlrev_b32_e32 v2, 24, v3
	v_and_b32_e32 v3, 0xffff, v3
	v_and_b32_e32 v5, 3, v3
	v_ffbh_u32_e32 v7, v5
	v_min_u32_e32 v7, 32, v7
	v_subrev_u32_e32 v8, 29, v7
	v_bfe_u32 v6, v3, 2, 5
	v_lshlrev_b32_e32 v3, v8, v3
	v_sub_u32_e32 v7, 30, v7
	v_and_b32_e32 v3, 3, v3
	v_cmp_eq_u32_e32 vcc, 0, v6
	v_cndmask_b32_e32 v6, v6, v7, vcc
	v_cndmask_b32_e32 v3, v5, v3, vcc
	v_mov_b32_e32 v5, 0x37800000
	v_lshlrev_b32_e32 v3, 21, v3
	v_and_b32_e32 v2, 0x80000000, v2
	v_lshl_add_u32 v5, v6, 23, v5
	v_or3_b32 v2, v2, v5, v3
	v_cvt_i32_f32_e32 v2, v2
.LBB22_189:
	s_or_b64 exec, exec, s[0:1]
	s_mov_b64 s[0:1], 0
	s_branch .LBB22_195
.LBB22_190:
	s_mov_b64 s[16:17], -1
                                        ; implicit-def: $vgpr2
	s_branch .LBB22_201
.LBB22_191:
	s_andn2_saveexec_b64 s[0:1], s[0:1]
	s_cbranch_execz .LBB22_177
.LBB22_192:
	v_cmp_ne_u16_e32 vcc, 0, v3
	s_andn2_b64 s[16:17], s[16:17], exec
	s_and_b64 s[26:27], vcc, exec
	s_or_b64 s[16:17], s[16:17], s[26:27]
	s_or_b64 exec, exec, s[0:1]
	v_mov_b32_e32 v2, 0
	s_and_saveexec_b64 s[0:1], s[16:17]
	s_cbranch_execnz .LBB22_178
	s_branch .LBB22_179
.LBB22_193:
	s_mov_b64 s[0:1], -1
                                        ; implicit-def: $vgpr2
	s_branch .LBB22_198
.LBB22_194:
	s_mov_b64 s[0:1], -1
                                        ; implicit-def: $vgpr2
.LBB22_195:
	s_and_b64 vcc, exec, s[0:1]
	s_cbranch_vccz .LBB22_197
; %bb.196:
	global_load_ubyte v2, v[0:1], off
	s_mov_b32 s0, 0x7f800000
	s_waitcnt vmcnt(0)
	v_lshlrev_b32_e32 v2, 24, v2
	v_and_b32_e32 v3, 0x7f000000, v2
	v_ffbh_u32_e32 v5, v3
	v_min_u32_e32 v5, 32, v5
	v_sub_u32_e64 v5, v5, 4 clamp
	v_lshlrev_b32_e32 v7, v5, v3
	v_lshlrev_b32_e32 v5, 23, v5
	v_lshrrev_b32_e32 v7, 4, v7
	v_add_u32_e32 v6, 0x1000000, v3
	v_sub_u32_e32 v5, v7, v5
	v_ashrrev_i32_e32 v6, 8, v6
	v_add_u32_e32 v5, 0x3c000000, v5
	v_and_or_b32 v5, v6, s0, v5
	v_cmp_ne_u32_e32 vcc, 0, v3
	v_cndmask_b32_e32 v3, 0, v5, vcc
	s_brev_b32 s0, 1
	v_and_or_b32 v2, v2, s0, v3
	v_cvt_i32_f32_e32 v2, v2
.LBB22_197:
	s_mov_b64 s[0:1], 0
.LBB22_198:
	s_andn2_b64 vcc, exec, s[0:1]
	s_cbranch_vccnz .LBB22_200
; %bb.199:
	global_load_ubyte v2, v[0:1], off
	s_movk_i32 s0, 0x7f00
	s_brev_b32 s1, 16
	s_waitcnt vmcnt(0)
	v_lshlrev_b16_e32 v3, 8, v2
	v_lshlrev_b32_e32 v2, 25, v2
	v_lshrrev_b32_e32 v5, 4, v2
	v_and_or_b32 v6, v3, s0, 0.5
	v_or_b32_e32 v5, 0x70000000, v5
	v_add_f32_e32 v6, -0.5, v6
	v_mul_f32_e32 v5, 0x7800000, v5
	v_cmp_gt_u32_e32 vcc, s1, v2
	v_bfe_i32 v3, v3, 0, 16
	v_cndmask_b32_e32 v2, v5, v6, vcc
	s_brev_b32 s0, 1
	v_and_or_b32 v2, v3, s0, v2
	v_cvt_i32_f32_e32 v2, v2
.LBB22_200:
	s_mov_b64 s[16:17], 0
	s_mov_b64 s[0:1], -1
.LBB22_201:
	s_andn2_b64 vcc, exec, s[16:17]
	s_cbranch_vccnz .LBB22_214
; %bb.202:
	s_cmp_gt_i32 s22, 14
	s_cbranch_scc0 .LBB22_205
; %bb.203:
	s_cmp_eq_u32 s22, 15
	s_cbranch_scc0 .LBB22_208
; %bb.204:
	global_load_ushort v2, v[0:1], off
	s_mov_b64 s[0:1], -1
	s_mov_b64 s[18:19], 0
	s_waitcnt vmcnt(0)
	v_lshlrev_b32_e32 v2, 16, v2
	v_cvt_i32_f32_e32 v2, v2
	s_branch .LBB22_209
.LBB22_205:
	s_mov_b64 s[16:17], -1
                                        ; implicit-def: $vgpr2
	s_branch .LBB22_210
.LBB22_206:
	s_andn2_saveexec_b64 s[0:1], s[0:1]
	s_cbranch_execz .LBB22_187
.LBB22_207:
	v_cmp_ne_u16_e32 vcc, 0, v3
	s_andn2_b64 s[16:17], s[16:17], exec
	s_and_b64 s[26:27], vcc, exec
	s_or_b64 s[16:17], s[16:17], s[26:27]
	s_or_b64 exec, exec, s[0:1]
	v_mov_b32_e32 v2, 0
	s_and_saveexec_b64 s[0:1], s[16:17]
	s_cbranch_execnz .LBB22_188
	s_branch .LBB22_189
.LBB22_208:
	s_mov_b64 s[18:19], -1
                                        ; implicit-def: $vgpr2
.LBB22_209:
	s_mov_b64 s[16:17], 0
.LBB22_210:
	s_and_b64 vcc, exec, s[16:17]
	s_cbranch_vccz .LBB22_214
; %bb.211:
	s_cmp_eq_u32 s22, 11
	s_cbranch_scc0 .LBB22_213
; %bb.212:
	global_load_ubyte v2, v[0:1], off
	s_mov_b64 s[0:1], -1
	s_mov_b64 s[18:19], 0
	s_waitcnt vmcnt(0)
	v_cmp_ne_u16_e32 vcc, 0, v2
	v_cndmask_b32_e64 v2, 0, 1, vcc
	s_branch .LBB22_214
.LBB22_213:
	s_mov_b64 s[18:19], -1
                                        ; implicit-def: $vgpr2
.LBB22_214:
	s_branch .LBB22_10
.LBB22_215:
	s_cmp_lt_i32 s22, 5
	s_cbranch_scc1 .LBB22_220
; %bb.216:
	s_cmp_lt_i32 s22, 8
	s_cbranch_scc1 .LBB22_221
; %bb.217:
	;; [unrolled: 3-line block ×3, first 2 shown]
	s_cmp_gt_i32 s22, 9
	s_cbranch_scc0 .LBB22_223
; %bb.219:
	global_load_dwordx2 v[2:3], v[0:1], off
	s_mov_b64 s[0:1], 0
	s_waitcnt vmcnt(0)
	v_cvt_i32_f64_e32 v2, v[2:3]
	s_branch .LBB22_224
.LBB22_220:
                                        ; implicit-def: $vgpr2
	s_branch .LBB22_242
.LBB22_221:
	s_mov_b64 s[0:1], -1
                                        ; implicit-def: $vgpr2
	s_branch .LBB22_230
.LBB22_222:
	s_mov_b64 s[0:1], -1
                                        ; implicit-def: $vgpr2
	s_branch .LBB22_227
.LBB22_223:
	s_mov_b64 s[0:1], -1
                                        ; implicit-def: $vgpr2
.LBB22_224:
	s_andn2_b64 vcc, exec, s[0:1]
	s_cbranch_vccnz .LBB22_226
; %bb.225:
	global_load_dword v2, v[0:1], off
	s_waitcnt vmcnt(0)
	v_cvt_i32_f32_e32 v2, v2
.LBB22_226:
	s_mov_b64 s[0:1], 0
.LBB22_227:
	s_andn2_b64 vcc, exec, s[0:1]
	s_cbranch_vccnz .LBB22_229
; %bb.228:
	global_load_dword v2, v[0:1], off
	s_waitcnt vmcnt(0)
	v_cvt_i16_f16_e32 v2, v2
.LBB22_229:
	s_mov_b64 s[0:1], 0
.LBB22_230:
	s_andn2_b64 vcc, exec, s[0:1]
	s_cbranch_vccnz .LBB22_241
; %bb.231:
	s_cmp_lt_i32 s22, 6
	s_cbranch_scc1 .LBB22_234
; %bb.232:
	s_cmp_gt_i32 s22, 6
	s_cbranch_scc0 .LBB22_235
; %bb.233:
	global_load_dwordx2 v[2:3], v[0:1], off
	s_mov_b64 s[0:1], 0
	s_waitcnt vmcnt(0)
	v_cvt_i32_f64_e32 v2, v[2:3]
	s_branch .LBB22_236
.LBB22_234:
	s_mov_b64 s[0:1], -1
                                        ; implicit-def: $vgpr2
	s_branch .LBB22_239
.LBB22_235:
	s_mov_b64 s[0:1], -1
                                        ; implicit-def: $vgpr2
.LBB22_236:
	s_andn2_b64 vcc, exec, s[0:1]
	s_cbranch_vccnz .LBB22_238
; %bb.237:
	global_load_dword v2, v[0:1], off
	s_waitcnt vmcnt(0)
	v_cvt_i32_f32_e32 v2, v2
.LBB22_238:
	s_mov_b64 s[0:1], 0
.LBB22_239:
	s_andn2_b64 vcc, exec, s[0:1]
	s_cbranch_vccnz .LBB22_241
; %bb.240:
	global_load_ushort v2, v[0:1], off
	s_waitcnt vmcnt(0)
	v_cvt_i16_f16_e32 v2, v2
.LBB22_241:
	s_cbranch_execnz .LBB22_261
.LBB22_242:
	s_cmp_lt_i32 s22, 2
	s_cbranch_scc1 .LBB22_246
; %bb.243:
	s_cmp_lt_i32 s22, 3
	s_cbranch_scc1 .LBB22_247
; %bb.244:
	s_cmp_gt_i32 s22, 3
	s_cbranch_scc0 .LBB22_248
; %bb.245:
	global_load_dwordx2 v[2:3], v[0:1], off
	s_mov_b64 s[0:1], 0
	s_branch .LBB22_249
.LBB22_246:
	s_mov_b64 s[0:1], -1
                                        ; implicit-def: $vgpr2
	s_branch .LBB22_255
.LBB22_247:
	s_mov_b64 s[0:1], -1
                                        ; implicit-def: $vgpr2
	s_branch .LBB22_252
.LBB22_248:
	s_mov_b64 s[0:1], -1
                                        ; implicit-def: $vgpr2
.LBB22_249:
	s_andn2_b64 vcc, exec, s[0:1]
	s_cbranch_vccnz .LBB22_251
; %bb.250:
	global_load_dword v2, v[0:1], off
.LBB22_251:
	s_mov_b64 s[0:1], 0
.LBB22_252:
	s_andn2_b64 vcc, exec, s[0:1]
	s_cbranch_vccnz .LBB22_254
; %bb.253:
	global_load_ushort v2, v[0:1], off
.LBB22_254:
	s_mov_b64 s[0:1], 0
.LBB22_255:
	s_andn2_b64 vcc, exec, s[0:1]
	s_cbranch_vccnz .LBB22_261
; %bb.256:
	s_cmp_gt_i32 s22, 0
	s_cbranch_scc0 .LBB22_258
; %bb.257:
	global_load_ubyte v2, v[0:1], off
	s_mov_b64 s[0:1], 0
	s_branch .LBB22_259
.LBB22_258:
	s_mov_b64 s[0:1], -1
                                        ; implicit-def: $vgpr2
.LBB22_259:
	s_andn2_b64 vcc, exec, s[0:1]
	s_cbranch_vccnz .LBB22_261
; %bb.260:
	global_load_ubyte v2, v[0:1], off
.LBB22_261:
	s_branch .LBB22_11
.LBB22_262:
	s_mov_b64 s[0:1], 0
                                        ; implicit-def: $vgpr4
	s_mov_b64 s[22:23], 0
.LBB22_263:
	s_and_b64 s[16:17], s[0:1], exec
	s_and_b64 s[18:19], s[18:19], exec
	s_orn2_b64 s[22:23], s[22:23], exec
.LBB22_264:
	s_or_b64 exec, exec, s[20:21]
	s_mov_b64 s[26:27], 0
	s_mov_b64 s[0:1], 0
                                        ; implicit-def: $vgpr0_vgpr1
                                        ; implicit-def: $vgpr2
	s_and_saveexec_b64 s[20:21], s[22:23]
	s_cbranch_execz .LBB22_273
; %bb.265:
	v_cmp_gt_i32_e32 vcc, s33, v4
	s_mov_b64 s[0:1], -1
	s_mov_b64 s[22:23], s[18:19]
	s_mov_b64 s[24:25], s[16:17]
	s_and_saveexec_b64 s[26:27], vcc
	s_cbranch_execz .LBB22_537
; %bb.266:
	v_mul_lo_u32 v0, v4, s13
	v_mov_b32_e32 v1, s11
	s_and_b32 s28, 0xffff, s15
	s_cmp_lt_i32 s28, 11
	s_waitcnt vmcnt(0)
	v_ashrrev_i32_e32 v2, 31, v0
	v_add_co_u32_e32 v0, vcc, s10, v0
	v_addc_co_u32_e32 v1, vcc, v1, v2, vcc
	s_cbranch_scc1 .LBB22_276
; %bb.267:
	s_cmp_gt_i32 s28, 25
	s_cbranch_scc0 .LBB22_282
; %bb.268:
	s_cmp_gt_i32 s28, 28
	s_cbranch_scc0 .LBB22_286
	;; [unrolled: 3-line block ×4, first 2 shown]
; %bb.271:
	s_cmp_eq_u32 s28, 46
	s_mov_b64 s[24:25], 0
	s_cbranch_scc0 .LBB22_313
; %bb.272:
	global_load_dword v2, v[0:1], off
	s_mov_b64 s[22:23], 0
	s_waitcnt vmcnt(0)
	v_lshlrev_b32_e32 v2, 16, v2
	v_cvt_i32_f32_e32 v2, v2
	s_branch .LBB22_314
.LBB22_273:
	s_or_b64 exec, exec, s[20:21]
	s_mov_b64 s[20:21], 0
	s_and_saveexec_b64 s[22:23], s[18:19]
	s_cbranch_execnz .LBB22_892
.LBB22_274:
	s_or_b64 exec, exec, s[22:23]
	s_and_saveexec_b64 s[18:19], s[24:25]
	s_xor_b64 s[18:19], exec, s[18:19]
	s_cbranch_execz .LBB22_893
.LBB22_275:
	global_load_ubyte v2, v[0:1], off
	s_or_b64 s[0:1], s[0:1], exec
	s_waitcnt vmcnt(0)
	v_cmp_ne_u16_e32 vcc, 0, v2
	v_cndmask_b32_e64 v2, 0, 1, vcc
	s_or_b64 exec, exec, s[18:19]
	s_and_saveexec_b64 s[18:19], s[26:27]
	s_cbranch_execz .LBB22_939
	s_branch .LBB22_894
.LBB22_276:
	s_mov_b64 s[0:1], 0
                                        ; implicit-def: $vgpr2
	s_mov_b64 s[22:23], s[18:19]
	s_cbranch_execnz .LBB22_487
.LBB22_277:
	s_andn2_b64 vcc, exec, s[0:1]
	s_cbranch_vccnz .LBB22_535
.LBB22_278:
	s_cmp_lt_i32 s14, 1
	s_mov_b64 s[0:1], 0
	s_cbranch_scc1 .LBB22_283
; %bb.279:
	s_cmp_gt_i32 s14, 1
	s_cbranch_scc0 .LBB22_287
; %bb.280:
	s_cmp_eq_u32 s14, 2
	s_cbranch_scc0 .LBB22_289
; %bb.281:
	s_waitcnt vmcnt(0)
	v_cmp_le_i16_sdwa s[24:25], sext(v2), s2 src0_sel:BYTE_0 src1_sel:DWORD
	s_mov_b64 s[28:29], 0
	s_branch .LBB22_290
.LBB22_282:
	s_mov_b64 s[24:25], -1
	s_mov_b64 s[0:1], 0
	s_mov_b64 s[22:23], s[18:19]
                                        ; implicit-def: $vgpr2
	s_branch .LBB22_453
.LBB22_283:
                                        ; implicit-def: $sgpr24_sgpr25
	s_mov_b64 s[28:29], 0
	s_cbranch_execnz .LBB22_294
.LBB22_284:
	s_andn2_b64 vcc, exec, s[28:29]
	s_cbranch_vccnz .LBB22_295
.LBB22_285:
	s_waitcnt vmcnt(0)
	v_cmp_lt_i16_sdwa s[28:29], sext(v2), s2 src0_sel:BYTE_0 src1_sel:DWORD
	s_andn2_b64 s[24:25], s[24:25], exec
	s_and_b64 s[28:29], s[28:29], exec
	s_or_b64 s[24:25], s[24:25], s[28:29]
	s_cbranch_execz .LBB22_296
	s_branch .LBB22_297
.LBB22_286:
	s_mov_b64 s[24:25], -1
	s_mov_b64 s[0:1], 0
	s_mov_b64 s[22:23], s[18:19]
                                        ; implicit-def: $vgpr2
	s_branch .LBB22_436
.LBB22_287:
	s_mov_b64 s[30:31], -1
	s_mov_b64 s[28:29], 0
                                        ; implicit-def: $sgpr24_sgpr25
	s_branch .LBB22_291
.LBB22_288:
	s_mov_b64 s[24:25], -1
	s_mov_b64 s[0:1], 0
	s_mov_b64 s[22:23], s[18:19]
                                        ; implicit-def: $vgpr2
	s_branch .LBB22_431
.LBB22_289:
	s_mov_b64 s[28:29], -1
                                        ; implicit-def: $sgpr24_sgpr25
.LBB22_290:
	s_mov_b64 s[30:31], 0
.LBB22_291:
	s_and_b64 vcc, exec, s[30:31]
	s_cbranch_vccz .LBB22_293
; %bb.292:
	s_waitcnt vmcnt(0)
	v_cmp_gt_i16_sdwa s[30:31], sext(v2), s2 src0_sel:BYTE_0 src1_sel:DWORD
	s_andn2_b64 s[24:25], s[24:25], exec
	s_and_b64 s[30:31], s[30:31], exec
	s_or_b64 s[24:25], s[24:25], s[30:31]
.LBB22_293:
	s_branch .LBB22_284
.LBB22_294:
	s_cmp_lg_u32 s14, 0
	s_mov_b64 s[0:1], -1
	s_cselect_b64 s[28:29], -1, 0
	s_andn2_b64 vcc, exec, s[28:29]
	s_cbranch_vccz .LBB22_285
.LBB22_295:
	s_andn2_b64 vcc, exec, s[0:1]
	s_cbranch_vccnz .LBB22_297
.LBB22_296:
	s_waitcnt vmcnt(0)
	v_cmp_ge_i16_sdwa s[0:1], sext(v2), s2 src0_sel:BYTE_0 src1_sel:DWORD
	s_andn2_b64 s[24:25], s[24:25], exec
	s_and_b64 s[0:1], s[0:1], exec
	s_or_b64 s[24:25], s[24:25], s[0:1]
.LBB22_297:
	v_mul_lo_u32 v0, v4, s12
	v_mov_b32_e32 v1, s9
	s_and_b32 s36, s3, 0xff
	s_cmp_lt_i32 s36, 11
	s_waitcnt vmcnt(0)
	v_ashrrev_i32_e32 v2, 31, v0
	v_add_co_u32_e32 v0, vcc, s8, v0
	v_addc_co_u32_e32 v1, vcc, v1, v2, vcc
	s_cbranch_scc1 .LBB22_304
; %bb.298:
	s_and_b32 s37, 0xffff, s36
	s_cmp_gt_i32 s37, 25
	s_cbranch_scc0 .LBB22_305
; %bb.299:
	s_cmp_gt_i32 s37, 28
	s_cbranch_scc0 .LBB22_306
; %bb.300:
	;; [unrolled: 3-line block ×4, first 2 shown]
	s_mov_b64 s[30:31], 0
	s_mov_b64 s[0:1], -1
	s_cmp_eq_u32 s37, 46
	s_mov_b64 s[28:29], 0
	s_cbranch_scc0 .LBB22_318
; %bb.303:
	v_cndmask_b32_e64 v2, 0, 1.0, s[24:25]
	v_bfe_u32 v3, v2, 16, 1
	s_movk_i32 s0, 0x7fff
	v_add3_u32 v2, v2, v3, s0
	v_lshrrev_b32_e32 v2, 16, v2
	global_store_dword v[0:1], v2, off
	s_mov_b64 s[28:29], -1
	s_mov_b64 s[0:1], 0
	s_branch .LBB22_318
.LBB22_304:
	s_mov_b64 s[30:31], -1
	s_mov_b64 s[28:29], 0
	s_mov_b64 s[0:1], s[16:17]
	s_branch .LBB22_387
.LBB22_305:
	s_mov_b64 s[30:31], -1
	s_mov_b64 s[28:29], 0
	s_mov_b64 s[0:1], s[16:17]
	s_branch .LBB22_345
.LBB22_306:
	s_mov_b64 s[30:31], -1
	s_mov_b64 s[28:29], 0
	s_mov_b64 s[0:1], s[16:17]
	s_branch .LBB22_328
.LBB22_307:
	s_andn2_saveexec_b64 s[28:29], s[28:29]
	s_cbranch_execz .LBB22_71
.LBB22_308:
	v_add_f32_e32 v2, 0x46000000, v3
	v_and_b32_e32 v2, 0xff, v2
	v_cmp_ne_u32_e32 vcc, 0, v2
	s_andn2_b64 s[26:27], s[26:27], exec
	s_and_b64 s[34:35], vcc, exec
	s_or_b64 s[26:27], s[26:27], s[34:35]
	s_or_b64 exec, exec, s[28:29]
	v_mov_b32_e32 v5, 0
	s_and_saveexec_b64 s[28:29], s[26:27]
	s_cbranch_execnz .LBB22_72
	s_branch .LBB22_73
.LBB22_309:
	s_mov_b64 s[24:25], -1
	s_mov_b64 s[0:1], 0
	s_mov_b64 s[22:23], s[18:19]
                                        ; implicit-def: $vgpr2
	s_branch .LBB22_314
.LBB22_310:
	s_mov_b64 s[30:31], -1
	s_mov_b64 s[28:29], 0
	s_mov_b64 s[0:1], s[16:17]
	s_branch .LBB22_324
.LBB22_311:
	s_andn2_saveexec_b64 s[28:29], s[28:29]
	s_cbranch_execz .LBB22_84
.LBB22_312:
	v_add_f32_e32 v2, 0x42800000, v3
	v_and_b32_e32 v2, 0xff, v2
	v_cmp_ne_u32_e32 vcc, 0, v2
	s_andn2_b64 s[26:27], s[26:27], exec
	s_and_b64 s[34:35], vcc, exec
	s_or_b64 s[26:27], s[26:27], s[34:35]
	s_or_b64 exec, exec, s[28:29]
	v_mov_b32_e32 v5, 0
	s_and_saveexec_b64 s[28:29], s[26:27]
	s_cbranch_execnz .LBB22_85
	s_branch .LBB22_86
.LBB22_313:
	s_mov_b64 s[22:23], -1
                                        ; implicit-def: $vgpr2
	s_mov_b64 s[0:1], 0
.LBB22_314:
	s_and_b64 vcc, exec, s[24:25]
	s_cbranch_vccz .LBB22_430
; %bb.315:
	s_cmp_eq_u32 s28, 44
	s_cbranch_scc0 .LBB22_429
; %bb.316:
	global_load_ubyte v2, v[0:1], off
	s_mov_b64 s[0:1], -1
	s_mov_b64 s[22:23], 0
	s_waitcnt vmcnt(0)
	v_lshlrev_b32_e32 v3, 23, v2
	v_cvt_i32_f32_e32 v3, v3
	v_cmp_ne_u32_e32 vcc, 0, v2
	v_cndmask_b32_e32 v2, 0, v3, vcc
	s_branch .LBB22_430
.LBB22_317:
	s_mov_b64 s[30:31], -1
	s_mov_b64 s[28:29], 0
	s_mov_b64 s[0:1], s[16:17]
.LBB22_318:
	s_and_b64 vcc, exec, s[30:31]
	s_cbranch_vccz .LBB22_323
; %bb.319:
	s_cmp_eq_u32 s37, 44
	s_mov_b64 s[0:1], -1
	s_cbranch_scc0 .LBB22_323
; %bb.320:
	v_cndmask_b32_e64 v3, 0, 1.0, s[24:25]
	v_lshrrev_b32_e32 v2, 23, v3
	s_movk_i32 s0, 0xff
	v_cmp_ne_u32_e32 vcc, s0, v2
	v_mov_b32_e32 v5, 0xff
	s_and_saveexec_b64 s[28:29], vcc
; %bb.321:
	s_mov_b32 s0, 0x3fffff
	v_and_b32_e32 v5, 0x400000, v3
	v_and_or_b32 v3, v3, s0, v2
	v_cmp_ne_u32_e32 vcc, 0, v5
	v_cmp_ne_u32_e64 s[0:1], 0, v3
	s_and_b64 s[0:1], vcc, s[0:1]
	v_cndmask_b32_e64 v3, 0, 1, s[0:1]
	v_add_u32_e32 v5, v2, v3
; %bb.322:
	s_or_b64 exec, exec, s[28:29]
	s_mov_b64 s[28:29], -1
	s_mov_b64 s[0:1], 0
	global_store_byte v[0:1], v5, off
.LBB22_323:
	s_mov_b64 s[30:31], 0
.LBB22_324:
	s_and_b64 vcc, exec, s[30:31]
	s_cbranch_vccz .LBB22_327
; %bb.325:
	s_cmp_eq_u32 s37, 29
	s_mov_b64 s[0:1], -1
	s_cbranch_scc0 .LBB22_327
; %bb.326:
	s_mov_b32 s0, 0
	v_cndmask_b32_e64 v2, 0, 1, s[24:25]
	v_mov_b32_e32 v3, s0
	global_store_dwordx2 v[0:1], v[2:3], off
	s_mov_b64 s[28:29], -1
	s_mov_b64 s[0:1], 0
.LBB22_327:
	s_mov_b64 s[30:31], 0
.LBB22_328:
	s_and_b64 vcc, exec, s[30:31]
	s_cbranch_vccz .LBB22_344
; %bb.329:
	s_cmp_lt_i32 s37, 27
	s_mov_b64 s[28:29], -1
	s_cbranch_scc1 .LBB22_335
; %bb.330:
	s_cmp_gt_i32 s37, 27
	s_cbranch_scc0 .LBB22_332
; %bb.331:
	v_cndmask_b32_e64 v2, 0, 1, s[24:25]
	s_mov_b64 s[28:29], 0
	global_store_dword v[0:1], v2, off
.LBB22_332:
	s_andn2_b64 vcc, exec, s[28:29]
	s_cbranch_vccnz .LBB22_334
; %bb.333:
	v_cndmask_b32_e64 v2, 0, 1, s[24:25]
	global_store_short v[0:1], v2, off
.LBB22_334:
	s_mov_b64 s[28:29], 0
.LBB22_335:
	s_andn2_b64 vcc, exec, s[28:29]
	s_cbranch_vccnz .LBB22_343
; %bb.336:
	v_cndmask_b32_e64 v3, 0, 1.0, s[24:25]
	s_mov_b32 s28, 0x43800000
	v_cmp_gt_u32_e32 vcc, s28, v3
	v_mov_b32_e32 v5, 0x80
	s_and_saveexec_b64 s[28:29], vcc
	s_cbranch_execz .LBB22_342
; %bb.337:
	s_mov_b32 s30, 0x3bffffff
	v_cmp_lt_u32_e32 vcc, s30, v3
	s_mov_b64 s[30:31], 0
                                        ; implicit-def: $vgpr2
	s_and_saveexec_b64 s[34:35], vcc
	s_xor_b64 s[34:35], exec, s[34:35]
	s_cbranch_execz .LBB22_550
; %bb.338:
	v_bfe_u32 v2, v3, 20, 1
	s_mov_b32 s38, 0x487ffff
	v_add3_u32 v2, v3, v2, s38
	s_mov_b64 s[30:31], exec
	v_lshrrev_b32_e32 v2, 20, v2
                                        ; implicit-def: $vgpr3
	s_andn2_saveexec_b64 s[34:35], s[34:35]
	s_cbranch_execnz .LBB22_551
.LBB22_339:
	s_or_b64 exec, exec, s[34:35]
	v_mov_b32_e32 v5, 0
	s_and_saveexec_b64 s[34:35], s[30:31]
.LBB22_340:
	v_mov_b32_e32 v5, v2
.LBB22_341:
	s_or_b64 exec, exec, s[34:35]
.LBB22_342:
	s_or_b64 exec, exec, s[28:29]
	global_store_byte v[0:1], v5, off
.LBB22_343:
	s_mov_b64 s[28:29], -1
.LBB22_344:
	s_mov_b64 s[30:31], 0
.LBB22_345:
	s_and_b64 vcc, exec, s[30:31]
	s_cbranch_vccz .LBB22_386
; %bb.346:
	s_cmp_gt_i32 s37, 22
	s_mov_b64 s[30:31], -1
	s_cbranch_scc0 .LBB22_378
; %bb.347:
	s_cmp_lt_i32 s37, 24
	s_mov_b64 s[28:29], -1
	s_cbranch_scc1 .LBB22_367
; %bb.348:
	s_cmp_gt_i32 s37, 24
	s_cbranch_scc0 .LBB22_356
; %bb.349:
	v_cndmask_b32_e64 v3, 0, 1.0, s[24:25]
	s_mov_b32 s28, 0x47800000
	v_cmp_gt_u32_e32 vcc, s28, v3
	v_mov_b32_e32 v5, 0x80
	s_and_saveexec_b64 s[28:29], vcc
	s_cbranch_execz .LBB22_355
; %bb.350:
	s_mov_b32 s30, 0x37ffffff
	v_cmp_lt_u32_e32 vcc, s30, v3
	s_mov_b64 s[30:31], 0
                                        ; implicit-def: $vgpr2
	s_and_saveexec_b64 s[34:35], vcc
	s_xor_b64 s[34:35], exec, s[34:35]
	s_cbranch_execz .LBB22_553
; %bb.351:
	v_bfe_u32 v2, v3, 21, 1
	s_mov_b32 s38, 0x88fffff
	v_add3_u32 v2, v3, v2, s38
	s_mov_b64 s[30:31], exec
	v_lshrrev_b32_e32 v2, 21, v2
                                        ; implicit-def: $vgpr3
	s_andn2_saveexec_b64 s[34:35], s[34:35]
	s_cbranch_execnz .LBB22_554
.LBB22_352:
	s_or_b64 exec, exec, s[34:35]
	v_mov_b32_e32 v5, 0
	s_and_saveexec_b64 s[34:35], s[30:31]
.LBB22_353:
	v_mov_b32_e32 v5, v2
.LBB22_354:
	s_or_b64 exec, exec, s[34:35]
.LBB22_355:
	s_or_b64 exec, exec, s[28:29]
	s_mov_b64 s[28:29], 0
	global_store_byte v[0:1], v5, off
.LBB22_356:
	s_and_b64 vcc, exec, s[28:29]
	s_cbranch_vccz .LBB22_366
; %bb.357:
	v_cndmask_b32_e64 v2, 0, 1.0, s[24:25]
	s_mov_b32 s28, 0x43f00000
	v_cmp_gt_u32_e32 vcc, s28, v2
                                        ; implicit-def: $vgpr3
	s_and_saveexec_b64 s[28:29], vcc
	s_xor_b64 s[28:29], exec, s[28:29]
	s_cbranch_execz .LBB22_363
; %bb.358:
	s_mov_b32 s30, 0x3c7fffff
	v_cmp_lt_u32_e32 vcc, s30, v2
                                        ; implicit-def: $vgpr3
	s_and_saveexec_b64 s[30:31], vcc
	s_xor_b64 s[30:31], exec, s[30:31]
; %bb.359:
	v_bfe_u32 v3, v2, 20, 1
	s_mov_b32 s34, 0x407ffff
	v_add3_u32 v2, v2, v3, s34
	v_lshrrev_b32_e32 v3, 20, v2
	v_and_b32_e32 v2, 0xff00000, v2
	s_mov_b32 s34, 0x7f00000
	v_mov_b32_e32 v5, 0x7e
	v_cmp_ne_u32_e32 vcc, s34, v2
	v_cndmask_b32_e32 v3, v5, v3, vcc
                                        ; implicit-def: $vgpr2
; %bb.360:
	s_andn2_saveexec_b64 s[30:31], s[30:31]
; %bb.361:
	v_add_f32_e32 v3, 0x46800000, v2
; %bb.362:
	s_or_b64 exec, exec, s[30:31]
                                        ; implicit-def: $vgpr2
.LBB22_363:
	s_andn2_saveexec_b64 s[28:29], s[28:29]
; %bb.364:
	s_mov_b32 s30, 0x7f800000
	v_mov_b32_e32 v3, 0x7e
	v_mov_b32_e32 v5, 0x7f
	v_cmp_lt_u32_e32 vcc, s30, v2
	v_cndmask_b32_e32 v3, v3, v5, vcc
; %bb.365:
	s_or_b64 exec, exec, s[28:29]
	global_store_byte v[0:1], v3, off
.LBB22_366:
	s_mov_b64 s[28:29], 0
.LBB22_367:
	s_andn2_b64 vcc, exec, s[28:29]
	s_cbranch_vccnz .LBB22_377
; %bb.368:
	v_cndmask_b32_e64 v2, 0, 1.0, s[24:25]
	s_mov_b32 s28, 0x47800000
	v_cmp_gt_u32_e32 vcc, s28, v2
                                        ; implicit-def: $vgpr3
	s_and_saveexec_b64 s[28:29], vcc
	s_xor_b64 s[28:29], exec, s[28:29]
	s_cbranch_execz .LBB22_374
; %bb.369:
	s_mov_b32 s30, 0x387fffff
	v_cmp_lt_u32_e32 vcc, s30, v2
                                        ; implicit-def: $vgpr3
	s_and_saveexec_b64 s[30:31], vcc
	s_xor_b64 s[30:31], exec, s[30:31]
; %bb.370:
	v_bfe_u32 v3, v2, 21, 1
	s_mov_b32 s34, 0x80fffff
	v_add3_u32 v2, v2, v3, s34
	v_lshrrev_b32_e32 v3, 21, v2
                                        ; implicit-def: $vgpr2
; %bb.371:
	s_andn2_saveexec_b64 s[30:31], s[30:31]
; %bb.372:
	v_add_f32_e32 v3, 0x43000000, v2
; %bb.373:
	s_or_b64 exec, exec, s[30:31]
                                        ; implicit-def: $vgpr2
.LBB22_374:
	s_andn2_saveexec_b64 s[28:29], s[28:29]
; %bb.375:
	s_mov_b32 s30, 0x7f800000
	v_mov_b32_e32 v3, 0x7c
	v_mov_b32_e32 v5, 0x7f
	v_cmp_lt_u32_e32 vcc, s30, v2
	v_cndmask_b32_e32 v3, v3, v5, vcc
; %bb.376:
	s_or_b64 exec, exec, s[28:29]
	global_store_byte v[0:1], v3, off
.LBB22_377:
	s_mov_b64 s[30:31], 0
	s_mov_b64 s[28:29], -1
.LBB22_378:
	s_andn2_b64 vcc, exec, s[30:31]
	s_cbranch_vccnz .LBB22_386
; %bb.379:
	s_cmp_gt_i32 s37, 14
	s_mov_b64 s[30:31], -1
	s_cbranch_scc0 .LBB22_383
; %bb.380:
	s_cmp_eq_u32 s37, 15
	s_mov_b64 s[0:1], -1
	s_cbranch_scc0 .LBB22_382
; %bb.381:
	v_cndmask_b32_e64 v2, 0, 1.0, s[24:25]
	v_bfe_u32 v3, v2, 16, 1
	s_movk_i32 s0, 0x7fff
	v_add3_u32 v2, v2, v3, s0
	global_store_short_d16_hi v[0:1], v2, off
	s_mov_b64 s[28:29], -1
	s_mov_b64 s[0:1], 0
.LBB22_382:
	s_mov_b64 s[30:31], 0
.LBB22_383:
	s_and_b64 vcc, exec, s[30:31]
	s_cbranch_vccz .LBB22_386
; %bb.384:
	s_cmp_eq_u32 s37, 11
	s_mov_b64 s[0:1], -1
	s_cbranch_scc0 .LBB22_386
; %bb.385:
	v_cndmask_b32_e64 v2, 0, 1, s[24:25]
	s_mov_b64 s[28:29], -1
	s_mov_b64 s[0:1], 0
	global_store_byte v[0:1], v2, off
.LBB22_386:
	s_mov_b64 s[30:31], 0
.LBB22_387:
	s_and_b64 vcc, exec, s[30:31]
	s_cbranch_vccz .LBB22_426
; %bb.388:
	s_and_b32 s30, 0xffff, s36
	s_cmp_lt_i32 s30, 5
	s_mov_b64 s[28:29], -1
	s_cbranch_scc1 .LBB22_409
; %bb.389:
	s_cmp_lt_i32 s30, 8
	s_cbranch_scc1 .LBB22_399
; %bb.390:
	s_cmp_lt_i32 s30, 9
	s_cbranch_scc1 .LBB22_396
; %bb.391:
	s_cmp_gt_i32 s30, 9
	s_cbranch_scc0 .LBB22_393
; %bb.392:
	v_cndmask_b32_e64 v2, 0, 1, s[24:25]
	v_cvt_f64_u32_e32 v[5:6], v2
	v_mov_b32_e32 v7, 0
	v_mov_b32_e32 v8, v7
	s_mov_b64 s[28:29], 0
	global_store_dwordx4 v[0:1], v[5:8], off
.LBB22_393:
	s_andn2_b64 vcc, exec, s[28:29]
	s_cbranch_vccnz .LBB22_395
; %bb.394:
	v_cndmask_b32_e64 v2, 0, 1.0, s[24:25]
	v_mov_b32_e32 v3, 0
	global_store_dwordx2 v[0:1], v[2:3], off
.LBB22_395:
	s_mov_b64 s[28:29], 0
.LBB22_396:
	s_andn2_b64 vcc, exec, s[28:29]
	s_cbranch_vccnz .LBB22_398
; %bb.397:
	v_cndmask_b32_e64 v2, 0, 1.0, s[24:25]
	v_cvt_f16_f32_e32 v2, v2
	global_store_dword v[0:1], v2, off
.LBB22_398:
	s_mov_b64 s[28:29], 0
.LBB22_399:
	s_andn2_b64 vcc, exec, s[28:29]
	s_cbranch_vccnz .LBB22_408
; %bb.400:
	s_cmp_lt_i32 s30, 6
	s_mov_b64 s[28:29], -1
	s_cbranch_scc1 .LBB22_406
; %bb.401:
	s_cmp_gt_i32 s30, 6
	s_cbranch_scc0 .LBB22_403
; %bb.402:
	v_cndmask_b32_e64 v2, 0, 1, s[24:25]
	v_cvt_f64_u32_e32 v[2:3], v2
	s_mov_b64 s[28:29], 0
	global_store_dwordx2 v[0:1], v[2:3], off
.LBB22_403:
	s_andn2_b64 vcc, exec, s[28:29]
	s_cbranch_vccnz .LBB22_405
; %bb.404:
	v_cndmask_b32_e64 v2, 0, 1.0, s[24:25]
	global_store_dword v[0:1], v2, off
.LBB22_405:
	s_mov_b64 s[28:29], 0
.LBB22_406:
	s_andn2_b64 vcc, exec, s[28:29]
	s_cbranch_vccnz .LBB22_408
; %bb.407:
	v_cndmask_b32_e64 v2, 0, 1.0, s[24:25]
	v_cvt_f16_f32_e32 v2, v2
	global_store_short v[0:1], v2, off
.LBB22_408:
	s_mov_b64 s[28:29], 0
.LBB22_409:
	s_andn2_b64 vcc, exec, s[28:29]
	s_cbranch_vccnz .LBB22_425
; %bb.410:
	s_cmp_lt_i32 s30, 2
	s_mov_b64 s[28:29], -1
	s_cbranch_scc1 .LBB22_420
; %bb.411:
	s_cmp_lt_i32 s30, 3
	s_cbranch_scc1 .LBB22_417
; %bb.412:
	s_cmp_gt_i32 s30, 3
	s_cbranch_scc0 .LBB22_414
; %bb.413:
	s_mov_b32 s28, 0
	v_cndmask_b32_e64 v2, 0, 1, s[24:25]
	v_mov_b32_e32 v3, s28
	s_mov_b64 s[28:29], 0
	global_store_dwordx2 v[0:1], v[2:3], off
.LBB22_414:
	s_andn2_b64 vcc, exec, s[28:29]
	s_cbranch_vccnz .LBB22_416
; %bb.415:
	v_cndmask_b32_e64 v2, 0, 1, s[24:25]
	global_store_dword v[0:1], v2, off
.LBB22_416:
	s_mov_b64 s[28:29], 0
.LBB22_417:
	s_andn2_b64 vcc, exec, s[28:29]
	s_cbranch_vccnz .LBB22_419
; %bb.418:
	v_cndmask_b32_e64 v2, 0, 1, s[24:25]
	global_store_short v[0:1], v2, off
.LBB22_419:
	s_mov_b64 s[28:29], 0
.LBB22_420:
	s_andn2_b64 vcc, exec, s[28:29]
	s_cbranch_vccnz .LBB22_425
; %bb.421:
	s_mov_b64 s[28:29], -1
	s_cmp_gt_i32 s30, 0
	v_cndmask_b32_e64 v2, 0, 1, s[24:25]
	s_cbranch_scc0 .LBB22_423
; %bb.422:
	s_mov_b64 s[28:29], 0
	global_store_byte v[0:1], v2, off
.LBB22_423:
	s_andn2_b64 vcc, exec, s[28:29]
	s_cbranch_vccnz .LBB22_425
; %bb.424:
	global_store_byte v[0:1], v2, off
.LBB22_425:
	s_mov_b64 s[28:29], -1
.LBB22_426:
	s_andn2_b64 vcc, exec, s[28:29]
	s_cbranch_vccnz .LBB22_428
; %bb.427:
	v_add_u32_e32 v4, 0x80, v4
	s_mov_b64 s[28:29], -1
	s_branch .LBB22_536
.LBB22_428:
	s_mov_b64 s[28:29], 0
                                        ; implicit-def: $vgpr4
	s_branch .LBB22_536
.LBB22_429:
	s_mov_b64 s[22:23], -1
                                        ; implicit-def: $vgpr2
.LBB22_430:
	s_mov_b64 s[24:25], 0
.LBB22_431:
	s_and_b64 vcc, exec, s[24:25]
	s_cbranch_vccz .LBB22_435
; %bb.432:
	s_cmp_eq_u32 s28, 29
	s_cbranch_scc0 .LBB22_434
; %bb.433:
	global_load_dwordx2 v[2:3], v[0:1], off
	s_mov_b64 s[0:1], -1
	s_mov_b64 s[22:23], 0
	s_branch .LBB22_435
.LBB22_434:
	s_mov_b64 s[22:23], -1
                                        ; implicit-def: $vgpr2
.LBB22_435:
	s_mov_b64 s[24:25], 0
.LBB22_436:
	s_and_b64 vcc, exec, s[24:25]
	s_cbranch_vccz .LBB22_452
; %bb.437:
	s_cmp_lt_i32 s28, 27
	s_cbranch_scc1 .LBB22_440
; %bb.438:
	s_cmp_gt_i32 s28, 27
	s_cbranch_scc0 .LBB22_441
; %bb.439:
	global_load_dword v2, v[0:1], off
	s_mov_b64 s[0:1], 0
	s_branch .LBB22_442
.LBB22_440:
	s_mov_b64 s[0:1], -1
                                        ; implicit-def: $vgpr2
	s_branch .LBB22_445
.LBB22_441:
	s_mov_b64 s[0:1], -1
                                        ; implicit-def: $vgpr2
.LBB22_442:
	s_andn2_b64 vcc, exec, s[0:1]
	s_cbranch_vccnz .LBB22_444
; %bb.443:
	global_load_ushort v2, v[0:1], off
.LBB22_444:
	s_mov_b64 s[0:1], 0
.LBB22_445:
	s_andn2_b64 vcc, exec, s[0:1]
	s_cbranch_vccnz .LBB22_451
; %bb.446:
	global_load_ubyte v3, v[0:1], off
	s_movk_i32 s0, 0x7f
	s_mov_b64 s[24:25], 0
	s_waitcnt vmcnt(0)
	v_cmp_lt_i16_e32 vcc, s0, v3
	s_and_saveexec_b64 s[0:1], vcc
	s_xor_b64 s[0:1], exec, s[0:1]
	s_cbranch_execz .LBB22_463
; %bb.447:
	s_movk_i32 s24, 0x80
	v_cmp_ne_u16_e32 vcc, s24, v3
	s_and_b64 s[24:25], vcc, exec
	s_andn2_saveexec_b64 s[0:1], s[0:1]
	s_cbranch_execnz .LBB22_464
.LBB22_448:
	s_or_b64 exec, exec, s[0:1]
	v_mov_b32_e32 v2, 0
	s_and_saveexec_b64 s[0:1], s[24:25]
	s_cbranch_execz .LBB22_450
.LBB22_449:
	v_lshlrev_b32_e32 v2, 24, v3
	v_and_b32_e32 v3, 0xffff, v3
	v_and_b32_e32 v5, 7, v3
	v_ffbh_u32_e32 v7, v5
	v_min_u32_e32 v7, 32, v7
	v_subrev_u32_e32 v8, 28, v7
	v_bfe_u32 v6, v3, 3, 4
	v_lshlrev_b32_e32 v3, v8, v3
	v_sub_u32_e32 v7, 29, v7
	v_and_b32_e32 v3, 7, v3
	v_cmp_eq_u32_e32 vcc, 0, v6
	v_cndmask_b32_e32 v6, v6, v7, vcc
	v_cndmask_b32_e32 v3, v5, v3, vcc
	v_mov_b32_e32 v5, 0x3b800000
	v_lshlrev_b32_e32 v3, 20, v3
	v_and_b32_e32 v2, 0x80000000, v2
	v_lshl_add_u32 v5, v6, 23, v5
	v_or3_b32 v2, v2, v5, v3
	v_cvt_i32_f32_e32 v2, v2
.LBB22_450:
	s_or_b64 exec, exec, s[0:1]
.LBB22_451:
	s_mov_b64 s[0:1], -1
.LBB22_452:
	s_mov_b64 s[24:25], 0
.LBB22_453:
	s_and_b64 vcc, exec, s[24:25]
	s_cbranch_vccz .LBB22_486
; %bb.454:
	s_cmp_gt_i32 s28, 22
	s_cbranch_scc0 .LBB22_462
; %bb.455:
	s_cmp_lt_i32 s28, 24
	s_cbranch_scc1 .LBB22_465
; %bb.456:
	s_cmp_gt_i32 s28, 24
	s_cbranch_scc0 .LBB22_466
; %bb.457:
	global_load_ubyte v3, v[0:1], off
	s_movk_i32 s0, 0x7f
	s_mov_b64 s[24:25], 0
	s_waitcnt vmcnt(0)
	v_cmp_lt_i16_e32 vcc, s0, v3
	s_and_saveexec_b64 s[0:1], vcc
	s_xor_b64 s[0:1], exec, s[0:1]
	s_cbranch_execz .LBB22_478
; %bb.458:
	s_movk_i32 s24, 0x80
	v_cmp_ne_u16_e32 vcc, s24, v3
	s_and_b64 s[24:25], vcc, exec
	s_andn2_saveexec_b64 s[0:1], s[0:1]
	s_cbranch_execnz .LBB22_479
.LBB22_459:
	s_or_b64 exec, exec, s[0:1]
	v_mov_b32_e32 v2, 0
	s_and_saveexec_b64 s[0:1], s[24:25]
	s_cbranch_execz .LBB22_461
.LBB22_460:
	v_lshlrev_b32_e32 v2, 24, v3
	v_and_b32_e32 v3, 0xffff, v3
	v_and_b32_e32 v5, 3, v3
	v_ffbh_u32_e32 v7, v5
	v_min_u32_e32 v7, 32, v7
	v_subrev_u32_e32 v8, 29, v7
	v_bfe_u32 v6, v3, 2, 5
	v_lshlrev_b32_e32 v3, v8, v3
	v_sub_u32_e32 v7, 30, v7
	v_and_b32_e32 v3, 3, v3
	v_cmp_eq_u32_e32 vcc, 0, v6
	v_cndmask_b32_e32 v6, v6, v7, vcc
	v_cndmask_b32_e32 v3, v5, v3, vcc
	v_mov_b32_e32 v5, 0x37800000
	v_lshlrev_b32_e32 v3, 21, v3
	v_and_b32_e32 v2, 0x80000000, v2
	v_lshl_add_u32 v5, v6, 23, v5
	v_or3_b32 v2, v2, v5, v3
	v_cvt_i32_f32_e32 v2, v2
.LBB22_461:
	s_or_b64 exec, exec, s[0:1]
	s_mov_b64 s[0:1], 0
	s_branch .LBB22_467
.LBB22_462:
	s_mov_b64 s[24:25], -1
                                        ; implicit-def: $vgpr2
	s_branch .LBB22_473
.LBB22_463:
	s_andn2_saveexec_b64 s[0:1], s[0:1]
	s_cbranch_execz .LBB22_448
.LBB22_464:
	v_cmp_ne_u16_e32 vcc, 0, v3
	s_andn2_b64 s[24:25], s[24:25], exec
	s_and_b64 s[30:31], vcc, exec
	s_or_b64 s[24:25], s[24:25], s[30:31]
	s_or_b64 exec, exec, s[0:1]
	v_mov_b32_e32 v2, 0
	s_and_saveexec_b64 s[0:1], s[24:25]
	s_cbranch_execnz .LBB22_449
	s_branch .LBB22_450
.LBB22_465:
	s_mov_b64 s[0:1], -1
                                        ; implicit-def: $vgpr2
	s_branch .LBB22_470
.LBB22_466:
	s_mov_b64 s[0:1], -1
                                        ; implicit-def: $vgpr2
.LBB22_467:
	s_and_b64 vcc, exec, s[0:1]
	s_cbranch_vccz .LBB22_469
; %bb.468:
	global_load_ubyte v2, v[0:1], off
	s_mov_b32 s0, 0x7f800000
	s_waitcnt vmcnt(0)
	v_lshlrev_b32_e32 v2, 24, v2
	v_and_b32_e32 v3, 0x7f000000, v2
	v_ffbh_u32_e32 v5, v3
	v_min_u32_e32 v5, 32, v5
	v_sub_u32_e64 v5, v5, 4 clamp
	v_lshlrev_b32_e32 v7, v5, v3
	v_lshlrev_b32_e32 v5, 23, v5
	v_lshrrev_b32_e32 v7, 4, v7
	v_add_u32_e32 v6, 0x1000000, v3
	v_sub_u32_e32 v5, v7, v5
	v_ashrrev_i32_e32 v6, 8, v6
	v_add_u32_e32 v5, 0x3c000000, v5
	v_and_or_b32 v5, v6, s0, v5
	v_cmp_ne_u32_e32 vcc, 0, v3
	v_cndmask_b32_e32 v3, 0, v5, vcc
	s_brev_b32 s0, 1
	v_and_or_b32 v2, v2, s0, v3
	v_cvt_i32_f32_e32 v2, v2
.LBB22_469:
	s_mov_b64 s[0:1], 0
.LBB22_470:
	s_andn2_b64 vcc, exec, s[0:1]
	s_cbranch_vccnz .LBB22_472
; %bb.471:
	global_load_ubyte v2, v[0:1], off
	s_movk_i32 s0, 0x7f00
	s_brev_b32 s1, 16
	s_waitcnt vmcnt(0)
	v_lshlrev_b16_e32 v3, 8, v2
	v_lshlrev_b32_e32 v2, 25, v2
	v_lshrrev_b32_e32 v5, 4, v2
	v_and_or_b32 v6, v3, s0, 0.5
	v_or_b32_e32 v5, 0x70000000, v5
	v_add_f32_e32 v6, -0.5, v6
	v_mul_f32_e32 v5, 0x7800000, v5
	v_cmp_gt_u32_e32 vcc, s1, v2
	v_bfe_i32 v3, v3, 0, 16
	v_cndmask_b32_e32 v2, v5, v6, vcc
	s_brev_b32 s0, 1
	v_and_or_b32 v2, v3, s0, v2
	v_cvt_i32_f32_e32 v2, v2
.LBB22_472:
	s_mov_b64 s[24:25], 0
	s_mov_b64 s[0:1], -1
.LBB22_473:
	s_andn2_b64 vcc, exec, s[24:25]
	s_cbranch_vccnz .LBB22_486
; %bb.474:
	s_cmp_gt_i32 s28, 14
	s_cbranch_scc0 .LBB22_477
; %bb.475:
	s_cmp_eq_u32 s28, 15
	s_cbranch_scc0 .LBB22_480
; %bb.476:
	global_load_ushort v2, v[0:1], off
	s_mov_b64 s[0:1], -1
	s_mov_b64 s[22:23], 0
	s_waitcnt vmcnt(0)
	v_lshlrev_b32_e32 v2, 16, v2
	v_cvt_i32_f32_e32 v2, v2
	s_branch .LBB22_481
.LBB22_477:
	s_mov_b64 s[24:25], -1
                                        ; implicit-def: $vgpr2
	s_branch .LBB22_482
.LBB22_478:
	s_andn2_saveexec_b64 s[0:1], s[0:1]
	s_cbranch_execz .LBB22_459
.LBB22_479:
	v_cmp_ne_u16_e32 vcc, 0, v3
	s_andn2_b64 s[24:25], s[24:25], exec
	s_and_b64 s[30:31], vcc, exec
	s_or_b64 s[24:25], s[24:25], s[30:31]
	s_or_b64 exec, exec, s[0:1]
	v_mov_b32_e32 v2, 0
	s_and_saveexec_b64 s[0:1], s[24:25]
	s_cbranch_execnz .LBB22_460
	s_branch .LBB22_461
.LBB22_480:
	s_mov_b64 s[22:23], -1
                                        ; implicit-def: $vgpr2
.LBB22_481:
	s_mov_b64 s[24:25], 0
.LBB22_482:
	s_and_b64 vcc, exec, s[24:25]
	s_cbranch_vccz .LBB22_486
; %bb.483:
	s_cmp_eq_u32 s28, 11
	s_cbranch_scc0 .LBB22_485
; %bb.484:
	global_load_ubyte v2, v[0:1], off
	s_mov_b64 s[0:1], -1
	s_mov_b64 s[22:23], 0
	s_waitcnt vmcnt(0)
	v_cmp_ne_u16_e32 vcc, 0, v2
	v_cndmask_b32_e64 v2, 0, 1, vcc
	s_branch .LBB22_486
.LBB22_485:
	s_mov_b64 s[22:23], -1
                                        ; implicit-def: $vgpr2
.LBB22_486:
	s_branch .LBB22_277
.LBB22_487:
	s_cmp_lt_i32 s28, 5
	s_cbranch_scc1 .LBB22_492
; %bb.488:
	s_cmp_lt_i32 s28, 8
	s_cbranch_scc1 .LBB22_493
; %bb.489:
	;; [unrolled: 3-line block ×3, first 2 shown]
	s_cmp_gt_i32 s28, 9
	s_cbranch_scc0 .LBB22_495
; %bb.491:
	global_load_dwordx2 v[2:3], v[0:1], off
	s_mov_b64 s[0:1], 0
	s_waitcnt vmcnt(0)
	v_cvt_i32_f64_e32 v2, v[2:3]
	s_branch .LBB22_496
.LBB22_492:
	s_mov_b64 s[0:1], -1
                                        ; implicit-def: $vgpr2
	s_branch .LBB22_514
.LBB22_493:
	s_mov_b64 s[0:1], -1
                                        ; implicit-def: $vgpr2
	s_branch .LBB22_502
.LBB22_494:
	s_mov_b64 s[0:1], -1
                                        ; implicit-def: $vgpr2
	s_branch .LBB22_499
.LBB22_495:
	s_mov_b64 s[0:1], -1
                                        ; implicit-def: $vgpr2
.LBB22_496:
	s_andn2_b64 vcc, exec, s[0:1]
	s_cbranch_vccnz .LBB22_498
; %bb.497:
	global_load_dword v2, v[0:1], off
	s_waitcnt vmcnt(0)
	v_cvt_i32_f32_e32 v2, v2
.LBB22_498:
	s_mov_b64 s[0:1], 0
.LBB22_499:
	s_andn2_b64 vcc, exec, s[0:1]
	s_cbranch_vccnz .LBB22_501
; %bb.500:
	global_load_dword v2, v[0:1], off
	s_waitcnt vmcnt(0)
	v_cvt_i16_f16_e32 v2, v2
.LBB22_501:
	s_mov_b64 s[0:1], 0
.LBB22_502:
	s_andn2_b64 vcc, exec, s[0:1]
	s_cbranch_vccnz .LBB22_513
; %bb.503:
	s_cmp_lt_i32 s28, 6
	s_cbranch_scc1 .LBB22_506
; %bb.504:
	s_cmp_gt_i32 s28, 6
	s_cbranch_scc0 .LBB22_507
; %bb.505:
	global_load_dwordx2 v[2:3], v[0:1], off
	s_mov_b64 s[0:1], 0
	s_waitcnt vmcnt(0)
	v_cvt_i32_f64_e32 v2, v[2:3]
	s_branch .LBB22_508
.LBB22_506:
	s_mov_b64 s[0:1], -1
                                        ; implicit-def: $vgpr2
	s_branch .LBB22_511
.LBB22_507:
	s_mov_b64 s[0:1], -1
                                        ; implicit-def: $vgpr2
.LBB22_508:
	s_andn2_b64 vcc, exec, s[0:1]
	s_cbranch_vccnz .LBB22_510
; %bb.509:
	global_load_dword v2, v[0:1], off
	s_waitcnt vmcnt(0)
	v_cvt_i32_f32_e32 v2, v2
.LBB22_510:
	s_mov_b64 s[0:1], 0
.LBB22_511:
	s_andn2_b64 vcc, exec, s[0:1]
	s_cbranch_vccnz .LBB22_513
; %bb.512:
	global_load_ushort v2, v[0:1], off
	s_waitcnt vmcnt(0)
	v_cvt_i16_f16_e32 v2, v2
.LBB22_513:
	s_mov_b64 s[0:1], 0
.LBB22_514:
	s_andn2_b64 vcc, exec, s[0:1]
	s_cbranch_vccnz .LBB22_534
; %bb.515:
	s_cmp_lt_i32 s28, 2
	s_cbranch_scc1 .LBB22_519
; %bb.516:
	s_cmp_lt_i32 s28, 3
	s_cbranch_scc1 .LBB22_520
; %bb.517:
	s_cmp_gt_i32 s28, 3
	s_cbranch_scc0 .LBB22_521
; %bb.518:
	global_load_dwordx2 v[2:3], v[0:1], off
	s_mov_b64 s[0:1], 0
	s_branch .LBB22_522
.LBB22_519:
	s_mov_b64 s[0:1], -1
                                        ; implicit-def: $vgpr2
	s_branch .LBB22_528
.LBB22_520:
	s_mov_b64 s[0:1], -1
                                        ; implicit-def: $vgpr2
	s_branch .LBB22_525
.LBB22_521:
	s_mov_b64 s[0:1], -1
                                        ; implicit-def: $vgpr2
.LBB22_522:
	s_andn2_b64 vcc, exec, s[0:1]
	s_cbranch_vccnz .LBB22_524
; %bb.523:
	global_load_dword v2, v[0:1], off
.LBB22_524:
	s_mov_b64 s[0:1], 0
.LBB22_525:
	s_andn2_b64 vcc, exec, s[0:1]
	s_cbranch_vccnz .LBB22_527
; %bb.526:
	global_load_ushort v2, v[0:1], off
.LBB22_527:
	s_mov_b64 s[0:1], 0
.LBB22_528:
	s_andn2_b64 vcc, exec, s[0:1]
	s_cbranch_vccnz .LBB22_534
; %bb.529:
	s_cmp_gt_i32 s28, 0
	s_cbranch_scc0 .LBB22_531
; %bb.530:
	global_load_ubyte v2, v[0:1], off
	s_mov_b64 s[0:1], 0
	s_branch .LBB22_532
.LBB22_531:
	s_mov_b64 s[0:1], -1
                                        ; implicit-def: $vgpr2
.LBB22_532:
	s_andn2_b64 vcc, exec, s[0:1]
	s_cbranch_vccnz .LBB22_534
; %bb.533:
	global_load_ubyte v2, v[0:1], off
.LBB22_534:
	s_branch .LBB22_278
.LBB22_535:
	s_mov_b64 s[28:29], 0
                                        ; implicit-def: $vgpr4
	s_mov_b64 s[0:1], s[16:17]
.LBB22_536:
	s_andn2_b64 s[24:25], s[16:17], exec
	s_and_b64 s[0:1], s[0:1], exec
	s_or_b64 s[24:25], s[24:25], s[0:1]
	s_andn2_b64 s[0:1], s[18:19], exec
	s_and_b64 s[22:23], s[22:23], exec
	s_or_b64 s[22:23], s[0:1], s[22:23]
	s_orn2_b64 s[0:1], s[28:29], exec
.LBB22_537:
	s_or_b64 exec, exec, s[26:27]
	s_mov_b64 s[28:29], 0
	s_mov_b64 s[30:31], 0
	;; [unrolled: 1-line block ×3, first 2 shown]
                                        ; implicit-def: $vgpr0_vgpr1
                                        ; implicit-def: $vgpr2
	s_and_saveexec_b64 s[26:27], s[0:1]
	s_cbranch_execz .LBB22_891
; %bb.538:
	v_cmp_gt_i32_e32 vcc, s33, v4
	s_mov_b64 s[38:39], -1
	s_mov_b64 s[0:1], s[22:23]
	s_mov_b64 s[34:35], s[24:25]
	s_and_saveexec_b64 s[28:29], vcc
	s_cbranch_execz .LBB22_809
; %bb.539:
	v_mul_lo_u32 v0, v4, s13
	v_mov_b32_e32 v1, s11
	s_and_b32 s36, 0xffff, s15
	s_cmp_lt_i32 s36, 11
	s_waitcnt vmcnt(0)
	v_ashrrev_i32_e32 v2, 31, v0
	v_add_co_u32_e32 v0, vcc, s10, v0
	v_addc_co_u32_e32 v1, vcc, v1, v2, vcc
	s_cbranch_scc1 .LBB22_546
; %bb.540:
	s_cmp_gt_i32 s36, 25
	s_cbranch_scc0 .LBB22_547
; %bb.541:
	s_cmp_gt_i32 s36, 28
	s_cbranch_scc0 .LBB22_548
	;; [unrolled: 3-line block ×4, first 2 shown]
; %bb.544:
	s_cmp_eq_u32 s36, 46
	s_mov_b64 s[34:35], 0
	s_cbranch_scc0 .LBB22_555
; %bb.545:
	global_load_dword v2, v[0:1], off
	s_mov_b64 s[0:1], -1
	s_waitcnt vmcnt(0)
	v_lshlrev_b32_e32 v2, 16, v2
	v_cvt_i32_f32_e32 v2, v2
	s_branch .LBB22_556
.LBB22_546:
	s_mov_b64 s[34:35], -1
	s_mov_b64 s[0:1], 0
                                        ; implicit-def: $vgpr2
	s_mov_b64 s[30:31], s[22:23]
	s_branch .LBB22_617
.LBB22_547:
	s_mov_b64 s[34:35], -1
	s_mov_b64 s[0:1], 0
	s_mov_b64 s[30:31], s[22:23]
                                        ; implicit-def: $vgpr2
	s_branch .LBB22_583
.LBB22_548:
	s_mov_b64 s[34:35], -1
	s_mov_b64 s[0:1], 0
	s_mov_b64 s[30:31], s[22:23]
                                        ; implicit-def: $vgpr2
	s_branch .LBB22_566
.LBB22_549:
	s_mov_b64 s[34:35], -1
	s_mov_b64 s[0:1], 0
	s_mov_b64 s[30:31], s[22:23]
                                        ; implicit-def: $vgpr2
	s_branch .LBB22_561
.LBB22_550:
	s_andn2_saveexec_b64 s[34:35], s[34:35]
	s_cbranch_execz .LBB22_339
.LBB22_551:
	v_add_f32_e32 v2, 0x46000000, v3
	v_and_b32_e32 v2, 0xff, v2
	v_cmp_ne_u32_e32 vcc, 0, v2
	s_andn2_b64 s[30:31], s[30:31], exec
	s_and_b64 s[38:39], vcc, exec
	s_or_b64 s[30:31], s[30:31], s[38:39]
	s_or_b64 exec, exec, s[34:35]
	v_mov_b32_e32 v5, 0
	s_and_saveexec_b64 s[34:35], s[30:31]
	s_cbranch_execnz .LBB22_340
	s_branch .LBB22_341
.LBB22_552:
	s_mov_b64 s[34:35], -1
	s_mov_b64 s[0:1], 0
	s_mov_b64 s[30:31], s[22:23]
                                        ; implicit-def: $vgpr2
	s_branch .LBB22_556
.LBB22_553:
	s_andn2_saveexec_b64 s[34:35], s[34:35]
	s_cbranch_execz .LBB22_352
.LBB22_554:
	v_add_f32_e32 v2, 0x42800000, v3
	v_and_b32_e32 v2, 0xff, v2
	v_cmp_ne_u32_e32 vcc, 0, v2
	s_andn2_b64 s[30:31], s[30:31], exec
	s_and_b64 s[38:39], vcc, exec
	s_or_b64 s[30:31], s[30:31], s[38:39]
	s_or_b64 exec, exec, s[34:35]
	v_mov_b32_e32 v5, 0
	s_and_saveexec_b64 s[34:35], s[30:31]
	s_cbranch_execnz .LBB22_353
	s_branch .LBB22_354
.LBB22_555:
	s_mov_b64 s[30:31], -1
                                        ; implicit-def: $vgpr2
	s_mov_b64 s[0:1], 0
.LBB22_556:
	s_and_b64 vcc, exec, s[34:35]
	s_cbranch_vccz .LBB22_560
; %bb.557:
	s_cmp_eq_u32 s36, 44
	s_cbranch_scc0 .LBB22_559
; %bb.558:
	global_load_ubyte v2, v[0:1], off
	s_mov_b64 s[0:1], -1
	s_mov_b64 s[30:31], 0
	s_waitcnt vmcnt(0)
	v_lshlrev_b32_e32 v3, 23, v2
	v_cvt_i32_f32_e32 v3, v3
	v_cmp_ne_u32_e32 vcc, 0, v2
	v_cndmask_b32_e32 v2, 0, v3, vcc
	s_branch .LBB22_560
.LBB22_559:
	s_mov_b64 s[30:31], -1
                                        ; implicit-def: $vgpr2
.LBB22_560:
	s_mov_b64 s[34:35], 0
.LBB22_561:
	s_and_b64 vcc, exec, s[34:35]
	s_cbranch_vccz .LBB22_565
; %bb.562:
	s_cmp_eq_u32 s36, 29
	s_cbranch_scc0 .LBB22_564
; %bb.563:
	global_load_dwordx2 v[2:3], v[0:1], off
	s_mov_b64 s[0:1], -1
	s_mov_b64 s[30:31], 0
	s_branch .LBB22_565
.LBB22_564:
	s_mov_b64 s[30:31], -1
                                        ; implicit-def: $vgpr2
.LBB22_565:
	s_mov_b64 s[34:35], 0
.LBB22_566:
	s_and_b64 vcc, exec, s[34:35]
	s_cbranch_vccz .LBB22_582
; %bb.567:
	s_cmp_lt_i32 s36, 27
	s_cbranch_scc1 .LBB22_570
; %bb.568:
	s_cmp_gt_i32 s36, 27
	s_cbranch_scc0 .LBB22_571
; %bb.569:
	global_load_dword v2, v[0:1], off
	s_mov_b64 s[0:1], 0
	s_branch .LBB22_572
.LBB22_570:
	s_mov_b64 s[0:1], -1
                                        ; implicit-def: $vgpr2
	s_branch .LBB22_575
.LBB22_571:
	s_mov_b64 s[0:1], -1
                                        ; implicit-def: $vgpr2
.LBB22_572:
	s_andn2_b64 vcc, exec, s[0:1]
	s_cbranch_vccnz .LBB22_574
; %bb.573:
	global_load_ushort v2, v[0:1], off
.LBB22_574:
	s_mov_b64 s[0:1], 0
.LBB22_575:
	s_andn2_b64 vcc, exec, s[0:1]
	s_cbranch_vccnz .LBB22_581
; %bb.576:
	global_load_ubyte v3, v[0:1], off
	s_movk_i32 s0, 0x7f
	s_mov_b64 s[34:35], 0
	s_waitcnt vmcnt(0)
	v_cmp_lt_i16_e32 vcc, s0, v3
	s_and_saveexec_b64 s[0:1], vcc
	s_xor_b64 s[0:1], exec, s[0:1]
	s_cbranch_execz .LBB22_593
; %bb.577:
	s_movk_i32 s34, 0x80
	v_cmp_ne_u16_e32 vcc, s34, v3
	s_and_b64 s[34:35], vcc, exec
	s_andn2_saveexec_b64 s[0:1], s[0:1]
	s_cbranch_execnz .LBB22_594
.LBB22_578:
	s_or_b64 exec, exec, s[0:1]
	v_mov_b32_e32 v2, 0
	s_and_saveexec_b64 s[0:1], s[34:35]
	s_cbranch_execz .LBB22_580
.LBB22_579:
	v_lshlrev_b32_e32 v2, 24, v3
	v_and_b32_e32 v3, 0xffff, v3
	v_and_b32_e32 v5, 7, v3
	v_ffbh_u32_e32 v7, v5
	v_min_u32_e32 v7, 32, v7
	v_subrev_u32_e32 v8, 28, v7
	v_bfe_u32 v6, v3, 3, 4
	v_lshlrev_b32_e32 v3, v8, v3
	v_sub_u32_e32 v7, 29, v7
	v_and_b32_e32 v3, 7, v3
	v_cmp_eq_u32_e32 vcc, 0, v6
	v_cndmask_b32_e32 v6, v6, v7, vcc
	v_cndmask_b32_e32 v3, v5, v3, vcc
	v_mov_b32_e32 v5, 0x3b800000
	v_lshlrev_b32_e32 v3, 20, v3
	v_and_b32_e32 v2, 0x80000000, v2
	v_lshl_add_u32 v5, v6, 23, v5
	v_or3_b32 v2, v2, v5, v3
	v_cvt_i32_f32_e32 v2, v2
.LBB22_580:
	s_or_b64 exec, exec, s[0:1]
.LBB22_581:
	s_mov_b64 s[0:1], -1
.LBB22_582:
	s_mov_b64 s[34:35], 0
.LBB22_583:
	s_and_b64 vcc, exec, s[34:35]
	s_cbranch_vccz .LBB22_616
; %bb.584:
	s_cmp_gt_i32 s36, 22
	s_cbranch_scc0 .LBB22_592
; %bb.585:
	s_cmp_lt_i32 s36, 24
	s_cbranch_scc1 .LBB22_595
; %bb.586:
	s_cmp_gt_i32 s36, 24
	s_cbranch_scc0 .LBB22_596
; %bb.587:
	global_load_ubyte v3, v[0:1], off
	s_movk_i32 s0, 0x7f
	s_mov_b64 s[34:35], 0
	s_waitcnt vmcnt(0)
	v_cmp_lt_i16_e32 vcc, s0, v3
	s_and_saveexec_b64 s[0:1], vcc
	s_xor_b64 s[0:1], exec, s[0:1]
	s_cbranch_execz .LBB22_608
; %bb.588:
	s_movk_i32 s34, 0x80
	v_cmp_ne_u16_e32 vcc, s34, v3
	s_and_b64 s[34:35], vcc, exec
	s_andn2_saveexec_b64 s[0:1], s[0:1]
	s_cbranch_execnz .LBB22_609
.LBB22_589:
	s_or_b64 exec, exec, s[0:1]
	v_mov_b32_e32 v2, 0
	s_and_saveexec_b64 s[0:1], s[34:35]
	s_cbranch_execz .LBB22_591
.LBB22_590:
	v_lshlrev_b32_e32 v2, 24, v3
	v_and_b32_e32 v3, 0xffff, v3
	v_and_b32_e32 v5, 3, v3
	v_ffbh_u32_e32 v7, v5
	v_min_u32_e32 v7, 32, v7
	v_subrev_u32_e32 v8, 29, v7
	v_bfe_u32 v6, v3, 2, 5
	v_lshlrev_b32_e32 v3, v8, v3
	v_sub_u32_e32 v7, 30, v7
	v_and_b32_e32 v3, 3, v3
	v_cmp_eq_u32_e32 vcc, 0, v6
	v_cndmask_b32_e32 v6, v6, v7, vcc
	v_cndmask_b32_e32 v3, v5, v3, vcc
	v_mov_b32_e32 v5, 0x37800000
	v_lshlrev_b32_e32 v3, 21, v3
	v_and_b32_e32 v2, 0x80000000, v2
	v_lshl_add_u32 v5, v6, 23, v5
	v_or3_b32 v2, v2, v5, v3
	v_cvt_i32_f32_e32 v2, v2
.LBB22_591:
	s_or_b64 exec, exec, s[0:1]
	s_mov_b64 s[0:1], 0
	s_branch .LBB22_597
.LBB22_592:
	s_mov_b64 s[34:35], -1
                                        ; implicit-def: $vgpr2
	s_branch .LBB22_603
.LBB22_593:
	s_andn2_saveexec_b64 s[0:1], s[0:1]
	s_cbranch_execz .LBB22_578
.LBB22_594:
	v_cmp_ne_u16_e32 vcc, 0, v3
	s_andn2_b64 s[34:35], s[34:35], exec
	s_and_b64 s[38:39], vcc, exec
	s_or_b64 s[34:35], s[34:35], s[38:39]
	s_or_b64 exec, exec, s[0:1]
	v_mov_b32_e32 v2, 0
	s_and_saveexec_b64 s[0:1], s[34:35]
	s_cbranch_execnz .LBB22_579
	s_branch .LBB22_580
.LBB22_595:
	s_mov_b64 s[0:1], -1
                                        ; implicit-def: $vgpr2
	s_branch .LBB22_600
.LBB22_596:
	s_mov_b64 s[0:1], -1
                                        ; implicit-def: $vgpr2
.LBB22_597:
	s_and_b64 vcc, exec, s[0:1]
	s_cbranch_vccz .LBB22_599
; %bb.598:
	global_load_ubyte v2, v[0:1], off
	s_mov_b32 s0, 0x7f800000
	s_waitcnt vmcnt(0)
	v_lshlrev_b32_e32 v2, 24, v2
	v_and_b32_e32 v3, 0x7f000000, v2
	v_ffbh_u32_e32 v5, v3
	v_min_u32_e32 v5, 32, v5
	v_sub_u32_e64 v5, v5, 4 clamp
	v_lshlrev_b32_e32 v7, v5, v3
	v_lshlrev_b32_e32 v5, 23, v5
	v_lshrrev_b32_e32 v7, 4, v7
	v_add_u32_e32 v6, 0x1000000, v3
	v_sub_u32_e32 v5, v7, v5
	v_ashrrev_i32_e32 v6, 8, v6
	v_add_u32_e32 v5, 0x3c000000, v5
	v_and_or_b32 v5, v6, s0, v5
	v_cmp_ne_u32_e32 vcc, 0, v3
	v_cndmask_b32_e32 v3, 0, v5, vcc
	s_brev_b32 s0, 1
	v_and_or_b32 v2, v2, s0, v3
	v_cvt_i32_f32_e32 v2, v2
.LBB22_599:
	s_mov_b64 s[0:1], 0
.LBB22_600:
	s_andn2_b64 vcc, exec, s[0:1]
	s_cbranch_vccnz .LBB22_602
; %bb.601:
	global_load_ubyte v2, v[0:1], off
	s_movk_i32 s0, 0x7f00
	s_brev_b32 s1, 16
	s_waitcnt vmcnt(0)
	v_lshlrev_b16_e32 v3, 8, v2
	v_lshlrev_b32_e32 v2, 25, v2
	v_lshrrev_b32_e32 v5, 4, v2
	v_and_or_b32 v6, v3, s0, 0.5
	v_or_b32_e32 v5, 0x70000000, v5
	v_add_f32_e32 v6, -0.5, v6
	v_mul_f32_e32 v5, 0x7800000, v5
	v_cmp_gt_u32_e32 vcc, s1, v2
	v_bfe_i32 v3, v3, 0, 16
	v_cndmask_b32_e32 v2, v5, v6, vcc
	s_brev_b32 s0, 1
	v_and_or_b32 v2, v3, s0, v2
	v_cvt_i32_f32_e32 v2, v2
.LBB22_602:
	s_mov_b64 s[34:35], 0
	s_mov_b64 s[0:1], -1
.LBB22_603:
	s_andn2_b64 vcc, exec, s[34:35]
	s_cbranch_vccnz .LBB22_616
; %bb.604:
	s_cmp_gt_i32 s36, 14
	s_cbranch_scc0 .LBB22_607
; %bb.605:
	s_cmp_eq_u32 s36, 15
	s_cbranch_scc0 .LBB22_610
; %bb.606:
	global_load_ushort v2, v[0:1], off
	s_mov_b64 s[0:1], -1
	s_mov_b64 s[30:31], 0
	s_waitcnt vmcnt(0)
	v_lshlrev_b32_e32 v2, 16, v2
	v_cvt_i32_f32_e32 v2, v2
	s_branch .LBB22_611
.LBB22_607:
	s_mov_b64 s[34:35], -1
                                        ; implicit-def: $vgpr2
	s_branch .LBB22_612
.LBB22_608:
	s_andn2_saveexec_b64 s[0:1], s[0:1]
	s_cbranch_execz .LBB22_589
.LBB22_609:
	v_cmp_ne_u16_e32 vcc, 0, v3
	s_andn2_b64 s[34:35], s[34:35], exec
	s_and_b64 s[38:39], vcc, exec
	s_or_b64 s[34:35], s[34:35], s[38:39]
	s_or_b64 exec, exec, s[0:1]
	v_mov_b32_e32 v2, 0
	s_and_saveexec_b64 s[0:1], s[34:35]
	s_cbranch_execnz .LBB22_590
	s_branch .LBB22_591
.LBB22_610:
	s_mov_b64 s[30:31], -1
                                        ; implicit-def: $vgpr2
.LBB22_611:
	s_mov_b64 s[34:35], 0
.LBB22_612:
	s_and_b64 vcc, exec, s[34:35]
	s_cbranch_vccz .LBB22_616
; %bb.613:
	s_cmp_eq_u32 s36, 11
	s_cbranch_scc0 .LBB22_615
; %bb.614:
	global_load_ubyte v2, v[0:1], off
	s_mov_b64 s[0:1], -1
	s_mov_b64 s[30:31], 0
	s_waitcnt vmcnt(0)
	v_cmp_ne_u16_e32 vcc, 0, v2
	v_cndmask_b32_e64 v2, 0, 1, vcc
	s_branch .LBB22_616
.LBB22_615:
	s_mov_b64 s[30:31], -1
                                        ; implicit-def: $vgpr2
.LBB22_616:
	s_mov_b64 s[34:35], 0
.LBB22_617:
	s_and_b64 vcc, exec, s[34:35]
	s_cbranch_vccz .LBB22_666
; %bb.618:
	s_cmp_lt_i32 s36, 5
	s_cbranch_scc1 .LBB22_623
; %bb.619:
	s_cmp_lt_i32 s36, 8
	s_cbranch_scc1 .LBB22_624
	;; [unrolled: 3-line block ×3, first 2 shown]
; %bb.621:
	s_cmp_gt_i32 s36, 9
	s_cbranch_scc0 .LBB22_626
; %bb.622:
	global_load_dwordx2 v[2:3], v[0:1], off
	s_mov_b64 s[0:1], 0
	s_waitcnt vmcnt(0)
	v_cvt_i32_f64_e32 v2, v[2:3]
	s_branch .LBB22_627
.LBB22_623:
	s_mov_b64 s[0:1], -1
                                        ; implicit-def: $vgpr2
	s_branch .LBB22_645
.LBB22_624:
	s_mov_b64 s[0:1], -1
                                        ; implicit-def: $vgpr2
	s_branch .LBB22_633
.LBB22_625:
	s_mov_b64 s[0:1], -1
                                        ; implicit-def: $vgpr2
	s_branch .LBB22_630
.LBB22_626:
	s_mov_b64 s[0:1], -1
                                        ; implicit-def: $vgpr2
.LBB22_627:
	s_andn2_b64 vcc, exec, s[0:1]
	s_cbranch_vccnz .LBB22_629
; %bb.628:
	global_load_dword v2, v[0:1], off
	s_waitcnt vmcnt(0)
	v_cvt_i32_f32_e32 v2, v2
.LBB22_629:
	s_mov_b64 s[0:1], 0
.LBB22_630:
	s_andn2_b64 vcc, exec, s[0:1]
	s_cbranch_vccnz .LBB22_632
; %bb.631:
	global_load_dword v2, v[0:1], off
	s_waitcnt vmcnt(0)
	v_cvt_i16_f16_e32 v2, v2
.LBB22_632:
	s_mov_b64 s[0:1], 0
.LBB22_633:
	s_andn2_b64 vcc, exec, s[0:1]
	s_cbranch_vccnz .LBB22_644
; %bb.634:
	s_cmp_lt_i32 s36, 6
	s_cbranch_scc1 .LBB22_637
; %bb.635:
	s_cmp_gt_i32 s36, 6
	s_cbranch_scc0 .LBB22_638
; %bb.636:
	global_load_dwordx2 v[2:3], v[0:1], off
	s_mov_b64 s[0:1], 0
	s_waitcnt vmcnt(0)
	v_cvt_i32_f64_e32 v2, v[2:3]
	s_branch .LBB22_639
.LBB22_637:
	s_mov_b64 s[0:1], -1
                                        ; implicit-def: $vgpr2
	s_branch .LBB22_642
.LBB22_638:
	s_mov_b64 s[0:1], -1
                                        ; implicit-def: $vgpr2
.LBB22_639:
	s_andn2_b64 vcc, exec, s[0:1]
	s_cbranch_vccnz .LBB22_641
; %bb.640:
	global_load_dword v2, v[0:1], off
	s_waitcnt vmcnt(0)
	v_cvt_i32_f32_e32 v2, v2
.LBB22_641:
	s_mov_b64 s[0:1], 0
.LBB22_642:
	s_andn2_b64 vcc, exec, s[0:1]
	s_cbranch_vccnz .LBB22_644
; %bb.643:
	global_load_ushort v2, v[0:1], off
	s_waitcnt vmcnt(0)
	v_cvt_i16_f16_e32 v2, v2
.LBB22_644:
	s_mov_b64 s[0:1], 0
.LBB22_645:
	s_andn2_b64 vcc, exec, s[0:1]
	s_cbranch_vccnz .LBB22_665
; %bb.646:
	s_cmp_lt_i32 s36, 2
	s_cbranch_scc1 .LBB22_650
; %bb.647:
	s_cmp_lt_i32 s36, 3
	s_cbranch_scc1 .LBB22_651
; %bb.648:
	s_cmp_gt_i32 s36, 3
	s_cbranch_scc0 .LBB22_652
; %bb.649:
	global_load_dwordx2 v[2:3], v[0:1], off
	s_mov_b64 s[0:1], 0
	s_branch .LBB22_653
.LBB22_650:
	s_mov_b64 s[0:1], -1
                                        ; implicit-def: $vgpr2
	s_branch .LBB22_659
.LBB22_651:
	s_mov_b64 s[0:1], -1
                                        ; implicit-def: $vgpr2
	s_branch .LBB22_656
.LBB22_652:
	s_mov_b64 s[0:1], -1
                                        ; implicit-def: $vgpr2
.LBB22_653:
	s_andn2_b64 vcc, exec, s[0:1]
	s_cbranch_vccnz .LBB22_655
; %bb.654:
	global_load_dword v2, v[0:1], off
.LBB22_655:
	s_mov_b64 s[0:1], 0
.LBB22_656:
	s_andn2_b64 vcc, exec, s[0:1]
	s_cbranch_vccnz .LBB22_658
; %bb.657:
	global_load_ushort v2, v[0:1], off
.LBB22_658:
	s_mov_b64 s[0:1], 0
.LBB22_659:
	s_andn2_b64 vcc, exec, s[0:1]
	s_cbranch_vccnz .LBB22_665
; %bb.660:
	s_cmp_gt_i32 s36, 0
	s_cbranch_scc0 .LBB22_662
; %bb.661:
	global_load_ubyte v2, v[0:1], off
	s_mov_b64 s[0:1], 0
	s_branch .LBB22_663
.LBB22_662:
	s_mov_b64 s[0:1], -1
                                        ; implicit-def: $vgpr2
.LBB22_663:
	s_andn2_b64 vcc, exec, s[0:1]
	s_cbranch_vccnz .LBB22_665
; %bb.664:
	global_load_ubyte v2, v[0:1], off
.LBB22_665:
	s_mov_b64 s[0:1], -1
.LBB22_666:
	s_andn2_b64 vcc, exec, s[0:1]
	s_cbranch_vccnz .LBB22_671
; %bb.667:
	s_cmp_lt_i32 s14, 1
	s_mov_b64 s[0:1], 0
	s_cbranch_scc1 .LBB22_672
; %bb.668:
	s_cmp_gt_i32 s14, 1
	s_cbranch_scc0 .LBB22_673
; %bb.669:
	s_cmp_eq_u32 s14, 2
	s_cbranch_scc0 .LBB22_674
; %bb.670:
	s_waitcnt vmcnt(0)
	v_cmp_le_i16_sdwa s[34:35], sext(v2), s2 src0_sel:BYTE_0 src1_sel:DWORD
	s_mov_b64 s[36:37], 0
	s_branch .LBB22_675
.LBB22_671:
	s_mov_b64 s[36:37], 0
                                        ; implicit-def: $vgpr4
	s_mov_b64 s[0:1], s[24:25]
	s_branch .LBB22_808
.LBB22_672:
	s_mov_b64 s[38:39], -1
                                        ; implicit-def: $sgpr34_sgpr35
	s_mov_b64 s[36:37], 0
	s_branch .LBB22_679
.LBB22_673:
	s_mov_b64 s[38:39], -1
	s_mov_b64 s[36:37], 0
                                        ; implicit-def: $sgpr34_sgpr35
	s_branch .LBB22_676
.LBB22_674:
	s_mov_b64 s[36:37], -1
                                        ; implicit-def: $sgpr34_sgpr35
.LBB22_675:
	s_mov_b64 s[38:39], 0
.LBB22_676:
	s_and_b64 vcc, exec, s[38:39]
	s_cbranch_vccz .LBB22_678
; %bb.677:
	s_waitcnt vmcnt(0)
	v_cmp_gt_i16_sdwa s[38:39], sext(v2), s2 src0_sel:BYTE_0 src1_sel:DWORD
	s_andn2_b64 s[34:35], s[34:35], exec
	s_and_b64 s[38:39], s[38:39], exec
	s_or_b64 s[34:35], s[34:35], s[38:39]
.LBB22_678:
	s_mov_b64 s[38:39], 0
.LBB22_679:
	s_and_b64 vcc, exec, s[38:39]
	s_cbranch_vccz .LBB22_690
; %bb.680:
	s_cmp_lg_u32 s14, 0
	s_mov_b64 s[0:1], -1
	s_cselect_b64 s[36:37], -1, 0
	s_andn2_b64 vcc, exec, s[36:37]
	s_cbranch_vccz .LBB22_691
.LBB22_681:
	s_andn2_b64 vcc, exec, s[0:1]
	s_cbranch_vccnz .LBB22_683
.LBB22_682:
	s_waitcnt vmcnt(0)
	v_cmp_ge_i16_sdwa s[0:1], sext(v2), s2 src0_sel:BYTE_0 src1_sel:DWORD
	s_andn2_b64 s[34:35], s[34:35], exec
	s_and_b64 s[0:1], s[0:1], exec
	s_or_b64 s[34:35], s[34:35], s[0:1]
.LBB22_683:
	v_mul_lo_u32 v0, v4, s12
	v_mov_b32_e32 v1, s9
	s_and_b32 s42, s3, 0xff
	s_cmp_lt_i32 s42, 11
	s_waitcnt vmcnt(0)
	v_ashrrev_i32_e32 v2, 31, v0
	v_add_co_u32_e32 v0, vcc, s8, v0
	v_addc_co_u32_e32 v1, vcc, v1, v2, vcc
	s_cbranch_scc1 .LBB22_692
; %bb.684:
	s_and_b32 s43, 0xffff, s42
	s_cmp_gt_i32 s43, 25
	s_cbranch_scc0 .LBB22_693
; %bb.685:
	s_cmp_gt_i32 s43, 28
	s_cbranch_scc0 .LBB22_694
; %bb.686:
	s_cmp_gt_i32 s43, 43
	s_cbranch_scc0 .LBB22_695
; %bb.687:
	s_cmp_gt_i32 s43, 45
	s_cbranch_scc0 .LBB22_696
; %bb.688:
	s_mov_b64 s[38:39], 0
	s_mov_b64 s[0:1], -1
	s_cmp_eq_u32 s43, 46
	s_mov_b64 s[36:37], 0
	s_cbranch_scc0 .LBB22_697
; %bb.689:
	v_cndmask_b32_e64 v2, 0, 1.0, s[34:35]
	v_bfe_u32 v3, v2, 16, 1
	s_movk_i32 s0, 0x7fff
	v_add3_u32 v2, v2, v3, s0
	v_lshrrev_b32_e32 v2, 16, v2
	global_store_dword v[0:1], v2, off
	s_mov_b64 s[36:37], -1
	s_mov_b64 s[0:1], 0
	s_branch .LBB22_697
.LBB22_690:
	s_andn2_b64 vcc, exec, s[36:37]
	s_cbranch_vccnz .LBB22_681
.LBB22_691:
	s_waitcnt vmcnt(0)
	v_cmp_lt_i16_sdwa s[36:37], sext(v2), s2 src0_sel:BYTE_0 src1_sel:DWORD
	s_andn2_b64 s[34:35], s[34:35], exec
	s_and_b64 s[36:37], s[36:37], exec
	s_or_b64 s[34:35], s[34:35], s[36:37]
	s_cbranch_execz .LBB22_682
	s_branch .LBB22_683
.LBB22_692:
	s_mov_b64 s[38:39], -1
	s_mov_b64 s[36:37], 0
	s_mov_b64 s[0:1], s[24:25]
	s_branch .LBB22_766
.LBB22_693:
	s_mov_b64 s[38:39], -1
	s_mov_b64 s[36:37], 0
	s_mov_b64 s[0:1], s[24:25]
	s_branch .LBB22_724
.LBB22_694:
	s_mov_b64 s[38:39], -1
	s_mov_b64 s[36:37], 0
	s_mov_b64 s[0:1], s[24:25]
	s_branch .LBB22_707
.LBB22_695:
	s_mov_b64 s[38:39], -1
	s_mov_b64 s[36:37], 0
	s_mov_b64 s[0:1], s[24:25]
	s_branch .LBB22_703
.LBB22_696:
	s_mov_b64 s[38:39], -1
	s_mov_b64 s[36:37], 0
	s_mov_b64 s[0:1], s[24:25]
.LBB22_697:
	s_and_b64 vcc, exec, s[38:39]
	s_cbranch_vccz .LBB22_702
; %bb.698:
	s_cmp_eq_u32 s43, 44
	s_mov_b64 s[0:1], -1
	s_cbranch_scc0 .LBB22_702
; %bb.699:
	v_cndmask_b32_e64 v3, 0, 1.0, s[34:35]
	v_lshrrev_b32_e32 v2, 23, v3
	s_movk_i32 s0, 0xff
	v_cmp_ne_u32_e32 vcc, s0, v2
	v_mov_b32_e32 v5, 0xff
	s_and_saveexec_b64 s[36:37], vcc
; %bb.700:
	s_mov_b32 s0, 0x3fffff
	v_and_b32_e32 v5, 0x400000, v3
	v_and_or_b32 v3, v3, s0, v2
	v_cmp_ne_u32_e32 vcc, 0, v5
	v_cmp_ne_u32_e64 s[0:1], 0, v3
	s_and_b64 s[0:1], vcc, s[0:1]
	v_cndmask_b32_e64 v3, 0, 1, s[0:1]
	v_add_u32_e32 v5, v2, v3
; %bb.701:
	s_or_b64 exec, exec, s[36:37]
	s_mov_b64 s[36:37], -1
	s_mov_b64 s[0:1], 0
	global_store_byte v[0:1], v5, off
.LBB22_702:
	s_mov_b64 s[38:39], 0
.LBB22_703:
	s_and_b64 vcc, exec, s[38:39]
	s_cbranch_vccz .LBB22_706
; %bb.704:
	s_cmp_eq_u32 s43, 29
	s_mov_b64 s[0:1], -1
	s_cbranch_scc0 .LBB22_706
; %bb.705:
	s_mov_b32 s0, 0
	v_cndmask_b32_e64 v2, 0, 1, s[34:35]
	v_mov_b32_e32 v3, s0
	global_store_dwordx2 v[0:1], v[2:3], off
	s_mov_b64 s[36:37], -1
	s_mov_b64 s[0:1], 0
.LBB22_706:
	s_mov_b64 s[38:39], 0
.LBB22_707:
	s_and_b64 vcc, exec, s[38:39]
	s_cbranch_vccz .LBB22_723
; %bb.708:
	s_cmp_lt_i32 s43, 27
	s_mov_b64 s[36:37], -1
	s_cbranch_scc1 .LBB22_714
; %bb.709:
	s_cmp_gt_i32 s43, 27
	s_cbranch_scc0 .LBB22_711
; %bb.710:
	v_cndmask_b32_e64 v2, 0, 1, s[34:35]
	s_mov_b64 s[36:37], 0
	global_store_dword v[0:1], v2, off
.LBB22_711:
	s_andn2_b64 vcc, exec, s[36:37]
	s_cbranch_vccnz .LBB22_713
; %bb.712:
	v_cndmask_b32_e64 v2, 0, 1, s[34:35]
	global_store_short v[0:1], v2, off
.LBB22_713:
	s_mov_b64 s[36:37], 0
.LBB22_714:
	s_andn2_b64 vcc, exec, s[36:37]
	s_cbranch_vccnz .LBB22_722
; %bb.715:
	v_cndmask_b32_e64 v3, 0, 1.0, s[34:35]
	s_mov_b32 s36, 0x43800000
	v_cmp_gt_u32_e32 vcc, s36, v3
	v_mov_b32_e32 v5, 0x80
	s_and_saveexec_b64 s[36:37], vcc
	s_cbranch_execz .LBB22_721
; %bb.716:
	s_mov_b32 s38, 0x3bffffff
	v_cmp_lt_u32_e32 vcc, s38, v3
	s_mov_b64 s[38:39], 0
                                        ; implicit-def: $vgpr2
	s_and_saveexec_b64 s[40:41], vcc
	s_xor_b64 s[40:41], exec, s[40:41]
	s_cbranch_execz .LBB22_822
; %bb.717:
	v_bfe_u32 v2, v3, 20, 1
	s_mov_b32 s44, 0x487ffff
	v_add3_u32 v2, v3, v2, s44
	s_mov_b64 s[38:39], exec
	v_lshrrev_b32_e32 v2, 20, v2
                                        ; implicit-def: $vgpr3
	s_andn2_saveexec_b64 s[40:41], s[40:41]
	s_cbranch_execnz .LBB22_823
.LBB22_718:
	s_or_b64 exec, exec, s[40:41]
	v_mov_b32_e32 v5, 0
	s_and_saveexec_b64 s[40:41], s[38:39]
.LBB22_719:
	v_mov_b32_e32 v5, v2
.LBB22_720:
	s_or_b64 exec, exec, s[40:41]
.LBB22_721:
	s_or_b64 exec, exec, s[36:37]
	global_store_byte v[0:1], v5, off
.LBB22_722:
	s_mov_b64 s[36:37], -1
.LBB22_723:
	s_mov_b64 s[38:39], 0
.LBB22_724:
	s_and_b64 vcc, exec, s[38:39]
	s_cbranch_vccz .LBB22_765
; %bb.725:
	s_cmp_gt_i32 s43, 22
	s_mov_b64 s[38:39], -1
	s_cbranch_scc0 .LBB22_757
; %bb.726:
	s_cmp_lt_i32 s43, 24
	s_mov_b64 s[36:37], -1
	s_cbranch_scc1 .LBB22_746
; %bb.727:
	s_cmp_gt_i32 s43, 24
	s_cbranch_scc0 .LBB22_735
; %bb.728:
	v_cndmask_b32_e64 v3, 0, 1.0, s[34:35]
	s_mov_b32 s36, 0x47800000
	v_cmp_gt_u32_e32 vcc, s36, v3
	v_mov_b32_e32 v5, 0x80
	s_and_saveexec_b64 s[36:37], vcc
	s_cbranch_execz .LBB22_734
; %bb.729:
	s_mov_b32 s38, 0x37ffffff
	v_cmp_lt_u32_e32 vcc, s38, v3
	s_mov_b64 s[38:39], 0
                                        ; implicit-def: $vgpr2
	s_and_saveexec_b64 s[40:41], vcc
	s_xor_b64 s[40:41], exec, s[40:41]
	s_cbranch_execz .LBB22_825
; %bb.730:
	v_bfe_u32 v2, v3, 21, 1
	s_mov_b32 s44, 0x88fffff
	v_add3_u32 v2, v3, v2, s44
	s_mov_b64 s[38:39], exec
	v_lshrrev_b32_e32 v2, 21, v2
                                        ; implicit-def: $vgpr3
	s_andn2_saveexec_b64 s[40:41], s[40:41]
	s_cbranch_execnz .LBB22_826
.LBB22_731:
	s_or_b64 exec, exec, s[40:41]
	v_mov_b32_e32 v5, 0
	s_and_saveexec_b64 s[40:41], s[38:39]
.LBB22_732:
	v_mov_b32_e32 v5, v2
.LBB22_733:
	s_or_b64 exec, exec, s[40:41]
.LBB22_734:
	s_or_b64 exec, exec, s[36:37]
	s_mov_b64 s[36:37], 0
	global_store_byte v[0:1], v5, off
.LBB22_735:
	s_and_b64 vcc, exec, s[36:37]
	s_cbranch_vccz .LBB22_745
; %bb.736:
	v_cndmask_b32_e64 v2, 0, 1.0, s[34:35]
	s_mov_b32 s36, 0x43f00000
	v_cmp_gt_u32_e32 vcc, s36, v2
                                        ; implicit-def: $vgpr3
	s_and_saveexec_b64 s[36:37], vcc
	s_xor_b64 s[36:37], exec, s[36:37]
	s_cbranch_execz .LBB22_742
; %bb.737:
	s_mov_b32 s38, 0x3c7fffff
	v_cmp_lt_u32_e32 vcc, s38, v2
                                        ; implicit-def: $vgpr3
	s_and_saveexec_b64 s[38:39], vcc
	s_xor_b64 s[38:39], exec, s[38:39]
; %bb.738:
	v_bfe_u32 v3, v2, 20, 1
	s_mov_b32 s40, 0x407ffff
	v_add3_u32 v2, v2, v3, s40
	v_lshrrev_b32_e32 v3, 20, v2
	v_and_b32_e32 v2, 0xff00000, v2
	s_mov_b32 s40, 0x7f00000
	v_mov_b32_e32 v5, 0x7e
	v_cmp_ne_u32_e32 vcc, s40, v2
	v_cndmask_b32_e32 v3, v5, v3, vcc
                                        ; implicit-def: $vgpr2
; %bb.739:
	s_andn2_saveexec_b64 s[38:39], s[38:39]
; %bb.740:
	v_add_f32_e32 v3, 0x46800000, v2
; %bb.741:
	s_or_b64 exec, exec, s[38:39]
                                        ; implicit-def: $vgpr2
.LBB22_742:
	s_andn2_saveexec_b64 s[36:37], s[36:37]
; %bb.743:
	s_mov_b32 s38, 0x7f800000
	v_mov_b32_e32 v3, 0x7e
	v_mov_b32_e32 v5, 0x7f
	v_cmp_lt_u32_e32 vcc, s38, v2
	v_cndmask_b32_e32 v3, v3, v5, vcc
; %bb.744:
	s_or_b64 exec, exec, s[36:37]
	global_store_byte v[0:1], v3, off
.LBB22_745:
	s_mov_b64 s[36:37], 0
.LBB22_746:
	s_andn2_b64 vcc, exec, s[36:37]
	s_cbranch_vccnz .LBB22_756
; %bb.747:
	v_cndmask_b32_e64 v2, 0, 1.0, s[34:35]
	s_mov_b32 s36, 0x47800000
	v_cmp_gt_u32_e32 vcc, s36, v2
                                        ; implicit-def: $vgpr3
	s_and_saveexec_b64 s[36:37], vcc
	s_xor_b64 s[36:37], exec, s[36:37]
	s_cbranch_execz .LBB22_753
; %bb.748:
	s_mov_b32 s38, 0x387fffff
	v_cmp_lt_u32_e32 vcc, s38, v2
                                        ; implicit-def: $vgpr3
	s_and_saveexec_b64 s[38:39], vcc
	s_xor_b64 s[38:39], exec, s[38:39]
; %bb.749:
	v_bfe_u32 v3, v2, 21, 1
	s_mov_b32 s40, 0x80fffff
	v_add3_u32 v2, v2, v3, s40
	v_lshrrev_b32_e32 v3, 21, v2
                                        ; implicit-def: $vgpr2
; %bb.750:
	s_andn2_saveexec_b64 s[38:39], s[38:39]
; %bb.751:
	v_add_f32_e32 v3, 0x43000000, v2
; %bb.752:
	s_or_b64 exec, exec, s[38:39]
                                        ; implicit-def: $vgpr2
.LBB22_753:
	s_andn2_saveexec_b64 s[36:37], s[36:37]
; %bb.754:
	s_mov_b32 s38, 0x7f800000
	v_mov_b32_e32 v3, 0x7c
	v_mov_b32_e32 v5, 0x7f
	v_cmp_lt_u32_e32 vcc, s38, v2
	v_cndmask_b32_e32 v3, v3, v5, vcc
; %bb.755:
	s_or_b64 exec, exec, s[36:37]
	global_store_byte v[0:1], v3, off
.LBB22_756:
	s_mov_b64 s[38:39], 0
	s_mov_b64 s[36:37], -1
.LBB22_757:
	s_andn2_b64 vcc, exec, s[38:39]
	s_cbranch_vccnz .LBB22_765
; %bb.758:
	s_cmp_gt_i32 s43, 14
	s_mov_b64 s[38:39], -1
	s_cbranch_scc0 .LBB22_762
; %bb.759:
	s_cmp_eq_u32 s43, 15
	s_mov_b64 s[0:1], -1
	s_cbranch_scc0 .LBB22_761
; %bb.760:
	v_cndmask_b32_e64 v2, 0, 1.0, s[34:35]
	v_bfe_u32 v3, v2, 16, 1
	s_movk_i32 s0, 0x7fff
	v_add3_u32 v2, v2, v3, s0
	global_store_short_d16_hi v[0:1], v2, off
	s_mov_b64 s[36:37], -1
	s_mov_b64 s[0:1], 0
.LBB22_761:
	s_mov_b64 s[38:39], 0
.LBB22_762:
	s_and_b64 vcc, exec, s[38:39]
	s_cbranch_vccz .LBB22_765
; %bb.763:
	s_cmp_eq_u32 s43, 11
	s_mov_b64 s[0:1], -1
	s_cbranch_scc0 .LBB22_765
; %bb.764:
	v_cndmask_b32_e64 v2, 0, 1, s[34:35]
	s_mov_b64 s[36:37], -1
	s_mov_b64 s[0:1], 0
	global_store_byte v[0:1], v2, off
.LBB22_765:
	s_mov_b64 s[38:39], 0
.LBB22_766:
	s_and_b64 vcc, exec, s[38:39]
	s_cbranch_vccz .LBB22_805
; %bb.767:
	s_and_b32 s38, 0xffff, s42
	s_cmp_lt_i32 s38, 5
	s_mov_b64 s[36:37], -1
	s_cbranch_scc1 .LBB22_788
; %bb.768:
	s_cmp_lt_i32 s38, 8
	s_cbranch_scc1 .LBB22_778
; %bb.769:
	s_cmp_lt_i32 s38, 9
	s_cbranch_scc1 .LBB22_775
; %bb.770:
	s_cmp_gt_i32 s38, 9
	s_cbranch_scc0 .LBB22_772
; %bb.771:
	v_cndmask_b32_e64 v2, 0, 1, s[34:35]
	v_cvt_f64_u32_e32 v[5:6], v2
	v_mov_b32_e32 v7, 0
	v_mov_b32_e32 v8, v7
	s_mov_b64 s[36:37], 0
	global_store_dwordx4 v[0:1], v[5:8], off
.LBB22_772:
	s_andn2_b64 vcc, exec, s[36:37]
	s_cbranch_vccnz .LBB22_774
; %bb.773:
	v_cndmask_b32_e64 v2, 0, 1.0, s[34:35]
	v_mov_b32_e32 v3, 0
	global_store_dwordx2 v[0:1], v[2:3], off
.LBB22_774:
	s_mov_b64 s[36:37], 0
.LBB22_775:
	s_andn2_b64 vcc, exec, s[36:37]
	s_cbranch_vccnz .LBB22_777
; %bb.776:
	v_cndmask_b32_e64 v2, 0, 1.0, s[34:35]
	v_cvt_f16_f32_e32 v2, v2
	global_store_dword v[0:1], v2, off
.LBB22_777:
	s_mov_b64 s[36:37], 0
.LBB22_778:
	s_andn2_b64 vcc, exec, s[36:37]
	s_cbranch_vccnz .LBB22_787
; %bb.779:
	s_cmp_lt_i32 s38, 6
	s_mov_b64 s[36:37], -1
	s_cbranch_scc1 .LBB22_785
; %bb.780:
	s_cmp_gt_i32 s38, 6
	s_cbranch_scc0 .LBB22_782
; %bb.781:
	v_cndmask_b32_e64 v2, 0, 1, s[34:35]
	v_cvt_f64_u32_e32 v[2:3], v2
	s_mov_b64 s[36:37], 0
	global_store_dwordx2 v[0:1], v[2:3], off
.LBB22_782:
	s_andn2_b64 vcc, exec, s[36:37]
	s_cbranch_vccnz .LBB22_784
; %bb.783:
	v_cndmask_b32_e64 v2, 0, 1.0, s[34:35]
	global_store_dword v[0:1], v2, off
.LBB22_784:
	s_mov_b64 s[36:37], 0
.LBB22_785:
	s_andn2_b64 vcc, exec, s[36:37]
	s_cbranch_vccnz .LBB22_787
; %bb.786:
	v_cndmask_b32_e64 v2, 0, 1.0, s[34:35]
	v_cvt_f16_f32_e32 v2, v2
	global_store_short v[0:1], v2, off
.LBB22_787:
	s_mov_b64 s[36:37], 0
.LBB22_788:
	s_andn2_b64 vcc, exec, s[36:37]
	s_cbranch_vccnz .LBB22_804
; %bb.789:
	s_cmp_lt_i32 s38, 2
	s_mov_b64 s[36:37], -1
	s_cbranch_scc1 .LBB22_799
; %bb.790:
	s_cmp_lt_i32 s38, 3
	s_cbranch_scc1 .LBB22_796
; %bb.791:
	s_cmp_gt_i32 s38, 3
	s_cbranch_scc0 .LBB22_793
; %bb.792:
	s_mov_b32 s36, 0
	v_cndmask_b32_e64 v2, 0, 1, s[34:35]
	v_mov_b32_e32 v3, s36
	s_mov_b64 s[36:37], 0
	global_store_dwordx2 v[0:1], v[2:3], off
.LBB22_793:
	s_andn2_b64 vcc, exec, s[36:37]
	s_cbranch_vccnz .LBB22_795
; %bb.794:
	v_cndmask_b32_e64 v2, 0, 1, s[34:35]
	global_store_dword v[0:1], v2, off
.LBB22_795:
	s_mov_b64 s[36:37], 0
.LBB22_796:
	s_andn2_b64 vcc, exec, s[36:37]
	s_cbranch_vccnz .LBB22_798
; %bb.797:
	v_cndmask_b32_e64 v2, 0, 1, s[34:35]
	global_store_short v[0:1], v2, off
.LBB22_798:
	s_mov_b64 s[36:37], 0
.LBB22_799:
	s_andn2_b64 vcc, exec, s[36:37]
	s_cbranch_vccnz .LBB22_804
; %bb.800:
	s_mov_b64 s[36:37], -1
	s_cmp_gt_i32 s38, 0
	v_cndmask_b32_e64 v2, 0, 1, s[34:35]
	s_cbranch_scc0 .LBB22_802
; %bb.801:
	s_mov_b64 s[36:37], 0
	global_store_byte v[0:1], v2, off
.LBB22_802:
	s_andn2_b64 vcc, exec, s[36:37]
	s_cbranch_vccnz .LBB22_804
; %bb.803:
	global_store_byte v[0:1], v2, off
.LBB22_804:
	s_mov_b64 s[36:37], -1
.LBB22_805:
	s_andn2_b64 vcc, exec, s[36:37]
	s_cbranch_vccnz .LBB22_807
; %bb.806:
	v_add_u32_e32 v4, 0x80, v4
	s_mov_b64 s[36:37], -1
	s_branch .LBB22_808
.LBB22_807:
	s_mov_b64 s[36:37], 0
                                        ; implicit-def: $vgpr4
.LBB22_808:
	s_andn2_b64 s[34:35], s[24:25], exec
	s_and_b64 s[0:1], s[0:1], exec
	s_or_b64 s[34:35], s[34:35], s[0:1]
	s_andn2_b64 s[0:1], s[22:23], exec
	s_and_b64 s[30:31], s[30:31], exec
	s_or_b64 s[0:1], s[0:1], s[30:31]
	s_orn2_b64 s[38:39], s[36:37], exec
.LBB22_809:
	s_or_b64 exec, exec, s[28:29]
	s_mov_b64 s[36:37], 0
	s_mov_b64 s[30:31], 0
	s_mov_b64 s[40:41], 0
                                        ; implicit-def: $vgpr0_vgpr1
                                        ; implicit-def: $vgpr2
	s_and_saveexec_b64 s[28:29], s[38:39]
	s_cbranch_execz .LBB22_890
; %bb.810:
	v_cmp_gt_i32_e32 vcc, s33, v4
	s_mov_b64 s[38:39], 0
	s_mov_b64 s[42:43], s[0:1]
	;; [unrolled: 1-line block ×3, first 2 shown]
                                        ; implicit-def: $vgpr0_vgpr1
                                        ; implicit-def: $vgpr2
	s_and_saveexec_b64 s[30:31], vcc
	s_cbranch_execz .LBB22_889
; %bb.811:
	v_mul_lo_u32 v0, v4, s13
	v_mov_b32_e32 v1, s11
	s_and_b32 s33, 0xffff, s15
	s_cmp_lt_i32 s33, 11
	s_waitcnt vmcnt(0)
	v_ashrrev_i32_e32 v2, 31, v0
	v_add_co_u32_e32 v0, vcc, s10, v0
	v_addc_co_u32_e32 v1, vcc, v1, v2, vcc
	s_cbranch_scc1 .LBB22_818
; %bb.812:
	s_cmp_gt_i32 s33, 25
	s_cbranch_scc0 .LBB22_819
; %bb.813:
	s_cmp_gt_i32 s33, 28
	s_cbranch_scc0 .LBB22_820
	;; [unrolled: 3-line block ×4, first 2 shown]
; %bb.816:
	s_cmp_eq_u32 s33, 46
	s_mov_b64 s[42:43], 0
	s_cbranch_scc0 .LBB22_827
; %bb.817:
	global_load_dword v2, v[0:1], off
	s_mov_b64 s[40:41], -1
	s_waitcnt vmcnt(0)
	v_lshlrev_b32_e32 v2, 16, v2
	v_cvt_i32_f32_e32 v2, v2
	s_branch .LBB22_829
.LBB22_818:
	s_mov_b64 s[42:43], -1
                                        ; implicit-def: $vgpr2
	s_mov_b64 s[36:37], s[0:1]
	s_branch .LBB22_888
.LBB22_819:
	s_mov_b64 s[42:43], -1
	s_mov_b64 s[36:37], s[0:1]
                                        ; implicit-def: $vgpr2
	s_branch .LBB22_856
.LBB22_820:
	s_mov_b64 s[42:43], -1
	s_mov_b64 s[36:37], s[0:1]
                                        ; implicit-def: $vgpr2
	s_branch .LBB22_839
.LBB22_821:
	s_mov_b64 s[42:43], -1
	s_mov_b64 s[36:37], s[0:1]
                                        ; implicit-def: $vgpr2
	s_branch .LBB22_834
.LBB22_822:
	s_andn2_saveexec_b64 s[40:41], s[40:41]
	s_cbranch_execz .LBB22_718
.LBB22_823:
	v_add_f32_e32 v2, 0x46000000, v3
	v_and_b32_e32 v2, 0xff, v2
	v_cmp_ne_u32_e32 vcc, 0, v2
	s_andn2_b64 s[38:39], s[38:39], exec
	s_and_b64 s[44:45], vcc, exec
	s_or_b64 s[38:39], s[38:39], s[44:45]
	s_or_b64 exec, exec, s[40:41]
	v_mov_b32_e32 v5, 0
	s_and_saveexec_b64 s[40:41], s[38:39]
	s_cbranch_execnz .LBB22_719
	s_branch .LBB22_720
.LBB22_824:
	s_mov_b64 s[42:43], -1
	s_mov_b64 s[36:37], s[0:1]
	s_branch .LBB22_828
.LBB22_825:
	s_andn2_saveexec_b64 s[40:41], s[40:41]
	s_cbranch_execz .LBB22_731
.LBB22_826:
	v_add_f32_e32 v2, 0x42800000, v3
	v_and_b32_e32 v2, 0xff, v2
	v_cmp_ne_u32_e32 vcc, 0, v2
	s_andn2_b64 s[38:39], s[38:39], exec
	s_and_b64 s[44:45], vcc, exec
	s_or_b64 s[38:39], s[38:39], s[44:45]
	s_or_b64 exec, exec, s[40:41]
	v_mov_b32_e32 v5, 0
	s_and_saveexec_b64 s[40:41], s[38:39]
	s_cbranch_execnz .LBB22_732
	s_branch .LBB22_733
.LBB22_827:
	s_mov_b64 s[36:37], -1
.LBB22_828:
                                        ; implicit-def: $vgpr2
.LBB22_829:
	s_and_b64 vcc, exec, s[42:43]
	s_cbranch_vccz .LBB22_833
; %bb.830:
	s_cmp_eq_u32 s33, 44
	s_cbranch_scc0 .LBB22_832
; %bb.831:
	global_load_ubyte v2, v[0:1], off
	s_mov_b64 s[36:37], 0
	s_mov_b64 s[40:41], -1
	s_waitcnt vmcnt(0)
	v_lshlrev_b32_e32 v3, 23, v2
	v_cvt_i32_f32_e32 v3, v3
	v_cmp_ne_u32_e32 vcc, 0, v2
	v_cndmask_b32_e32 v2, 0, v3, vcc
	s_branch .LBB22_833
.LBB22_832:
	s_mov_b64 s[36:37], -1
                                        ; implicit-def: $vgpr2
.LBB22_833:
	s_mov_b64 s[42:43], 0
.LBB22_834:
	s_and_b64 vcc, exec, s[42:43]
	s_cbranch_vccz .LBB22_838
; %bb.835:
	s_cmp_eq_u32 s33, 29
	s_cbranch_scc0 .LBB22_837
; %bb.836:
	global_load_dwordx2 v[2:3], v[0:1], off
	s_mov_b64 s[36:37], 0
	s_mov_b64 s[40:41], -1
	s_branch .LBB22_838
.LBB22_837:
	s_mov_b64 s[36:37], -1
                                        ; implicit-def: $vgpr2
.LBB22_838:
	s_mov_b64 s[42:43], 0
.LBB22_839:
	s_and_b64 vcc, exec, s[42:43]
	s_cbranch_vccz .LBB22_855
; %bb.840:
	s_cmp_lt_i32 s33, 27
	s_cbranch_scc1 .LBB22_843
; %bb.841:
	s_cmp_gt_i32 s33, 27
	s_cbranch_scc0 .LBB22_844
; %bb.842:
	global_load_dword v2, v[0:1], off
	s_mov_b64 s[40:41], 0
	s_branch .LBB22_845
.LBB22_843:
	s_mov_b64 s[40:41], -1
                                        ; implicit-def: $vgpr2
	s_branch .LBB22_848
.LBB22_844:
	s_mov_b64 s[40:41], -1
                                        ; implicit-def: $vgpr2
.LBB22_845:
	s_andn2_b64 vcc, exec, s[40:41]
	s_cbranch_vccnz .LBB22_847
; %bb.846:
	global_load_ushort v2, v[0:1], off
.LBB22_847:
	s_mov_b64 s[40:41], 0
.LBB22_848:
	s_andn2_b64 vcc, exec, s[40:41]
	s_cbranch_vccnz .LBB22_854
; %bb.849:
	global_load_ubyte v3, v[0:1], off
	s_movk_i32 s40, 0x7f
	s_mov_b64 s[42:43], 0
	s_waitcnt vmcnt(0)
	v_cmp_lt_i16_e32 vcc, s40, v3
	s_and_saveexec_b64 s[40:41], vcc
	s_xor_b64 s[40:41], exec, s[40:41]
	s_cbranch_execz .LBB22_866
; %bb.850:
	s_movk_i32 s42, 0x80
	v_cmp_ne_u16_e32 vcc, s42, v3
	s_and_b64 s[42:43], vcc, exec
	s_andn2_saveexec_b64 s[40:41], s[40:41]
	s_cbranch_execnz .LBB22_867
.LBB22_851:
	s_or_b64 exec, exec, s[40:41]
	v_mov_b32_e32 v2, 0
	s_and_saveexec_b64 s[40:41], s[42:43]
	s_cbranch_execz .LBB22_853
.LBB22_852:
	v_lshlrev_b32_e32 v2, 24, v3
	v_and_b32_e32 v3, 0xffff, v3
	v_and_b32_e32 v5, 7, v3
	v_ffbh_u32_e32 v7, v5
	v_min_u32_e32 v7, 32, v7
	v_subrev_u32_e32 v8, 28, v7
	v_bfe_u32 v6, v3, 3, 4
	v_lshlrev_b32_e32 v3, v8, v3
	v_sub_u32_e32 v7, 29, v7
	v_and_b32_e32 v3, 7, v3
	v_cmp_eq_u32_e32 vcc, 0, v6
	v_cndmask_b32_e32 v6, v6, v7, vcc
	v_cndmask_b32_e32 v3, v5, v3, vcc
	v_mov_b32_e32 v5, 0x3b800000
	v_lshlrev_b32_e32 v3, 20, v3
	v_and_b32_e32 v2, 0x80000000, v2
	v_lshl_add_u32 v5, v6, 23, v5
	v_or3_b32 v2, v2, v5, v3
	v_cvt_i32_f32_e32 v2, v2
.LBB22_853:
	s_or_b64 exec, exec, s[40:41]
.LBB22_854:
	s_mov_b64 s[40:41], -1
.LBB22_855:
	s_mov_b64 s[42:43], 0
.LBB22_856:
	s_and_b64 vcc, exec, s[42:43]
	s_cbranch_vccz .LBB22_887
; %bb.857:
	s_cmp_gt_i32 s33, 22
	s_cbranch_scc0 .LBB22_865
; %bb.858:
	s_cmp_lt_i32 s33, 24
	s_cbranch_scc1 .LBB22_868
; %bb.859:
	s_cmp_gt_i32 s33, 24
	s_cbranch_scc0 .LBB22_869
; %bb.860:
	global_load_ubyte v3, v[0:1], off
	s_movk_i32 s38, 0x7f
	s_mov_b64 s[40:41], 0
	s_waitcnt vmcnt(0)
	v_cmp_lt_i16_e32 vcc, s38, v3
	s_and_saveexec_b64 s[38:39], vcc
	s_xor_b64 s[38:39], exec, s[38:39]
	s_cbranch_execz .LBB22_881
; %bb.861:
	s_movk_i32 s40, 0x80
	v_cmp_ne_u16_e32 vcc, s40, v3
	s_and_b64 s[40:41], vcc, exec
	s_andn2_saveexec_b64 s[38:39], s[38:39]
	s_cbranch_execnz .LBB22_882
.LBB22_862:
	s_or_b64 exec, exec, s[38:39]
	v_mov_b32_e32 v2, 0
	s_and_saveexec_b64 s[38:39], s[40:41]
	s_cbranch_execz .LBB22_864
.LBB22_863:
	v_lshlrev_b32_e32 v2, 24, v3
	v_and_b32_e32 v3, 0xffff, v3
	v_and_b32_e32 v5, 3, v3
	v_ffbh_u32_e32 v7, v5
	v_min_u32_e32 v7, 32, v7
	v_subrev_u32_e32 v8, 29, v7
	v_bfe_u32 v6, v3, 2, 5
	v_lshlrev_b32_e32 v3, v8, v3
	v_sub_u32_e32 v7, 30, v7
	v_and_b32_e32 v3, 3, v3
	v_cmp_eq_u32_e32 vcc, 0, v6
	v_cndmask_b32_e32 v6, v6, v7, vcc
	v_cndmask_b32_e32 v3, v5, v3, vcc
	v_mov_b32_e32 v5, 0x37800000
	v_lshlrev_b32_e32 v3, 21, v3
	v_and_b32_e32 v2, 0x80000000, v2
	v_lshl_add_u32 v5, v6, 23, v5
	v_or3_b32 v2, v2, v5, v3
	v_cvt_i32_f32_e32 v2, v2
.LBB22_864:
	s_or_b64 exec, exec, s[38:39]
	s_mov_b64 s[38:39], 0
	s_branch .LBB22_870
.LBB22_865:
	s_mov_b64 s[38:39], -1
                                        ; implicit-def: $vgpr2
	s_branch .LBB22_876
.LBB22_866:
	s_andn2_saveexec_b64 s[40:41], s[40:41]
	s_cbranch_execz .LBB22_851
.LBB22_867:
	v_cmp_ne_u16_e32 vcc, 0, v3
	s_andn2_b64 s[42:43], s[42:43], exec
	s_and_b64 s[44:45], vcc, exec
	s_or_b64 s[42:43], s[42:43], s[44:45]
	s_or_b64 exec, exec, s[40:41]
	v_mov_b32_e32 v2, 0
	s_and_saveexec_b64 s[40:41], s[42:43]
	s_cbranch_execnz .LBB22_852
	s_branch .LBB22_853
.LBB22_868:
	s_mov_b64 s[38:39], -1
                                        ; implicit-def: $vgpr2
	s_branch .LBB22_873
.LBB22_869:
	s_mov_b64 s[38:39], -1
                                        ; implicit-def: $vgpr2
.LBB22_870:
	s_and_b64 vcc, exec, s[38:39]
	s_cbranch_vccz .LBB22_872
; %bb.871:
	global_load_ubyte v2, v[0:1], off
	s_mov_b32 s38, 0x7f800000
	s_waitcnt vmcnt(0)
	v_lshlrev_b32_e32 v2, 24, v2
	v_and_b32_e32 v3, 0x7f000000, v2
	v_ffbh_u32_e32 v5, v3
	v_min_u32_e32 v5, 32, v5
	v_sub_u32_e64 v5, v5, 4 clamp
	v_lshlrev_b32_e32 v7, v5, v3
	v_lshlrev_b32_e32 v5, 23, v5
	v_lshrrev_b32_e32 v7, 4, v7
	v_add_u32_e32 v6, 0x1000000, v3
	v_sub_u32_e32 v5, v7, v5
	v_ashrrev_i32_e32 v6, 8, v6
	v_add_u32_e32 v5, 0x3c000000, v5
	v_and_or_b32 v5, v6, s38, v5
	v_cmp_ne_u32_e32 vcc, 0, v3
	v_cndmask_b32_e32 v3, 0, v5, vcc
	s_brev_b32 s38, 1
	v_and_or_b32 v2, v2, s38, v3
	v_cvt_i32_f32_e32 v2, v2
.LBB22_872:
	s_mov_b64 s[38:39], 0
.LBB22_873:
	s_andn2_b64 vcc, exec, s[38:39]
	s_cbranch_vccnz .LBB22_875
; %bb.874:
	global_load_ubyte v2, v[0:1], off
	s_movk_i32 s38, 0x7f00
	s_brev_b32 s39, 16
	s_waitcnt vmcnt(0)
	v_lshlrev_b16_e32 v3, 8, v2
	v_lshlrev_b32_e32 v2, 25, v2
	v_lshrrev_b32_e32 v5, 4, v2
	v_and_or_b32 v6, v3, s38, 0.5
	v_or_b32_e32 v5, 0x70000000, v5
	v_add_f32_e32 v6, -0.5, v6
	v_mul_f32_e32 v5, 0x7800000, v5
	v_cmp_gt_u32_e32 vcc, s39, v2
	v_bfe_i32 v3, v3, 0, 16
	v_cndmask_b32_e32 v2, v5, v6, vcc
	s_brev_b32 s38, 1
	v_and_or_b32 v2, v3, s38, v2
	v_cvt_i32_f32_e32 v2, v2
.LBB22_875:
	s_mov_b64 s[38:39], 0
	s_mov_b64 s[40:41], -1
.LBB22_876:
	s_andn2_b64 vcc, exec, s[38:39]
	s_mov_b64 s[38:39], 0
	s_cbranch_vccnz .LBB22_887
; %bb.877:
	s_cmp_gt_i32 s33, 14
	s_cbranch_scc0 .LBB22_880
; %bb.878:
	s_cmp_eq_u32 s33, 15
	s_cbranch_scc0 .LBB22_883
; %bb.879:
	global_load_ushort v2, v[0:1], off
	s_mov_b64 s[36:37], 0
	s_mov_b64 s[40:41], -1
	s_waitcnt vmcnt(0)
	v_lshlrev_b32_e32 v2, 16, v2
	v_cvt_i32_f32_e32 v2, v2
	s_branch .LBB22_884
.LBB22_880:
	s_mov_b64 s[42:43], -1
                                        ; implicit-def: $vgpr2
	s_branch .LBB22_885
.LBB22_881:
	s_andn2_saveexec_b64 s[38:39], s[38:39]
	s_cbranch_execz .LBB22_862
.LBB22_882:
	v_cmp_ne_u16_e32 vcc, 0, v3
	s_andn2_b64 s[40:41], s[40:41], exec
	s_and_b64 s[42:43], vcc, exec
	s_or_b64 s[40:41], s[40:41], s[42:43]
	s_or_b64 exec, exec, s[38:39]
	v_mov_b32_e32 v2, 0
	s_and_saveexec_b64 s[38:39], s[40:41]
	s_cbranch_execnz .LBB22_863
	s_branch .LBB22_864
.LBB22_883:
	s_mov_b64 s[36:37], -1
                                        ; implicit-def: $vgpr2
.LBB22_884:
	s_mov_b64 s[42:43], 0
.LBB22_885:
	s_and_b64 vcc, exec, s[42:43]
	s_cbranch_vccz .LBB22_887
; %bb.886:
	s_cmp_lg_u32 s33, 11
	s_cselect_b64 s[42:43], -1, 0
	s_andn2_b64 s[36:37], s[36:37], exec
	s_and_b64 s[42:43], s[42:43], exec
	s_mov_b64 s[38:39], -1
	s_or_b64 s[36:37], s[36:37], s[42:43]
.LBB22_887:
	s_mov_b64 s[42:43], 0
.LBB22_888:
	s_and_b64 s[44:45], s[42:43], exec
	s_andn2_b64 s[42:43], s[0:1], exec
	s_and_b64 s[36:37], s[36:37], exec
	s_and_b64 s[40:41], s[40:41], exec
	;; [unrolled: 1-line block ×3, first 2 shown]
	s_or_b64 s[42:43], s[42:43], s[36:37]
.LBB22_889:
	s_or_b64 exec, exec, s[30:31]
	s_and_b64 s[36:37], s[38:39], exec
	s_andn2_b64 s[0:1], s[0:1], exec
	s_and_b64 s[38:39], s[42:43], exec
	s_and_b64 s[40:41], s[40:41], exec
	;; [unrolled: 1-line block ×3, first 2 shown]
	s_or_b64 s[0:1], s[0:1], s[38:39]
.LBB22_890:
	s_or_b64 exec, exec, s[28:29]
	s_andn2_b64 s[24:25], s[24:25], exec
	s_and_b64 s[28:29], s[34:35], exec
	s_andn2_b64 s[22:23], s[22:23], exec
	s_and_b64 s[0:1], s[0:1], exec
	s_or_b64 s[24:25], s[24:25], s[28:29]
	s_and_b64 s[34:35], s[40:41], exec
	s_and_b64 s[30:31], s[30:31], exec
	;; [unrolled: 1-line block ×3, first 2 shown]
	s_or_b64 s[22:23], s[22:23], s[0:1]
.LBB22_891:
	s_or_b64 exec, exec, s[26:27]
	s_andn2_b64 s[0:1], s[16:17], exec
	s_and_b64 s[16:17], s[24:25], exec
	s_andn2_b64 s[18:19], s[18:19], exec
	s_and_b64 s[22:23], s[22:23], exec
	s_or_b64 s[16:17], s[0:1], s[16:17]
	s_and_b64 s[0:1], s[34:35], exec
	s_and_b64 s[26:27], s[30:31], exec
	;; [unrolled: 1-line block ×3, first 2 shown]
	s_or_b64 s[18:19], s[18:19], s[22:23]
	s_or_b64 exec, exec, s[20:21]
	s_mov_b64 s[20:21], 0
	s_and_saveexec_b64 s[22:23], s[18:19]
	s_cbranch_execz .LBB22_274
.LBB22_892:
	s_mov_b64 s[20:21], exec
	s_andn2_b64 s[24:25], s[24:25], exec
	s_trap 2
	s_or_b64 exec, exec, s[22:23]
	s_and_saveexec_b64 s[18:19], s[24:25]
	s_xor_b64 s[18:19], exec, s[18:19]
	s_cbranch_execnz .LBB22_275
.LBB22_893:
	s_or_b64 exec, exec, s[18:19]
	s_and_saveexec_b64 s[18:19], s[26:27]
	s_cbranch_execz .LBB22_939
.LBB22_894:
	s_sext_i32_i16 s22, s15
	s_cmp_lt_i32 s22, 5
	s_cbranch_scc1 .LBB22_899
; %bb.895:
	s_cmp_lt_i32 s22, 8
	s_cbranch_scc1 .LBB22_900
; %bb.896:
	;; [unrolled: 3-line block ×3, first 2 shown]
	s_cmp_gt_i32 s22, 9
	s_cbranch_scc0 .LBB22_902
; %bb.898:
	global_load_dwordx2 v[2:3], v[0:1], off
	s_mov_b64 s[22:23], 0
	s_waitcnt vmcnt(0)
	v_cvt_i32_f64_e32 v2, v[2:3]
	s_branch .LBB22_903
.LBB22_899:
                                        ; implicit-def: $vgpr2
	s_branch .LBB22_920
.LBB22_900:
                                        ; implicit-def: $vgpr2
	s_branch .LBB22_909
.LBB22_901:
	s_mov_b64 s[22:23], -1
                                        ; implicit-def: $vgpr2
	s_branch .LBB22_906
.LBB22_902:
	s_mov_b64 s[22:23], -1
                                        ; implicit-def: $vgpr2
.LBB22_903:
	s_andn2_b64 vcc, exec, s[22:23]
	s_cbranch_vccnz .LBB22_905
; %bb.904:
	global_load_dword v2, v[0:1], off
	s_waitcnt vmcnt(0)
	v_cvt_i32_f32_e32 v2, v2
.LBB22_905:
	s_mov_b64 s[22:23], 0
.LBB22_906:
	s_andn2_b64 vcc, exec, s[22:23]
	s_cbranch_vccnz .LBB22_908
; %bb.907:
	global_load_dword v2, v[0:1], off
	s_waitcnt vmcnt(0)
	v_cvt_i16_f16_e32 v2, v2
.LBB22_908:
	s_cbranch_execnz .LBB22_919
.LBB22_909:
	s_sext_i32_i16 s22, s15
	s_cmp_lt_i32 s22, 6
	s_cbranch_scc1 .LBB22_912
; %bb.910:
	s_cmp_gt_i32 s22, 6
	s_cbranch_scc0 .LBB22_913
; %bb.911:
	global_load_dwordx2 v[2:3], v[0:1], off
	s_mov_b64 s[22:23], 0
	s_waitcnt vmcnt(0)
	v_cvt_i32_f64_e32 v2, v[2:3]
	s_branch .LBB22_914
.LBB22_912:
	s_mov_b64 s[22:23], -1
                                        ; implicit-def: $vgpr2
	s_branch .LBB22_917
.LBB22_913:
	s_mov_b64 s[22:23], -1
                                        ; implicit-def: $vgpr2
.LBB22_914:
	s_andn2_b64 vcc, exec, s[22:23]
	s_cbranch_vccnz .LBB22_916
; %bb.915:
	global_load_dword v2, v[0:1], off
	s_waitcnt vmcnt(0)
	v_cvt_i32_f32_e32 v2, v2
.LBB22_916:
	s_mov_b64 s[22:23], 0
.LBB22_917:
	s_andn2_b64 vcc, exec, s[22:23]
	s_cbranch_vccnz .LBB22_919
; %bb.918:
	global_load_ushort v2, v[0:1], off
	s_waitcnt vmcnt(0)
	v_cvt_i16_f16_e32 v2, v2
.LBB22_919:
	s_cbranch_execnz .LBB22_938
.LBB22_920:
	s_sext_i32_i16 s22, s15
	s_cmp_lt_i32 s22, 2
	s_cbranch_scc1 .LBB22_924
; %bb.921:
	s_cmp_lt_i32 s22, 3
	s_cbranch_scc1 .LBB22_925
; %bb.922:
	s_cmp_gt_i32 s22, 3
	s_cbranch_scc0 .LBB22_926
; %bb.923:
	global_load_dwordx2 v[2:3], v[0:1], off
	s_mov_b64 s[22:23], 0
	s_branch .LBB22_927
.LBB22_924:
                                        ; implicit-def: $vgpr2
	s_branch .LBB22_933
.LBB22_925:
	s_mov_b64 s[22:23], -1
                                        ; implicit-def: $vgpr2
	s_branch .LBB22_930
.LBB22_926:
	s_mov_b64 s[22:23], -1
                                        ; implicit-def: $vgpr2
.LBB22_927:
	s_andn2_b64 vcc, exec, s[22:23]
	s_cbranch_vccnz .LBB22_929
; %bb.928:
	global_load_dword v2, v[0:1], off
.LBB22_929:
	s_mov_b64 s[22:23], 0
.LBB22_930:
	s_andn2_b64 vcc, exec, s[22:23]
	s_cbranch_vccnz .LBB22_932
; %bb.931:
	global_load_ushort v2, v[0:1], off
.LBB22_932:
	s_cbranch_execnz .LBB22_938
.LBB22_933:
	s_sext_i32_i16 s22, s15
	s_cmp_gt_i32 s22, 0
	s_cbranch_scc0 .LBB22_935
; %bb.934:
	global_load_ubyte v2, v[0:1], off
	s_mov_b64 s[22:23], 0
	s_branch .LBB22_936
.LBB22_935:
	s_mov_b64 s[22:23], -1
                                        ; implicit-def: $vgpr2
.LBB22_936:
	s_andn2_b64 vcc, exec, s[22:23]
	s_cbranch_vccnz .LBB22_938
; %bb.937:
	global_load_ubyte v2, v[0:1], off
.LBB22_938:
	s_or_b64 s[0:1], s[0:1], exec
.LBB22_939:
	s_or_b64 exec, exec, s[18:19]
	s_mov_b64 s[26:27], 0
	s_mov_b64 s[24:25], 0
                                        ; implicit-def: $sgpr18_sgpr19
                                        ; implicit-def: $sgpr33
                                        ; implicit-def: $vgpr0_vgpr1
	s_and_saveexec_b64 s[22:23], s[0:1]
	s_cbranch_execz .LBB22_944
; %bb.940:
	s_cmp_lt_i32 s14, 1
	s_mov_b64 s[0:1], 0
	s_cbranch_scc1 .LBB22_947
; %bb.941:
	s_cmp_gt_i32 s14, 1
	s_cbranch_scc0 .LBB22_948
; %bb.942:
	s_cmp_eq_u32 s14, 2
	s_cbranch_scc0 .LBB22_949
; %bb.943:
	s_waitcnt vmcnt(0)
	v_cmp_le_i16_sdwa s[18:19], sext(v2), s2 src0_sel:BYTE_0 src1_sel:DWORD
	s_branch .LBB22_951
.LBB22_944:
	s_or_b64 exec, exec, s[22:23]
	s_and_saveexec_b64 s[0:1], s[16:17]
	s_cbranch_execnz .LBB22_1036
.LBB22_945:
	s_or_b64 exec, exec, s[0:1]
	s_and_saveexec_b64 s[0:1], s[26:27]
	s_xor_b64 s[0:1], exec, s[0:1]
	s_cbranch_execz .LBB22_1037
.LBB22_946:
	s_waitcnt vmcnt(0)
	v_cndmask_b32_e64 v2, 0, 1, s[18:19]
	global_store_byte v[0:1], v2, off
	s_or_b64 exec, exec, s[0:1]
	s_and_saveexec_b64 s[0:1], s[24:25]
	s_xor_b64 s[0:1], exec, s[0:1]
	s_cbranch_execz .LBB22_1075
	s_branch .LBB22_1038
.LBB22_947:
                                        ; implicit-def: $sgpr18_sgpr19
	s_cbranch_execnz .LBB22_954
	s_branch .LBB22_955
.LBB22_948:
	s_mov_b64 s[26:27], -1
	s_branch .LBB22_950
.LBB22_949:
	s_mov_b64 s[24:25], -1
.LBB22_950:
                                        ; implicit-def: $sgpr18_sgpr19
.LBB22_951:
	s_and_b64 vcc, exec, s[26:27]
	s_cbranch_vccz .LBB22_953
; %bb.952:
	s_waitcnt vmcnt(0)
	v_cmp_gt_i16_sdwa s[26:27], sext(v2), s2 src0_sel:BYTE_0 src1_sel:DWORD
	s_andn2_b64 s[18:19], s[18:19], exec
	s_and_b64 s[26:27], s[26:27], exec
	s_or_b64 s[18:19], s[18:19], s[26:27]
.LBB22_953:
	s_branch .LBB22_955
.LBB22_954:
	s_cmp_lg_u32 s14, 0
	s_mov_b64 s[0:1], -1
	s_cselect_b64 s[24:25], -1, 0
.LBB22_955:
	s_andn2_b64 vcc, exec, s[24:25]
	s_cbranch_vccnz .LBB22_957
; %bb.956:
	s_waitcnt vmcnt(0)
	v_cmp_lt_i16_sdwa s[24:25], sext(v2), s2 src0_sel:BYTE_0 src1_sel:DWORD
	s_andn2_b64 s[18:19], s[18:19], exec
	s_and_b64 s[24:25], s[24:25], exec
	s_or_b64 s[18:19], s[18:19], s[24:25]
	s_cbranch_execz .LBB22_958
	s_branch .LBB22_959
.LBB22_957:
	s_andn2_b64 vcc, exec, s[0:1]
	s_cbranch_vccnz .LBB22_959
.LBB22_958:
	s_waitcnt vmcnt(0)
	v_cmp_ge_i16_sdwa s[0:1], sext(v2), s2 src0_sel:BYTE_0 src1_sel:DWORD
	s_andn2_b64 s[18:19], s[18:19], exec
	s_and_b64 s[0:1], s[0:1], exec
	s_or_b64 s[18:19], s[18:19], s[0:1]
.LBB22_959:
	v_mul_lo_u32 v0, v4, s12
	v_mov_b32_e32 v1, s9
	s_and_b32 s33, s3, 0xff
	s_cmp_lt_i32 s33, 11
	s_waitcnt vmcnt(0)
	v_ashrrev_i32_e32 v2, 31, v0
	v_add_co_u32_e32 v0, vcc, s8, v0
	v_addc_co_u32_e32 v1, vcc, v1, v2, vcc
	s_cbranch_scc1 .LBB22_1033
; %bb.960:
	s_and_b32 s34, 0xffff, s33
	s_mov_b64 s[26:27], -1
	s_cmp_gt_i32 s34, 25
	s_mov_b64 s[0:1], s[16:17]
	s_cbranch_scc0 .LBB22_993
; %bb.961:
	s_mov_b64 s[24:25], -1
	s_cmp_gt_i32 s34, 28
	s_mov_b64 s[0:1], s[16:17]
	s_cbranch_scc0 .LBB22_977
; %bb.962:
	s_cmp_gt_i32 s34, 43
	s_mov_b64 s[0:1], s[16:17]
	s_cbranch_scc0 .LBB22_973
; %bb.963:
	;; [unrolled: 4-line block ×3, first 2 shown]
	s_cmp_eq_u32 s34, 46
	s_mov_b64 s[0:1], -1
	s_cbranch_scc0 .LBB22_966
; %bb.965:
	v_cndmask_b32_e64 v2, 0, 1.0, s[18:19]
	v_bfe_u32 v3, v2, 16, 1
	s_movk_i32 s0, 0x7fff
	v_add3_u32 v2, v2, v3, s0
	v_lshrrev_b32_e32 v2, 16, v2
	global_store_dword v[0:1], v2, off
	s_mov_b64 s[0:1], 0
.LBB22_966:
	s_mov_b64 s[24:25], 0
.LBB22_967:
	s_and_b64 vcc, exec, s[24:25]
	s_cbranch_vccz .LBB22_972
; %bb.968:
	s_cmp_eq_u32 s34, 44
	s_mov_b64 s[0:1], -1
	s_cbranch_scc0 .LBB22_972
; %bb.969:
	v_cndmask_b32_e64 v3, 0, 1.0, s[18:19]
	v_lshrrev_b32_e32 v2, 23, v3
	s_movk_i32 s0, 0xff
	v_cmp_ne_u32_e32 vcc, s0, v2
	v_mov_b32_e32 v4, 0xff
	s_and_saveexec_b64 s[24:25], vcc
; %bb.970:
	s_mov_b32 s0, 0x3fffff
	v_and_b32_e32 v4, 0x400000, v3
	v_and_or_b32 v3, v3, s0, v2
	v_cmp_ne_u32_e32 vcc, 0, v4
	v_cmp_ne_u32_e64 s[0:1], 0, v3
	s_and_b64 s[0:1], vcc, s[0:1]
	v_cndmask_b32_e64 v3, 0, 1, s[0:1]
	v_add_u32_e32 v4, v2, v3
; %bb.971:
	s_or_b64 exec, exec, s[24:25]
	s_mov_b64 s[0:1], 0
	global_store_byte v[0:1], v4, off
.LBB22_972:
	s_mov_b64 s[24:25], 0
.LBB22_973:
	s_and_b64 vcc, exec, s[24:25]
	s_cbranch_vccz .LBB22_976
; %bb.974:
	s_cmp_eq_u32 s34, 29
	s_mov_b64 s[0:1], -1
	s_cbranch_scc0 .LBB22_976
; %bb.975:
	s_mov_b32 s0, 0
	v_cndmask_b32_e64 v2, 0, 1, s[18:19]
	v_mov_b32_e32 v3, s0
	global_store_dwordx2 v[0:1], v[2:3], off
	s_mov_b64 s[0:1], 0
.LBB22_976:
	s_mov_b64 s[24:25], 0
.LBB22_977:
	s_and_b64 vcc, exec, s[24:25]
	s_cbranch_vccz .LBB22_992
; %bb.978:
	s_cmp_lt_i32 s34, 27
	s_mov_b64 s[24:25], -1
	s_cbranch_scc1 .LBB22_984
; %bb.979:
	s_cmp_gt_i32 s34, 27
	v_cndmask_b32_e64 v2, 0, 1, s[18:19]
	s_cbranch_scc0 .LBB22_981
; %bb.980:
	s_mov_b64 s[24:25], 0
	global_store_dword v[0:1], v2, off
.LBB22_981:
	s_andn2_b64 vcc, exec, s[24:25]
	s_cbranch_vccnz .LBB22_983
; %bb.982:
	global_store_short v[0:1], v2, off
.LBB22_983:
	s_mov_b64 s[24:25], 0
.LBB22_984:
	s_andn2_b64 vcc, exec, s[24:25]
	s_cbranch_vccnz .LBB22_992
; %bb.985:
	v_cndmask_b32_e64 v3, 0, 1.0, s[18:19]
	s_mov_b32 s24, 0x43800000
	v_cmp_gt_u32_e32 vcc, s24, v3
	v_mov_b32_e32 v4, 0x80
	s_and_saveexec_b64 s[24:25], vcc
	s_cbranch_execz .LBB22_991
; %bb.986:
	s_mov_b32 s26, 0x3bffffff
	v_cmp_lt_u32_e32 vcc, s26, v3
	s_mov_b64 s[26:27], 0
                                        ; implicit-def: $vgpr2
	s_and_saveexec_b64 s[28:29], vcc
	s_xor_b64 s[28:29], exec, s[28:29]
	s_cbranch_execz .LBB22_1090
; %bb.987:
	v_bfe_u32 v2, v3, 20, 1
	s_mov_b32 s30, 0x487ffff
	v_add3_u32 v2, v3, v2, s30
	s_mov_b64 s[26:27], exec
	v_lshrrev_b32_e32 v2, 20, v2
                                        ; implicit-def: $vgpr3
	s_andn2_saveexec_b64 s[28:29], s[28:29]
	s_cbranch_execnz .LBB22_1091
.LBB22_988:
	s_or_b64 exec, exec, s[28:29]
	v_mov_b32_e32 v4, 0
	s_and_saveexec_b64 s[28:29], s[26:27]
.LBB22_989:
	v_mov_b32_e32 v4, v2
.LBB22_990:
	s_or_b64 exec, exec, s[28:29]
.LBB22_991:
	s_or_b64 exec, exec, s[24:25]
	global_store_byte v[0:1], v4, off
.LBB22_992:
	s_mov_b64 s[26:27], 0
.LBB22_993:
	s_mov_b64 s[24:25], 0
	s_and_b64 vcc, exec, s[26:27]
	s_cbranch_vccz .LBB22_1034
; %bb.994:
	s_cmp_gt_i32 s34, 22
	s_mov_b64 s[26:27], -1
	s_cbranch_scc0 .LBB22_1026
; %bb.995:
	s_cmp_lt_i32 s34, 24
	s_cbranch_scc1 .LBB22_1015
; %bb.996:
	s_cmp_gt_i32 s34, 24
	s_cbranch_scc0 .LBB22_1004
; %bb.997:
	v_cndmask_b32_e64 v3, 0, 1.0, s[18:19]
	s_mov_b32 s26, 0x47800000
	v_cmp_gt_u32_e32 vcc, s26, v3
	v_mov_b32_e32 v4, 0x80
	s_and_saveexec_b64 s[26:27], vcc
	s_cbranch_execz .LBB22_1003
; %bb.998:
	s_mov_b32 s28, 0x37ffffff
	v_cmp_lt_u32_e32 vcc, s28, v3
	s_mov_b64 s[28:29], 0
                                        ; implicit-def: $vgpr2
	s_and_saveexec_b64 s[30:31], vcc
	s_xor_b64 s[30:31], exec, s[30:31]
	s_cbranch_execz .LBB22_1225
; %bb.999:
	v_bfe_u32 v2, v3, 21, 1
	s_mov_b32 s35, 0x88fffff
	v_add3_u32 v2, v3, v2, s35
	s_mov_b64 s[28:29], exec
	v_lshrrev_b32_e32 v2, 21, v2
                                        ; implicit-def: $vgpr3
	s_andn2_saveexec_b64 s[30:31], s[30:31]
	s_cbranch_execnz .LBB22_1226
.LBB22_1000:
	s_or_b64 exec, exec, s[30:31]
	v_mov_b32_e32 v4, 0
	s_and_saveexec_b64 s[30:31], s[28:29]
.LBB22_1001:
	v_mov_b32_e32 v4, v2
.LBB22_1002:
	s_or_b64 exec, exec, s[30:31]
.LBB22_1003:
	s_or_b64 exec, exec, s[26:27]
	s_mov_b64 s[26:27], 0
	global_store_byte v[0:1], v4, off
.LBB22_1004:
	s_and_b64 vcc, exec, s[26:27]
	s_cbranch_vccz .LBB22_1014
; %bb.1005:
	v_cndmask_b32_e64 v2, 0, 1.0, s[18:19]
	s_mov_b32 s26, 0x43f00000
	v_cmp_gt_u32_e32 vcc, s26, v2
                                        ; implicit-def: $vgpr3
	s_and_saveexec_b64 s[26:27], vcc
	s_xor_b64 s[26:27], exec, s[26:27]
	s_cbranch_execz .LBB22_1011
; %bb.1006:
	s_mov_b32 s28, 0x3c7fffff
	v_cmp_lt_u32_e32 vcc, s28, v2
                                        ; implicit-def: $vgpr3
	s_and_saveexec_b64 s[28:29], vcc
	s_xor_b64 s[28:29], exec, s[28:29]
; %bb.1007:
	v_bfe_u32 v3, v2, 20, 1
	s_mov_b32 s30, 0x407ffff
	v_add3_u32 v2, v2, v3, s30
	v_lshrrev_b32_e32 v3, 20, v2
	v_and_b32_e32 v2, 0xff00000, v2
	s_mov_b32 s30, 0x7f00000
	v_mov_b32_e32 v4, 0x7e
	v_cmp_ne_u32_e32 vcc, s30, v2
	v_cndmask_b32_e32 v3, v4, v3, vcc
                                        ; implicit-def: $vgpr2
; %bb.1008:
	s_andn2_saveexec_b64 s[28:29], s[28:29]
; %bb.1009:
	v_add_f32_e32 v3, 0x46800000, v2
; %bb.1010:
	s_or_b64 exec, exec, s[28:29]
                                        ; implicit-def: $vgpr2
.LBB22_1011:
	s_andn2_saveexec_b64 s[26:27], s[26:27]
; %bb.1012:
	s_mov_b32 s28, 0x7f800000
	v_mov_b32_e32 v3, 0x7e
	v_mov_b32_e32 v4, 0x7f
	v_cmp_lt_u32_e32 vcc, s28, v2
	v_cndmask_b32_e32 v3, v3, v4, vcc
; %bb.1013:
	s_or_b64 exec, exec, s[26:27]
	global_store_byte v[0:1], v3, off
.LBB22_1014:
	s_mov_b64 s[26:27], 0
.LBB22_1015:
	s_andn2_b64 vcc, exec, s[26:27]
	s_cbranch_vccnz .LBB22_1025
; %bb.1016:
	v_cndmask_b32_e64 v2, 0, 1.0, s[18:19]
	s_mov_b32 s26, 0x47800000
	v_cmp_gt_u32_e32 vcc, s26, v2
                                        ; implicit-def: $vgpr3
	s_and_saveexec_b64 s[26:27], vcc
	s_xor_b64 s[26:27], exec, s[26:27]
	s_cbranch_execz .LBB22_1022
; %bb.1017:
	s_mov_b32 s28, 0x387fffff
	v_cmp_lt_u32_e32 vcc, s28, v2
                                        ; implicit-def: $vgpr3
	s_and_saveexec_b64 s[28:29], vcc
	s_xor_b64 s[28:29], exec, s[28:29]
; %bb.1018:
	v_bfe_u32 v3, v2, 21, 1
	s_mov_b32 s30, 0x80fffff
	v_add3_u32 v2, v2, v3, s30
	v_lshrrev_b32_e32 v3, 21, v2
                                        ; implicit-def: $vgpr2
; %bb.1019:
	s_andn2_saveexec_b64 s[28:29], s[28:29]
; %bb.1020:
	v_add_f32_e32 v3, 0x43000000, v2
; %bb.1021:
	s_or_b64 exec, exec, s[28:29]
                                        ; implicit-def: $vgpr2
.LBB22_1022:
	s_andn2_saveexec_b64 s[26:27], s[26:27]
; %bb.1023:
	s_mov_b32 s28, 0x7f800000
	v_mov_b32_e32 v3, 0x7c
	v_mov_b32_e32 v4, 0x7f
	v_cmp_lt_u32_e32 vcc, s28, v2
	v_cndmask_b32_e32 v3, v3, v4, vcc
; %bb.1024:
	s_or_b64 exec, exec, s[26:27]
	global_store_byte v[0:1], v3, off
.LBB22_1025:
	s_mov_b64 s[26:27], 0
.LBB22_1026:
	s_andn2_b64 vcc, exec, s[26:27]
	s_mov_b64 s[26:27], 0
	s_cbranch_vccnz .LBB22_1035
; %bb.1027:
	s_cmp_gt_i32 s34, 14
	s_mov_b64 s[28:29], -1
	s_cbranch_scc0 .LBB22_1031
; %bb.1028:
	s_cmp_eq_u32 s34, 15
	s_mov_b64 s[0:1], -1
	s_cbranch_scc0 .LBB22_1030
; %bb.1029:
	v_cndmask_b32_e64 v2, 0, 1.0, s[18:19]
	v_bfe_u32 v3, v2, 16, 1
	s_movk_i32 s0, 0x7fff
	v_add3_u32 v2, v2, v3, s0
	global_store_short_d16_hi v[0:1], v2, off
	s_mov_b64 s[0:1], 0
.LBB22_1030:
	s_mov_b64 s[28:29], 0
.LBB22_1031:
	s_and_b64 vcc, exec, s[28:29]
	s_cbranch_vccz .LBB22_1035
; %bb.1032:
	s_cmp_lg_u32 s34, 11
	s_cselect_b64 s[28:29], -1, 0
	s_andn2_b64 s[0:1], s[0:1], exec
	s_and_b64 s[28:29], s[28:29], exec
	s_mov_b64 s[26:27], -1
	s_or_b64 s[0:1], s[0:1], s[28:29]
	s_branch .LBB22_1035
.LBB22_1033:
	s_mov_b64 s[26:27], 0
	s_mov_b64 s[24:25], -1
	s_mov_b64 s[0:1], s[16:17]
	s_branch .LBB22_1035
.LBB22_1034:
	s_mov_b64 s[26:27], 0
.LBB22_1035:
	s_andn2_b64 s[16:17], s[16:17], exec
	s_and_b64 s[0:1], s[0:1], exec
	s_and_b64 s[24:25], s[24:25], exec
	;; [unrolled: 1-line block ×3, first 2 shown]
	s_or_b64 s[16:17], s[16:17], s[0:1]
	s_or_b64 exec, exec, s[22:23]
	s_and_saveexec_b64 s[0:1], s[16:17]
	s_cbranch_execz .LBB22_945
.LBB22_1036:
	s_or_b64 s[20:21], s[20:21], exec
	s_andn2_b64 s[26:27], s[26:27], exec
	s_trap 2
	s_or_b64 exec, exec, s[0:1]
	s_and_saveexec_b64 s[0:1], s[26:27]
	s_xor_b64 s[0:1], exec, s[0:1]
	s_cbranch_execnz .LBB22_946
.LBB22_1037:
	s_or_b64 exec, exec, s[0:1]
	s_and_saveexec_b64 s[0:1], s[24:25]
	s_xor_b64 s[0:1], exec, s[0:1]
	s_cbranch_execz .LBB22_1075
.LBB22_1038:
	s_sext_i32_i16 s22, s33
	s_cmp_lt_i32 s22, 5
	s_mov_b64 s[16:17], -1
	s_cbranch_scc1 .LBB22_1059
; %bb.1039:
	s_cmp_lt_i32 s22, 8
	s_cbranch_scc1 .LBB22_1049
; %bb.1040:
	s_cmp_lt_i32 s22, 9
	s_cbranch_scc1 .LBB22_1046
; %bb.1041:
	s_cmp_gt_i32 s22, 9
	s_cbranch_scc0 .LBB22_1043
; %bb.1042:
	s_waitcnt vmcnt(0)
	v_cndmask_b32_e64 v2, 0, 1, s[18:19]
	v_cvt_f64_u32_e32 v[2:3], v2
	v_mov_b32_e32 v4, 0
	v_mov_b32_e32 v5, v4
	s_mov_b64 s[16:17], 0
	global_store_dwordx4 v[0:1], v[2:5], off
.LBB22_1043:
	s_andn2_b64 vcc, exec, s[16:17]
	s_cbranch_vccnz .LBB22_1045
; %bb.1044:
	s_waitcnt vmcnt(0)
	v_cndmask_b32_e64 v2, 0, 1.0, s[18:19]
	v_mov_b32_e32 v3, 0
	global_store_dwordx2 v[0:1], v[2:3], off
.LBB22_1045:
	s_mov_b64 s[16:17], 0
.LBB22_1046:
	s_andn2_b64 vcc, exec, s[16:17]
	s_cbranch_vccnz .LBB22_1048
; %bb.1047:
	s_waitcnt vmcnt(0)
	v_cndmask_b32_e64 v2, 0, 1.0, s[18:19]
	v_cvt_f16_f32_e32 v2, v2
	global_store_dword v[0:1], v2, off
.LBB22_1048:
	s_mov_b64 s[16:17], 0
.LBB22_1049:
	s_andn2_b64 vcc, exec, s[16:17]
	s_cbranch_vccnz .LBB22_1058
; %bb.1050:
	s_sext_i32_i16 s22, s33
	s_cmp_lt_i32 s22, 6
	s_mov_b64 s[16:17], -1
	s_cbranch_scc1 .LBB22_1056
; %bb.1051:
	s_cmp_gt_i32 s22, 6
	s_cbranch_scc0 .LBB22_1053
; %bb.1052:
	s_waitcnt vmcnt(0)
	v_cndmask_b32_e64 v2, 0, 1, s[18:19]
	v_cvt_f64_u32_e32 v[2:3], v2
	s_mov_b64 s[16:17], 0
	global_store_dwordx2 v[0:1], v[2:3], off
.LBB22_1053:
	s_andn2_b64 vcc, exec, s[16:17]
	s_cbranch_vccnz .LBB22_1055
; %bb.1054:
	s_waitcnt vmcnt(0)
	v_cndmask_b32_e64 v2, 0, 1.0, s[18:19]
	global_store_dword v[0:1], v2, off
.LBB22_1055:
	s_mov_b64 s[16:17], 0
.LBB22_1056:
	s_andn2_b64 vcc, exec, s[16:17]
	s_cbranch_vccnz .LBB22_1058
; %bb.1057:
	s_waitcnt vmcnt(0)
	v_cndmask_b32_e64 v2, 0, 1.0, s[18:19]
	v_cvt_f16_f32_e32 v2, v2
	global_store_short v[0:1], v2, off
.LBB22_1058:
	s_mov_b64 s[16:17], 0
.LBB22_1059:
	s_andn2_b64 vcc, exec, s[16:17]
	s_cbranch_vccnz .LBB22_1075
; %bb.1060:
	s_sext_i32_i16 s22, s33
	s_cmp_lt_i32 s22, 2
	s_mov_b64 s[16:17], -1
	s_cbranch_scc1 .LBB22_1070
; %bb.1061:
	s_cmp_lt_i32 s22, 3
	s_cbranch_scc1 .LBB22_1067
; %bb.1062:
	s_cmp_gt_i32 s22, 3
	s_cbranch_scc0 .LBB22_1064
; %bb.1063:
	s_mov_b32 s16, 0
	s_waitcnt vmcnt(0)
	v_cndmask_b32_e64 v2, 0, 1, s[18:19]
	v_mov_b32_e32 v3, s16
	s_mov_b64 s[16:17], 0
	global_store_dwordx2 v[0:1], v[2:3], off
.LBB22_1064:
	s_andn2_b64 vcc, exec, s[16:17]
	s_cbranch_vccnz .LBB22_1066
; %bb.1065:
	s_waitcnt vmcnt(0)
	v_cndmask_b32_e64 v2, 0, 1, s[18:19]
	global_store_dword v[0:1], v2, off
.LBB22_1066:
	s_mov_b64 s[16:17], 0
.LBB22_1067:
	s_andn2_b64 vcc, exec, s[16:17]
	s_cbranch_vccnz .LBB22_1069
; %bb.1068:
	s_waitcnt vmcnt(0)
	v_cndmask_b32_e64 v2, 0, 1, s[18:19]
	global_store_short v[0:1], v2, off
.LBB22_1069:
	s_mov_b64 s[16:17], 0
.LBB22_1070:
	s_andn2_b64 vcc, exec, s[16:17]
	s_cbranch_vccnz .LBB22_1075
; %bb.1071:
	s_sext_i32_i16 s22, s33
	s_mov_b64 s[16:17], -1
	s_cmp_gt_i32 s22, 0
	s_waitcnt vmcnt(0)
	v_cndmask_b32_e64 v2, 0, 1, s[18:19]
	s_cbranch_scc0 .LBB22_1073
; %bb.1072:
	s_mov_b64 s[16:17], 0
	global_store_byte v[0:1], v2, off
.LBB22_1073:
	s_andn2_b64 vcc, exec, s[16:17]
	s_cbranch_vccnz .LBB22_1075
; %bb.1074:
	global_store_byte v[0:1], v2, off
.LBB22_1075:
	s_or_b64 exec, exec, s[0:1]
	s_and_b64 s[16:17], s[20:21], exec
                                        ; implicit-def: $vgpr4
.LBB22_1076:
	s_or_saveexec_b64 s[6:7], s[6:7]
	s_mov_b64 s[0:1], 0
                                        ; implicit-def: $sgpr22_sgpr23
                                        ; implicit-def: $sgpr28
                                        ; implicit-def: $vgpr0_vgpr1
	s_xor_b64 exec, exec, s[6:7]
	s_cbranch_execz .LBB22_1626
; %bb.1077:
	v_mul_lo_u32 v5, s13, v4
	v_mov_b32_e32 v1, s11
	s_and_b32 s15, 0xffff, s15
	s_cmp_lt_i32 s15, 11
	s_waitcnt vmcnt(0)
	v_ashrrev_i32_e32 v2, 31, v5
	v_add_co_u32_e32 v0, vcc, s10, v5
	v_addc_co_u32_e32 v1, vcc, v1, v2, vcc
	s_cbranch_scc1 .LBB22_1084
; %bb.1078:
	s_cmp_gt_i32 s15, 25
	s_cbranch_scc0 .LBB22_1086
; %bb.1079:
	s_cmp_gt_i32 s15, 28
	s_cbranch_scc0 .LBB22_1087
	;; [unrolled: 3-line block ×4, first 2 shown]
; %bb.1082:
	s_cmp_eq_u32 s15, 46
	s_mov_b64 s[18:19], 0
	s_cbranch_scc0 .LBB22_1092
; %bb.1083:
	global_load_dword v2, v[0:1], off
	s_mov_b64 s[20:21], -1
	s_waitcnt vmcnt(0)
	v_lshlrev_b32_e32 v2, 16, v2
	v_cvt_i32_f32_e32 v2, v2
	s_branch .LBB22_1093
.LBB22_1084:
	s_mov_b64 s[20:21], 0
                                        ; implicit-def: $vgpr2
	s_mov_b64 s[18:19], s[16:17]
	s_cbranch_execnz .LBB22_1151
.LBB22_1085:
	s_andn2_b64 vcc, exec, s[20:21]
	s_cbranch_vccz .LBB22_1196
	s_branch .LBB22_1623
.LBB22_1086:
	s_mov_b64 s[20:21], 0
                                        ; implicit-def: $vgpr2
	s_cbranch_execnz .LBB22_1118
	s_branch .LBB22_1147
.LBB22_1087:
	s_mov_b64 s[20:21], 0
                                        ; implicit-def: $vgpr2
	s_cbranch_execz .LBB22_1117
	s_branch .LBB22_1102
.LBB22_1088:
	s_mov_b64 s[20:21], 0
                                        ; implicit-def: $vgpr2
	s_cbranch_execnz .LBB22_1098
	s_branch .LBB22_1101
.LBB22_1089:
	s_mov_b64 s[18:19], -1
	s_mov_b64 s[20:21], 0
                                        ; implicit-def: $vgpr2
	s_branch .LBB22_1093
.LBB22_1090:
	s_andn2_saveexec_b64 s[28:29], s[28:29]
	s_cbranch_execz .LBB22_988
.LBB22_1091:
	v_add_f32_e32 v2, 0x46000000, v3
	v_and_b32_e32 v2, 0xff, v2
	v_cmp_ne_u32_e32 vcc, 0, v2
	s_andn2_b64 s[26:27], s[26:27], exec
	s_and_b64 s[30:31], vcc, exec
	s_or_b64 s[26:27], s[26:27], s[30:31]
	s_or_b64 exec, exec, s[28:29]
	v_mov_b32_e32 v4, 0
	s_and_saveexec_b64 s[28:29], s[26:27]
	s_cbranch_execnz .LBB22_989
	s_branch .LBB22_990
.LBB22_1092:
	s_mov_b64 s[0:1], -1
                                        ; implicit-def: $vgpr2
	s_mov_b64 s[20:21], 0
.LBB22_1093:
	s_and_b64 vcc, exec, s[18:19]
	s_cbranch_vccz .LBB22_1096
; %bb.1094:
	s_cmp_eq_u32 s15, 44
	s_cbranch_scc0 .LBB22_1097
; %bb.1095:
	global_load_ubyte v2, v[0:1], off
	s_mov_b64 s[0:1], 0
	s_mov_b64 s[20:21], -1
	s_waitcnt vmcnt(0)
	v_lshlrev_b32_e32 v3, 23, v2
	v_cvt_i32_f32_e32 v3, v3
	v_cmp_ne_u32_e32 vcc, 0, v2
	v_cndmask_b32_e32 v2, 0, v3, vcc
.LBB22_1096:
	s_branch .LBB22_1101
.LBB22_1097:
	s_mov_b64 s[0:1], -1
                                        ; implicit-def: $vgpr2
	s_branch .LBB22_1101
.LBB22_1098:
	s_cmp_eq_u32 s15, 29
	s_cbranch_scc0 .LBB22_1100
; %bb.1099:
	global_load_dwordx2 v[2:3], v[0:1], off
	s_mov_b64 s[0:1], 0
	s_mov_b64 s[20:21], -1
	s_branch .LBB22_1101
.LBB22_1100:
	s_mov_b64 s[0:1], -1
                                        ; implicit-def: $vgpr2
.LBB22_1101:
	s_branch .LBB22_1117
.LBB22_1102:
	s_cmp_lt_i32 s15, 27
	s_cbranch_scc1 .LBB22_1105
; %bb.1103:
	s_cmp_gt_i32 s15, 27
	s_cbranch_scc0 .LBB22_1106
; %bb.1104:
	global_load_dword v2, v[0:1], off
	s_mov_b64 s[18:19], 0
	s_branch .LBB22_1107
.LBB22_1105:
	s_mov_b64 s[18:19], -1
                                        ; implicit-def: $vgpr2
	s_branch .LBB22_1110
.LBB22_1106:
	s_mov_b64 s[18:19], -1
                                        ; implicit-def: $vgpr2
.LBB22_1107:
	s_andn2_b64 vcc, exec, s[18:19]
	s_cbranch_vccnz .LBB22_1109
; %bb.1108:
	global_load_ushort v2, v[0:1], off
.LBB22_1109:
	s_mov_b64 s[18:19], 0
.LBB22_1110:
	s_andn2_b64 vcc, exec, s[18:19]
	s_cbranch_vccnz .LBB22_1116
; %bb.1111:
	global_load_ubyte v3, v[0:1], off
	s_movk_i32 s18, 0x7f
	s_mov_b64 s[20:21], 0
	s_waitcnt vmcnt(0)
	v_cmp_lt_i16_e32 vcc, s18, v3
	s_and_saveexec_b64 s[18:19], vcc
	s_xor_b64 s[18:19], exec, s[18:19]
	s_cbranch_execz .LBB22_1127
; %bb.1112:
	s_movk_i32 s20, 0x80
	v_cmp_ne_u16_e32 vcc, s20, v3
	s_and_b64 s[20:21], vcc, exec
	s_andn2_saveexec_b64 s[18:19], s[18:19]
	s_cbranch_execnz .LBB22_1128
.LBB22_1113:
	s_or_b64 exec, exec, s[18:19]
	v_mov_b32_e32 v2, 0
	s_and_saveexec_b64 s[18:19], s[20:21]
	s_cbranch_execz .LBB22_1115
.LBB22_1114:
	v_lshlrev_b32_e32 v2, 24, v3
	v_and_b32_e32 v3, 0xffff, v3
	v_and_b32_e32 v6, 7, v3
	v_ffbh_u32_e32 v8, v6
	v_min_u32_e32 v8, 32, v8
	v_subrev_u32_e32 v9, 28, v8
	v_bfe_u32 v7, v3, 3, 4
	v_lshlrev_b32_e32 v3, v9, v3
	v_sub_u32_e32 v8, 29, v8
	v_and_b32_e32 v3, 7, v3
	v_cmp_eq_u32_e32 vcc, 0, v7
	v_cndmask_b32_e32 v7, v7, v8, vcc
	v_cndmask_b32_e32 v3, v6, v3, vcc
	v_mov_b32_e32 v6, 0x3b800000
	v_lshlrev_b32_e32 v3, 20, v3
	v_and_b32_e32 v2, 0x80000000, v2
	v_lshl_add_u32 v6, v7, 23, v6
	v_or3_b32 v2, v2, v6, v3
	v_cvt_i32_f32_e32 v2, v2
.LBB22_1115:
	s_or_b64 exec, exec, s[18:19]
.LBB22_1116:
	s_mov_b64 s[20:21], -1
.LBB22_1117:
	s_branch .LBB22_1147
.LBB22_1118:
	s_cmp_gt_i32 s15, 22
	s_cbranch_scc0 .LBB22_1126
; %bb.1119:
	s_cmp_lt_i32 s15, 24
	s_cbranch_scc1 .LBB22_1129
; %bb.1120:
	s_cmp_gt_i32 s15, 24
	s_cbranch_scc0 .LBB22_1130
; %bb.1121:
	global_load_ubyte v3, v[0:1], off
	s_movk_i32 s4, 0x7f
	s_mov_b64 s[18:19], 0
	s_waitcnt vmcnt(0)
	v_cmp_lt_i16_e32 vcc, s4, v3
	s_and_saveexec_b64 s[4:5], vcc
	s_xor_b64 s[4:5], exec, s[4:5]
	s_cbranch_execz .LBB22_1141
; %bb.1122:
	s_movk_i32 s18, 0x80
	v_cmp_ne_u16_e32 vcc, s18, v3
	s_and_b64 s[18:19], vcc, exec
	s_andn2_saveexec_b64 s[4:5], s[4:5]
	s_cbranch_execnz .LBB22_1142
.LBB22_1123:
	s_or_b64 exec, exec, s[4:5]
	v_mov_b32_e32 v2, 0
	s_and_saveexec_b64 s[4:5], s[18:19]
	s_cbranch_execz .LBB22_1125
.LBB22_1124:
	v_lshlrev_b32_e32 v2, 24, v3
	v_and_b32_e32 v3, 0xffff, v3
	v_and_b32_e32 v6, 3, v3
	v_ffbh_u32_e32 v8, v6
	v_min_u32_e32 v8, 32, v8
	v_subrev_u32_e32 v9, 29, v8
	v_bfe_u32 v7, v3, 2, 5
	v_lshlrev_b32_e32 v3, v9, v3
	v_sub_u32_e32 v8, 30, v8
	v_and_b32_e32 v3, 3, v3
	v_cmp_eq_u32_e32 vcc, 0, v7
	v_cndmask_b32_e32 v7, v7, v8, vcc
	v_cndmask_b32_e32 v3, v6, v3, vcc
	v_mov_b32_e32 v6, 0x37800000
	v_lshlrev_b32_e32 v3, 21, v3
	v_and_b32_e32 v2, 0x80000000, v2
	v_lshl_add_u32 v6, v7, 23, v6
	v_or3_b32 v2, v2, v6, v3
	v_cvt_i32_f32_e32 v2, v2
.LBB22_1125:
	s_or_b64 exec, exec, s[4:5]
	s_mov_b64 s[4:5], 0
	s_branch .LBB22_1131
.LBB22_1126:
                                        ; implicit-def: $vgpr2
	s_mov_b64 s[4:5], 0
	s_branch .LBB22_1137
.LBB22_1127:
	s_andn2_saveexec_b64 s[18:19], s[18:19]
	s_cbranch_execz .LBB22_1113
.LBB22_1128:
	v_cmp_ne_u16_e32 vcc, 0, v3
	s_andn2_b64 s[20:21], s[20:21], exec
	s_and_b64 s[22:23], vcc, exec
	s_or_b64 s[20:21], s[20:21], s[22:23]
	s_or_b64 exec, exec, s[18:19]
	v_mov_b32_e32 v2, 0
	s_and_saveexec_b64 s[18:19], s[20:21]
	s_cbranch_execnz .LBB22_1114
	s_branch .LBB22_1115
.LBB22_1129:
	s_mov_b64 s[4:5], -1
                                        ; implicit-def: $vgpr2
	s_branch .LBB22_1134
.LBB22_1130:
	s_mov_b64 s[4:5], -1
                                        ; implicit-def: $vgpr2
.LBB22_1131:
	s_and_b64 vcc, exec, s[4:5]
	s_cbranch_vccz .LBB22_1133
; %bb.1132:
	global_load_ubyte v2, v[0:1], off
	s_mov_b32 s4, 0x7f800000
	s_waitcnt vmcnt(0)
	v_lshlrev_b32_e32 v2, 24, v2
	v_and_b32_e32 v3, 0x7f000000, v2
	v_ffbh_u32_e32 v6, v3
	v_min_u32_e32 v6, 32, v6
	v_sub_u32_e64 v6, v6, 4 clamp
	v_lshlrev_b32_e32 v8, v6, v3
	v_lshlrev_b32_e32 v6, 23, v6
	v_lshrrev_b32_e32 v8, 4, v8
	v_add_u32_e32 v7, 0x1000000, v3
	v_sub_u32_e32 v6, v8, v6
	v_ashrrev_i32_e32 v7, 8, v7
	v_add_u32_e32 v6, 0x3c000000, v6
	v_and_or_b32 v6, v7, s4, v6
	v_cmp_ne_u32_e32 vcc, 0, v3
	v_cndmask_b32_e32 v3, 0, v6, vcc
	s_brev_b32 s4, 1
	v_and_or_b32 v2, v2, s4, v3
	v_cvt_i32_f32_e32 v2, v2
.LBB22_1133:
	s_mov_b64 s[4:5], 0
.LBB22_1134:
	s_andn2_b64 vcc, exec, s[4:5]
	s_cbranch_vccnz .LBB22_1136
; %bb.1135:
	global_load_ubyte v2, v[0:1], off
	s_movk_i32 s4, 0x7f00
	s_brev_b32 s5, 16
	s_waitcnt vmcnt(0)
	v_lshlrev_b16_e32 v3, 8, v2
	v_lshlrev_b32_e32 v2, 25, v2
	v_lshrrev_b32_e32 v6, 4, v2
	v_and_or_b32 v7, v3, s4, 0.5
	v_or_b32_e32 v6, 0x70000000, v6
	v_add_f32_e32 v7, -0.5, v7
	v_mul_f32_e32 v6, 0x7800000, v6
	v_cmp_gt_u32_e32 vcc, s5, v2
	v_bfe_i32 v3, v3, 0, 16
	v_cndmask_b32_e32 v2, v6, v7, vcc
	s_brev_b32 s4, 1
	v_and_or_b32 v2, v3, s4, v2
	v_cvt_i32_f32_e32 v2, v2
.LBB22_1136:
	s_mov_b64 s[20:21], -1
	s_mov_b64 s[4:5], 0
	s_cbranch_execnz .LBB22_1147
.LBB22_1137:
	s_cmp_gt_i32 s15, 14
	s_cbranch_scc0 .LBB22_1140
; %bb.1138:
	s_cmp_eq_u32 s15, 15
	s_cbranch_scc0 .LBB22_1143
; %bb.1139:
	global_load_ushort v2, v[0:1], off
	s_mov_b64 s[0:1], 0
	s_mov_b64 s[20:21], -1
	s_waitcnt vmcnt(0)
	v_lshlrev_b32_e32 v2, 16, v2
	v_cvt_i32_f32_e32 v2, v2
	s_branch .LBB22_1144
.LBB22_1140:
	s_mov_b64 s[18:19], -1
                                        ; implicit-def: $vgpr2
	s_branch .LBB22_1145
.LBB22_1141:
	s_andn2_saveexec_b64 s[4:5], s[4:5]
	s_cbranch_execz .LBB22_1123
.LBB22_1142:
	v_cmp_ne_u16_e32 vcc, 0, v3
	s_andn2_b64 s[18:19], s[18:19], exec
	s_and_b64 s[20:21], vcc, exec
	s_or_b64 s[18:19], s[18:19], s[20:21]
	s_or_b64 exec, exec, s[4:5]
	v_mov_b32_e32 v2, 0
	s_and_saveexec_b64 s[4:5], s[18:19]
	s_cbranch_execnz .LBB22_1124
	s_branch .LBB22_1125
.LBB22_1143:
	s_mov_b64 s[0:1], -1
                                        ; implicit-def: $vgpr2
.LBB22_1144:
	s_mov_b64 s[18:19], 0
.LBB22_1145:
	s_and_b64 vcc, exec, s[18:19]
	s_cbranch_vccz .LBB22_1147
; %bb.1146:
	s_cmp_lg_u32 s15, 11
	s_mov_b64 s[4:5], -1
	s_cselect_b64 s[0:1], -1, 0
.LBB22_1147:
	s_and_b64 vcc, exec, s[0:1]
	s_mov_b64 s[18:19], s[16:17]
	s_cbranch_vccnz .LBB22_1223
; %bb.1148:
	s_andn2_b64 vcc, exec, s[4:5]
	s_cbranch_vccnz .LBB22_1150
.LBB22_1149:
	global_load_ubyte v2, v[0:1], off
	s_mov_b64 s[20:21], -1
	s_waitcnt vmcnt(0)
	v_cmp_ne_u16_e32 vcc, 0, v2
	v_cndmask_b32_e64 v2, 0, 1, vcc
.LBB22_1150:
	s_branch .LBB22_1085
.LBB22_1151:
	s_cmp_lt_i32 s15, 5
	s_cbranch_scc1 .LBB22_1156
; %bb.1152:
	s_cmp_lt_i32 s15, 8
	s_cbranch_scc1 .LBB22_1157
; %bb.1153:
	;; [unrolled: 3-line block ×3, first 2 shown]
	s_cmp_gt_i32 s15, 9
	s_cbranch_scc0 .LBB22_1159
; %bb.1155:
	global_load_dwordx2 v[2:3], v[0:1], off
	s_mov_b64 s[0:1], 0
	s_waitcnt vmcnt(0)
	v_cvt_i32_f64_e32 v2, v[2:3]
	s_branch .LBB22_1160
.LBB22_1156:
                                        ; implicit-def: $vgpr2
	s_branch .LBB22_1177
.LBB22_1157:
                                        ; implicit-def: $vgpr2
	s_branch .LBB22_1166
.LBB22_1158:
	s_mov_b64 s[0:1], -1
                                        ; implicit-def: $vgpr2
	s_branch .LBB22_1163
.LBB22_1159:
	s_mov_b64 s[0:1], -1
                                        ; implicit-def: $vgpr2
.LBB22_1160:
	s_andn2_b64 vcc, exec, s[0:1]
	s_cbranch_vccnz .LBB22_1162
; %bb.1161:
	global_load_dword v2, v[0:1], off
	s_waitcnt vmcnt(0)
	v_cvt_i32_f32_e32 v2, v2
.LBB22_1162:
	s_mov_b64 s[0:1], 0
.LBB22_1163:
	s_andn2_b64 vcc, exec, s[0:1]
	s_cbranch_vccnz .LBB22_1165
; %bb.1164:
	global_load_dword v2, v[0:1], off
	s_waitcnt vmcnt(0)
	v_cvt_i16_f16_e32 v2, v2
.LBB22_1165:
	s_cbranch_execnz .LBB22_1176
.LBB22_1166:
	s_cmp_lt_i32 s15, 6
	s_cbranch_scc1 .LBB22_1169
; %bb.1167:
	s_cmp_gt_i32 s15, 6
	s_cbranch_scc0 .LBB22_1170
; %bb.1168:
	global_load_dwordx2 v[2:3], v[0:1], off
	s_mov_b64 s[0:1], 0
	s_waitcnt vmcnt(0)
	v_cvt_i32_f64_e32 v2, v[2:3]
	s_branch .LBB22_1171
.LBB22_1169:
	s_mov_b64 s[0:1], -1
                                        ; implicit-def: $vgpr2
	s_branch .LBB22_1174
.LBB22_1170:
	s_mov_b64 s[0:1], -1
                                        ; implicit-def: $vgpr2
.LBB22_1171:
	s_andn2_b64 vcc, exec, s[0:1]
	s_cbranch_vccnz .LBB22_1173
; %bb.1172:
	global_load_dword v2, v[0:1], off
	s_waitcnt vmcnt(0)
	v_cvt_i32_f32_e32 v2, v2
.LBB22_1173:
	s_mov_b64 s[0:1], 0
.LBB22_1174:
	s_andn2_b64 vcc, exec, s[0:1]
	s_cbranch_vccnz .LBB22_1176
; %bb.1175:
	global_load_ushort v2, v[0:1], off
	s_waitcnt vmcnt(0)
	v_cvt_i16_f16_e32 v2, v2
.LBB22_1176:
	s_cbranch_execnz .LBB22_1195
.LBB22_1177:
	s_cmp_lt_i32 s15, 2
	s_cbranch_scc1 .LBB22_1181
; %bb.1178:
	s_cmp_lt_i32 s15, 3
	s_cbranch_scc1 .LBB22_1182
; %bb.1179:
	s_cmp_gt_i32 s15, 3
	s_cbranch_scc0 .LBB22_1183
; %bb.1180:
	global_load_dwordx2 v[2:3], v[0:1], off
	s_mov_b64 s[0:1], 0
	s_branch .LBB22_1184
.LBB22_1181:
                                        ; implicit-def: $vgpr2
	s_branch .LBB22_1190
.LBB22_1182:
	s_mov_b64 s[0:1], -1
                                        ; implicit-def: $vgpr2
	s_branch .LBB22_1187
.LBB22_1183:
	s_mov_b64 s[0:1], -1
                                        ; implicit-def: $vgpr2
.LBB22_1184:
	s_andn2_b64 vcc, exec, s[0:1]
	s_cbranch_vccnz .LBB22_1186
; %bb.1185:
	global_load_dword v2, v[0:1], off
.LBB22_1186:
	s_mov_b64 s[0:1], 0
.LBB22_1187:
	s_andn2_b64 vcc, exec, s[0:1]
	s_cbranch_vccnz .LBB22_1189
; %bb.1188:
	global_load_ushort v2, v[0:1], off
.LBB22_1189:
	s_cbranch_execnz .LBB22_1195
.LBB22_1190:
	s_cmp_gt_i32 s15, 0
	s_cbranch_scc0 .LBB22_1192
; %bb.1191:
	global_load_ubyte v2, v[0:1], off
	s_mov_b64 s[0:1], 0
	s_branch .LBB22_1193
.LBB22_1192:
	s_mov_b64 s[0:1], -1
                                        ; implicit-def: $vgpr2
.LBB22_1193:
	s_andn2_b64 vcc, exec, s[0:1]
	s_cbranch_vccnz .LBB22_1195
; %bb.1194:
	global_load_ubyte v2, v[0:1], off
.LBB22_1195:
.LBB22_1196:
	s_cmp_lt_i32 s14, 1
	s_mov_b64 s[0:1], 0
	s_cbranch_scc1 .LBB22_1200
; %bb.1197:
	s_cmp_gt_i32 s14, 1
	s_cbranch_scc0 .LBB22_1201
; %bb.1198:
	s_cmp_eq_u32 s14, 2
	s_cbranch_scc0 .LBB22_1202
; %bb.1199:
	s_waitcnt vmcnt(0)
	v_cmp_le_i16_sdwa s[4:5], sext(v2), s2 src0_sel:BYTE_0 src1_sel:DWORD
	s_mov_b64 s[20:21], 0
	s_branch .LBB22_1203
.LBB22_1200:
                                        ; implicit-def: $sgpr4_sgpr5
	s_mov_b64 s[20:21], 0
	s_cbranch_execnz .LBB22_1206
	s_branch .LBB22_1207
.LBB22_1201:
	s_mov_b64 s[20:21], 0
                                        ; implicit-def: $sgpr4_sgpr5
	s_cbranch_execnz .LBB22_1204
	s_branch .LBB22_1205
.LBB22_1202:
	s_mov_b64 s[20:21], -1
                                        ; implicit-def: $sgpr4_sgpr5
.LBB22_1203:
	s_branch .LBB22_1205
.LBB22_1204:
	s_waitcnt vmcnt(0)
	v_cmp_gt_i16_sdwa s[22:23], sext(v2), s2 src0_sel:BYTE_0 src1_sel:DWORD
	s_andn2_b64 s[4:5], s[4:5], exec
	s_and_b64 s[22:23], s[22:23], exec
	s_or_b64 s[4:5], s[4:5], s[22:23]
.LBB22_1205:
	s_branch .LBB22_1207
.LBB22_1206:
	s_cmp_lg_u32 s14, 0
	s_mov_b64 s[0:1], -1
	s_cselect_b64 s[20:21], -1, 0
.LBB22_1207:
	s_andn2_b64 vcc, exec, s[20:21]
	s_cbranch_vccnz .LBB22_1209
; %bb.1208:
	s_waitcnt vmcnt(0)
	v_cmp_lt_i16_sdwa s[20:21], sext(v2), s2 src0_sel:BYTE_0 src1_sel:DWORD
	s_andn2_b64 s[4:5], s[4:5], exec
	s_and_b64 s[20:21], s[20:21], exec
	s_or_b64 s[4:5], s[4:5], s[20:21]
	s_cbranch_execz .LBB22_1210
	s_branch .LBB22_1211
.LBB22_1209:
	s_andn2_b64 vcc, exec, s[0:1]
	s_cbranch_vccnz .LBB22_1211
.LBB22_1210:
	s_waitcnt vmcnt(0)
	v_cmp_ge_i16_sdwa s[0:1], sext(v2), s2 src0_sel:BYTE_0 src1_sel:DWORD
	s_andn2_b64 s[4:5], s[4:5], exec
	s_and_b64 s[0:1], s[0:1], exec
	s_or_b64 s[4:5], s[4:5], s[0:1]
.LBB22_1211:
	s_lshl_b32 s13, s13, 7
	v_add_u32_e32 v5, s13, v5
	v_ashrrev_i32_e32 v1, 31, v5
	s_waitcnt vmcnt(0)
	v_mov_b32_e32 v2, s11
	v_add_co_u32_e32 v0, vcc, s10, v5
	s_cmp_lt_i32 s15, 11
	v_addc_co_u32_e32 v1, vcc, v2, v1, vcc
	s_cbranch_scc1 .LBB22_1218
; %bb.1212:
	s_cmp_gt_i32 s15, 25
	s_mov_b64 s[20:21], 0
	s_cbranch_scc0 .LBB22_1220
; %bb.1213:
	s_cmp_gt_i32 s15, 28
	s_cbranch_scc0 .LBB22_1221
; %bb.1214:
	s_cmp_gt_i32 s15, 43
	;; [unrolled: 3-line block ×3, first 2 shown]
	s_cbranch_scc0 .LBB22_1224
; %bb.1216:
	s_cmp_eq_u32 s15, 46
	s_mov_b64 s[24:25], 0
	s_cbranch_scc0 .LBB22_1227
; %bb.1217:
	global_load_dword v2, v[0:1], off
	s_mov_b64 s[0:1], 0
	s_mov_b64 s[22:23], -1
	s_waitcnt vmcnt(0)
	v_lshlrev_b32_e32 v2, 16, v2
	v_cvt_i32_f32_e32 v2, v2
	s_branch .LBB22_1228
.LBB22_1218:
	s_mov_b64 s[22:23], 0
                                        ; implicit-def: $vgpr2
	s_cbranch_execnz .LBB22_1289
.LBB22_1219:
	s_andn2_b64 vcc, exec, s[22:23]
	s_cbranch_vccnz .LBB22_1623
	s_branch .LBB22_1336
.LBB22_1220:
	s_mov_b64 s[22:23], 0
	s_mov_b64 s[0:1], 0
                                        ; implicit-def: $vgpr2
	s_cbranch_execnz .LBB22_1255
	s_branch .LBB22_1285
.LBB22_1221:
	s_mov_b64 s[24:25], -1
	s_mov_b64 s[22:23], 0
	s_mov_b64 s[0:1], 0
                                        ; implicit-def: $vgpr2
	s_branch .LBB22_1238
.LBB22_1222:
	s_mov_b64 s[24:25], -1
	s_mov_b64 s[22:23], 0
	s_mov_b64 s[0:1], 0
                                        ; implicit-def: $vgpr2
	s_branch .LBB22_1233
.LBB22_1223:
	s_or_b64 s[18:19], s[16:17], exec
	s_trap 2
	s_cbranch_execz .LBB22_1149
	s_branch .LBB22_1150
.LBB22_1224:
	s_mov_b64 s[24:25], -1
	s_mov_b64 s[22:23], 0
	s_mov_b64 s[0:1], 0
                                        ; implicit-def: $vgpr2
	s_branch .LBB22_1228
.LBB22_1225:
	s_andn2_saveexec_b64 s[30:31], s[30:31]
	s_cbranch_execz .LBB22_1000
.LBB22_1226:
	v_add_f32_e32 v2, 0x42800000, v3
	v_and_b32_e32 v2, 0xff, v2
	v_cmp_ne_u32_e32 vcc, 0, v2
	s_andn2_b64 s[28:29], s[28:29], exec
	s_and_b64 s[36:37], vcc, exec
	s_or_b64 s[28:29], s[28:29], s[36:37]
	s_or_b64 exec, exec, s[30:31]
	v_mov_b32_e32 v4, 0
	s_and_saveexec_b64 s[30:31], s[28:29]
	s_cbranch_execnz .LBB22_1001
	s_branch .LBB22_1002
.LBB22_1227:
	s_mov_b64 s[0:1], -1
                                        ; implicit-def: $vgpr2
	s_mov_b64 s[22:23], 0
.LBB22_1228:
	s_and_b64 vcc, exec, s[24:25]
	s_cbranch_vccz .LBB22_1232
; %bb.1229:
	s_cmp_eq_u32 s15, 44
	s_cbranch_scc0 .LBB22_1231
; %bb.1230:
	global_load_ubyte v2, v[0:1], off
	s_mov_b64 s[0:1], 0
	s_mov_b64 s[22:23], -1
	s_waitcnt vmcnt(0)
	v_lshlrev_b32_e32 v3, 23, v2
	v_cvt_i32_f32_e32 v3, v3
	v_cmp_ne_u32_e32 vcc, 0, v2
	v_cndmask_b32_e32 v2, 0, v3, vcc
	s_branch .LBB22_1232
.LBB22_1231:
	s_mov_b64 s[0:1], -1
                                        ; implicit-def: $vgpr2
.LBB22_1232:
	s_mov_b64 s[24:25], 0
.LBB22_1233:
	s_and_b64 vcc, exec, s[24:25]
	s_cbranch_vccz .LBB22_1237
; %bb.1234:
	s_cmp_eq_u32 s15, 29
	s_cbranch_scc0 .LBB22_1236
; %bb.1235:
	global_load_dwordx2 v[2:3], v[0:1], off
	s_mov_b64 s[0:1], 0
	s_mov_b64 s[22:23], -1
	s_branch .LBB22_1237
.LBB22_1236:
	s_mov_b64 s[0:1], -1
                                        ; implicit-def: $vgpr2
.LBB22_1237:
	s_mov_b64 s[24:25], 0
.LBB22_1238:
	s_and_b64 vcc, exec, s[24:25]
	s_cbranch_vccz .LBB22_1254
; %bb.1239:
	s_cmp_lt_i32 s15, 27
	s_cbranch_scc1 .LBB22_1242
; %bb.1240:
	s_cmp_gt_i32 s15, 27
	s_cbranch_scc0 .LBB22_1243
; %bb.1241:
	global_load_dword v2, v[0:1], off
	s_mov_b64 s[22:23], 0
	s_branch .LBB22_1244
.LBB22_1242:
	s_mov_b64 s[22:23], -1
                                        ; implicit-def: $vgpr2
	s_branch .LBB22_1247
.LBB22_1243:
	s_mov_b64 s[22:23], -1
                                        ; implicit-def: $vgpr2
.LBB22_1244:
	s_andn2_b64 vcc, exec, s[22:23]
	s_cbranch_vccnz .LBB22_1246
; %bb.1245:
	global_load_ushort v2, v[0:1], off
.LBB22_1246:
	s_mov_b64 s[22:23], 0
.LBB22_1247:
	s_andn2_b64 vcc, exec, s[22:23]
	s_cbranch_vccnz .LBB22_1253
; %bb.1248:
	global_load_ubyte v3, v[0:1], off
	s_movk_i32 s22, 0x7f
	s_mov_b64 s[24:25], 0
	s_waitcnt vmcnt(0)
	v_cmp_lt_i16_e32 vcc, s22, v3
	s_and_saveexec_b64 s[22:23], vcc
	s_xor_b64 s[22:23], exec, s[22:23]
	s_cbranch_execz .LBB22_1264
; %bb.1249:
	s_movk_i32 s24, 0x80
	v_cmp_ne_u16_e32 vcc, s24, v3
	s_and_b64 s[24:25], vcc, exec
	s_andn2_saveexec_b64 s[22:23], s[22:23]
	s_cbranch_execnz .LBB22_1265
.LBB22_1250:
	s_or_b64 exec, exec, s[22:23]
	v_mov_b32_e32 v2, 0
	s_and_saveexec_b64 s[22:23], s[24:25]
	s_cbranch_execz .LBB22_1252
.LBB22_1251:
	v_lshlrev_b32_e32 v2, 24, v3
	v_and_b32_e32 v3, 0xffff, v3
	v_and_b32_e32 v6, 7, v3
	v_ffbh_u32_e32 v8, v6
	v_min_u32_e32 v8, 32, v8
	v_subrev_u32_e32 v9, 28, v8
	v_bfe_u32 v7, v3, 3, 4
	v_lshlrev_b32_e32 v3, v9, v3
	v_sub_u32_e32 v8, 29, v8
	v_and_b32_e32 v3, 7, v3
	v_cmp_eq_u32_e32 vcc, 0, v7
	v_cndmask_b32_e32 v7, v7, v8, vcc
	v_cndmask_b32_e32 v3, v6, v3, vcc
	v_mov_b32_e32 v6, 0x3b800000
	v_lshlrev_b32_e32 v3, 20, v3
	v_and_b32_e32 v2, 0x80000000, v2
	v_lshl_add_u32 v6, v7, 23, v6
	v_or3_b32 v2, v2, v6, v3
	v_cvt_i32_f32_e32 v2, v2
.LBB22_1252:
	s_or_b64 exec, exec, s[22:23]
.LBB22_1253:
	s_mov_b64 s[22:23], -1
.LBB22_1254:
	s_branch .LBB22_1285
.LBB22_1255:
	s_cmp_gt_i32 s15, 22
	s_cbranch_scc0 .LBB22_1263
; %bb.1256:
	s_cmp_lt_i32 s15, 24
	s_cbranch_scc1 .LBB22_1266
; %bb.1257:
	s_cmp_gt_i32 s15, 24
	s_cbranch_scc0 .LBB22_1267
; %bb.1258:
	global_load_ubyte v3, v[0:1], off
	s_movk_i32 s20, 0x7f
	s_mov_b64 s[22:23], 0
	s_waitcnt vmcnt(0)
	v_cmp_lt_i16_e32 vcc, s20, v3
	s_and_saveexec_b64 s[20:21], vcc
	s_xor_b64 s[20:21], exec, s[20:21]
	s_cbranch_execz .LBB22_1279
; %bb.1259:
	s_movk_i32 s22, 0x80
	v_cmp_ne_u16_e32 vcc, s22, v3
	s_and_b64 s[22:23], vcc, exec
	s_andn2_saveexec_b64 s[20:21], s[20:21]
	s_cbranch_execnz .LBB22_1280
.LBB22_1260:
	s_or_b64 exec, exec, s[20:21]
	v_mov_b32_e32 v2, 0
	s_and_saveexec_b64 s[20:21], s[22:23]
	s_cbranch_execz .LBB22_1262
.LBB22_1261:
	v_lshlrev_b32_e32 v2, 24, v3
	v_and_b32_e32 v3, 0xffff, v3
	v_and_b32_e32 v6, 3, v3
	v_ffbh_u32_e32 v8, v6
	v_min_u32_e32 v8, 32, v8
	v_subrev_u32_e32 v9, 29, v8
	v_bfe_u32 v7, v3, 2, 5
	v_lshlrev_b32_e32 v3, v9, v3
	v_sub_u32_e32 v8, 30, v8
	v_and_b32_e32 v3, 3, v3
	v_cmp_eq_u32_e32 vcc, 0, v7
	v_cndmask_b32_e32 v7, v7, v8, vcc
	v_cndmask_b32_e32 v3, v6, v3, vcc
	v_mov_b32_e32 v6, 0x37800000
	v_lshlrev_b32_e32 v3, 21, v3
	v_and_b32_e32 v2, 0x80000000, v2
	v_lshl_add_u32 v6, v7, 23, v6
	v_or3_b32 v2, v2, v6, v3
	v_cvt_i32_f32_e32 v2, v2
.LBB22_1262:
	s_or_b64 exec, exec, s[20:21]
	s_mov_b64 s[20:21], 0
	s_branch .LBB22_1268
.LBB22_1263:
	s_mov_b64 s[20:21], -1
                                        ; implicit-def: $vgpr2
	s_branch .LBB22_1274
.LBB22_1264:
	s_andn2_saveexec_b64 s[22:23], s[22:23]
	s_cbranch_execz .LBB22_1250
.LBB22_1265:
	v_cmp_ne_u16_e32 vcc, 0, v3
	s_andn2_b64 s[24:25], s[24:25], exec
	s_and_b64 s[26:27], vcc, exec
	s_or_b64 s[24:25], s[24:25], s[26:27]
	s_or_b64 exec, exec, s[22:23]
	v_mov_b32_e32 v2, 0
	s_and_saveexec_b64 s[22:23], s[24:25]
	s_cbranch_execnz .LBB22_1251
	s_branch .LBB22_1252
.LBB22_1266:
	s_mov_b64 s[20:21], -1
                                        ; implicit-def: $vgpr2
	s_branch .LBB22_1271
.LBB22_1267:
	s_mov_b64 s[20:21], -1
                                        ; implicit-def: $vgpr2
.LBB22_1268:
	s_and_b64 vcc, exec, s[20:21]
	s_cbranch_vccz .LBB22_1270
; %bb.1269:
	global_load_ubyte v2, v[0:1], off
	s_mov_b32 s20, 0x7f800000
	s_waitcnt vmcnt(0)
	v_lshlrev_b32_e32 v2, 24, v2
	v_and_b32_e32 v3, 0x7f000000, v2
	v_ffbh_u32_e32 v6, v3
	v_min_u32_e32 v6, 32, v6
	v_sub_u32_e64 v6, v6, 4 clamp
	v_lshlrev_b32_e32 v8, v6, v3
	v_lshlrev_b32_e32 v6, 23, v6
	v_lshrrev_b32_e32 v8, 4, v8
	v_add_u32_e32 v7, 0x1000000, v3
	v_sub_u32_e32 v6, v8, v6
	v_ashrrev_i32_e32 v7, 8, v7
	v_add_u32_e32 v6, 0x3c000000, v6
	v_and_or_b32 v6, v7, s20, v6
	v_cmp_ne_u32_e32 vcc, 0, v3
	v_cndmask_b32_e32 v3, 0, v6, vcc
	s_brev_b32 s20, 1
	v_and_or_b32 v2, v2, s20, v3
	v_cvt_i32_f32_e32 v2, v2
.LBB22_1270:
	s_mov_b64 s[20:21], 0
.LBB22_1271:
	s_andn2_b64 vcc, exec, s[20:21]
	s_cbranch_vccnz .LBB22_1273
; %bb.1272:
	global_load_ubyte v2, v[0:1], off
	s_movk_i32 s20, 0x7f00
	s_brev_b32 s21, 16
	s_waitcnt vmcnt(0)
	v_lshlrev_b16_e32 v3, 8, v2
	v_lshlrev_b32_e32 v2, 25, v2
	v_lshrrev_b32_e32 v6, 4, v2
	v_and_or_b32 v7, v3, s20, 0.5
	v_or_b32_e32 v6, 0x70000000, v6
	v_add_f32_e32 v7, -0.5, v7
	v_mul_f32_e32 v6, 0x7800000, v6
	v_cmp_gt_u32_e32 vcc, s21, v2
	v_bfe_i32 v3, v3, 0, 16
	v_cndmask_b32_e32 v2, v6, v7, vcc
	s_brev_b32 s20, 1
	v_and_or_b32 v2, v3, s20, v2
	v_cvt_i32_f32_e32 v2, v2
.LBB22_1273:
	s_mov_b64 s[20:21], 0
	s_mov_b64 s[22:23], -1
.LBB22_1274:
	s_andn2_b64 vcc, exec, s[20:21]
	s_mov_b64 s[20:21], 0
	s_cbranch_vccnz .LBB22_1285
; %bb.1275:
	s_cmp_gt_i32 s15, 14
	s_cbranch_scc0 .LBB22_1278
; %bb.1276:
	s_cmp_eq_u32 s15, 15
	s_cbranch_scc0 .LBB22_1281
; %bb.1277:
	global_load_ushort v2, v[0:1], off
	s_mov_b64 s[0:1], 0
	s_mov_b64 s[22:23], -1
	s_waitcnt vmcnt(0)
	v_lshlrev_b32_e32 v2, 16, v2
	v_cvt_i32_f32_e32 v2, v2
	s_branch .LBB22_1282
.LBB22_1278:
	s_mov_b64 s[24:25], -1
                                        ; implicit-def: $vgpr2
	s_branch .LBB22_1283
.LBB22_1279:
	s_andn2_saveexec_b64 s[20:21], s[20:21]
	s_cbranch_execz .LBB22_1260
.LBB22_1280:
	v_cmp_ne_u16_e32 vcc, 0, v3
	s_andn2_b64 s[22:23], s[22:23], exec
	s_and_b64 s[24:25], vcc, exec
	s_or_b64 s[22:23], s[22:23], s[24:25]
	s_or_b64 exec, exec, s[20:21]
	v_mov_b32_e32 v2, 0
	s_and_saveexec_b64 s[20:21], s[22:23]
	s_cbranch_execnz .LBB22_1261
	s_branch .LBB22_1262
.LBB22_1281:
	s_mov_b64 s[0:1], -1
                                        ; implicit-def: $vgpr2
.LBB22_1282:
	s_mov_b64 s[24:25], 0
.LBB22_1283:
	s_and_b64 vcc, exec, s[24:25]
	s_cbranch_vccz .LBB22_1285
; %bb.1284:
	s_cmp_lg_u32 s15, 11
	s_mov_b64 s[20:21], -1
	s_cselect_b64 s[0:1], -1, 0
.LBB22_1285:
	s_and_b64 vcc, exec, s[0:1]
	s_cbranch_vccnz .LBB22_1364
; %bb.1286:
	s_andn2_b64 vcc, exec, s[20:21]
	s_cbranch_vccnz .LBB22_1288
.LBB22_1287:
	global_load_ubyte v2, v[0:1], off
	s_mov_b64 s[22:23], -1
	s_waitcnt vmcnt(0)
	v_cmp_ne_u16_e32 vcc, 0, v2
	v_cndmask_b32_e64 v2, 0, 1, vcc
.LBB22_1288:
	s_branch .LBB22_1219
.LBB22_1289:
	s_cmp_lt_i32 s15, 5
	s_cbranch_scc1 .LBB22_1294
; %bb.1290:
	s_cmp_lt_i32 s15, 8
	s_cbranch_scc1 .LBB22_1295
; %bb.1291:
	;; [unrolled: 3-line block ×3, first 2 shown]
	s_cmp_gt_i32 s15, 9
	s_cbranch_scc0 .LBB22_1297
; %bb.1293:
	global_load_dwordx2 v[2:3], v[0:1], off
	s_mov_b64 s[0:1], 0
	s_waitcnt vmcnt(0)
	v_cvt_i32_f64_e32 v2, v[2:3]
	s_branch .LBB22_1298
.LBB22_1294:
                                        ; implicit-def: $vgpr2
	s_branch .LBB22_1316
.LBB22_1295:
	s_mov_b64 s[0:1], -1
                                        ; implicit-def: $vgpr2
	s_branch .LBB22_1304
.LBB22_1296:
	s_mov_b64 s[0:1], -1
                                        ; implicit-def: $vgpr2
	s_branch .LBB22_1301
.LBB22_1297:
	s_mov_b64 s[0:1], -1
                                        ; implicit-def: $vgpr2
.LBB22_1298:
	s_andn2_b64 vcc, exec, s[0:1]
	s_cbranch_vccnz .LBB22_1300
; %bb.1299:
	global_load_dword v2, v[0:1], off
	s_waitcnt vmcnt(0)
	v_cvt_i32_f32_e32 v2, v2
.LBB22_1300:
	s_mov_b64 s[0:1], 0
.LBB22_1301:
	s_andn2_b64 vcc, exec, s[0:1]
	s_cbranch_vccnz .LBB22_1303
; %bb.1302:
	global_load_dword v2, v[0:1], off
	s_waitcnt vmcnt(0)
	v_cvt_i16_f16_e32 v2, v2
.LBB22_1303:
	s_mov_b64 s[0:1], 0
.LBB22_1304:
	s_andn2_b64 vcc, exec, s[0:1]
	s_cbranch_vccnz .LBB22_1315
; %bb.1305:
	s_cmp_lt_i32 s15, 6
	s_cbranch_scc1 .LBB22_1308
; %bb.1306:
	s_cmp_gt_i32 s15, 6
	s_cbranch_scc0 .LBB22_1309
; %bb.1307:
	global_load_dwordx2 v[2:3], v[0:1], off
	s_mov_b64 s[0:1], 0
	s_waitcnt vmcnt(0)
	v_cvt_i32_f64_e32 v2, v[2:3]
	s_branch .LBB22_1310
.LBB22_1308:
	s_mov_b64 s[0:1], -1
                                        ; implicit-def: $vgpr2
	s_branch .LBB22_1313
.LBB22_1309:
	s_mov_b64 s[0:1], -1
                                        ; implicit-def: $vgpr2
.LBB22_1310:
	s_andn2_b64 vcc, exec, s[0:1]
	s_cbranch_vccnz .LBB22_1312
; %bb.1311:
	global_load_dword v2, v[0:1], off
	s_waitcnt vmcnt(0)
	v_cvt_i32_f32_e32 v2, v2
.LBB22_1312:
	s_mov_b64 s[0:1], 0
.LBB22_1313:
	s_andn2_b64 vcc, exec, s[0:1]
	s_cbranch_vccnz .LBB22_1315
; %bb.1314:
	global_load_ushort v2, v[0:1], off
	s_waitcnt vmcnt(0)
	v_cvt_i16_f16_e32 v2, v2
.LBB22_1315:
	s_cbranch_execnz .LBB22_1335
.LBB22_1316:
	s_cmp_lt_i32 s15, 2
	s_cbranch_scc1 .LBB22_1320
; %bb.1317:
	s_cmp_lt_i32 s15, 3
	s_cbranch_scc1 .LBB22_1321
; %bb.1318:
	s_cmp_gt_i32 s15, 3
	s_cbranch_scc0 .LBB22_1322
; %bb.1319:
	global_load_dwordx2 v[2:3], v[0:1], off
	s_mov_b64 s[0:1], 0
	s_branch .LBB22_1323
.LBB22_1320:
	s_mov_b64 s[0:1], -1
                                        ; implicit-def: $vgpr2
	s_branch .LBB22_1329
.LBB22_1321:
	s_mov_b64 s[0:1], -1
                                        ; implicit-def: $vgpr2
	s_branch .LBB22_1326
.LBB22_1322:
	s_mov_b64 s[0:1], -1
                                        ; implicit-def: $vgpr2
.LBB22_1323:
	s_andn2_b64 vcc, exec, s[0:1]
	s_cbranch_vccnz .LBB22_1325
; %bb.1324:
	global_load_dword v2, v[0:1], off
.LBB22_1325:
	s_mov_b64 s[0:1], 0
.LBB22_1326:
	s_andn2_b64 vcc, exec, s[0:1]
	s_cbranch_vccnz .LBB22_1328
; %bb.1327:
	global_load_ushort v2, v[0:1], off
.LBB22_1328:
	s_mov_b64 s[0:1], 0
.LBB22_1329:
	s_andn2_b64 vcc, exec, s[0:1]
	s_cbranch_vccnz .LBB22_1335
; %bb.1330:
	s_cmp_gt_i32 s15, 0
	s_cbranch_scc0 .LBB22_1332
; %bb.1331:
	global_load_ubyte v2, v[0:1], off
	s_mov_b64 s[0:1], 0
	s_branch .LBB22_1333
.LBB22_1332:
	s_mov_b64 s[0:1], -1
                                        ; implicit-def: $vgpr2
.LBB22_1333:
	s_andn2_b64 vcc, exec, s[0:1]
	s_cbranch_vccnz .LBB22_1335
; %bb.1334:
	global_load_ubyte v2, v[0:1], off
.LBB22_1335:
.LBB22_1336:
	s_cmp_lt_i32 s14, 1
	s_mov_b64 s[0:1], 0
	s_cbranch_scc1 .LBB22_1340
; %bb.1337:
	s_cmp_gt_i32 s14, 1
	s_cbranch_scc0 .LBB22_1341
; %bb.1338:
	s_cmp_eq_u32 s14, 2
	s_cbranch_scc0 .LBB22_1342
; %bb.1339:
	s_waitcnt vmcnt(0)
	v_cmp_le_i16_sdwa s[20:21], sext(v2), s2 src0_sel:BYTE_0 src1_sel:DWORD
	s_mov_b64 s[22:23], 0
	s_branch .LBB22_1343
.LBB22_1340:
                                        ; implicit-def: $sgpr20_sgpr21
	s_mov_b64 s[22:23], 0
	s_cbranch_execnz .LBB22_1347
	s_branch .LBB22_1348
.LBB22_1341:
	s_mov_b64 s[24:25], -1
	s_mov_b64 s[22:23], 0
                                        ; implicit-def: $sgpr20_sgpr21
	s_branch .LBB22_1344
.LBB22_1342:
	s_mov_b64 s[22:23], -1
                                        ; implicit-def: $sgpr20_sgpr21
.LBB22_1343:
	s_mov_b64 s[24:25], 0
.LBB22_1344:
	s_and_b64 vcc, exec, s[24:25]
	s_cbranch_vccz .LBB22_1346
; %bb.1345:
	s_waitcnt vmcnt(0)
	v_cmp_gt_i16_sdwa s[24:25], sext(v2), s2 src0_sel:BYTE_0 src1_sel:DWORD
	s_andn2_b64 s[20:21], s[20:21], exec
	s_and_b64 s[24:25], s[24:25], exec
	s_or_b64 s[20:21], s[20:21], s[24:25]
.LBB22_1346:
	s_branch .LBB22_1348
.LBB22_1347:
	s_cmp_lg_u32 s14, 0
	s_mov_b64 s[0:1], -1
	s_cselect_b64 s[22:23], -1, 0
.LBB22_1348:
	s_andn2_b64 vcc, exec, s[22:23]
	s_cbranch_vccnz .LBB22_1350
; %bb.1349:
	s_waitcnt vmcnt(0)
	v_cmp_lt_i16_sdwa s[22:23], sext(v2), s2 src0_sel:BYTE_0 src1_sel:DWORD
	s_andn2_b64 s[20:21], s[20:21], exec
	s_and_b64 s[22:23], s[22:23], exec
	s_or_b64 s[20:21], s[20:21], s[22:23]
	s_cbranch_execz .LBB22_1351
	s_branch .LBB22_1352
.LBB22_1350:
	s_andn2_b64 vcc, exec, s[0:1]
	s_cbranch_vccnz .LBB22_1352
.LBB22_1351:
	s_waitcnt vmcnt(0)
	v_cmp_ge_i16_sdwa s[0:1], sext(v2), s2 src0_sel:BYTE_0 src1_sel:DWORD
	s_andn2_b64 s[20:21], s[20:21], exec
	s_and_b64 s[0:1], s[0:1], exec
	s_or_b64 s[20:21], s[20:21], s[0:1]
.LBB22_1352:
	v_add_u32_e32 v5, s13, v5
	v_ashrrev_i32_e32 v1, 31, v5
	s_waitcnt vmcnt(0)
	v_mov_b32_e32 v2, s11
	v_add_co_u32_e32 v0, vcc, s10, v5
	s_cmp_lt_i32 s15, 11
	v_addc_co_u32_e32 v1, vcc, v2, v1, vcc
	s_cbranch_scc1 .LBB22_1359
; %bb.1353:
	s_cmp_gt_i32 s15, 25
	s_mov_b64 s[22:23], 0
	s_cbranch_scc0 .LBB22_1361
; %bb.1354:
	s_cmp_gt_i32 s15, 28
	s_cbranch_scc0 .LBB22_1362
; %bb.1355:
	s_cmp_gt_i32 s15, 43
	;; [unrolled: 3-line block ×3, first 2 shown]
	s_cbranch_scc0 .LBB22_1365
; %bb.1357:
	s_cmp_eq_u32 s15, 46
	s_mov_b64 s[26:27], 0
	s_cbranch_scc0 .LBB22_1366
; %bb.1358:
	global_load_dword v2, v[0:1], off
	s_mov_b64 s[0:1], 0
	s_mov_b64 s[24:25], -1
	s_waitcnt vmcnt(0)
	v_lshlrev_b32_e32 v2, 16, v2
	v_cvt_i32_f32_e32 v2, v2
	s_branch .LBB22_1367
.LBB22_1359:
	s_mov_b64 s[24:25], 0
                                        ; implicit-def: $vgpr2
	s_cbranch_execnz .LBB22_1429
.LBB22_1360:
	s_andn2_b64 vcc, exec, s[24:25]
	s_cbranch_vccnz .LBB22_1623
	s_branch .LBB22_1477
.LBB22_1361:
	s_mov_b64 s[26:27], -1
	s_mov_b64 s[24:25], 0
	s_mov_b64 s[0:1], 0
                                        ; implicit-def: $vgpr2
	s_branch .LBB22_1394
.LBB22_1362:
	s_mov_b64 s[26:27], -1
	s_mov_b64 s[24:25], 0
	s_mov_b64 s[0:1], 0
                                        ; implicit-def: $vgpr2
	s_branch .LBB22_1377
.LBB22_1363:
	s_mov_b64 s[26:27], -1
	s_mov_b64 s[24:25], 0
	s_mov_b64 s[0:1], 0
                                        ; implicit-def: $vgpr2
	s_branch .LBB22_1372
.LBB22_1364:
	s_trap 2
	s_or_b64 s[18:19], s[18:19], exec
	s_cbranch_execz .LBB22_1287
	s_branch .LBB22_1288
.LBB22_1365:
	s_mov_b64 s[26:27], -1
	s_mov_b64 s[24:25], 0
	s_mov_b64 s[0:1], 0
                                        ; implicit-def: $vgpr2
	s_branch .LBB22_1367
.LBB22_1366:
	s_mov_b64 s[0:1], -1
                                        ; implicit-def: $vgpr2
	s_mov_b64 s[24:25], 0
.LBB22_1367:
	s_and_b64 vcc, exec, s[26:27]
	s_cbranch_vccz .LBB22_1371
; %bb.1368:
	s_cmp_eq_u32 s15, 44
	s_cbranch_scc0 .LBB22_1370
; %bb.1369:
	global_load_ubyte v2, v[0:1], off
	s_mov_b64 s[0:1], 0
	s_mov_b64 s[24:25], -1
	s_waitcnt vmcnt(0)
	v_lshlrev_b32_e32 v3, 23, v2
	v_cvt_i32_f32_e32 v3, v3
	v_cmp_ne_u32_e32 vcc, 0, v2
	v_cndmask_b32_e32 v2, 0, v3, vcc
	s_branch .LBB22_1371
.LBB22_1370:
	s_mov_b64 s[0:1], -1
                                        ; implicit-def: $vgpr2
.LBB22_1371:
	s_mov_b64 s[26:27], 0
.LBB22_1372:
	s_and_b64 vcc, exec, s[26:27]
	s_cbranch_vccz .LBB22_1376
; %bb.1373:
	s_cmp_eq_u32 s15, 29
	s_cbranch_scc0 .LBB22_1375
; %bb.1374:
	global_load_dwordx2 v[2:3], v[0:1], off
	s_mov_b64 s[0:1], 0
	s_mov_b64 s[24:25], -1
	s_branch .LBB22_1376
.LBB22_1375:
	s_mov_b64 s[0:1], -1
                                        ; implicit-def: $vgpr2
.LBB22_1376:
	s_mov_b64 s[26:27], 0
.LBB22_1377:
	s_and_b64 vcc, exec, s[26:27]
	s_cbranch_vccz .LBB22_1393
; %bb.1378:
	s_cmp_lt_i32 s15, 27
	s_cbranch_scc1 .LBB22_1381
; %bb.1379:
	s_cmp_gt_i32 s15, 27
	s_cbranch_scc0 .LBB22_1382
; %bb.1380:
	global_load_dword v2, v[0:1], off
	s_mov_b64 s[24:25], 0
	s_branch .LBB22_1383
.LBB22_1381:
	s_mov_b64 s[24:25], -1
                                        ; implicit-def: $vgpr2
	s_branch .LBB22_1386
.LBB22_1382:
	s_mov_b64 s[24:25], -1
                                        ; implicit-def: $vgpr2
.LBB22_1383:
	s_andn2_b64 vcc, exec, s[24:25]
	s_cbranch_vccnz .LBB22_1385
; %bb.1384:
	global_load_ushort v2, v[0:1], off
.LBB22_1385:
	s_mov_b64 s[24:25], 0
.LBB22_1386:
	s_andn2_b64 vcc, exec, s[24:25]
	s_cbranch_vccnz .LBB22_1392
; %bb.1387:
	global_load_ubyte v3, v[0:1], off
	s_movk_i32 s24, 0x7f
	s_mov_b64 s[26:27], 0
	s_waitcnt vmcnt(0)
	v_cmp_lt_i16_e32 vcc, s24, v3
	s_and_saveexec_b64 s[24:25], vcc
	s_xor_b64 s[24:25], exec, s[24:25]
	s_cbranch_execz .LBB22_1404
; %bb.1388:
	s_movk_i32 s26, 0x80
	v_cmp_ne_u16_e32 vcc, s26, v3
	s_and_b64 s[26:27], vcc, exec
	s_andn2_saveexec_b64 s[24:25], s[24:25]
	s_cbranch_execnz .LBB22_1405
.LBB22_1389:
	s_or_b64 exec, exec, s[24:25]
	v_mov_b32_e32 v2, 0
	s_and_saveexec_b64 s[24:25], s[26:27]
	s_cbranch_execz .LBB22_1391
.LBB22_1390:
	v_lshlrev_b32_e32 v2, 24, v3
	v_and_b32_e32 v3, 0xffff, v3
	v_and_b32_e32 v6, 7, v3
	v_ffbh_u32_e32 v8, v6
	v_min_u32_e32 v8, 32, v8
	v_subrev_u32_e32 v9, 28, v8
	v_bfe_u32 v7, v3, 3, 4
	v_lshlrev_b32_e32 v3, v9, v3
	v_sub_u32_e32 v8, 29, v8
	v_and_b32_e32 v3, 7, v3
	v_cmp_eq_u32_e32 vcc, 0, v7
	v_cndmask_b32_e32 v7, v7, v8, vcc
	v_cndmask_b32_e32 v3, v6, v3, vcc
	v_mov_b32_e32 v6, 0x3b800000
	v_lshlrev_b32_e32 v3, 20, v3
	v_and_b32_e32 v2, 0x80000000, v2
	v_lshl_add_u32 v6, v7, 23, v6
	v_or3_b32 v2, v2, v6, v3
	v_cvt_i32_f32_e32 v2, v2
.LBB22_1391:
	s_or_b64 exec, exec, s[24:25]
.LBB22_1392:
	s_mov_b64 s[24:25], -1
.LBB22_1393:
	s_mov_b64 s[26:27], 0
.LBB22_1394:
	s_and_b64 vcc, exec, s[26:27]
	s_cbranch_vccz .LBB22_1425
; %bb.1395:
	s_cmp_gt_i32 s15, 22
	s_cbranch_scc0 .LBB22_1403
; %bb.1396:
	s_cmp_lt_i32 s15, 24
	s_cbranch_scc1 .LBB22_1406
; %bb.1397:
	s_cmp_gt_i32 s15, 24
	s_cbranch_scc0 .LBB22_1407
; %bb.1398:
	global_load_ubyte v3, v[0:1], off
	s_movk_i32 s22, 0x7f
	s_mov_b64 s[24:25], 0
	s_waitcnt vmcnt(0)
	v_cmp_lt_i16_e32 vcc, s22, v3
	s_and_saveexec_b64 s[22:23], vcc
	s_xor_b64 s[22:23], exec, s[22:23]
	s_cbranch_execz .LBB22_1419
; %bb.1399:
	s_movk_i32 s24, 0x80
	v_cmp_ne_u16_e32 vcc, s24, v3
	s_and_b64 s[24:25], vcc, exec
	s_andn2_saveexec_b64 s[22:23], s[22:23]
	s_cbranch_execnz .LBB22_1420
.LBB22_1400:
	s_or_b64 exec, exec, s[22:23]
	v_mov_b32_e32 v2, 0
	s_and_saveexec_b64 s[22:23], s[24:25]
	s_cbranch_execz .LBB22_1402
.LBB22_1401:
	v_lshlrev_b32_e32 v2, 24, v3
	v_and_b32_e32 v3, 0xffff, v3
	v_and_b32_e32 v6, 3, v3
	v_ffbh_u32_e32 v8, v6
	v_min_u32_e32 v8, 32, v8
	v_subrev_u32_e32 v9, 29, v8
	v_bfe_u32 v7, v3, 2, 5
	v_lshlrev_b32_e32 v3, v9, v3
	v_sub_u32_e32 v8, 30, v8
	v_and_b32_e32 v3, 3, v3
	v_cmp_eq_u32_e32 vcc, 0, v7
	v_cndmask_b32_e32 v7, v7, v8, vcc
	v_cndmask_b32_e32 v3, v6, v3, vcc
	v_mov_b32_e32 v6, 0x37800000
	v_lshlrev_b32_e32 v3, 21, v3
	v_and_b32_e32 v2, 0x80000000, v2
	v_lshl_add_u32 v6, v7, 23, v6
	v_or3_b32 v2, v2, v6, v3
	v_cvt_i32_f32_e32 v2, v2
.LBB22_1402:
	s_or_b64 exec, exec, s[22:23]
	s_mov_b64 s[22:23], 0
	s_branch .LBB22_1408
.LBB22_1403:
	s_mov_b64 s[22:23], -1
                                        ; implicit-def: $vgpr2
	s_branch .LBB22_1414
.LBB22_1404:
	s_andn2_saveexec_b64 s[24:25], s[24:25]
	s_cbranch_execz .LBB22_1389
.LBB22_1405:
	v_cmp_ne_u16_e32 vcc, 0, v3
	s_andn2_b64 s[26:27], s[26:27], exec
	s_and_b64 s[28:29], vcc, exec
	s_or_b64 s[26:27], s[26:27], s[28:29]
	s_or_b64 exec, exec, s[24:25]
	v_mov_b32_e32 v2, 0
	s_and_saveexec_b64 s[24:25], s[26:27]
	s_cbranch_execnz .LBB22_1390
	s_branch .LBB22_1391
.LBB22_1406:
	s_mov_b64 s[22:23], -1
                                        ; implicit-def: $vgpr2
	s_branch .LBB22_1411
.LBB22_1407:
	s_mov_b64 s[22:23], -1
                                        ; implicit-def: $vgpr2
.LBB22_1408:
	s_and_b64 vcc, exec, s[22:23]
	s_cbranch_vccz .LBB22_1410
; %bb.1409:
	global_load_ubyte v2, v[0:1], off
	s_mov_b32 s22, 0x7f800000
	s_waitcnt vmcnt(0)
	v_lshlrev_b32_e32 v2, 24, v2
	v_and_b32_e32 v3, 0x7f000000, v2
	v_ffbh_u32_e32 v6, v3
	v_min_u32_e32 v6, 32, v6
	v_sub_u32_e64 v6, v6, 4 clamp
	v_lshlrev_b32_e32 v8, v6, v3
	v_lshlrev_b32_e32 v6, 23, v6
	v_lshrrev_b32_e32 v8, 4, v8
	v_add_u32_e32 v7, 0x1000000, v3
	v_sub_u32_e32 v6, v8, v6
	v_ashrrev_i32_e32 v7, 8, v7
	v_add_u32_e32 v6, 0x3c000000, v6
	v_and_or_b32 v6, v7, s22, v6
	v_cmp_ne_u32_e32 vcc, 0, v3
	v_cndmask_b32_e32 v3, 0, v6, vcc
	s_brev_b32 s22, 1
	v_and_or_b32 v2, v2, s22, v3
	v_cvt_i32_f32_e32 v2, v2
.LBB22_1410:
	s_mov_b64 s[22:23], 0
.LBB22_1411:
	s_andn2_b64 vcc, exec, s[22:23]
	s_cbranch_vccnz .LBB22_1413
; %bb.1412:
	global_load_ubyte v2, v[0:1], off
	s_movk_i32 s22, 0x7f00
	s_brev_b32 s23, 16
	s_waitcnt vmcnt(0)
	v_lshlrev_b16_e32 v3, 8, v2
	v_lshlrev_b32_e32 v2, 25, v2
	v_lshrrev_b32_e32 v6, 4, v2
	v_and_or_b32 v7, v3, s22, 0.5
	v_or_b32_e32 v6, 0x70000000, v6
	v_add_f32_e32 v7, -0.5, v7
	v_mul_f32_e32 v6, 0x7800000, v6
	v_cmp_gt_u32_e32 vcc, s23, v2
	v_bfe_i32 v3, v3, 0, 16
	v_cndmask_b32_e32 v2, v6, v7, vcc
	s_brev_b32 s22, 1
	v_and_or_b32 v2, v3, s22, v2
	v_cvt_i32_f32_e32 v2, v2
.LBB22_1413:
	s_mov_b64 s[22:23], 0
	s_mov_b64 s[24:25], -1
.LBB22_1414:
	s_andn2_b64 vcc, exec, s[22:23]
	s_mov_b64 s[22:23], 0
	s_cbranch_vccnz .LBB22_1425
; %bb.1415:
	s_cmp_gt_i32 s15, 14
	s_cbranch_scc0 .LBB22_1418
; %bb.1416:
	s_cmp_eq_u32 s15, 15
	s_cbranch_scc0 .LBB22_1421
; %bb.1417:
	global_load_ushort v2, v[0:1], off
	s_mov_b64 s[0:1], 0
	s_mov_b64 s[24:25], -1
	s_waitcnt vmcnt(0)
	v_lshlrev_b32_e32 v2, 16, v2
	v_cvt_i32_f32_e32 v2, v2
	s_branch .LBB22_1422
.LBB22_1418:
	s_mov_b64 s[26:27], -1
                                        ; implicit-def: $vgpr2
	s_branch .LBB22_1423
.LBB22_1419:
	s_andn2_saveexec_b64 s[22:23], s[22:23]
	s_cbranch_execz .LBB22_1400
.LBB22_1420:
	v_cmp_ne_u16_e32 vcc, 0, v3
	s_andn2_b64 s[24:25], s[24:25], exec
	s_and_b64 s[26:27], vcc, exec
	s_or_b64 s[24:25], s[24:25], s[26:27]
	s_or_b64 exec, exec, s[22:23]
	v_mov_b32_e32 v2, 0
	s_and_saveexec_b64 s[22:23], s[24:25]
	s_cbranch_execnz .LBB22_1401
	s_branch .LBB22_1402
.LBB22_1421:
	s_mov_b64 s[0:1], -1
                                        ; implicit-def: $vgpr2
.LBB22_1422:
	s_mov_b64 s[26:27], 0
.LBB22_1423:
	s_and_b64 vcc, exec, s[26:27]
	s_cbranch_vccz .LBB22_1425
; %bb.1424:
	s_cmp_lg_u32 s15, 11
	s_mov_b64 s[22:23], -1
	s_cselect_b64 s[0:1], -1, 0
.LBB22_1425:
	s_and_b64 vcc, exec, s[0:1]
	s_cbranch_vccnz .LBB22_1504
; %bb.1426:
	s_andn2_b64 vcc, exec, s[22:23]
	s_cbranch_vccnz .LBB22_1428
.LBB22_1427:
	global_load_ubyte v2, v[0:1], off
	s_mov_b64 s[24:25], -1
	s_waitcnt vmcnt(0)
	v_cmp_ne_u16_e32 vcc, 0, v2
	v_cndmask_b32_e64 v2, 0, 1, vcc
.LBB22_1428:
	s_branch .LBB22_1360
.LBB22_1429:
	s_cmp_lt_i32 s15, 5
	s_cbranch_scc1 .LBB22_1434
; %bb.1430:
	s_cmp_lt_i32 s15, 8
	s_cbranch_scc1 .LBB22_1435
; %bb.1431:
	;; [unrolled: 3-line block ×3, first 2 shown]
	s_cmp_gt_i32 s15, 9
	s_cbranch_scc0 .LBB22_1437
; %bb.1433:
	global_load_dwordx2 v[2:3], v[0:1], off
	s_mov_b64 s[0:1], 0
	s_waitcnt vmcnt(0)
	v_cvt_i32_f64_e32 v2, v[2:3]
	s_branch .LBB22_1438
.LBB22_1434:
	s_mov_b64 s[0:1], -1
                                        ; implicit-def: $vgpr2
	s_branch .LBB22_1456
.LBB22_1435:
	s_mov_b64 s[0:1], -1
                                        ; implicit-def: $vgpr2
	s_branch .LBB22_1444
.LBB22_1436:
	s_mov_b64 s[0:1], -1
                                        ; implicit-def: $vgpr2
	s_branch .LBB22_1441
.LBB22_1437:
	s_mov_b64 s[0:1], -1
                                        ; implicit-def: $vgpr2
.LBB22_1438:
	s_andn2_b64 vcc, exec, s[0:1]
	s_cbranch_vccnz .LBB22_1440
; %bb.1439:
	global_load_dword v2, v[0:1], off
	s_waitcnt vmcnt(0)
	v_cvt_i32_f32_e32 v2, v2
.LBB22_1440:
	s_mov_b64 s[0:1], 0
.LBB22_1441:
	s_andn2_b64 vcc, exec, s[0:1]
	s_cbranch_vccnz .LBB22_1443
; %bb.1442:
	global_load_dword v2, v[0:1], off
	s_waitcnt vmcnt(0)
	v_cvt_i16_f16_e32 v2, v2
.LBB22_1443:
	s_mov_b64 s[0:1], 0
.LBB22_1444:
	s_andn2_b64 vcc, exec, s[0:1]
	s_cbranch_vccnz .LBB22_1455
; %bb.1445:
	s_cmp_lt_i32 s15, 6
	s_cbranch_scc1 .LBB22_1448
; %bb.1446:
	s_cmp_gt_i32 s15, 6
	s_cbranch_scc0 .LBB22_1449
; %bb.1447:
	global_load_dwordx2 v[2:3], v[0:1], off
	s_mov_b64 s[0:1], 0
	s_waitcnt vmcnt(0)
	v_cvt_i32_f64_e32 v2, v[2:3]
	s_branch .LBB22_1450
.LBB22_1448:
	s_mov_b64 s[0:1], -1
                                        ; implicit-def: $vgpr2
	s_branch .LBB22_1453
.LBB22_1449:
	s_mov_b64 s[0:1], -1
                                        ; implicit-def: $vgpr2
.LBB22_1450:
	s_andn2_b64 vcc, exec, s[0:1]
	s_cbranch_vccnz .LBB22_1452
; %bb.1451:
	global_load_dword v2, v[0:1], off
	s_waitcnt vmcnt(0)
	v_cvt_i32_f32_e32 v2, v2
.LBB22_1452:
	s_mov_b64 s[0:1], 0
.LBB22_1453:
	s_andn2_b64 vcc, exec, s[0:1]
	s_cbranch_vccnz .LBB22_1455
; %bb.1454:
	global_load_ushort v2, v[0:1], off
	s_waitcnt vmcnt(0)
	v_cvt_i16_f16_e32 v2, v2
.LBB22_1455:
	s_mov_b64 s[0:1], 0
.LBB22_1456:
	s_andn2_b64 vcc, exec, s[0:1]
	s_cbranch_vccnz .LBB22_1476
; %bb.1457:
	s_cmp_lt_i32 s15, 2
	s_cbranch_scc1 .LBB22_1461
; %bb.1458:
	s_cmp_lt_i32 s15, 3
	s_cbranch_scc1 .LBB22_1462
; %bb.1459:
	s_cmp_gt_i32 s15, 3
	s_cbranch_scc0 .LBB22_1463
; %bb.1460:
	global_load_dwordx2 v[2:3], v[0:1], off
	s_mov_b64 s[0:1], 0
	s_branch .LBB22_1464
.LBB22_1461:
	s_mov_b64 s[0:1], -1
                                        ; implicit-def: $vgpr2
	s_branch .LBB22_1470
.LBB22_1462:
	s_mov_b64 s[0:1], -1
                                        ; implicit-def: $vgpr2
	s_branch .LBB22_1467
.LBB22_1463:
	s_mov_b64 s[0:1], -1
                                        ; implicit-def: $vgpr2
.LBB22_1464:
	s_andn2_b64 vcc, exec, s[0:1]
	s_cbranch_vccnz .LBB22_1466
; %bb.1465:
	global_load_dword v2, v[0:1], off
.LBB22_1466:
	s_mov_b64 s[0:1], 0
.LBB22_1467:
	s_andn2_b64 vcc, exec, s[0:1]
	s_cbranch_vccnz .LBB22_1469
; %bb.1468:
	global_load_ushort v2, v[0:1], off
.LBB22_1469:
	s_mov_b64 s[0:1], 0
.LBB22_1470:
	s_andn2_b64 vcc, exec, s[0:1]
	s_cbranch_vccnz .LBB22_1476
; %bb.1471:
	s_cmp_gt_i32 s15, 0
	s_cbranch_scc0 .LBB22_1473
; %bb.1472:
	global_load_ubyte v2, v[0:1], off
	s_mov_b64 s[0:1], 0
	s_branch .LBB22_1474
.LBB22_1473:
	s_mov_b64 s[0:1], -1
                                        ; implicit-def: $vgpr2
.LBB22_1474:
	s_andn2_b64 vcc, exec, s[0:1]
	s_cbranch_vccnz .LBB22_1476
; %bb.1475:
	global_load_ubyte v2, v[0:1], off
.LBB22_1476:
.LBB22_1477:
	s_cmp_lt_i32 s14, 1
	s_mov_b64 s[0:1], 0
	s_cbranch_scc1 .LBB22_1481
; %bb.1478:
	s_cmp_gt_i32 s14, 1
	s_cbranch_scc0 .LBB22_1484
; %bb.1479:
	s_cmp_eq_u32 s14, 2
	s_cbranch_scc0 .LBB22_1485
; %bb.1480:
	s_waitcnt vmcnt(0)
	v_cmp_le_i16_sdwa s[24:25], sext(v2), s2 src0_sel:BYTE_0 src1_sel:DWORD
	s_mov_b64 s[22:23], 0
	s_branch .LBB22_1486
.LBB22_1481:
                                        ; implicit-def: $sgpr24_sgpr25
	s_mov_b64 s[22:23], 0
	s_cbranch_execnz .LBB22_1490
.LBB22_1482:
	s_andn2_b64 vcc, exec, s[22:23]
	s_cbranch_vccnz .LBB22_1491
.LBB22_1483:
	s_waitcnt vmcnt(0)
	v_cmp_lt_i16_sdwa s[22:23], sext(v2), s2 src0_sel:BYTE_0 src1_sel:DWORD
	s_andn2_b64 s[24:25], s[24:25], exec
	s_and_b64 s[22:23], s[22:23], exec
	s_or_b64 s[24:25], s[24:25], s[22:23]
	s_cbranch_execz .LBB22_1492
	s_branch .LBB22_1493
.LBB22_1484:
	s_mov_b64 s[26:27], -1
	s_mov_b64 s[22:23], 0
                                        ; implicit-def: $sgpr24_sgpr25
	s_branch .LBB22_1487
.LBB22_1485:
	s_mov_b64 s[22:23], -1
                                        ; implicit-def: $sgpr24_sgpr25
.LBB22_1486:
	s_mov_b64 s[26:27], 0
.LBB22_1487:
	s_and_b64 vcc, exec, s[26:27]
	s_cbranch_vccz .LBB22_1489
; %bb.1488:
	s_waitcnt vmcnt(0)
	v_cmp_gt_i16_sdwa s[26:27], sext(v2), s2 src0_sel:BYTE_0 src1_sel:DWORD
	s_andn2_b64 s[24:25], s[24:25], exec
	s_and_b64 s[26:27], s[26:27], exec
	s_or_b64 s[24:25], s[24:25], s[26:27]
.LBB22_1489:
	s_branch .LBB22_1482
.LBB22_1490:
	s_cmp_lg_u32 s14, 0
	s_mov_b64 s[0:1], -1
	s_cselect_b64 s[22:23], -1, 0
	s_andn2_b64 vcc, exec, s[22:23]
	s_cbranch_vccz .LBB22_1483
.LBB22_1491:
	s_andn2_b64 vcc, exec, s[0:1]
	s_cbranch_vccnz .LBB22_1493
.LBB22_1492:
	s_waitcnt vmcnt(0)
	v_cmp_ge_i16_sdwa s[0:1], sext(v2), s2 src0_sel:BYTE_0 src1_sel:DWORD
	s_andn2_b64 s[22:23], s[24:25], exec
	s_and_b64 s[0:1], s[0:1], exec
	s_or_b64 s[24:25], s[22:23], s[0:1]
.LBB22_1493:
	v_add_u32_e32 v0, s13, v5
	v_ashrrev_i32_e32 v1, 31, v0
	s_waitcnt vmcnt(0)
	v_mov_b32_e32 v2, s11
	v_add_co_u32_e32 v0, vcc, s10, v0
	s_cmp_lt_i32 s15, 11
	v_addc_co_u32_e32 v1, vcc, v2, v1, vcc
	s_cbranch_scc1 .LBB22_1500
; %bb.1494:
	s_cmp_gt_i32 s15, 25
	s_mov_b64 s[10:11], 0
	s_cbranch_scc0 .LBB22_1501
; %bb.1495:
	s_cmp_gt_i32 s15, 28
	s_cbranch_scc0 .LBB22_1502
; %bb.1496:
	s_cmp_gt_i32 s15, 43
	;; [unrolled: 3-line block ×3, first 2 shown]
	s_cbranch_scc0 .LBB22_1505
; %bb.1498:
	s_cmp_eq_u32 s15, 46
	s_mov_b64 s[26:27], 0
	s_cbranch_scc0 .LBB22_1506
; %bb.1499:
	global_load_dword v2, v[0:1], off
	s_mov_b64 s[0:1], 0
	s_mov_b64 s[22:23], -1
	s_waitcnt vmcnt(0)
	v_lshlrev_b32_e32 v2, 16, v2
	v_cvt_i32_f32_e32 v2, v2
	s_branch .LBB22_1507
.LBB22_1500:
	s_mov_b64 s[0:1], -1
	s_mov_b64 s[22:23], 0
                                        ; implicit-def: $vgpr2
	s_branch .LBB22_1569
.LBB22_1501:
	s_mov_b64 s[26:27], -1
	s_mov_b64 s[22:23], 0
	s_mov_b64 s[0:1], 0
                                        ; implicit-def: $vgpr2
	s_branch .LBB22_1534
.LBB22_1502:
	s_mov_b64 s[26:27], -1
	s_mov_b64 s[22:23], 0
	s_mov_b64 s[0:1], 0
                                        ; implicit-def: $vgpr2
	s_branch .LBB22_1517
.LBB22_1503:
	s_mov_b64 s[26:27], -1
	s_mov_b64 s[22:23], 0
	s_mov_b64 s[0:1], 0
                                        ; implicit-def: $vgpr2
	s_branch .LBB22_1512
.LBB22_1504:
	s_trap 2
	s_or_b64 s[18:19], s[18:19], exec
	s_cbranch_execz .LBB22_1427
	s_branch .LBB22_1428
.LBB22_1505:
	s_mov_b64 s[26:27], -1
	s_mov_b64 s[22:23], 0
	s_mov_b64 s[0:1], 0
                                        ; implicit-def: $vgpr2
	s_branch .LBB22_1507
.LBB22_1506:
	s_mov_b64 s[0:1], -1
                                        ; implicit-def: $vgpr2
	s_mov_b64 s[22:23], 0
.LBB22_1507:
	s_and_b64 vcc, exec, s[26:27]
	s_cbranch_vccz .LBB22_1511
; %bb.1508:
	s_cmp_eq_u32 s15, 44
	s_cbranch_scc0 .LBB22_1510
; %bb.1509:
	global_load_ubyte v2, v[0:1], off
	s_mov_b64 s[0:1], 0
	s_mov_b64 s[22:23], -1
	s_waitcnt vmcnt(0)
	v_lshlrev_b32_e32 v3, 23, v2
	v_cvt_i32_f32_e32 v3, v3
	v_cmp_ne_u32_e32 vcc, 0, v2
	v_cndmask_b32_e32 v2, 0, v3, vcc
	s_branch .LBB22_1511
.LBB22_1510:
	s_mov_b64 s[0:1], -1
                                        ; implicit-def: $vgpr2
.LBB22_1511:
	s_mov_b64 s[26:27], 0
.LBB22_1512:
	s_and_b64 vcc, exec, s[26:27]
	s_cbranch_vccz .LBB22_1516
; %bb.1513:
	s_cmp_eq_u32 s15, 29
	s_cbranch_scc0 .LBB22_1515
; %bb.1514:
	global_load_dwordx2 v[2:3], v[0:1], off
	s_mov_b64 s[0:1], 0
	s_mov_b64 s[22:23], -1
	s_branch .LBB22_1516
.LBB22_1515:
	s_mov_b64 s[0:1], -1
                                        ; implicit-def: $vgpr2
.LBB22_1516:
	s_mov_b64 s[26:27], 0
.LBB22_1517:
	s_and_b64 vcc, exec, s[26:27]
	s_cbranch_vccz .LBB22_1533
; %bb.1518:
	s_cmp_lt_i32 s15, 27
	s_cbranch_scc1 .LBB22_1521
; %bb.1519:
	s_cmp_gt_i32 s15, 27
	s_cbranch_scc0 .LBB22_1522
; %bb.1520:
	global_load_dword v2, v[0:1], off
	s_mov_b64 s[22:23], 0
	s_branch .LBB22_1523
.LBB22_1521:
	s_mov_b64 s[22:23], -1
                                        ; implicit-def: $vgpr2
	s_branch .LBB22_1526
.LBB22_1522:
	s_mov_b64 s[22:23], -1
                                        ; implicit-def: $vgpr2
.LBB22_1523:
	s_andn2_b64 vcc, exec, s[22:23]
	s_cbranch_vccnz .LBB22_1525
; %bb.1524:
	global_load_ushort v2, v[0:1], off
.LBB22_1525:
	s_mov_b64 s[22:23], 0
.LBB22_1526:
	s_andn2_b64 vcc, exec, s[22:23]
	s_cbranch_vccnz .LBB22_1532
; %bb.1527:
	global_load_ubyte v3, v[0:1], off
	s_movk_i32 s13, 0x7f
	s_mov_b64 s[26:27], 0
	s_waitcnt vmcnt(0)
	v_cmp_lt_i16_e32 vcc, s13, v3
	s_and_saveexec_b64 s[22:23], vcc
	s_xor_b64 s[22:23], exec, s[22:23]
	s_cbranch_execz .LBB22_1544
; %bb.1528:
	s_movk_i32 s13, 0x80
	v_cmp_ne_u16_e32 vcc, s13, v3
	s_and_b64 s[26:27], vcc, exec
	s_andn2_saveexec_b64 s[22:23], s[22:23]
	s_cbranch_execnz .LBB22_1545
.LBB22_1529:
	s_or_b64 exec, exec, s[22:23]
	v_mov_b32_e32 v2, 0
	s_and_saveexec_b64 s[22:23], s[26:27]
	s_cbranch_execz .LBB22_1531
.LBB22_1530:
	v_lshlrev_b32_e32 v2, 24, v3
	v_and_b32_e32 v3, 0xffff, v3
	v_and_b32_e32 v5, 7, v3
	v_ffbh_u32_e32 v7, v5
	v_min_u32_e32 v7, 32, v7
	v_subrev_u32_e32 v8, 28, v7
	v_bfe_u32 v6, v3, 3, 4
	v_lshlrev_b32_e32 v3, v8, v3
	v_sub_u32_e32 v7, 29, v7
	v_and_b32_e32 v3, 7, v3
	v_cmp_eq_u32_e32 vcc, 0, v6
	v_cndmask_b32_e32 v6, v6, v7, vcc
	v_cndmask_b32_e32 v3, v5, v3, vcc
	v_mov_b32_e32 v5, 0x3b800000
	v_lshlrev_b32_e32 v3, 20, v3
	v_and_b32_e32 v2, 0x80000000, v2
	v_lshl_add_u32 v5, v6, 23, v5
	v_or3_b32 v2, v2, v5, v3
	v_cvt_i32_f32_e32 v2, v2
.LBB22_1531:
	s_or_b64 exec, exec, s[22:23]
.LBB22_1532:
	s_mov_b64 s[22:23], -1
.LBB22_1533:
	s_mov_b64 s[26:27], 0
.LBB22_1534:
	s_and_b64 vcc, exec, s[26:27]
	s_cbranch_vccz .LBB22_1565
; %bb.1535:
	s_cmp_gt_i32 s15, 22
	s_cbranch_scc0 .LBB22_1543
; %bb.1536:
	s_cmp_lt_i32 s15, 24
	s_cbranch_scc1 .LBB22_1546
; %bb.1537:
	s_cmp_gt_i32 s15, 24
	s_cbranch_scc0 .LBB22_1547
; %bb.1538:
	global_load_ubyte v3, v[0:1], off
	s_movk_i32 s10, 0x7f
	s_mov_b64 s[22:23], 0
	s_waitcnt vmcnt(0)
	v_cmp_lt_i16_e32 vcc, s10, v3
	s_and_saveexec_b64 s[10:11], vcc
	s_xor_b64 s[10:11], exec, s[10:11]
	s_cbranch_execz .LBB22_1559
; %bb.1539:
	s_movk_i32 s13, 0x80
	v_cmp_ne_u16_e32 vcc, s13, v3
	s_and_b64 s[22:23], vcc, exec
	s_andn2_saveexec_b64 s[10:11], s[10:11]
	s_cbranch_execnz .LBB22_1560
.LBB22_1540:
	s_or_b64 exec, exec, s[10:11]
	v_mov_b32_e32 v2, 0
	s_and_saveexec_b64 s[10:11], s[22:23]
	s_cbranch_execz .LBB22_1542
.LBB22_1541:
	v_lshlrev_b32_e32 v2, 24, v3
	v_and_b32_e32 v3, 0xffff, v3
	v_and_b32_e32 v5, 3, v3
	v_ffbh_u32_e32 v7, v5
	v_min_u32_e32 v7, 32, v7
	v_subrev_u32_e32 v8, 29, v7
	v_bfe_u32 v6, v3, 2, 5
	v_lshlrev_b32_e32 v3, v8, v3
	v_sub_u32_e32 v7, 30, v7
	v_and_b32_e32 v3, 3, v3
	v_cmp_eq_u32_e32 vcc, 0, v6
	v_cndmask_b32_e32 v6, v6, v7, vcc
	v_cndmask_b32_e32 v3, v5, v3, vcc
	v_mov_b32_e32 v5, 0x37800000
	v_lshlrev_b32_e32 v3, 21, v3
	v_and_b32_e32 v2, 0x80000000, v2
	v_lshl_add_u32 v5, v6, 23, v5
	v_or3_b32 v2, v2, v5, v3
	v_cvt_i32_f32_e32 v2, v2
.LBB22_1542:
	s_or_b64 exec, exec, s[10:11]
	s_mov_b64 s[10:11], 0
	s_branch .LBB22_1548
.LBB22_1543:
	s_mov_b64 s[10:11], -1
                                        ; implicit-def: $vgpr2
	s_branch .LBB22_1554
.LBB22_1544:
	s_andn2_saveexec_b64 s[22:23], s[22:23]
	s_cbranch_execz .LBB22_1529
.LBB22_1545:
	v_cmp_ne_u16_e32 vcc, 0, v3
	s_andn2_b64 s[26:27], s[26:27], exec
	s_and_b64 s[28:29], vcc, exec
	s_or_b64 s[26:27], s[26:27], s[28:29]
	s_or_b64 exec, exec, s[22:23]
	v_mov_b32_e32 v2, 0
	s_and_saveexec_b64 s[22:23], s[26:27]
	s_cbranch_execnz .LBB22_1530
	s_branch .LBB22_1531
.LBB22_1546:
	s_mov_b64 s[10:11], -1
                                        ; implicit-def: $vgpr2
	s_branch .LBB22_1551
.LBB22_1547:
	s_mov_b64 s[10:11], -1
                                        ; implicit-def: $vgpr2
.LBB22_1548:
	s_and_b64 vcc, exec, s[10:11]
	s_cbranch_vccz .LBB22_1550
; %bb.1549:
	global_load_ubyte v2, v[0:1], off
	s_mov_b32 s10, 0x7f800000
	s_waitcnt vmcnt(0)
	v_lshlrev_b32_e32 v2, 24, v2
	v_and_b32_e32 v3, 0x7f000000, v2
	v_ffbh_u32_e32 v5, v3
	v_min_u32_e32 v5, 32, v5
	v_sub_u32_e64 v5, v5, 4 clamp
	v_lshlrev_b32_e32 v7, v5, v3
	v_lshlrev_b32_e32 v5, 23, v5
	v_lshrrev_b32_e32 v7, 4, v7
	v_add_u32_e32 v6, 0x1000000, v3
	v_sub_u32_e32 v5, v7, v5
	v_ashrrev_i32_e32 v6, 8, v6
	v_add_u32_e32 v5, 0x3c000000, v5
	v_and_or_b32 v5, v6, s10, v5
	v_cmp_ne_u32_e32 vcc, 0, v3
	v_cndmask_b32_e32 v3, 0, v5, vcc
	s_brev_b32 s10, 1
	v_and_or_b32 v2, v2, s10, v3
	v_cvt_i32_f32_e32 v2, v2
.LBB22_1550:
	s_mov_b64 s[10:11], 0
.LBB22_1551:
	s_andn2_b64 vcc, exec, s[10:11]
	s_cbranch_vccnz .LBB22_1553
; %bb.1552:
	global_load_ubyte v2, v[0:1], off
	s_movk_i32 s10, 0x7f00
	s_brev_b32 s11, 16
	s_waitcnt vmcnt(0)
	v_lshlrev_b16_e32 v3, 8, v2
	v_lshlrev_b32_e32 v2, 25, v2
	v_lshrrev_b32_e32 v5, 4, v2
	v_and_or_b32 v6, v3, s10, 0.5
	v_or_b32_e32 v5, 0x70000000, v5
	v_add_f32_e32 v6, -0.5, v6
	v_mul_f32_e32 v5, 0x7800000, v5
	v_cmp_gt_u32_e32 vcc, s11, v2
	v_bfe_i32 v3, v3, 0, 16
	v_cndmask_b32_e32 v2, v5, v6, vcc
	s_brev_b32 s10, 1
	v_and_or_b32 v2, v3, s10, v2
	v_cvt_i32_f32_e32 v2, v2
.LBB22_1553:
	s_mov_b64 s[10:11], 0
	s_mov_b64 s[22:23], -1
.LBB22_1554:
	s_andn2_b64 vcc, exec, s[10:11]
	s_mov_b64 s[10:11], 0
	s_cbranch_vccnz .LBB22_1565
; %bb.1555:
	s_cmp_gt_i32 s15, 14
	s_cbranch_scc0 .LBB22_1558
; %bb.1556:
	s_cmp_eq_u32 s15, 15
	s_cbranch_scc0 .LBB22_1561
; %bb.1557:
	global_load_ushort v2, v[0:1], off
	s_mov_b64 s[0:1], 0
	s_mov_b64 s[22:23], -1
	s_waitcnt vmcnt(0)
	v_lshlrev_b32_e32 v2, 16, v2
	v_cvt_i32_f32_e32 v2, v2
	s_branch .LBB22_1562
.LBB22_1558:
	s_mov_b64 s[26:27], -1
                                        ; implicit-def: $vgpr2
	s_branch .LBB22_1563
.LBB22_1559:
	s_andn2_saveexec_b64 s[10:11], s[10:11]
	s_cbranch_execz .LBB22_1540
.LBB22_1560:
	v_cmp_ne_u16_e32 vcc, 0, v3
	s_andn2_b64 s[22:23], s[22:23], exec
	s_and_b64 s[26:27], vcc, exec
	s_or_b64 s[22:23], s[22:23], s[26:27]
	s_or_b64 exec, exec, s[10:11]
	v_mov_b32_e32 v2, 0
	s_and_saveexec_b64 s[10:11], s[22:23]
	s_cbranch_execnz .LBB22_1541
	s_branch .LBB22_1542
.LBB22_1561:
	s_mov_b64 s[0:1], -1
                                        ; implicit-def: $vgpr2
.LBB22_1562:
	s_mov_b64 s[26:27], 0
.LBB22_1563:
	s_and_b64 vcc, exec, s[26:27]
	s_cbranch_vccz .LBB22_1565
; %bb.1564:
	s_cmp_lg_u32 s15, 11
	s_mov_b64 s[10:11], -1
	s_cselect_b64 s[0:1], -1, 0
.LBB22_1565:
	s_and_b64 vcc, exec, s[0:1]
	s_cbranch_vccnz .LBB22_2117
; %bb.1566:
	s_andn2_b64 vcc, exec, s[10:11]
	s_cbranch_vccnz .LBB22_1568
.LBB22_1567:
	global_load_ubyte v2, v[0:1], off
	s_mov_b64 s[22:23], -1
	s_waitcnt vmcnt(0)
	v_cmp_ne_u16_e32 vcc, 0, v2
	v_cndmask_b32_e64 v2, 0, 1, vcc
.LBB22_1568:
	s_mov_b64 s[0:1], 0
.LBB22_1569:
	s_and_b64 vcc, exec, s[0:1]
	s_cbranch_vccz .LBB22_1618
; %bb.1570:
	s_cmp_lt_i32 s15, 5
	s_cbranch_scc1 .LBB22_1575
; %bb.1571:
	s_cmp_lt_i32 s15, 8
	s_cbranch_scc1 .LBB22_1576
	;; [unrolled: 3-line block ×3, first 2 shown]
; %bb.1573:
	s_cmp_gt_i32 s15, 9
	s_cbranch_scc0 .LBB22_1578
; %bb.1574:
	global_load_dwordx2 v[2:3], v[0:1], off
	s_mov_b64 s[0:1], 0
	s_waitcnt vmcnt(0)
	v_cvt_i32_f64_e32 v2, v[2:3]
	s_branch .LBB22_1579
.LBB22_1575:
	s_mov_b64 s[0:1], -1
                                        ; implicit-def: $vgpr2
	s_branch .LBB22_1597
.LBB22_1576:
	s_mov_b64 s[0:1], -1
                                        ; implicit-def: $vgpr2
	s_branch .LBB22_1585
.LBB22_1577:
	s_mov_b64 s[0:1], -1
                                        ; implicit-def: $vgpr2
	s_branch .LBB22_1582
.LBB22_1578:
	s_mov_b64 s[0:1], -1
                                        ; implicit-def: $vgpr2
.LBB22_1579:
	s_andn2_b64 vcc, exec, s[0:1]
	s_cbranch_vccnz .LBB22_1581
; %bb.1580:
	global_load_dword v2, v[0:1], off
	s_waitcnt vmcnt(0)
	v_cvt_i32_f32_e32 v2, v2
.LBB22_1581:
	s_mov_b64 s[0:1], 0
.LBB22_1582:
	s_andn2_b64 vcc, exec, s[0:1]
	s_cbranch_vccnz .LBB22_1584
; %bb.1583:
	global_load_dword v2, v[0:1], off
	s_waitcnt vmcnt(0)
	v_cvt_i16_f16_e32 v2, v2
.LBB22_1584:
	s_mov_b64 s[0:1], 0
.LBB22_1585:
	s_andn2_b64 vcc, exec, s[0:1]
	s_cbranch_vccnz .LBB22_1596
; %bb.1586:
	s_cmp_lt_i32 s15, 6
	s_cbranch_scc1 .LBB22_1589
; %bb.1587:
	s_cmp_gt_i32 s15, 6
	s_cbranch_scc0 .LBB22_1590
; %bb.1588:
	global_load_dwordx2 v[2:3], v[0:1], off
	s_mov_b64 s[0:1], 0
	s_waitcnt vmcnt(0)
	v_cvt_i32_f64_e32 v2, v[2:3]
	s_branch .LBB22_1591
.LBB22_1589:
	s_mov_b64 s[0:1], -1
                                        ; implicit-def: $vgpr2
	s_branch .LBB22_1594
.LBB22_1590:
	s_mov_b64 s[0:1], -1
                                        ; implicit-def: $vgpr2
.LBB22_1591:
	s_andn2_b64 vcc, exec, s[0:1]
	s_cbranch_vccnz .LBB22_1593
; %bb.1592:
	global_load_dword v2, v[0:1], off
	s_waitcnt vmcnt(0)
	v_cvt_i32_f32_e32 v2, v2
.LBB22_1593:
	s_mov_b64 s[0:1], 0
.LBB22_1594:
	s_andn2_b64 vcc, exec, s[0:1]
	s_cbranch_vccnz .LBB22_1596
; %bb.1595:
	global_load_ushort v2, v[0:1], off
	s_waitcnt vmcnt(0)
	v_cvt_i16_f16_e32 v2, v2
.LBB22_1596:
	s_mov_b64 s[0:1], 0
.LBB22_1597:
	s_andn2_b64 vcc, exec, s[0:1]
	s_cbranch_vccnz .LBB22_1617
; %bb.1598:
	s_cmp_lt_i32 s15, 2
	s_cbranch_scc1 .LBB22_1602
; %bb.1599:
	s_cmp_lt_i32 s15, 3
	s_cbranch_scc1 .LBB22_1603
; %bb.1600:
	s_cmp_gt_i32 s15, 3
	s_cbranch_scc0 .LBB22_1604
; %bb.1601:
	global_load_dwordx2 v[2:3], v[0:1], off
	s_mov_b64 s[0:1], 0
	s_branch .LBB22_1605
.LBB22_1602:
	s_mov_b64 s[0:1], -1
                                        ; implicit-def: $vgpr2
	s_branch .LBB22_1611
.LBB22_1603:
	s_mov_b64 s[0:1], -1
                                        ; implicit-def: $vgpr2
	s_branch .LBB22_1608
.LBB22_1604:
	s_mov_b64 s[0:1], -1
                                        ; implicit-def: $vgpr2
.LBB22_1605:
	s_andn2_b64 vcc, exec, s[0:1]
	s_cbranch_vccnz .LBB22_1607
; %bb.1606:
	global_load_dword v2, v[0:1], off
.LBB22_1607:
	s_mov_b64 s[0:1], 0
.LBB22_1608:
	s_andn2_b64 vcc, exec, s[0:1]
	s_cbranch_vccnz .LBB22_1610
; %bb.1609:
	global_load_ushort v2, v[0:1], off
.LBB22_1610:
	s_mov_b64 s[0:1], 0
.LBB22_1611:
	s_andn2_b64 vcc, exec, s[0:1]
	s_cbranch_vccnz .LBB22_1617
; %bb.1612:
	s_cmp_gt_i32 s15, 0
	s_cbranch_scc0 .LBB22_1614
; %bb.1613:
	global_load_ubyte v2, v[0:1], off
	s_mov_b64 s[0:1], 0
	s_branch .LBB22_1615
.LBB22_1614:
	s_mov_b64 s[0:1], -1
                                        ; implicit-def: $vgpr2
.LBB22_1615:
	s_andn2_b64 vcc, exec, s[0:1]
	s_cbranch_vccnz .LBB22_1617
; %bb.1616:
	global_load_ubyte v2, v[0:1], off
.LBB22_1617:
	s_mov_b64 s[22:23], -1
.LBB22_1618:
	s_andn2_b64 vcc, exec, s[22:23]
	s_cbranch_vccnz .LBB22_1623
; %bb.1619:
	s_cmp_lt_i32 s14, 1
	s_mov_b64 s[0:1], 0
	s_cbranch_scc1 .LBB22_1669
; %bb.1620:
	s_cmp_gt_i32 s14, 1
	s_cbranch_scc0 .LBB22_1670
; %bb.1621:
	s_cmp_eq_u32 s14, 2
	s_cbranch_scc0 .LBB22_1671
; %bb.1622:
	s_waitcnt vmcnt(0)
	v_cmp_le_i16_sdwa s[22:23], sext(v2), s2 src0_sel:BYTE_0 src1_sel:DWORD
	s_mov_b64 s[10:11], 0
	s_branch .LBB22_1672
.LBB22_1623:
	s_mov_b64 s[0:1], 0
                                        ; implicit-def: $sgpr22_sgpr23
.LBB22_1624:
	s_mov_b64 s[2:3], 0
                                        ; implicit-def: $sgpr28
                                        ; implicit-def: $vgpr0_vgpr1
.LBB22_1625:
	s_and_b64 s[4:5], s[2:3], exec
	s_andn2_b64 s[2:3], s[16:17], exec
	s_and_b64 s[8:9], s[18:19], exec
	s_and_b64 s[0:1], s[0:1], exec
	s_or_b64 s[16:17], s[2:3], s[8:9]
.LBB22_1626:
	s_or_b64 exec, exec, s[6:7]
	s_and_saveexec_b64 s[2:3], s[16:17]
	s_cbranch_execz .LBB22_1629
; %bb.1627:
	; divergent unreachable
	s_or_b64 exec, exec, s[2:3]
	s_and_saveexec_b64 s[2:3], s[4:5]
	s_xor_b64 s[2:3], exec, s[2:3]
	s_cbranch_execnz .LBB22_1630
.LBB22_1628:
	s_or_b64 exec, exec, s[2:3]
	s_and_saveexec_b64 s[2:3], s[0:1]
	s_cbranch_execnz .LBB22_1631
	s_branch .LBB22_1668
.LBB22_1629:
	s_or_b64 exec, exec, s[2:3]
	s_and_saveexec_b64 s[2:3], s[4:5]
	s_xor_b64 s[2:3], exec, s[2:3]
	s_cbranch_execz .LBB22_1628
.LBB22_1630:
	s_waitcnt vmcnt(0)
	v_cndmask_b32_e64 v2, 0, 1, s[22:23]
	global_store_byte v[0:1], v2, off
	s_or_b64 exec, exec, s[2:3]
	s_and_saveexec_b64 s[2:3], s[0:1]
	s_cbranch_execz .LBB22_1668
.LBB22_1631:
	s_sext_i32_i16 s2, s28
	s_cmp_lt_i32 s2, 5
	s_mov_b64 s[0:1], -1
	s_cbranch_scc1 .LBB22_1652
; %bb.1632:
	s_cmp_lt_i32 s2, 8
	s_cbranch_scc1 .LBB22_1642
; %bb.1633:
	s_cmp_lt_i32 s2, 9
	s_cbranch_scc1 .LBB22_1639
; %bb.1634:
	s_cmp_gt_i32 s2, 9
	s_cbranch_scc0 .LBB22_1636
; %bb.1635:
	s_waitcnt vmcnt(0)
	v_cndmask_b32_e64 v2, 0, 1, s[22:23]
	v_cvt_f64_u32_e32 v[2:3], v2
	v_mov_b32_e32 v4, 0
	v_mov_b32_e32 v5, v4
	s_mov_b64 s[0:1], 0
	global_store_dwordx4 v[0:1], v[2:5], off
.LBB22_1636:
	s_andn2_b64 vcc, exec, s[0:1]
	s_cbranch_vccnz .LBB22_1638
; %bb.1637:
	s_waitcnt vmcnt(0)
	v_cndmask_b32_e64 v2, 0, 1.0, s[22:23]
	v_mov_b32_e32 v3, 0
	global_store_dwordx2 v[0:1], v[2:3], off
.LBB22_1638:
	s_mov_b64 s[0:1], 0
.LBB22_1639:
	s_andn2_b64 vcc, exec, s[0:1]
	s_cbranch_vccnz .LBB22_1641
; %bb.1640:
	s_waitcnt vmcnt(0)
	v_cndmask_b32_e64 v2, 0, 1.0, s[22:23]
	v_cvt_f16_f32_e32 v2, v2
	global_store_dword v[0:1], v2, off
.LBB22_1641:
	s_mov_b64 s[0:1], 0
.LBB22_1642:
	s_andn2_b64 vcc, exec, s[0:1]
	s_cbranch_vccnz .LBB22_1651
; %bb.1643:
	s_sext_i32_i16 s2, s28
	s_cmp_lt_i32 s2, 6
	s_mov_b64 s[0:1], -1
	s_cbranch_scc1 .LBB22_1649
; %bb.1644:
	s_cmp_gt_i32 s2, 6
	s_cbranch_scc0 .LBB22_1646
; %bb.1645:
	s_waitcnt vmcnt(0)
	v_cndmask_b32_e64 v2, 0, 1, s[22:23]
	v_cvt_f64_u32_e32 v[2:3], v2
	s_mov_b64 s[0:1], 0
	global_store_dwordx2 v[0:1], v[2:3], off
.LBB22_1646:
	s_andn2_b64 vcc, exec, s[0:1]
	s_cbranch_vccnz .LBB22_1648
; %bb.1647:
	s_waitcnt vmcnt(0)
	v_cndmask_b32_e64 v2, 0, 1.0, s[22:23]
	global_store_dword v[0:1], v2, off
.LBB22_1648:
	s_mov_b64 s[0:1], 0
.LBB22_1649:
	s_andn2_b64 vcc, exec, s[0:1]
	s_cbranch_vccnz .LBB22_1651
; %bb.1650:
	s_waitcnt vmcnt(0)
	v_cndmask_b32_e64 v2, 0, 1.0, s[22:23]
	v_cvt_f16_f32_e32 v2, v2
	global_store_short v[0:1], v2, off
.LBB22_1651:
	s_mov_b64 s[0:1], 0
.LBB22_1652:
	s_andn2_b64 vcc, exec, s[0:1]
	s_cbranch_vccnz .LBB22_1668
; %bb.1653:
	s_sext_i32_i16 s2, s28
	s_cmp_lt_i32 s2, 2
	s_mov_b64 s[0:1], -1
	s_cbranch_scc1 .LBB22_1663
; %bb.1654:
	s_cmp_lt_i32 s2, 3
	s_cbranch_scc1 .LBB22_1660
; %bb.1655:
	s_cmp_gt_i32 s2, 3
	s_cbranch_scc0 .LBB22_1657
; %bb.1656:
	s_mov_b32 s0, 0
	s_waitcnt vmcnt(0)
	v_cndmask_b32_e64 v2, 0, 1, s[22:23]
	v_mov_b32_e32 v3, s0
	global_store_dwordx2 v[0:1], v[2:3], off
	s_mov_b64 s[0:1], 0
.LBB22_1657:
	s_andn2_b64 vcc, exec, s[0:1]
	s_cbranch_vccnz .LBB22_1659
; %bb.1658:
	s_waitcnt vmcnt(0)
	v_cndmask_b32_e64 v2, 0, 1, s[22:23]
	global_store_dword v[0:1], v2, off
.LBB22_1659:
	s_mov_b64 s[0:1], 0
.LBB22_1660:
	s_andn2_b64 vcc, exec, s[0:1]
	s_cbranch_vccnz .LBB22_1662
; %bb.1661:
	s_waitcnt vmcnt(0)
	v_cndmask_b32_e64 v2, 0, 1, s[22:23]
	global_store_short v[0:1], v2, off
.LBB22_1662:
	s_mov_b64 s[0:1], 0
.LBB22_1663:
	s_andn2_b64 vcc, exec, s[0:1]
	s_cbranch_vccnz .LBB22_1668
; %bb.1664:
	s_sext_i32_i16 s2, s28
	s_mov_b64 s[0:1], -1
	s_cmp_gt_i32 s2, 0
	s_waitcnt vmcnt(0)
	v_cndmask_b32_e64 v2, 0, 1, s[22:23]
	s_cbranch_scc0 .LBB22_1666
; %bb.1665:
	global_store_byte v[0:1], v2, off
	s_mov_b64 s[0:1], 0
.LBB22_1666:
	s_andn2_b64 vcc, exec, s[0:1]
	s_cbranch_vccnz .LBB22_1668
; %bb.1667:
	global_store_byte v[0:1], v2, off
	s_endpgm
.LBB22_1668:
	s_endpgm
.LBB22_1669:
	s_mov_b64 s[26:27], -1
                                        ; implicit-def: $sgpr22_sgpr23
	s_mov_b64 s[10:11], 0
	s_branch .LBB22_1676
.LBB22_1670:
	s_mov_b64 s[26:27], -1
	s_mov_b64 s[10:11], 0
                                        ; implicit-def: $sgpr22_sgpr23
	s_branch .LBB22_1673
.LBB22_1671:
	s_mov_b64 s[10:11], -1
                                        ; implicit-def: $sgpr22_sgpr23
.LBB22_1672:
	s_mov_b64 s[26:27], 0
.LBB22_1673:
	s_and_b64 vcc, exec, s[26:27]
	s_cbranch_vccz .LBB22_1675
; %bb.1674:
	s_waitcnt vmcnt(0)
	v_cmp_gt_i16_sdwa s[26:27], sext(v2), s2 src0_sel:BYTE_0 src1_sel:DWORD
	s_andn2_b64 s[22:23], s[22:23], exec
	s_and_b64 s[26:27], s[26:27], exec
	s_or_b64 s[22:23], s[22:23], s[26:27]
.LBB22_1675:
	s_mov_b64 s[26:27], 0
.LBB22_1676:
	s_and_b64 vcc, exec, s[26:27]
	s_cbranch_vccz .LBB22_1758
; %bb.1677:
	s_cmp_lg_u32 s14, 0
	s_mov_b64 s[0:1], -1
	s_cselect_b64 s[10:11], -1, 0
	s_andn2_b64 vcc, exec, s[10:11]
	s_cbranch_vccz .LBB22_1759
.LBB22_1678:
	s_andn2_b64 vcc, exec, s[0:1]
	s_cbranch_vccnz .LBB22_1680
.LBB22_1679:
	s_waitcnt vmcnt(0)
	v_cmp_ge_i16_sdwa s[0:1], sext(v2), s2 src0_sel:BYTE_0 src1_sel:DWORD
	s_andn2_b64 s[10:11], s[22:23], exec
	s_and_b64 s[0:1], s[0:1], exec
	s_or_b64 s[22:23], s[10:11], s[0:1]
.LBB22_1680:
	s_waitcnt vmcnt(0)
	v_mul_lo_u32 v2, s12, v4
	v_mov_b32_e32 v1, s9
	s_and_b32 s28, s3, 0xff
	s_cmp_lt_i32 s28, 11
	v_ashrrev_i32_e32 v3, 31, v2
	v_add_co_u32_e32 v0, vcc, s8, v2
	v_addc_co_u32_e32 v1, vcc, v1, v3, vcc
	s_cbranch_scc1 .LBB22_1760
; %bb.1681:
	s_and_b32 s13, 0xffff, s28
	s_mov_b64 s[14:15], -1
	s_mov_b64 s[2:3], 0
	s_cmp_gt_i32 s13, 25
	s_mov_b64 s[10:11], 0
	s_mov_b64 s[0:1], 0
	s_cbranch_scc0 .LBB22_1714
; %bb.1682:
	s_cmp_gt_i32 s13, 28
	s_cbranch_scc0 .LBB22_1697
; %bb.1683:
	s_cmp_gt_i32 s13, 43
	;; [unrolled: 3-line block ×3, first 2 shown]
	s_cbranch_scc0 .LBB22_1687
; %bb.1685:
	s_mov_b64 s[0:1], -1
	s_mov_b64 s[14:15], 0
	s_cmp_eq_u32 s13, 46
	s_cbranch_scc0 .LBB22_1687
; %bb.1686:
	v_cndmask_b32_e64 v3, 0, 1.0, s[4:5]
	v_bfe_u32 v4, v3, 16, 1
	s_movk_i32 s0, 0x7fff
	v_add3_u32 v3, v3, v4, s0
	v_lshrrev_b32_e32 v3, 16, v3
	global_store_dword v[0:1], v3, off
	s_mov_b64 s[0:1], 0
	s_mov_b64 s[10:11], -1
.LBB22_1687:
	s_and_b64 vcc, exec, s[14:15]
	s_cbranch_vccz .LBB22_1692
; %bb.1688:
	s_cmp_eq_u32 s13, 44
	s_mov_b64 s[0:1], -1
	s_cbranch_scc0 .LBB22_1692
; %bb.1689:
	v_cndmask_b32_e64 v4, 0, 1.0, s[4:5]
	v_lshrrev_b32_e32 v3, 23, v4
	s_movk_i32 s0, 0xff
	v_cmp_ne_u32_e32 vcc, s0, v3
	v_mov_b32_e32 v5, 0xff
	s_and_saveexec_b64 s[10:11], vcc
; %bb.1690:
	s_mov_b32 s0, 0x3fffff
	v_and_b32_e32 v5, 0x400000, v4
	v_and_or_b32 v4, v4, s0, v3
	v_cmp_ne_u32_e32 vcc, 0, v5
	v_cmp_ne_u32_e64 s[0:1], 0, v4
	s_and_b64 s[0:1], vcc, s[0:1]
	v_cndmask_b32_e64 v4, 0, 1, s[0:1]
	v_add_u32_e32 v5, v3, v4
; %bb.1691:
	s_or_b64 exec, exec, s[10:11]
	s_mov_b64 s[0:1], 0
	s_mov_b64 s[10:11], -1
	global_store_byte v[0:1], v5, off
.LBB22_1692:
	s_mov_b64 s[14:15], 0
.LBB22_1693:
	s_and_b64 vcc, exec, s[14:15]
	s_cbranch_vccz .LBB22_1696
; %bb.1694:
	s_cmp_eq_u32 s13, 29
	s_mov_b64 s[0:1], -1
	s_cbranch_scc0 .LBB22_1696
; %bb.1695:
	s_mov_b32 s0, 0
	v_cndmask_b32_e64 v3, 0, 1, s[4:5]
	v_mov_b32_e32 v4, s0
	global_store_dwordx2 v[0:1], v[3:4], off
	s_mov_b64 s[0:1], 0
	s_mov_b64 s[10:11], -1
.LBB22_1696:
	s_mov_b64 s[14:15], 0
.LBB22_1697:
	s_and_b64 vcc, exec, s[14:15]
	s_cbranch_vccz .LBB22_1713
; %bb.1698:
	s_cmp_lt_i32 s13, 27
	s_mov_b64 s[10:11], -1
	s_cbranch_scc1 .LBB22_1704
; %bb.1699:
	s_cmp_gt_i32 s13, 27
	s_cbranch_scc0 .LBB22_1701
; %bb.1700:
	v_cndmask_b32_e64 v3, 0, 1, s[4:5]
	s_mov_b64 s[10:11], 0
	global_store_dword v[0:1], v3, off
.LBB22_1701:
	s_andn2_b64 vcc, exec, s[10:11]
	s_cbranch_vccnz .LBB22_1703
; %bb.1702:
	v_cndmask_b32_e64 v3, 0, 1, s[4:5]
	global_store_short v[0:1], v3, off
.LBB22_1703:
	s_mov_b64 s[10:11], 0
.LBB22_1704:
	s_andn2_b64 vcc, exec, s[10:11]
	s_cbranch_vccnz .LBB22_1712
; %bb.1705:
	v_cndmask_b32_e64 v4, 0, 1.0, s[4:5]
	s_mov_b32 s10, 0x43800000
	v_cmp_gt_u32_e32 vcc, s10, v4
	v_mov_b32_e32 v5, 0x80
	s_and_saveexec_b64 s[10:11], vcc
	s_cbranch_execz .LBB22_1711
; %bb.1706:
	s_mov_b32 s14, 0x3bffffff
	v_cmp_lt_u32_e32 vcc, s14, v4
	s_mov_b64 s[14:15], 0
                                        ; implicit-def: $vgpr3
	s_and_saveexec_b64 s[26:27], vcc
	s_xor_b64 s[26:27], exec, s[26:27]
	s_cbranch_execz .LBB22_2118
; %bb.1707:
	v_bfe_u32 v3, v4, 20, 1
	s_mov_b32 s29, 0x487ffff
	v_add3_u32 v3, v4, v3, s29
	s_mov_b64 s[14:15], exec
	v_lshrrev_b32_e32 v3, 20, v3
                                        ; implicit-def: $vgpr4
	s_andn2_saveexec_b64 s[26:27], s[26:27]
	s_cbranch_execnz .LBB22_2119
.LBB22_1708:
	s_or_b64 exec, exec, s[26:27]
	v_mov_b32_e32 v5, 0
	s_and_saveexec_b64 s[26:27], s[14:15]
.LBB22_1709:
	v_mov_b32_e32 v5, v3
.LBB22_1710:
	s_or_b64 exec, exec, s[26:27]
.LBB22_1711:
	s_or_b64 exec, exec, s[10:11]
	global_store_byte v[0:1], v5, off
.LBB22_1712:
	s_mov_b64 s[10:11], -1
.LBB22_1713:
	s_mov_b64 s[14:15], 0
.LBB22_1714:
	s_and_b64 vcc, exec, s[14:15]
	s_cbranch_vccz .LBB22_1754
; %bb.1715:
	s_cmp_gt_i32 s13, 22
	s_mov_b64 s[2:3], -1
	s_cbranch_scc0 .LBB22_1747
; %bb.1716:
	s_cmp_lt_i32 s13, 24
	s_cbranch_scc1 .LBB22_1736
; %bb.1717:
	s_cmp_gt_i32 s13, 24
	s_cbranch_scc0 .LBB22_1725
; %bb.1718:
	v_cndmask_b32_e64 v4, 0, 1.0, s[4:5]
	s_mov_b32 s2, 0x47800000
	v_cmp_gt_u32_e32 vcc, s2, v4
	v_mov_b32_e32 v5, 0x80
	s_and_saveexec_b64 s[2:3], vcc
	s_cbranch_execz .LBB22_1724
; %bb.1719:
	s_mov_b32 s10, 0x37ffffff
	v_cmp_lt_u32_e32 vcc, s10, v4
	s_mov_b64 s[10:11], 0
                                        ; implicit-def: $vgpr3
	s_and_saveexec_b64 s[14:15], vcc
	s_xor_b64 s[14:15], exec, s[14:15]
	s_cbranch_execz .LBB22_2121
; %bb.1720:
	v_bfe_u32 v3, v4, 21, 1
	s_mov_b32 s26, 0x88fffff
	v_add3_u32 v3, v4, v3, s26
	s_mov_b64 s[10:11], exec
	v_lshrrev_b32_e32 v3, 21, v3
                                        ; implicit-def: $vgpr4
	s_andn2_saveexec_b64 s[14:15], s[14:15]
	s_cbranch_execnz .LBB22_2122
.LBB22_1721:
	s_or_b64 exec, exec, s[14:15]
	v_mov_b32_e32 v5, 0
	s_and_saveexec_b64 s[14:15], s[10:11]
.LBB22_1722:
	v_mov_b32_e32 v5, v3
.LBB22_1723:
	s_or_b64 exec, exec, s[14:15]
.LBB22_1724:
	s_or_b64 exec, exec, s[2:3]
	s_mov_b64 s[2:3], 0
	global_store_byte v[0:1], v5, off
.LBB22_1725:
	s_and_b64 vcc, exec, s[2:3]
	s_cbranch_vccz .LBB22_1735
; %bb.1726:
	v_cndmask_b32_e64 v3, 0, 1.0, s[4:5]
	s_mov_b32 s2, 0x43f00000
	v_cmp_gt_u32_e32 vcc, s2, v3
                                        ; implicit-def: $vgpr4
	s_and_saveexec_b64 s[2:3], vcc
	s_xor_b64 s[2:3], exec, s[2:3]
	s_cbranch_execz .LBB22_1732
; %bb.1727:
	s_mov_b32 s10, 0x3c7fffff
	v_cmp_lt_u32_e32 vcc, s10, v3
                                        ; implicit-def: $vgpr4
	s_and_saveexec_b64 s[10:11], vcc
	s_xor_b64 s[10:11], exec, s[10:11]
; %bb.1728:
	v_bfe_u32 v4, v3, 20, 1
	s_mov_b32 s14, 0x407ffff
	v_add3_u32 v3, v3, v4, s14
	v_lshrrev_b32_e32 v4, 20, v3
	v_and_b32_e32 v3, 0xff00000, v3
	s_mov_b32 s14, 0x7f00000
	v_mov_b32_e32 v5, 0x7e
	v_cmp_ne_u32_e32 vcc, s14, v3
	v_cndmask_b32_e32 v4, v5, v4, vcc
                                        ; implicit-def: $vgpr3
; %bb.1729:
	s_andn2_saveexec_b64 s[10:11], s[10:11]
; %bb.1730:
	v_add_f32_e32 v4, 0x46800000, v3
; %bb.1731:
	s_or_b64 exec, exec, s[10:11]
                                        ; implicit-def: $vgpr3
.LBB22_1732:
	s_andn2_saveexec_b64 s[2:3], s[2:3]
; %bb.1733:
	s_mov_b32 s10, 0x7f800000
	v_mov_b32_e32 v4, 0x7e
	v_mov_b32_e32 v5, 0x7f
	v_cmp_lt_u32_e32 vcc, s10, v3
	v_cndmask_b32_e32 v4, v4, v5, vcc
; %bb.1734:
	s_or_b64 exec, exec, s[2:3]
	global_store_byte v[0:1], v4, off
.LBB22_1735:
	s_mov_b64 s[2:3], 0
.LBB22_1736:
	s_andn2_b64 vcc, exec, s[2:3]
	s_cbranch_vccnz .LBB22_1746
; %bb.1737:
	v_cndmask_b32_e64 v3, 0, 1.0, s[4:5]
	s_mov_b32 s2, 0x47800000
	v_cmp_gt_u32_e32 vcc, s2, v3
                                        ; implicit-def: $vgpr4
	s_and_saveexec_b64 s[2:3], vcc
	s_xor_b64 s[2:3], exec, s[2:3]
	s_cbranch_execz .LBB22_1743
; %bb.1738:
	s_mov_b32 s10, 0x387fffff
	v_cmp_lt_u32_e32 vcc, s10, v3
                                        ; implicit-def: $vgpr4
	s_and_saveexec_b64 s[10:11], vcc
	s_xor_b64 s[10:11], exec, s[10:11]
; %bb.1739:
	v_bfe_u32 v4, v3, 21, 1
	s_mov_b32 s14, 0x80fffff
	v_add3_u32 v3, v3, v4, s14
	v_lshrrev_b32_e32 v4, 21, v3
                                        ; implicit-def: $vgpr3
; %bb.1740:
	s_andn2_saveexec_b64 s[10:11], s[10:11]
; %bb.1741:
	v_add_f32_e32 v4, 0x43000000, v3
; %bb.1742:
	s_or_b64 exec, exec, s[10:11]
                                        ; implicit-def: $vgpr3
.LBB22_1743:
	s_andn2_saveexec_b64 s[2:3], s[2:3]
; %bb.1744:
	s_mov_b32 s10, 0x7f800000
	v_mov_b32_e32 v4, 0x7c
	v_mov_b32_e32 v5, 0x7f
	v_cmp_lt_u32_e32 vcc, s10, v3
	v_cndmask_b32_e32 v4, v4, v5, vcc
; %bb.1745:
	s_or_b64 exec, exec, s[2:3]
	global_store_byte v[0:1], v4, off
.LBB22_1746:
	s_mov_b64 s[2:3], 0
	s_mov_b64 s[10:11], -1
.LBB22_1747:
	s_andn2_b64 vcc, exec, s[2:3]
	s_mov_b64 s[2:3], 0
	s_cbranch_vccnz .LBB22_1754
; %bb.1748:
	s_cmp_gt_i32 s13, 14
	s_mov_b64 s[14:15], -1
	s_cbranch_scc0 .LBB22_1752
; %bb.1749:
	s_cmp_eq_u32 s13, 15
	s_mov_b64 s[0:1], -1
	s_cbranch_scc0 .LBB22_1751
; %bb.1750:
	v_cndmask_b32_e64 v3, 0, 1.0, s[4:5]
	v_bfe_u32 v4, v3, 16, 1
	s_movk_i32 s0, 0x7fff
	v_add3_u32 v3, v3, v4, s0
	global_store_short_d16_hi v[0:1], v3, off
	s_mov_b64 s[0:1], 0
	s_mov_b64 s[10:11], -1
.LBB22_1751:
	s_mov_b64 s[14:15], 0
.LBB22_1752:
	s_and_b64 vcc, exec, s[14:15]
	s_cbranch_vccz .LBB22_1754
; %bb.1753:
	s_cmp_lg_u32 s13, 11
	s_mov_b64 s[2:3], -1
	s_cselect_b64 s[0:1], -1, 0
.LBB22_1754:
	s_and_b64 vcc, exec, s[0:1]
	s_cbranch_vccnz .LBB22_2120
; %bb.1755:
	s_andn2_b64 vcc, exec, s[2:3]
	s_cbranch_vccnz .LBB22_1757
.LBB22_1756:
	v_cndmask_b32_e64 v3, 0, 1, s[4:5]
	s_mov_b64 s[10:11], -1
	global_store_byte v[0:1], v3, off
.LBB22_1757:
	s_mov_b64 s[0:1], 0
	s_branch .LBB22_1761
.LBB22_1758:
	s_andn2_b64 vcc, exec, s[10:11]
	s_cbranch_vccnz .LBB22_1678
.LBB22_1759:
	s_waitcnt vmcnt(0)
	v_cmp_lt_i16_sdwa s[10:11], sext(v2), s2 src0_sel:BYTE_0 src1_sel:DWORD
	s_andn2_b64 s[14:15], s[22:23], exec
	s_and_b64 s[10:11], s[10:11], exec
	s_or_b64 s[22:23], s[14:15], s[10:11]
	s_cbranch_execz .LBB22_1679
	s_branch .LBB22_1680
.LBB22_1760:
	s_mov_b64 s[0:1], -1
	s_mov_b64 s[10:11], 0
.LBB22_1761:
	s_and_b64 vcc, exec, s[0:1]
	s_cbranch_vccz .LBB22_1800
; %bb.1762:
	s_and_b32 s2, 0xffff, s28
	s_cmp_lt_i32 s2, 5
	s_mov_b64 s[0:1], -1
	s_cbranch_scc1 .LBB22_1783
; %bb.1763:
	s_cmp_lt_i32 s2, 8
	s_cbranch_scc1 .LBB22_1773
; %bb.1764:
	s_cmp_lt_i32 s2, 9
	s_cbranch_scc1 .LBB22_1770
; %bb.1765:
	s_cmp_gt_i32 s2, 9
	s_cbranch_scc0 .LBB22_1767
; %bb.1766:
	v_cndmask_b32_e64 v3, 0, 1, s[4:5]
	v_cvt_f64_u32_e32 v[3:4], v3
	v_mov_b32_e32 v5, 0
	v_mov_b32_e32 v6, v5
	s_mov_b64 s[0:1], 0
	global_store_dwordx4 v[0:1], v[3:6], off
.LBB22_1767:
	s_andn2_b64 vcc, exec, s[0:1]
	s_cbranch_vccnz .LBB22_1769
; %bb.1768:
	v_cndmask_b32_e64 v3, 0, 1.0, s[4:5]
	v_mov_b32_e32 v4, 0
	global_store_dwordx2 v[0:1], v[3:4], off
.LBB22_1769:
	s_mov_b64 s[0:1], 0
.LBB22_1770:
	s_andn2_b64 vcc, exec, s[0:1]
	s_cbranch_vccnz .LBB22_1772
; %bb.1771:
	v_cndmask_b32_e64 v3, 0, 1.0, s[4:5]
	v_cvt_f16_f32_e32 v3, v3
	global_store_dword v[0:1], v3, off
.LBB22_1772:
	s_mov_b64 s[0:1], 0
.LBB22_1773:
	s_andn2_b64 vcc, exec, s[0:1]
	s_cbranch_vccnz .LBB22_1782
; %bb.1774:
	s_cmp_lt_i32 s2, 6
	s_mov_b64 s[0:1], -1
	s_cbranch_scc1 .LBB22_1780
; %bb.1775:
	s_cmp_gt_i32 s2, 6
	s_cbranch_scc0 .LBB22_1777
; %bb.1776:
	v_cndmask_b32_e64 v3, 0, 1, s[4:5]
	v_cvt_f64_u32_e32 v[3:4], v3
	s_mov_b64 s[0:1], 0
	global_store_dwordx2 v[0:1], v[3:4], off
.LBB22_1777:
	s_andn2_b64 vcc, exec, s[0:1]
	s_cbranch_vccnz .LBB22_1779
; %bb.1778:
	v_cndmask_b32_e64 v3, 0, 1.0, s[4:5]
	global_store_dword v[0:1], v3, off
.LBB22_1779:
	s_mov_b64 s[0:1], 0
.LBB22_1780:
	s_andn2_b64 vcc, exec, s[0:1]
	s_cbranch_vccnz .LBB22_1782
; %bb.1781:
	v_cndmask_b32_e64 v3, 0, 1.0, s[4:5]
	v_cvt_f16_f32_e32 v3, v3
	global_store_short v[0:1], v3, off
.LBB22_1782:
	s_mov_b64 s[0:1], 0
.LBB22_1783:
	s_andn2_b64 vcc, exec, s[0:1]
	s_cbranch_vccnz .LBB22_1799
; %bb.1784:
	s_cmp_lt_i32 s2, 2
	s_mov_b64 s[0:1], -1
	s_cbranch_scc1 .LBB22_1794
; %bb.1785:
	s_cmp_lt_i32 s2, 3
	s_cbranch_scc1 .LBB22_1791
; %bb.1786:
	s_cmp_gt_i32 s2, 3
	s_cbranch_scc0 .LBB22_1788
; %bb.1787:
	s_mov_b32 s0, 0
	v_cndmask_b32_e64 v3, 0, 1, s[4:5]
	v_mov_b32_e32 v4, s0
	global_store_dwordx2 v[0:1], v[3:4], off
	s_mov_b64 s[0:1], 0
.LBB22_1788:
	s_andn2_b64 vcc, exec, s[0:1]
	s_cbranch_vccnz .LBB22_1790
; %bb.1789:
	v_cndmask_b32_e64 v3, 0, 1, s[4:5]
	global_store_dword v[0:1], v3, off
.LBB22_1790:
	s_mov_b64 s[0:1], 0
.LBB22_1791:
	s_andn2_b64 vcc, exec, s[0:1]
	s_cbranch_vccnz .LBB22_1793
; %bb.1792:
	v_cndmask_b32_e64 v3, 0, 1, s[4:5]
	global_store_short v[0:1], v3, off
.LBB22_1793:
	s_mov_b64 s[0:1], 0
.LBB22_1794:
	s_andn2_b64 vcc, exec, s[0:1]
	s_cbranch_vccnz .LBB22_1799
; %bb.1795:
	s_mov_b64 s[0:1], -1
	s_cmp_gt_i32 s2, 0
	v_cndmask_b32_e64 v3, 0, 1, s[4:5]
	s_cbranch_scc0 .LBB22_1797
; %bb.1796:
	global_store_byte v[0:1], v3, off
	s_mov_b64 s[0:1], 0
.LBB22_1797:
	s_andn2_b64 vcc, exec, s[0:1]
	s_cbranch_vccnz .LBB22_1799
; %bb.1798:
	global_store_byte v[0:1], v3, off
.LBB22_1799:
	s_mov_b64 s[10:11], -1
.LBB22_1800:
	s_andn2_b64 vcc, exec, s[10:11]
	s_cbranch_vccnz .LBB22_2115
; %bb.1801:
	s_lshl_b32 s14, s12, 7
	v_add_u32_e32 v2, s14, v2
	v_ashrrev_i32_e32 v1, 31, v2
	v_mov_b32_e32 v3, s9
	v_add_co_u32_e32 v0, vcc, s8, v2
	s_cmp_lt_i32 s28, 11
	v_addc_co_u32_e32 v1, vcc, v3, v1, vcc
	s_cbranch_scc1 .LBB22_1879
; %bb.1802:
	s_and_b32 s15, 0xffff, s28
	s_mov_b64 s[10:11], -1
	s_mov_b64 s[2:3], 0
	s_cmp_gt_i32 s15, 25
	s_mov_b64 s[4:5], 0
	s_mov_b64 s[0:1], 0
	s_cbranch_scc0 .LBB22_1835
; %bb.1803:
	s_cmp_gt_i32 s15, 28
	s_cbranch_scc0 .LBB22_1818
; %bb.1804:
	s_cmp_gt_i32 s15, 43
	;; [unrolled: 3-line block ×3, first 2 shown]
	s_cbranch_scc0 .LBB22_1808
; %bb.1806:
	s_mov_b64 s[0:1], -1
	s_mov_b64 s[10:11], 0
	s_cmp_eq_u32 s15, 46
	s_cbranch_scc0 .LBB22_1808
; %bb.1807:
	v_cndmask_b32_e64 v3, 0, 1.0, s[20:21]
	v_bfe_u32 v4, v3, 16, 1
	s_movk_i32 s0, 0x7fff
	v_add3_u32 v3, v3, v4, s0
	v_lshrrev_b32_e32 v3, 16, v3
	global_store_dword v[0:1], v3, off
	s_mov_b64 s[0:1], 0
	s_mov_b64 s[4:5], -1
.LBB22_1808:
	s_and_b64 vcc, exec, s[10:11]
	s_cbranch_vccz .LBB22_1813
; %bb.1809:
	s_cmp_eq_u32 s15, 44
	s_mov_b64 s[0:1], -1
	s_cbranch_scc0 .LBB22_1813
; %bb.1810:
	v_cndmask_b32_e64 v4, 0, 1.0, s[20:21]
	v_lshrrev_b32_e32 v3, 23, v4
	s_movk_i32 s0, 0xff
	v_cmp_ne_u32_e32 vcc, s0, v3
	v_mov_b32_e32 v5, 0xff
	s_and_saveexec_b64 s[4:5], vcc
; %bb.1811:
	s_mov_b32 s0, 0x3fffff
	v_and_b32_e32 v5, 0x400000, v4
	v_and_or_b32 v4, v4, s0, v3
	v_cmp_ne_u32_e32 vcc, 0, v5
	v_cmp_ne_u32_e64 s[0:1], 0, v4
	s_and_b64 s[0:1], vcc, s[0:1]
	v_cndmask_b32_e64 v4, 0, 1, s[0:1]
	v_add_u32_e32 v5, v3, v4
; %bb.1812:
	s_or_b64 exec, exec, s[4:5]
	s_mov_b64 s[0:1], 0
	s_mov_b64 s[4:5], -1
	global_store_byte v[0:1], v5, off
.LBB22_1813:
	s_mov_b64 s[10:11], 0
.LBB22_1814:
	s_and_b64 vcc, exec, s[10:11]
	s_cbranch_vccz .LBB22_1817
; %bb.1815:
	s_cmp_eq_u32 s15, 29
	s_mov_b64 s[0:1], -1
	s_cbranch_scc0 .LBB22_1817
; %bb.1816:
	s_mov_b32 s0, 0
	v_cndmask_b32_e64 v3, 0, 1, s[20:21]
	v_mov_b32_e32 v4, s0
	global_store_dwordx2 v[0:1], v[3:4], off
	s_mov_b64 s[0:1], 0
	s_mov_b64 s[4:5], -1
.LBB22_1817:
	s_mov_b64 s[10:11], 0
.LBB22_1818:
	s_and_b64 vcc, exec, s[10:11]
	s_cbranch_vccz .LBB22_1834
; %bb.1819:
	s_cmp_lt_i32 s15, 27
	s_mov_b64 s[4:5], -1
	s_cbranch_scc1 .LBB22_1825
; %bb.1820:
	s_cmp_gt_i32 s15, 27
	s_cbranch_scc0 .LBB22_1822
; %bb.1821:
	v_cndmask_b32_e64 v3, 0, 1, s[20:21]
	s_mov_b64 s[4:5], 0
	global_store_dword v[0:1], v3, off
.LBB22_1822:
	s_andn2_b64 vcc, exec, s[4:5]
	s_cbranch_vccnz .LBB22_1824
; %bb.1823:
	v_cndmask_b32_e64 v3, 0, 1, s[20:21]
	global_store_short v[0:1], v3, off
.LBB22_1824:
	s_mov_b64 s[4:5], 0
.LBB22_1825:
	s_andn2_b64 vcc, exec, s[4:5]
	s_cbranch_vccnz .LBB22_1833
; %bb.1826:
	v_cndmask_b32_e64 v4, 0, 1.0, s[20:21]
	s_mov_b32 s4, 0x43800000
	v_cmp_gt_u32_e32 vcc, s4, v4
	v_mov_b32_e32 v5, 0x80
	s_and_saveexec_b64 s[4:5], vcc
	s_cbranch_execz .LBB22_1832
; %bb.1827:
	s_mov_b32 s10, 0x3bffffff
	v_cmp_lt_u32_e32 vcc, s10, v4
	s_mov_b64 s[10:11], 0
                                        ; implicit-def: $vgpr3
	s_and_saveexec_b64 s[12:13], vcc
	s_xor_b64 s[12:13], exec, s[12:13]
	s_cbranch_execz .LBB22_2123
; %bb.1828:
	v_bfe_u32 v3, v4, 20, 1
	s_mov_b32 s26, 0x487ffff
	v_add3_u32 v3, v4, v3, s26
	s_mov_b64 s[10:11], exec
	v_lshrrev_b32_e32 v3, 20, v3
                                        ; implicit-def: $vgpr4
	s_andn2_saveexec_b64 s[12:13], s[12:13]
	s_cbranch_execnz .LBB22_2124
.LBB22_1829:
	s_or_b64 exec, exec, s[12:13]
	v_mov_b32_e32 v5, 0
	s_and_saveexec_b64 s[12:13], s[10:11]
.LBB22_1830:
	v_mov_b32_e32 v5, v3
.LBB22_1831:
	s_or_b64 exec, exec, s[12:13]
.LBB22_1832:
	s_or_b64 exec, exec, s[4:5]
	global_store_byte v[0:1], v5, off
.LBB22_1833:
	s_mov_b64 s[4:5], -1
.LBB22_1834:
	s_mov_b64 s[10:11], 0
.LBB22_1835:
	s_and_b64 vcc, exec, s[10:11]
	s_cbranch_vccz .LBB22_1875
; %bb.1836:
	s_cmp_gt_i32 s15, 22
	s_mov_b64 s[2:3], -1
	s_cbranch_scc0 .LBB22_1868
; %bb.1837:
	s_cmp_lt_i32 s15, 24
	s_cbranch_scc1 .LBB22_1857
; %bb.1838:
	s_cmp_gt_i32 s15, 24
	s_cbranch_scc0 .LBB22_1846
; %bb.1839:
	v_cndmask_b32_e64 v4, 0, 1.0, s[20:21]
	s_mov_b32 s2, 0x47800000
	v_cmp_gt_u32_e32 vcc, s2, v4
	v_mov_b32_e32 v5, 0x80
	s_and_saveexec_b64 s[2:3], vcc
	s_cbranch_execz .LBB22_1845
; %bb.1840:
	s_mov_b32 s4, 0x37ffffff
	v_cmp_lt_u32_e32 vcc, s4, v4
	s_mov_b64 s[4:5], 0
                                        ; implicit-def: $vgpr3
	s_and_saveexec_b64 s[10:11], vcc
	s_xor_b64 s[10:11], exec, s[10:11]
	s_cbranch_execz .LBB22_2126
; %bb.1841:
	v_bfe_u32 v3, v4, 21, 1
	s_mov_b32 s12, 0x88fffff
	v_add3_u32 v3, v4, v3, s12
	s_mov_b64 s[4:5], exec
	v_lshrrev_b32_e32 v3, 21, v3
                                        ; implicit-def: $vgpr4
	s_andn2_saveexec_b64 s[10:11], s[10:11]
	s_cbranch_execnz .LBB22_2127
.LBB22_1842:
	s_or_b64 exec, exec, s[10:11]
	v_mov_b32_e32 v5, 0
	s_and_saveexec_b64 s[10:11], s[4:5]
.LBB22_1843:
	v_mov_b32_e32 v5, v3
.LBB22_1844:
	s_or_b64 exec, exec, s[10:11]
.LBB22_1845:
	s_or_b64 exec, exec, s[2:3]
	s_mov_b64 s[2:3], 0
	global_store_byte v[0:1], v5, off
.LBB22_1846:
	s_and_b64 vcc, exec, s[2:3]
	s_cbranch_vccz .LBB22_1856
; %bb.1847:
	v_cndmask_b32_e64 v3, 0, 1.0, s[20:21]
	s_mov_b32 s2, 0x43f00000
	v_cmp_gt_u32_e32 vcc, s2, v3
                                        ; implicit-def: $vgpr4
	s_and_saveexec_b64 s[2:3], vcc
	s_xor_b64 s[2:3], exec, s[2:3]
	s_cbranch_execz .LBB22_1853
; %bb.1848:
	s_mov_b32 s4, 0x3c7fffff
	v_cmp_lt_u32_e32 vcc, s4, v3
                                        ; implicit-def: $vgpr4
	s_and_saveexec_b64 s[4:5], vcc
	s_xor_b64 s[4:5], exec, s[4:5]
; %bb.1849:
	v_bfe_u32 v4, v3, 20, 1
	s_mov_b32 s10, 0x407ffff
	v_add3_u32 v3, v3, v4, s10
	v_lshrrev_b32_e32 v4, 20, v3
	v_and_b32_e32 v3, 0xff00000, v3
	s_mov_b32 s10, 0x7f00000
	v_mov_b32_e32 v5, 0x7e
	v_cmp_ne_u32_e32 vcc, s10, v3
	v_cndmask_b32_e32 v4, v5, v4, vcc
                                        ; implicit-def: $vgpr3
; %bb.1850:
	s_andn2_saveexec_b64 s[4:5], s[4:5]
; %bb.1851:
	v_add_f32_e32 v4, 0x46800000, v3
; %bb.1852:
	s_or_b64 exec, exec, s[4:5]
                                        ; implicit-def: $vgpr3
.LBB22_1853:
	s_andn2_saveexec_b64 s[2:3], s[2:3]
; %bb.1854:
	s_mov_b32 s4, 0x7f800000
	v_mov_b32_e32 v4, 0x7e
	v_mov_b32_e32 v5, 0x7f
	v_cmp_lt_u32_e32 vcc, s4, v3
	v_cndmask_b32_e32 v4, v4, v5, vcc
; %bb.1855:
	s_or_b64 exec, exec, s[2:3]
	global_store_byte v[0:1], v4, off
.LBB22_1856:
	s_mov_b64 s[2:3], 0
.LBB22_1857:
	s_andn2_b64 vcc, exec, s[2:3]
	s_cbranch_vccnz .LBB22_1867
; %bb.1858:
	v_cndmask_b32_e64 v3, 0, 1.0, s[20:21]
	s_mov_b32 s2, 0x47800000
	v_cmp_gt_u32_e32 vcc, s2, v3
                                        ; implicit-def: $vgpr4
	s_and_saveexec_b64 s[2:3], vcc
	s_xor_b64 s[2:3], exec, s[2:3]
	s_cbranch_execz .LBB22_1864
; %bb.1859:
	s_mov_b32 s4, 0x387fffff
	v_cmp_lt_u32_e32 vcc, s4, v3
                                        ; implicit-def: $vgpr4
	s_and_saveexec_b64 s[4:5], vcc
	s_xor_b64 s[4:5], exec, s[4:5]
; %bb.1860:
	v_bfe_u32 v4, v3, 21, 1
	s_mov_b32 s10, 0x80fffff
	v_add3_u32 v3, v3, v4, s10
	v_lshrrev_b32_e32 v4, 21, v3
                                        ; implicit-def: $vgpr3
; %bb.1861:
	s_andn2_saveexec_b64 s[4:5], s[4:5]
; %bb.1862:
	v_add_f32_e32 v4, 0x43000000, v3
; %bb.1863:
	s_or_b64 exec, exec, s[4:5]
                                        ; implicit-def: $vgpr3
.LBB22_1864:
	s_andn2_saveexec_b64 s[2:3], s[2:3]
; %bb.1865:
	s_mov_b32 s4, 0x7f800000
	v_mov_b32_e32 v4, 0x7c
	v_mov_b32_e32 v5, 0x7f
	v_cmp_lt_u32_e32 vcc, s4, v3
	v_cndmask_b32_e32 v4, v4, v5, vcc
; %bb.1866:
	s_or_b64 exec, exec, s[2:3]
	global_store_byte v[0:1], v4, off
.LBB22_1867:
	s_mov_b64 s[2:3], 0
	s_mov_b64 s[4:5], -1
.LBB22_1868:
	s_andn2_b64 vcc, exec, s[2:3]
	s_mov_b64 s[2:3], 0
	s_cbranch_vccnz .LBB22_1875
; %bb.1869:
	s_cmp_gt_i32 s15, 14
	s_mov_b64 s[10:11], -1
	s_cbranch_scc0 .LBB22_1873
; %bb.1870:
	s_cmp_eq_u32 s15, 15
	s_mov_b64 s[0:1], -1
	s_cbranch_scc0 .LBB22_1872
; %bb.1871:
	v_cndmask_b32_e64 v3, 0, 1.0, s[20:21]
	v_bfe_u32 v4, v3, 16, 1
	s_movk_i32 s0, 0x7fff
	v_add3_u32 v3, v3, v4, s0
	global_store_short_d16_hi v[0:1], v3, off
	s_mov_b64 s[0:1], 0
	s_mov_b64 s[4:5], -1
.LBB22_1872:
	s_mov_b64 s[10:11], 0
.LBB22_1873:
	s_and_b64 vcc, exec, s[10:11]
	s_cbranch_vccz .LBB22_1875
; %bb.1874:
	s_cmp_lg_u32 s15, 11
	s_mov_b64 s[2:3], -1
	s_cselect_b64 s[0:1], -1, 0
.LBB22_1875:
	s_and_b64 vcc, exec, s[0:1]
	s_cbranch_vccnz .LBB22_2125
; %bb.1876:
	s_andn2_b64 vcc, exec, s[2:3]
	s_cbranch_vccnz .LBB22_1878
.LBB22_1877:
	v_cndmask_b32_e64 v3, 0, 1, s[20:21]
	s_mov_b64 s[4:5], -1
	global_store_byte v[0:1], v3, off
.LBB22_1878:
	s_mov_b64 s[0:1], 0
	s_branch .LBB22_1880
.LBB22_1879:
	s_mov_b64 s[0:1], -1
	s_mov_b64 s[4:5], 0
.LBB22_1880:
	s_and_b64 vcc, exec, s[0:1]
	s_cbranch_vccz .LBB22_1919
; %bb.1881:
	s_and_b32 s2, 0xffff, s28
	s_cmp_lt_i32 s2, 5
	s_mov_b64 s[0:1], -1
	s_cbranch_scc1 .LBB22_1902
; %bb.1882:
	s_cmp_lt_i32 s2, 8
	s_cbranch_scc1 .LBB22_1892
; %bb.1883:
	s_cmp_lt_i32 s2, 9
	s_cbranch_scc1 .LBB22_1889
; %bb.1884:
	s_cmp_gt_i32 s2, 9
	s_cbranch_scc0 .LBB22_1886
; %bb.1885:
	v_cndmask_b32_e64 v3, 0, 1, s[20:21]
	v_cvt_f64_u32_e32 v[3:4], v3
	v_mov_b32_e32 v5, 0
	v_mov_b32_e32 v6, v5
	s_mov_b64 s[0:1], 0
	global_store_dwordx4 v[0:1], v[3:6], off
.LBB22_1886:
	s_andn2_b64 vcc, exec, s[0:1]
	s_cbranch_vccnz .LBB22_1888
; %bb.1887:
	v_cndmask_b32_e64 v3, 0, 1.0, s[20:21]
	v_mov_b32_e32 v4, 0
	global_store_dwordx2 v[0:1], v[3:4], off
.LBB22_1888:
	s_mov_b64 s[0:1], 0
.LBB22_1889:
	s_andn2_b64 vcc, exec, s[0:1]
	s_cbranch_vccnz .LBB22_1891
; %bb.1890:
	v_cndmask_b32_e64 v3, 0, 1.0, s[20:21]
	v_cvt_f16_f32_e32 v3, v3
	global_store_dword v[0:1], v3, off
.LBB22_1891:
	s_mov_b64 s[0:1], 0
.LBB22_1892:
	s_andn2_b64 vcc, exec, s[0:1]
	s_cbranch_vccnz .LBB22_1901
; %bb.1893:
	s_cmp_lt_i32 s2, 6
	s_mov_b64 s[0:1], -1
	s_cbranch_scc1 .LBB22_1899
; %bb.1894:
	s_cmp_gt_i32 s2, 6
	s_cbranch_scc0 .LBB22_1896
; %bb.1895:
	v_cndmask_b32_e64 v3, 0, 1, s[20:21]
	v_cvt_f64_u32_e32 v[3:4], v3
	s_mov_b64 s[0:1], 0
	global_store_dwordx2 v[0:1], v[3:4], off
.LBB22_1896:
	s_andn2_b64 vcc, exec, s[0:1]
	s_cbranch_vccnz .LBB22_1898
; %bb.1897:
	v_cndmask_b32_e64 v3, 0, 1.0, s[20:21]
	global_store_dword v[0:1], v3, off
.LBB22_1898:
	s_mov_b64 s[0:1], 0
.LBB22_1899:
	s_andn2_b64 vcc, exec, s[0:1]
	s_cbranch_vccnz .LBB22_1901
; %bb.1900:
	v_cndmask_b32_e64 v3, 0, 1.0, s[20:21]
	v_cvt_f16_f32_e32 v3, v3
	global_store_short v[0:1], v3, off
.LBB22_1901:
	s_mov_b64 s[0:1], 0
.LBB22_1902:
	s_andn2_b64 vcc, exec, s[0:1]
	s_cbranch_vccnz .LBB22_1918
; %bb.1903:
	s_cmp_lt_i32 s2, 2
	s_mov_b64 s[0:1], -1
	s_cbranch_scc1 .LBB22_1913
; %bb.1904:
	s_cmp_lt_i32 s2, 3
	s_cbranch_scc1 .LBB22_1910
; %bb.1905:
	s_cmp_gt_i32 s2, 3
	s_cbranch_scc0 .LBB22_1907
; %bb.1906:
	s_mov_b32 s0, 0
	v_cndmask_b32_e64 v3, 0, 1, s[20:21]
	v_mov_b32_e32 v4, s0
	global_store_dwordx2 v[0:1], v[3:4], off
	s_mov_b64 s[0:1], 0
.LBB22_1907:
	s_andn2_b64 vcc, exec, s[0:1]
	s_cbranch_vccnz .LBB22_1909
; %bb.1908:
	v_cndmask_b32_e64 v3, 0, 1, s[20:21]
	global_store_dword v[0:1], v3, off
.LBB22_1909:
	s_mov_b64 s[0:1], 0
.LBB22_1910:
	s_andn2_b64 vcc, exec, s[0:1]
	s_cbranch_vccnz .LBB22_1912
; %bb.1911:
	v_cndmask_b32_e64 v3, 0, 1, s[20:21]
	global_store_short v[0:1], v3, off
.LBB22_1912:
	s_mov_b64 s[0:1], 0
.LBB22_1913:
	s_andn2_b64 vcc, exec, s[0:1]
	s_cbranch_vccnz .LBB22_1918
; %bb.1914:
	s_mov_b64 s[0:1], -1
	s_cmp_gt_i32 s2, 0
	v_cndmask_b32_e64 v3, 0, 1, s[20:21]
	s_cbranch_scc0 .LBB22_1916
; %bb.1915:
	global_store_byte v[0:1], v3, off
	s_mov_b64 s[0:1], 0
.LBB22_1916:
	s_andn2_b64 vcc, exec, s[0:1]
	s_cbranch_vccnz .LBB22_1918
; %bb.1917:
	global_store_byte v[0:1], v3, off
.LBB22_1918:
	s_mov_b64 s[4:5], -1
.LBB22_1919:
	s_andn2_b64 vcc, exec, s[4:5]
	s_cbranch_vccnz .LBB22_2115
; %bb.1920:
	v_add_u32_e32 v2, s14, v2
	v_ashrrev_i32_e32 v1, 31, v2
	v_mov_b32_e32 v3, s9
	v_add_co_u32_e32 v0, vcc, s8, v2
	s_cmp_lt_i32 s28, 11
	v_addc_co_u32_e32 v1, vcc, v3, v1, vcc
	s_cbranch_scc1 .LBB22_1998
; %bb.1921:
	s_and_b32 s15, 0xffff, s28
	s_mov_b64 s[10:11], -1
	s_mov_b64 s[2:3], 0
	s_cmp_gt_i32 s15, 25
	s_mov_b64 s[4:5], 0
	s_mov_b64 s[0:1], 0
	s_cbranch_scc0 .LBB22_1954
; %bb.1922:
	s_cmp_gt_i32 s15, 28
	s_cbranch_scc0 .LBB22_1937
; %bb.1923:
	s_cmp_gt_i32 s15, 43
	;; [unrolled: 3-line block ×3, first 2 shown]
	s_cbranch_scc0 .LBB22_1927
; %bb.1925:
	s_mov_b64 s[0:1], -1
	s_mov_b64 s[10:11], 0
	s_cmp_eq_u32 s15, 46
	s_cbranch_scc0 .LBB22_1927
; %bb.1926:
	v_cndmask_b32_e64 v3, 0, 1.0, s[24:25]
	v_bfe_u32 v4, v3, 16, 1
	s_movk_i32 s0, 0x7fff
	v_add3_u32 v3, v3, v4, s0
	v_lshrrev_b32_e32 v3, 16, v3
	global_store_dword v[0:1], v3, off
	s_mov_b64 s[0:1], 0
	s_mov_b64 s[4:5], -1
.LBB22_1927:
	s_and_b64 vcc, exec, s[10:11]
	s_cbranch_vccz .LBB22_1932
; %bb.1928:
	s_cmp_eq_u32 s15, 44
	s_mov_b64 s[0:1], -1
	s_cbranch_scc0 .LBB22_1932
; %bb.1929:
	v_cndmask_b32_e64 v4, 0, 1.0, s[24:25]
	v_lshrrev_b32_e32 v3, 23, v4
	s_movk_i32 s0, 0xff
	v_cmp_ne_u32_e32 vcc, s0, v3
	v_mov_b32_e32 v5, 0xff
	s_and_saveexec_b64 s[4:5], vcc
; %bb.1930:
	s_mov_b32 s0, 0x3fffff
	v_and_b32_e32 v5, 0x400000, v4
	v_and_or_b32 v4, v4, s0, v3
	v_cmp_ne_u32_e32 vcc, 0, v5
	v_cmp_ne_u32_e64 s[0:1], 0, v4
	s_and_b64 s[0:1], vcc, s[0:1]
	v_cndmask_b32_e64 v4, 0, 1, s[0:1]
	v_add_u32_e32 v5, v3, v4
; %bb.1931:
	s_or_b64 exec, exec, s[4:5]
	s_mov_b64 s[0:1], 0
	s_mov_b64 s[4:5], -1
	global_store_byte v[0:1], v5, off
.LBB22_1932:
	s_mov_b64 s[10:11], 0
.LBB22_1933:
	s_and_b64 vcc, exec, s[10:11]
	s_cbranch_vccz .LBB22_1936
; %bb.1934:
	s_cmp_eq_u32 s15, 29
	s_mov_b64 s[0:1], -1
	s_cbranch_scc0 .LBB22_1936
; %bb.1935:
	s_mov_b32 s0, 0
	v_cndmask_b32_e64 v3, 0, 1, s[24:25]
	v_mov_b32_e32 v4, s0
	global_store_dwordx2 v[0:1], v[3:4], off
	s_mov_b64 s[0:1], 0
	s_mov_b64 s[4:5], -1
.LBB22_1936:
	s_mov_b64 s[10:11], 0
.LBB22_1937:
	s_and_b64 vcc, exec, s[10:11]
	s_cbranch_vccz .LBB22_1953
; %bb.1938:
	s_cmp_lt_i32 s15, 27
	s_mov_b64 s[4:5], -1
	s_cbranch_scc1 .LBB22_1944
; %bb.1939:
	s_cmp_gt_i32 s15, 27
	s_cbranch_scc0 .LBB22_1941
; %bb.1940:
	v_cndmask_b32_e64 v3, 0, 1, s[24:25]
	s_mov_b64 s[4:5], 0
	global_store_dword v[0:1], v3, off
.LBB22_1941:
	s_andn2_b64 vcc, exec, s[4:5]
	s_cbranch_vccnz .LBB22_1943
; %bb.1942:
	v_cndmask_b32_e64 v3, 0, 1, s[24:25]
	global_store_short v[0:1], v3, off
.LBB22_1943:
	s_mov_b64 s[4:5], 0
.LBB22_1944:
	s_andn2_b64 vcc, exec, s[4:5]
	s_cbranch_vccnz .LBB22_1952
; %bb.1945:
	v_cndmask_b32_e64 v4, 0, 1.0, s[24:25]
	s_mov_b32 s4, 0x43800000
	v_cmp_gt_u32_e32 vcc, s4, v4
	v_mov_b32_e32 v5, 0x80
	s_and_saveexec_b64 s[4:5], vcc
	s_cbranch_execz .LBB22_1951
; %bb.1946:
	s_mov_b32 s10, 0x3bffffff
	v_cmp_lt_u32_e32 vcc, s10, v4
	s_mov_b64 s[10:11], 0
                                        ; implicit-def: $vgpr3
	s_and_saveexec_b64 s[12:13], vcc
	s_xor_b64 s[12:13], exec, s[12:13]
	s_cbranch_execz .LBB22_2128
; %bb.1947:
	v_bfe_u32 v3, v4, 20, 1
	s_mov_b32 s20, 0x487ffff
	v_add3_u32 v3, v4, v3, s20
	s_mov_b64 s[10:11], exec
	v_lshrrev_b32_e32 v3, 20, v3
                                        ; implicit-def: $vgpr4
	s_andn2_saveexec_b64 s[12:13], s[12:13]
	s_cbranch_execnz .LBB22_2129
.LBB22_1948:
	s_or_b64 exec, exec, s[12:13]
	v_mov_b32_e32 v5, 0
	s_and_saveexec_b64 s[12:13], s[10:11]
.LBB22_1949:
	v_mov_b32_e32 v5, v3
.LBB22_1950:
	s_or_b64 exec, exec, s[12:13]
.LBB22_1951:
	s_or_b64 exec, exec, s[4:5]
	global_store_byte v[0:1], v5, off
.LBB22_1952:
	s_mov_b64 s[4:5], -1
.LBB22_1953:
	s_mov_b64 s[10:11], 0
.LBB22_1954:
	s_and_b64 vcc, exec, s[10:11]
	s_cbranch_vccz .LBB22_1994
; %bb.1955:
	s_cmp_gt_i32 s15, 22
	s_mov_b64 s[2:3], -1
	s_cbranch_scc0 .LBB22_1987
; %bb.1956:
	s_cmp_lt_i32 s15, 24
	s_cbranch_scc1 .LBB22_1976
; %bb.1957:
	s_cmp_gt_i32 s15, 24
	s_cbranch_scc0 .LBB22_1965
; %bb.1958:
	v_cndmask_b32_e64 v4, 0, 1.0, s[24:25]
	s_mov_b32 s2, 0x47800000
	v_cmp_gt_u32_e32 vcc, s2, v4
	v_mov_b32_e32 v5, 0x80
	s_and_saveexec_b64 s[2:3], vcc
	s_cbranch_execz .LBB22_1964
; %bb.1959:
	s_mov_b32 s4, 0x37ffffff
	v_cmp_lt_u32_e32 vcc, s4, v4
	s_mov_b64 s[4:5], 0
                                        ; implicit-def: $vgpr3
	s_and_saveexec_b64 s[10:11], vcc
	s_xor_b64 s[10:11], exec, s[10:11]
	s_cbranch_execz .LBB22_2131
; %bb.1960:
	v_bfe_u32 v3, v4, 21, 1
	s_mov_b32 s12, 0x88fffff
	v_add3_u32 v3, v4, v3, s12
	s_mov_b64 s[4:5], exec
	v_lshrrev_b32_e32 v3, 21, v3
                                        ; implicit-def: $vgpr4
	s_andn2_saveexec_b64 s[10:11], s[10:11]
	s_cbranch_execnz .LBB22_2132
.LBB22_1961:
	s_or_b64 exec, exec, s[10:11]
	v_mov_b32_e32 v5, 0
	s_and_saveexec_b64 s[10:11], s[4:5]
.LBB22_1962:
	v_mov_b32_e32 v5, v3
.LBB22_1963:
	s_or_b64 exec, exec, s[10:11]
.LBB22_1964:
	s_or_b64 exec, exec, s[2:3]
	s_mov_b64 s[2:3], 0
	global_store_byte v[0:1], v5, off
.LBB22_1965:
	s_and_b64 vcc, exec, s[2:3]
	s_cbranch_vccz .LBB22_1975
; %bb.1966:
	v_cndmask_b32_e64 v3, 0, 1.0, s[24:25]
	s_mov_b32 s2, 0x43f00000
	v_cmp_gt_u32_e32 vcc, s2, v3
                                        ; implicit-def: $vgpr4
	s_and_saveexec_b64 s[2:3], vcc
	s_xor_b64 s[2:3], exec, s[2:3]
	s_cbranch_execz .LBB22_1972
; %bb.1967:
	s_mov_b32 s4, 0x3c7fffff
	v_cmp_lt_u32_e32 vcc, s4, v3
                                        ; implicit-def: $vgpr4
	s_and_saveexec_b64 s[4:5], vcc
	s_xor_b64 s[4:5], exec, s[4:5]
; %bb.1968:
	v_bfe_u32 v4, v3, 20, 1
	s_mov_b32 s10, 0x407ffff
	v_add3_u32 v3, v3, v4, s10
	v_lshrrev_b32_e32 v4, 20, v3
	v_and_b32_e32 v3, 0xff00000, v3
	s_mov_b32 s10, 0x7f00000
	v_mov_b32_e32 v5, 0x7e
	v_cmp_ne_u32_e32 vcc, s10, v3
	v_cndmask_b32_e32 v4, v5, v4, vcc
                                        ; implicit-def: $vgpr3
; %bb.1969:
	s_andn2_saveexec_b64 s[4:5], s[4:5]
; %bb.1970:
	v_add_f32_e32 v4, 0x46800000, v3
; %bb.1971:
	s_or_b64 exec, exec, s[4:5]
                                        ; implicit-def: $vgpr3
.LBB22_1972:
	s_andn2_saveexec_b64 s[2:3], s[2:3]
; %bb.1973:
	s_mov_b32 s4, 0x7f800000
	v_mov_b32_e32 v4, 0x7e
	v_mov_b32_e32 v5, 0x7f
	v_cmp_lt_u32_e32 vcc, s4, v3
	v_cndmask_b32_e32 v4, v4, v5, vcc
; %bb.1974:
	s_or_b64 exec, exec, s[2:3]
	global_store_byte v[0:1], v4, off
.LBB22_1975:
	s_mov_b64 s[2:3], 0
.LBB22_1976:
	s_andn2_b64 vcc, exec, s[2:3]
	s_cbranch_vccnz .LBB22_1986
; %bb.1977:
	v_cndmask_b32_e64 v3, 0, 1.0, s[24:25]
	s_mov_b32 s2, 0x47800000
	v_cmp_gt_u32_e32 vcc, s2, v3
                                        ; implicit-def: $vgpr4
	s_and_saveexec_b64 s[2:3], vcc
	s_xor_b64 s[2:3], exec, s[2:3]
	s_cbranch_execz .LBB22_1983
; %bb.1978:
	s_mov_b32 s4, 0x387fffff
	v_cmp_lt_u32_e32 vcc, s4, v3
                                        ; implicit-def: $vgpr4
	s_and_saveexec_b64 s[4:5], vcc
	s_xor_b64 s[4:5], exec, s[4:5]
; %bb.1979:
	v_bfe_u32 v4, v3, 21, 1
	s_mov_b32 s10, 0x80fffff
	v_add3_u32 v3, v3, v4, s10
	v_lshrrev_b32_e32 v4, 21, v3
                                        ; implicit-def: $vgpr3
; %bb.1980:
	s_andn2_saveexec_b64 s[4:5], s[4:5]
; %bb.1981:
	v_add_f32_e32 v4, 0x43000000, v3
; %bb.1982:
	s_or_b64 exec, exec, s[4:5]
                                        ; implicit-def: $vgpr3
.LBB22_1983:
	s_andn2_saveexec_b64 s[2:3], s[2:3]
; %bb.1984:
	s_mov_b32 s4, 0x7f800000
	v_mov_b32_e32 v4, 0x7c
	v_mov_b32_e32 v5, 0x7f
	v_cmp_lt_u32_e32 vcc, s4, v3
	v_cndmask_b32_e32 v4, v4, v5, vcc
; %bb.1985:
	s_or_b64 exec, exec, s[2:3]
	global_store_byte v[0:1], v4, off
.LBB22_1986:
	s_mov_b64 s[2:3], 0
	s_mov_b64 s[4:5], -1
.LBB22_1987:
	s_andn2_b64 vcc, exec, s[2:3]
	s_mov_b64 s[2:3], 0
	s_cbranch_vccnz .LBB22_1994
; %bb.1988:
	s_cmp_gt_i32 s15, 14
	s_mov_b64 s[10:11], -1
	s_cbranch_scc0 .LBB22_1992
; %bb.1989:
	s_cmp_eq_u32 s15, 15
	s_mov_b64 s[0:1], -1
	s_cbranch_scc0 .LBB22_1991
; %bb.1990:
	v_cndmask_b32_e64 v3, 0, 1.0, s[24:25]
	v_bfe_u32 v4, v3, 16, 1
	s_movk_i32 s0, 0x7fff
	v_add3_u32 v3, v3, v4, s0
	global_store_short_d16_hi v[0:1], v3, off
	s_mov_b64 s[0:1], 0
	s_mov_b64 s[4:5], -1
.LBB22_1991:
	s_mov_b64 s[10:11], 0
.LBB22_1992:
	s_and_b64 vcc, exec, s[10:11]
	s_cbranch_vccz .LBB22_1994
; %bb.1993:
	s_cmp_lg_u32 s15, 11
	s_mov_b64 s[2:3], -1
	s_cselect_b64 s[0:1], -1, 0
.LBB22_1994:
	s_and_b64 vcc, exec, s[0:1]
	s_cbranch_vccnz .LBB22_2130
; %bb.1995:
	s_andn2_b64 vcc, exec, s[2:3]
	s_cbranch_vccnz .LBB22_1997
.LBB22_1996:
	v_cndmask_b32_e64 v3, 0, 1, s[24:25]
	s_mov_b64 s[4:5], -1
	global_store_byte v[0:1], v3, off
.LBB22_1997:
	s_mov_b64 s[0:1], 0
	s_branch .LBB22_1999
.LBB22_1998:
	s_mov_b64 s[0:1], -1
	s_mov_b64 s[4:5], 0
.LBB22_1999:
	s_and_b64 vcc, exec, s[0:1]
	s_cbranch_vccz .LBB22_2038
; %bb.2000:
	s_and_b32 s2, 0xffff, s28
	s_cmp_lt_i32 s2, 5
	s_mov_b64 s[0:1], -1
	s_cbranch_scc1 .LBB22_2021
; %bb.2001:
	s_cmp_lt_i32 s2, 8
	s_cbranch_scc1 .LBB22_2011
; %bb.2002:
	s_cmp_lt_i32 s2, 9
	s_cbranch_scc1 .LBB22_2008
; %bb.2003:
	s_cmp_gt_i32 s2, 9
	s_cbranch_scc0 .LBB22_2005
; %bb.2004:
	v_cndmask_b32_e64 v3, 0, 1, s[24:25]
	v_cvt_f64_u32_e32 v[3:4], v3
	v_mov_b32_e32 v5, 0
	v_mov_b32_e32 v6, v5
	s_mov_b64 s[0:1], 0
	global_store_dwordx4 v[0:1], v[3:6], off
.LBB22_2005:
	s_andn2_b64 vcc, exec, s[0:1]
	s_cbranch_vccnz .LBB22_2007
; %bb.2006:
	v_cndmask_b32_e64 v3, 0, 1.0, s[24:25]
	v_mov_b32_e32 v4, 0
	global_store_dwordx2 v[0:1], v[3:4], off
.LBB22_2007:
	s_mov_b64 s[0:1], 0
.LBB22_2008:
	s_andn2_b64 vcc, exec, s[0:1]
	s_cbranch_vccnz .LBB22_2010
; %bb.2009:
	v_cndmask_b32_e64 v3, 0, 1.0, s[24:25]
	v_cvt_f16_f32_e32 v3, v3
	global_store_dword v[0:1], v3, off
.LBB22_2010:
	s_mov_b64 s[0:1], 0
.LBB22_2011:
	s_andn2_b64 vcc, exec, s[0:1]
	s_cbranch_vccnz .LBB22_2020
; %bb.2012:
	s_cmp_lt_i32 s2, 6
	s_mov_b64 s[0:1], -1
	s_cbranch_scc1 .LBB22_2018
; %bb.2013:
	s_cmp_gt_i32 s2, 6
	s_cbranch_scc0 .LBB22_2015
; %bb.2014:
	v_cndmask_b32_e64 v3, 0, 1, s[24:25]
	v_cvt_f64_u32_e32 v[3:4], v3
	s_mov_b64 s[0:1], 0
	global_store_dwordx2 v[0:1], v[3:4], off
.LBB22_2015:
	s_andn2_b64 vcc, exec, s[0:1]
	s_cbranch_vccnz .LBB22_2017
; %bb.2016:
	v_cndmask_b32_e64 v3, 0, 1.0, s[24:25]
	global_store_dword v[0:1], v3, off
.LBB22_2017:
	s_mov_b64 s[0:1], 0
.LBB22_2018:
	s_andn2_b64 vcc, exec, s[0:1]
	s_cbranch_vccnz .LBB22_2020
; %bb.2019:
	v_cndmask_b32_e64 v3, 0, 1.0, s[24:25]
	v_cvt_f16_f32_e32 v3, v3
	global_store_short v[0:1], v3, off
.LBB22_2020:
	s_mov_b64 s[0:1], 0
.LBB22_2021:
	s_andn2_b64 vcc, exec, s[0:1]
	s_cbranch_vccnz .LBB22_2037
; %bb.2022:
	s_cmp_lt_i32 s2, 2
	s_mov_b64 s[0:1], -1
	s_cbranch_scc1 .LBB22_2032
; %bb.2023:
	s_cmp_lt_i32 s2, 3
	s_cbranch_scc1 .LBB22_2029
; %bb.2024:
	s_cmp_gt_i32 s2, 3
	s_cbranch_scc0 .LBB22_2026
; %bb.2025:
	s_mov_b32 s0, 0
	v_cndmask_b32_e64 v3, 0, 1, s[24:25]
	v_mov_b32_e32 v4, s0
	global_store_dwordx2 v[0:1], v[3:4], off
	s_mov_b64 s[0:1], 0
.LBB22_2026:
	s_andn2_b64 vcc, exec, s[0:1]
	s_cbranch_vccnz .LBB22_2028
; %bb.2027:
	v_cndmask_b32_e64 v3, 0, 1, s[24:25]
	global_store_dword v[0:1], v3, off
.LBB22_2028:
	s_mov_b64 s[0:1], 0
.LBB22_2029:
	s_andn2_b64 vcc, exec, s[0:1]
	s_cbranch_vccnz .LBB22_2031
; %bb.2030:
	v_cndmask_b32_e64 v3, 0, 1, s[24:25]
	global_store_short v[0:1], v3, off
.LBB22_2031:
	s_mov_b64 s[0:1], 0
.LBB22_2032:
	s_andn2_b64 vcc, exec, s[0:1]
	s_cbranch_vccnz .LBB22_2037
; %bb.2033:
	s_mov_b64 s[0:1], -1
	s_cmp_gt_i32 s2, 0
	v_cndmask_b32_e64 v3, 0, 1, s[24:25]
	s_cbranch_scc0 .LBB22_2035
; %bb.2034:
	global_store_byte v[0:1], v3, off
	s_mov_b64 s[0:1], 0
.LBB22_2035:
	s_andn2_b64 vcc, exec, s[0:1]
	s_cbranch_vccnz .LBB22_2037
; %bb.2036:
	global_store_byte v[0:1], v3, off
.LBB22_2037:
	s_mov_b64 s[4:5], -1
.LBB22_2038:
	s_andn2_b64 vcc, exec, s[4:5]
	s_cbranch_vccnz .LBB22_2115
; %bb.2039:
	v_add_u32_e32 v0, s14, v2
	v_ashrrev_i32_e32 v1, 31, v0
	v_mov_b32_e32 v2, s9
	v_add_co_u32_e32 v0, vcc, s8, v0
	s_cmp_lt_i32 s28, 11
	v_addc_co_u32_e32 v1, vcc, v2, v1, vcc
	s_cbranch_scc1 .LBB22_2116
; %bb.2040:
	s_and_b32 s12, 0xffff, s28
	s_mov_b64 s[4:5], -1
	s_mov_b64 s[2:3], 0
	s_cmp_gt_i32 s12, 25
	s_mov_b64 s[0:1], 0
	s_cbranch_scc0 .LBB22_2073
; %bb.2041:
	s_cmp_gt_i32 s12, 28
	s_cbranch_scc0 .LBB22_2057
; %bb.2042:
	s_cmp_gt_i32 s12, 43
	;; [unrolled: 3-line block ×3, first 2 shown]
	s_cbranch_scc0 .LBB22_2047
; %bb.2044:
	s_cmp_eq_u32 s12, 46
	s_mov_b64 s[0:1], -1
	s_cbranch_scc0 .LBB22_2046
; %bb.2045:
	v_cndmask_b32_e64 v2, 0, 1.0, s[22:23]
	v_bfe_u32 v3, v2, 16, 1
	s_movk_i32 s0, 0x7fff
	v_add3_u32 v2, v2, v3, s0
	v_lshrrev_b32_e32 v2, 16, v2
	global_store_dword v[0:1], v2, off
	s_mov_b64 s[0:1], 0
.LBB22_2046:
	s_mov_b64 s[4:5], 0
.LBB22_2047:
	s_and_b64 vcc, exec, s[4:5]
	s_cbranch_vccz .LBB22_2052
; %bb.2048:
	s_cmp_eq_u32 s12, 44
	s_mov_b64 s[0:1], -1
	s_cbranch_scc0 .LBB22_2052
; %bb.2049:
	v_cndmask_b32_e64 v3, 0, 1.0, s[22:23]
	v_lshrrev_b32_e32 v2, 23, v3
	s_movk_i32 s0, 0xff
	v_cmp_ne_u32_e32 vcc, s0, v2
	v_mov_b32_e32 v4, 0xff
	s_and_saveexec_b64 s[4:5], vcc
; %bb.2050:
	s_mov_b32 s0, 0x3fffff
	v_and_b32_e32 v4, 0x400000, v3
	v_and_or_b32 v3, v3, s0, v2
	v_cmp_ne_u32_e32 vcc, 0, v4
	v_cmp_ne_u32_e64 s[0:1], 0, v3
	s_and_b64 s[0:1], vcc, s[0:1]
	v_cndmask_b32_e64 v3, 0, 1, s[0:1]
	v_add_u32_e32 v4, v2, v3
; %bb.2051:
	s_or_b64 exec, exec, s[4:5]
	s_mov_b64 s[0:1], 0
	global_store_byte v[0:1], v4, off
.LBB22_2052:
	s_mov_b64 s[4:5], 0
.LBB22_2053:
	s_and_b64 vcc, exec, s[4:5]
	s_cbranch_vccz .LBB22_2056
; %bb.2054:
	s_cmp_eq_u32 s12, 29
	s_mov_b64 s[0:1], -1
	s_cbranch_scc0 .LBB22_2056
; %bb.2055:
	s_mov_b32 s0, 0
	v_cndmask_b32_e64 v2, 0, 1, s[22:23]
	v_mov_b32_e32 v3, s0
	global_store_dwordx2 v[0:1], v[2:3], off
	s_mov_b64 s[0:1], 0
.LBB22_2056:
	s_mov_b64 s[4:5], 0
.LBB22_2057:
	s_and_b64 vcc, exec, s[4:5]
	s_cbranch_vccz .LBB22_2072
; %bb.2058:
	s_cmp_lt_i32 s12, 27
	s_mov_b64 s[4:5], -1
	s_cbranch_scc1 .LBB22_2064
; %bb.2059:
	s_cmp_gt_i32 s12, 27
	v_cndmask_b32_e64 v2, 0, 1, s[22:23]
	s_cbranch_scc0 .LBB22_2061
; %bb.2060:
	global_store_dword v[0:1], v2, off
	s_mov_b64 s[4:5], 0
.LBB22_2061:
	s_andn2_b64 vcc, exec, s[4:5]
	s_cbranch_vccnz .LBB22_2063
; %bb.2062:
	global_store_short v[0:1], v2, off
.LBB22_2063:
	s_mov_b64 s[4:5], 0
.LBB22_2064:
	s_andn2_b64 vcc, exec, s[4:5]
	s_cbranch_vccnz .LBB22_2072
; %bb.2065:
	v_cndmask_b32_e64 v3, 0, 1.0, s[22:23]
	s_mov_b32 s4, 0x43800000
	v_cmp_gt_u32_e32 vcc, s4, v3
	v_mov_b32_e32 v4, 0x80
	s_and_saveexec_b64 s[4:5], vcc
	s_cbranch_execz .LBB22_2071
; %bb.2066:
	s_mov_b32 s8, 0x3bffffff
	v_cmp_lt_u32_e32 vcc, s8, v3
	s_mov_b64 s[8:9], 0
                                        ; implicit-def: $vgpr2
	s_and_saveexec_b64 s[10:11], vcc
	s_xor_b64 s[10:11], exec, s[10:11]
	s_cbranch_execz .LBB22_2133
; %bb.2067:
	v_bfe_u32 v2, v3, 20, 1
	s_mov_b32 s13, 0x487ffff
	v_add3_u32 v2, v3, v2, s13
	s_mov_b64 s[8:9], exec
	v_lshrrev_b32_e32 v2, 20, v2
                                        ; implicit-def: $vgpr3
	s_andn2_saveexec_b64 s[10:11], s[10:11]
	s_cbranch_execnz .LBB22_2134
.LBB22_2068:
	s_or_b64 exec, exec, s[10:11]
	v_mov_b32_e32 v4, 0
	s_and_saveexec_b64 s[10:11], s[8:9]
.LBB22_2069:
	v_mov_b32_e32 v4, v2
.LBB22_2070:
	s_or_b64 exec, exec, s[10:11]
.LBB22_2071:
	s_or_b64 exec, exec, s[4:5]
	global_store_byte v[0:1], v4, off
.LBB22_2072:
	s_mov_b64 s[4:5], 0
.LBB22_2073:
	s_and_b64 vcc, exec, s[4:5]
	s_cbranch_vccz .LBB22_2113
; %bb.2074:
	s_cmp_gt_i32 s12, 22
	s_mov_b64 s[2:3], -1
	s_cbranch_scc0 .LBB22_2106
; %bb.2075:
	s_cmp_lt_i32 s12, 24
	s_cbranch_scc1 .LBB22_2095
; %bb.2076:
	s_cmp_gt_i32 s12, 24
	s_cbranch_scc0 .LBB22_2084
; %bb.2077:
	v_cndmask_b32_e64 v3, 0, 1.0, s[22:23]
	s_mov_b32 s2, 0x47800000
	v_cmp_gt_u32_e32 vcc, s2, v3
	v_mov_b32_e32 v4, 0x80
	s_and_saveexec_b64 s[2:3], vcc
	s_cbranch_execz .LBB22_2083
; %bb.2078:
	s_mov_b32 s4, 0x37ffffff
	v_cmp_lt_u32_e32 vcc, s4, v3
	s_mov_b64 s[4:5], 0
                                        ; implicit-def: $vgpr2
	s_and_saveexec_b64 s[8:9], vcc
	s_xor_b64 s[8:9], exec, s[8:9]
	s_cbranch_execz .LBB22_2136
; %bb.2079:
	v_bfe_u32 v2, v3, 21, 1
	s_mov_b32 s10, 0x88fffff
	v_add3_u32 v2, v3, v2, s10
	s_mov_b64 s[4:5], exec
	v_lshrrev_b32_e32 v2, 21, v2
                                        ; implicit-def: $vgpr3
	s_andn2_saveexec_b64 s[8:9], s[8:9]
	s_cbranch_execnz .LBB22_2137
.LBB22_2080:
	s_or_b64 exec, exec, s[8:9]
	v_mov_b32_e32 v4, 0
	s_and_saveexec_b64 s[8:9], s[4:5]
.LBB22_2081:
	v_mov_b32_e32 v4, v2
.LBB22_2082:
	s_or_b64 exec, exec, s[8:9]
.LBB22_2083:
	s_or_b64 exec, exec, s[2:3]
	s_mov_b64 s[2:3], 0
	global_store_byte v[0:1], v4, off
.LBB22_2084:
	s_and_b64 vcc, exec, s[2:3]
	s_cbranch_vccz .LBB22_2094
; %bb.2085:
	v_cndmask_b32_e64 v2, 0, 1.0, s[22:23]
	s_mov_b32 s2, 0x43f00000
	v_cmp_gt_u32_e32 vcc, s2, v2
                                        ; implicit-def: $vgpr3
	s_and_saveexec_b64 s[2:3], vcc
	s_xor_b64 s[2:3], exec, s[2:3]
	s_cbranch_execz .LBB22_2091
; %bb.2086:
	s_mov_b32 s4, 0x3c7fffff
	v_cmp_lt_u32_e32 vcc, s4, v2
                                        ; implicit-def: $vgpr3
	s_and_saveexec_b64 s[4:5], vcc
	s_xor_b64 s[4:5], exec, s[4:5]
; %bb.2087:
	v_bfe_u32 v3, v2, 20, 1
	s_mov_b32 s8, 0x407ffff
	v_add3_u32 v2, v2, v3, s8
	v_lshrrev_b32_e32 v3, 20, v2
	v_and_b32_e32 v2, 0xff00000, v2
	s_mov_b32 s8, 0x7f00000
	v_mov_b32_e32 v4, 0x7e
	v_cmp_ne_u32_e32 vcc, s8, v2
	v_cndmask_b32_e32 v3, v4, v3, vcc
                                        ; implicit-def: $vgpr2
; %bb.2088:
	s_andn2_saveexec_b64 s[4:5], s[4:5]
; %bb.2089:
	v_add_f32_e32 v3, 0x46800000, v2
; %bb.2090:
	s_or_b64 exec, exec, s[4:5]
                                        ; implicit-def: $vgpr2
.LBB22_2091:
	s_andn2_saveexec_b64 s[2:3], s[2:3]
; %bb.2092:
	s_mov_b32 s4, 0x7f800000
	v_mov_b32_e32 v3, 0x7e
	v_mov_b32_e32 v4, 0x7f
	v_cmp_lt_u32_e32 vcc, s4, v2
	v_cndmask_b32_e32 v3, v3, v4, vcc
; %bb.2093:
	s_or_b64 exec, exec, s[2:3]
	global_store_byte v[0:1], v3, off
.LBB22_2094:
	s_mov_b64 s[2:3], 0
.LBB22_2095:
	s_andn2_b64 vcc, exec, s[2:3]
	s_cbranch_vccnz .LBB22_2105
; %bb.2096:
	v_cndmask_b32_e64 v2, 0, 1.0, s[22:23]
	s_mov_b32 s2, 0x47800000
	v_cmp_gt_u32_e32 vcc, s2, v2
                                        ; implicit-def: $vgpr3
	s_and_saveexec_b64 s[2:3], vcc
	s_xor_b64 s[2:3], exec, s[2:3]
	s_cbranch_execz .LBB22_2102
; %bb.2097:
	s_mov_b32 s4, 0x387fffff
	v_cmp_lt_u32_e32 vcc, s4, v2
                                        ; implicit-def: $vgpr3
	s_and_saveexec_b64 s[4:5], vcc
	s_xor_b64 s[4:5], exec, s[4:5]
; %bb.2098:
	v_bfe_u32 v3, v2, 21, 1
	s_mov_b32 s8, 0x80fffff
	v_add3_u32 v2, v2, v3, s8
	v_lshrrev_b32_e32 v3, 21, v2
                                        ; implicit-def: $vgpr2
; %bb.2099:
	s_andn2_saveexec_b64 s[4:5], s[4:5]
; %bb.2100:
	v_add_f32_e32 v3, 0x43000000, v2
; %bb.2101:
	s_or_b64 exec, exec, s[4:5]
                                        ; implicit-def: $vgpr2
.LBB22_2102:
	s_andn2_saveexec_b64 s[2:3], s[2:3]
; %bb.2103:
	s_mov_b32 s4, 0x7f800000
	v_mov_b32_e32 v3, 0x7c
	v_mov_b32_e32 v4, 0x7f
	v_cmp_lt_u32_e32 vcc, s4, v2
	v_cndmask_b32_e32 v3, v3, v4, vcc
; %bb.2104:
	s_or_b64 exec, exec, s[2:3]
	global_store_byte v[0:1], v3, off
.LBB22_2105:
	s_mov_b64 s[2:3], 0
.LBB22_2106:
	s_andn2_b64 vcc, exec, s[2:3]
	s_mov_b64 s[2:3], 0
	s_cbranch_vccnz .LBB22_2113
; %bb.2107:
	s_cmp_gt_i32 s12, 14
	s_mov_b64 s[4:5], -1
	s_cbranch_scc0 .LBB22_2111
; %bb.2108:
	s_cmp_eq_u32 s12, 15
	s_mov_b64 s[0:1], -1
	s_cbranch_scc0 .LBB22_2110
; %bb.2109:
	v_cndmask_b32_e64 v2, 0, 1.0, s[22:23]
	v_bfe_u32 v3, v2, 16, 1
	s_movk_i32 s0, 0x7fff
	v_add3_u32 v2, v2, v3, s0
	global_store_short_d16_hi v[0:1], v2, off
	s_mov_b64 s[0:1], 0
.LBB22_2110:
	s_mov_b64 s[4:5], 0
.LBB22_2111:
	s_and_b64 vcc, exec, s[4:5]
	s_cbranch_vccz .LBB22_2113
; %bb.2112:
	s_cmp_lg_u32 s12, 11
	s_mov_b64 s[2:3], -1
	s_cselect_b64 s[0:1], -1, 0
.LBB22_2113:
	s_and_b64 vcc, exec, s[0:1]
	s_cbranch_vccnz .LBB22_2135
.LBB22_2114:
	s_mov_b64 s[0:1], 0
	s_branch .LBB22_1625
.LBB22_2115:
	s_mov_b64 s[0:1], 0
	s_branch .LBB22_1624
.LBB22_2116:
	s_mov_b64 s[2:3], 0
	s_mov_b64 s[0:1], -1
	s_branch .LBB22_1625
.LBB22_2117:
	s_trap 2
	s_or_b64 s[18:19], s[18:19], exec
	s_cbranch_execz .LBB22_1567
	s_branch .LBB22_1568
.LBB22_2118:
	s_andn2_saveexec_b64 s[26:27], s[26:27]
	s_cbranch_execz .LBB22_1708
.LBB22_2119:
	v_add_f32_e32 v3, 0x46000000, v4
	v_and_b32_e32 v3, 0xff, v3
	v_cmp_ne_u32_e32 vcc, 0, v3
	s_andn2_b64 s[14:15], s[14:15], exec
	s_and_b64 s[30:31], vcc, exec
	s_or_b64 s[14:15], s[14:15], s[30:31]
	s_or_b64 exec, exec, s[26:27]
	v_mov_b32_e32 v5, 0
	s_and_saveexec_b64 s[26:27], s[14:15]
	s_cbranch_execnz .LBB22_1709
	s_branch .LBB22_1710
.LBB22_2120:
	s_trap 2
	s_or_b64 s[18:19], s[18:19], exec
	s_cbranch_execz .LBB22_1756
	s_branch .LBB22_1757
.LBB22_2121:
	s_andn2_saveexec_b64 s[14:15], s[14:15]
	s_cbranch_execz .LBB22_1721
.LBB22_2122:
	v_add_f32_e32 v3, 0x42800000, v4
	v_and_b32_e32 v3, 0xff, v3
	v_cmp_ne_u32_e32 vcc, 0, v3
	s_andn2_b64 s[10:11], s[10:11], exec
	s_and_b64 s[26:27], vcc, exec
	s_or_b64 s[10:11], s[10:11], s[26:27]
	s_or_b64 exec, exec, s[14:15]
	v_mov_b32_e32 v5, 0
	s_and_saveexec_b64 s[14:15], s[10:11]
	s_cbranch_execnz .LBB22_1722
	s_branch .LBB22_1723
.LBB22_2123:
	s_andn2_saveexec_b64 s[12:13], s[12:13]
	s_cbranch_execz .LBB22_1829
.LBB22_2124:
	v_add_f32_e32 v3, 0x46000000, v4
	v_and_b32_e32 v3, 0xff, v3
	v_cmp_ne_u32_e32 vcc, 0, v3
	s_andn2_b64 s[10:11], s[10:11], exec
	s_and_b64 s[26:27], vcc, exec
	s_or_b64 s[10:11], s[10:11], s[26:27]
	s_or_b64 exec, exec, s[12:13]
	v_mov_b32_e32 v5, 0
	s_and_saveexec_b64 s[12:13], s[10:11]
	s_cbranch_execnz .LBB22_1830
	s_branch .LBB22_1831
.LBB22_2125:
	s_trap 2
	s_or_b64 s[18:19], s[18:19], exec
	s_cbranch_execz .LBB22_1877
	s_branch .LBB22_1878
.LBB22_2126:
	s_andn2_saveexec_b64 s[10:11], s[10:11]
	s_cbranch_execz .LBB22_1842
.LBB22_2127:
	v_add_f32_e32 v3, 0x42800000, v4
	v_and_b32_e32 v3, 0xff, v3
	v_cmp_ne_u32_e32 vcc, 0, v3
	s_andn2_b64 s[4:5], s[4:5], exec
	s_and_b64 s[12:13], vcc, exec
	s_or_b64 s[4:5], s[4:5], s[12:13]
	s_or_b64 exec, exec, s[10:11]
	v_mov_b32_e32 v5, 0
	s_and_saveexec_b64 s[10:11], s[4:5]
	s_cbranch_execnz .LBB22_1843
	s_branch .LBB22_1844
.LBB22_2128:
	s_andn2_saveexec_b64 s[12:13], s[12:13]
	s_cbranch_execz .LBB22_1948
.LBB22_2129:
	v_add_f32_e32 v3, 0x46000000, v4
	v_and_b32_e32 v3, 0xff, v3
	v_cmp_ne_u32_e32 vcc, 0, v3
	s_andn2_b64 s[10:11], s[10:11], exec
	s_and_b64 s[20:21], vcc, exec
	s_or_b64 s[10:11], s[10:11], s[20:21]
	s_or_b64 exec, exec, s[12:13]
	v_mov_b32_e32 v5, 0
	s_and_saveexec_b64 s[12:13], s[10:11]
	s_cbranch_execnz .LBB22_1949
	s_branch .LBB22_1950
.LBB22_2130:
	s_trap 2
	s_or_b64 s[18:19], s[18:19], exec
	s_cbranch_execz .LBB22_1996
	s_branch .LBB22_1997
.LBB22_2131:
	s_andn2_saveexec_b64 s[10:11], s[10:11]
	s_cbranch_execz .LBB22_1961
.LBB22_2132:
	v_add_f32_e32 v3, 0x42800000, v4
	v_and_b32_e32 v3, 0xff, v3
	v_cmp_ne_u32_e32 vcc, 0, v3
	s_andn2_b64 s[4:5], s[4:5], exec
	s_and_b64 s[12:13], vcc, exec
	s_or_b64 s[4:5], s[4:5], s[12:13]
	s_or_b64 exec, exec, s[10:11]
	v_mov_b32_e32 v5, 0
	s_and_saveexec_b64 s[10:11], s[4:5]
	s_cbranch_execnz .LBB22_1962
	s_branch .LBB22_1963
.LBB22_2133:
	s_andn2_saveexec_b64 s[10:11], s[10:11]
	s_cbranch_execz .LBB22_2068
.LBB22_2134:
	v_add_f32_e32 v2, 0x46000000, v3
	v_and_b32_e32 v2, 0xff, v2
	v_cmp_ne_u32_e32 vcc, 0, v2
	s_andn2_b64 s[8:9], s[8:9], exec
	s_and_b64 s[14:15], vcc, exec
	s_or_b64 s[8:9], s[8:9], s[14:15]
	s_or_b64 exec, exec, s[10:11]
	v_mov_b32_e32 v4, 0
	s_and_saveexec_b64 s[10:11], s[8:9]
	s_cbranch_execnz .LBB22_2069
	s_branch .LBB22_2070
.LBB22_2135:
	s_mov_b64 s[2:3], 0
	s_or_b64 s[18:19], s[18:19], exec
	s_trap 2
	s_branch .LBB22_2114
.LBB22_2136:
	s_andn2_saveexec_b64 s[8:9], s[8:9]
	s_cbranch_execz .LBB22_2080
.LBB22_2137:
	v_add_f32_e32 v2, 0x42800000, v3
	v_and_b32_e32 v2, 0xff, v2
	v_cmp_ne_u32_e32 vcc, 0, v2
	s_andn2_b64 s[4:5], s[4:5], exec
	s_and_b64 s[10:11], vcc, exec
	s_or_b64 s[4:5], s[4:5], s[10:11]
	s_or_b64 exec, exec, s[8:9]
	v_mov_b32_e32 v4, 0
	s_and_saveexec_b64 s[8:9], s[4:5]
	s_cbranch_execnz .LBB22_2081
	s_branch .LBB22_2082
	.section	.rodata,"a",@progbits
	.p2align	6, 0x0
	.amdhsa_kernel _ZN2at6native32elementwise_kernel_manual_unrollILi128ELi4EZNS0_15gpu_kernel_implIZNS0_21compare_scalar_kernelIaEEvRNS_18TensorIteratorBaseENS0_12_GLOBAL__N_16OpTypeET_EUlaE_EEvS5_RKS8_EUlibE_EEviT1_
		.amdhsa_group_segment_fixed_size 0
		.amdhsa_private_segment_fixed_size 0
		.amdhsa_kernarg_size 48
		.amdhsa_user_sgpr_count 6
		.amdhsa_user_sgpr_private_segment_buffer 1
		.amdhsa_user_sgpr_dispatch_ptr 0
		.amdhsa_user_sgpr_queue_ptr 0
		.amdhsa_user_sgpr_kernarg_segment_ptr 1
		.amdhsa_user_sgpr_dispatch_id 0
		.amdhsa_user_sgpr_flat_scratch_init 0
		.amdhsa_user_sgpr_private_segment_size 0
		.amdhsa_uses_dynamic_stack 0
		.amdhsa_system_sgpr_private_segment_wavefront_offset 0
		.amdhsa_system_sgpr_workgroup_id_x 1
		.amdhsa_system_sgpr_workgroup_id_y 0
		.amdhsa_system_sgpr_workgroup_id_z 0
		.amdhsa_system_sgpr_workgroup_info 0
		.amdhsa_system_vgpr_workitem_id 0
		.amdhsa_next_free_vgpr 10
		.amdhsa_next_free_sgpr 46
		.amdhsa_reserve_vcc 1
		.amdhsa_reserve_flat_scratch 0
		.amdhsa_float_round_mode_32 0
		.amdhsa_float_round_mode_16_64 0
		.amdhsa_float_denorm_mode_32 3
		.amdhsa_float_denorm_mode_16_64 3
		.amdhsa_dx10_clamp 1
		.amdhsa_ieee_mode 1
		.amdhsa_fp16_overflow 0
		.amdhsa_exception_fp_ieee_invalid_op 0
		.amdhsa_exception_fp_denorm_src 0
		.amdhsa_exception_fp_ieee_div_zero 0
		.amdhsa_exception_fp_ieee_overflow 0
		.amdhsa_exception_fp_ieee_underflow 0
		.amdhsa_exception_fp_ieee_inexact 0
		.amdhsa_exception_int_div_zero 0
	.end_amdhsa_kernel
	.section	.text._ZN2at6native32elementwise_kernel_manual_unrollILi128ELi4EZNS0_15gpu_kernel_implIZNS0_21compare_scalar_kernelIaEEvRNS_18TensorIteratorBaseENS0_12_GLOBAL__N_16OpTypeET_EUlaE_EEvS5_RKS8_EUlibE_EEviT1_,"axG",@progbits,_ZN2at6native32elementwise_kernel_manual_unrollILi128ELi4EZNS0_15gpu_kernel_implIZNS0_21compare_scalar_kernelIaEEvRNS_18TensorIteratorBaseENS0_12_GLOBAL__N_16OpTypeET_EUlaE_EEvS5_RKS8_EUlibE_EEviT1_,comdat
.Lfunc_end22:
	.size	_ZN2at6native32elementwise_kernel_manual_unrollILi128ELi4EZNS0_15gpu_kernel_implIZNS0_21compare_scalar_kernelIaEEvRNS_18TensorIteratorBaseENS0_12_GLOBAL__N_16OpTypeET_EUlaE_EEvS5_RKS8_EUlibE_EEviT1_, .Lfunc_end22-_ZN2at6native32elementwise_kernel_manual_unrollILi128ELi4EZNS0_15gpu_kernel_implIZNS0_21compare_scalar_kernelIaEEvRNS_18TensorIteratorBaseENS0_12_GLOBAL__N_16OpTypeET_EUlaE_EEvS5_RKS8_EUlibE_EEviT1_
                                        ; -- End function
	.set _ZN2at6native32elementwise_kernel_manual_unrollILi128ELi4EZNS0_15gpu_kernel_implIZNS0_21compare_scalar_kernelIaEEvRNS_18TensorIteratorBaseENS0_12_GLOBAL__N_16OpTypeET_EUlaE_EEvS5_RKS8_EUlibE_EEviT1_.num_vgpr, 10
	.set _ZN2at6native32elementwise_kernel_manual_unrollILi128ELi4EZNS0_15gpu_kernel_implIZNS0_21compare_scalar_kernelIaEEvRNS_18TensorIteratorBaseENS0_12_GLOBAL__N_16OpTypeET_EUlaE_EEvS5_RKS8_EUlibE_EEviT1_.num_agpr, 0
	.set _ZN2at6native32elementwise_kernel_manual_unrollILi128ELi4EZNS0_15gpu_kernel_implIZNS0_21compare_scalar_kernelIaEEvRNS_18TensorIteratorBaseENS0_12_GLOBAL__N_16OpTypeET_EUlaE_EEvS5_RKS8_EUlibE_EEviT1_.numbered_sgpr, 46
	.set _ZN2at6native32elementwise_kernel_manual_unrollILi128ELi4EZNS0_15gpu_kernel_implIZNS0_21compare_scalar_kernelIaEEvRNS_18TensorIteratorBaseENS0_12_GLOBAL__N_16OpTypeET_EUlaE_EEvS5_RKS8_EUlibE_EEviT1_.num_named_barrier, 0
	.set _ZN2at6native32elementwise_kernel_manual_unrollILi128ELi4EZNS0_15gpu_kernel_implIZNS0_21compare_scalar_kernelIaEEvRNS_18TensorIteratorBaseENS0_12_GLOBAL__N_16OpTypeET_EUlaE_EEvS5_RKS8_EUlibE_EEviT1_.private_seg_size, 0
	.set _ZN2at6native32elementwise_kernel_manual_unrollILi128ELi4EZNS0_15gpu_kernel_implIZNS0_21compare_scalar_kernelIaEEvRNS_18TensorIteratorBaseENS0_12_GLOBAL__N_16OpTypeET_EUlaE_EEvS5_RKS8_EUlibE_EEviT1_.uses_vcc, 1
	.set _ZN2at6native32elementwise_kernel_manual_unrollILi128ELi4EZNS0_15gpu_kernel_implIZNS0_21compare_scalar_kernelIaEEvRNS_18TensorIteratorBaseENS0_12_GLOBAL__N_16OpTypeET_EUlaE_EEvS5_RKS8_EUlibE_EEviT1_.uses_flat_scratch, 0
	.set _ZN2at6native32elementwise_kernel_manual_unrollILi128ELi4EZNS0_15gpu_kernel_implIZNS0_21compare_scalar_kernelIaEEvRNS_18TensorIteratorBaseENS0_12_GLOBAL__N_16OpTypeET_EUlaE_EEvS5_RKS8_EUlibE_EEviT1_.has_dyn_sized_stack, 0
	.set _ZN2at6native32elementwise_kernel_manual_unrollILi128ELi4EZNS0_15gpu_kernel_implIZNS0_21compare_scalar_kernelIaEEvRNS_18TensorIteratorBaseENS0_12_GLOBAL__N_16OpTypeET_EUlaE_EEvS5_RKS8_EUlibE_EEviT1_.has_recursion, 0
	.set _ZN2at6native32elementwise_kernel_manual_unrollILi128ELi4EZNS0_15gpu_kernel_implIZNS0_21compare_scalar_kernelIaEEvRNS_18TensorIteratorBaseENS0_12_GLOBAL__N_16OpTypeET_EUlaE_EEvS5_RKS8_EUlibE_EEviT1_.has_indirect_call, 0
	.section	.AMDGPU.csdata,"",@progbits
; Kernel info:
; codeLenInByte = 30736
; TotalNumSgprs: 50
; NumVgprs: 10
; ScratchSize: 0
; MemoryBound: 1
; FloatMode: 240
; IeeeMode: 1
; LDSByteSize: 0 bytes/workgroup (compile time only)
; SGPRBlocks: 6
; VGPRBlocks: 2
; NumSGPRsForWavesPerEU: 50
; NumVGPRsForWavesPerEU: 10
; Occupancy: 10
; WaveLimiterHint : 0
; COMPUTE_PGM_RSRC2:SCRATCH_EN: 0
; COMPUTE_PGM_RSRC2:USER_SGPR: 6
; COMPUTE_PGM_RSRC2:TRAP_HANDLER: 0
; COMPUTE_PGM_RSRC2:TGID_X_EN: 1
; COMPUTE_PGM_RSRC2:TGID_Y_EN: 0
; COMPUTE_PGM_RSRC2:TGID_Z_EN: 0
; COMPUTE_PGM_RSRC2:TIDIG_COMP_CNT: 0
	.section	.text._ZN2at6native32elementwise_kernel_manual_unrollILi128ELi4EZNS0_15gpu_kernel_implIZNS0_21compare_scalar_kernelIaEEvRNS_18TensorIteratorBaseENS0_12_GLOBAL__N_16OpTypeET_EUlaE_EEvS5_RKS8_EUlibE0_EEviT1_,"axG",@progbits,_ZN2at6native32elementwise_kernel_manual_unrollILi128ELi4EZNS0_15gpu_kernel_implIZNS0_21compare_scalar_kernelIaEEvRNS_18TensorIteratorBaseENS0_12_GLOBAL__N_16OpTypeET_EUlaE_EEvS5_RKS8_EUlibE0_EEviT1_,comdat
	.globl	_ZN2at6native32elementwise_kernel_manual_unrollILi128ELi4EZNS0_15gpu_kernel_implIZNS0_21compare_scalar_kernelIaEEvRNS_18TensorIteratorBaseENS0_12_GLOBAL__N_16OpTypeET_EUlaE_EEvS5_RKS8_EUlibE0_EEviT1_ ; -- Begin function _ZN2at6native32elementwise_kernel_manual_unrollILi128ELi4EZNS0_15gpu_kernel_implIZNS0_21compare_scalar_kernelIaEEvRNS_18TensorIteratorBaseENS0_12_GLOBAL__N_16OpTypeET_EUlaE_EEvS5_RKS8_EUlibE0_EEviT1_
	.p2align	8
	.type	_ZN2at6native32elementwise_kernel_manual_unrollILi128ELi4EZNS0_15gpu_kernel_implIZNS0_21compare_scalar_kernelIaEEvRNS_18TensorIteratorBaseENS0_12_GLOBAL__N_16OpTypeET_EUlaE_EEvS5_RKS8_EUlibE0_EEviT1_,@function
_ZN2at6native32elementwise_kernel_manual_unrollILi128ELi4EZNS0_15gpu_kernel_implIZNS0_21compare_scalar_kernelIaEEvRNS_18TensorIteratorBaseENS0_12_GLOBAL__N_16OpTypeET_EUlaE_EEvS5_RKS8_EUlibE0_EEviT1_: ; @_ZN2at6native32elementwise_kernel_manual_unrollILi128ELi4EZNS0_15gpu_kernel_implIZNS0_21compare_scalar_kernelIaEEvRNS_18TensorIteratorBaseENS0_12_GLOBAL__N_16OpTypeET_EUlaE_EEvS5_RKS8_EUlibE0_EEviT1_
; %bb.0:
	s_load_dword s72, s[4:5], 0x0
	s_load_dword s33, s[4:5], 0x8
	s_add_u32 s34, s4, 8
	s_addc_u32 s35, s5, 0
	v_lshl_or_b32 v8, s6, 9, v0
	v_or_b32_e32 v15, 0x180, v8
	s_waitcnt lgkmcnt(0)
	s_add_i32 s74, s33, -1
	s_cmp_gt_u32 s74, 1
	v_cmp_le_i32_e32 vcc, s72, v15
	s_cselect_b64 s[40:41], -1, 0
	s_mov_b64 s[6:7], 0
	s_mov_b64 s[28:29], 0
	s_and_saveexec_b64 s[0:1], vcc
	s_xor_b64 s[42:43], exec, s[0:1]
	s_cbranch_execz .LBB23_1135
; %bb.1:
	s_load_dwordx4 s[28:31], s[34:35], 0x4
	s_load_dwordx2 s[46:47], s[34:35], 0x14
	s_load_dwordx2 s[44:45], s[34:35], 0x158
	s_load_dword s75, s[34:35], 0x160
	s_cmp_lg_u32 s33, 0
	s_load_dwordx4 s[36:39], s[34:35], 0xc4
	s_load_dwordx4 s[24:27], s[34:35], 0x148
	s_cselect_b64 s[52:53], -1, 0
	s_add_u32 s50, s34, 0xc4
	s_addc_u32 s51, s35, 0
	s_min_u32 s77, s74, 15
	s_cmp_gt_u32 s33, 1
	s_cselect_b64 s[48:49], -1, 0
	s_waitcnt lgkmcnt(0)
	s_sext_i32_i8 s45, s45
	s_bfe_u32 s76, s75, 0x80008
	v_cmp_gt_i32_e32 vcc, s72, v8
	s_mov_b64 s[2:3], -1
	s_mov_b64 s[62:63], 0
	s_mov_b64 s[56:57], 0
	;; [unrolled: 1-line block ×3, first 2 shown]
	s_and_saveexec_b64 s[58:59], vcc
	s_cbranch_execz .LBB23_278
; %bb.2:
	s_andn2_b64 vcc, exec, s[40:41]
	s_cbranch_vccnz .LBB23_7
; %bb.3:
	s_andn2_b64 vcc, exec, s[52:53]
	s_cbranch_vccnz .LBB23_8
; %bb.4:
	s_add_i32 s61, s77, 1
	s_cmp_eq_u32 s74, 2
	s_cbranch_scc1 .LBB23_9
; %bb.5:
	s_and_b32 s60, s61, 28
	v_mov_b32_e32 v2, 0
	s_mov_b32 s64, 0
	s_mov_b64 s[54:55], s[34:35]
	s_mov_b64 s[56:57], s[50:51]
	v_mov_b32_e32 v0, 0
	v_mov_b32_e32 v1, v8
.LBB23_6:                               ; =>This Inner Loop Header: Depth=1
	s_load_dwordx8 s[16:23], s[54:55], 0x4
	s_load_dwordx4 s[0:3], s[54:55], 0x24
	s_load_dwordx8 s[8:15], s[56:57], 0x0
	s_add_u32 s54, s54, 48
	s_addc_u32 s55, s55, 0
	s_waitcnt lgkmcnt(0)
	v_mul_hi_u32 v3, s17, v1
	s_add_i32 s64, s64, 4
	s_add_u32 s56, s56, 32
	s_addc_u32 s57, s57, 0
	v_add_u32_e32 v3, v1, v3
	v_lshrrev_b32_e32 v3, s18, v3
	v_mul_lo_u32 v4, v3, s16
	v_mul_hi_u32 v5, s20, v3
	s_cmp_lg_u32 s60, s64
	v_sub_u32_e32 v1, v1, v4
	v_add_u32_e32 v4, v3, v5
	v_mul_lo_u32 v5, v1, s8
	v_mul_lo_u32 v6, v1, s9
	v_lshrrev_b32_e32 v1, s21, v4
	v_mul_lo_u32 v4, v1, s19
	v_mul_hi_u32 v7, s23, v1
	v_sub_u32_e32 v3, v3, v4
	v_add_u32_e32 v4, v1, v7
	v_lshrrev_b32_e32 v4, s0, v4
	v_mul_hi_u32 v9, s2, v4
	v_mul_lo_u32 v10, v4, s22
	v_mul_lo_u32 v7, v3, s10
	;; [unrolled: 1-line block ×3, first 2 shown]
	v_sub_u32_e32 v10, v1, v10
	v_add_u32_e32 v1, v4, v9
	v_lshrrev_b32_e32 v1, s3, v1
	v_mul_lo_u32 v9, v1, s1
	v_mul_lo_u32 v11, v10, s12
	;; [unrolled: 1-line block ×3, first 2 shown]
	v_add3_u32 v0, v5, v0, v7
	v_sub_u32_e32 v4, v4, v9
	v_mul_lo_u32 v9, v4, s14
	v_mul_lo_u32 v4, v4, s15
	v_add3_u32 v2, v6, v2, v3
	v_add3_u32 v0, v11, v0, v9
	;; [unrolled: 1-line block ×3, first 2 shown]
	s_cbranch_scc1 .LBB23_6
	s_branch .LBB23_10
.LBB23_7:
                                        ; implicit-def: $vgpr0
                                        ; implicit-def: $vgpr2
	s_branch .LBB23_14
.LBB23_8:
	v_mov_b32_e32 v0, 0
	v_mov_b32_e32 v2, 0
	s_branch .LBB23_13
.LBB23_9:
	s_mov_b32 s60, 0
	v_mov_b32_e32 v0, 0
	v_mov_b32_e32 v2, 0
	v_mov_b32_e32 v1, v8
.LBB23_10:
	s_and_b32 s8, s61, 3
	s_cmp_eq_u32 s8, 0
	s_cbranch_scc1 .LBB23_13
; %bb.11:
	s_lshl_b32 s0, s60, 3
	s_add_u32 s0, s34, s0
	s_addc_u32 s1, s35, 0
	s_add_u32 s0, s0, 0xc4
	s_addc_u32 s1, s1, 0
	s_mul_i32 s2, s60, 12
	s_add_u32 s2, s34, s2
	s_addc_u32 s3, s35, 0
.LBB23_12:                              ; =>This Inner Loop Header: Depth=1
	s_load_dwordx2 s[10:11], s[2:3], 0x4
	s_load_dword s9, s[2:3], 0xc
	s_load_dwordx2 s[12:13], s[0:1], 0x0
	s_add_u32 s2, s2, 12
	s_addc_u32 s3, s3, 0
	s_waitcnt lgkmcnt(0)
	v_mul_hi_u32 v3, s11, v1
	s_add_u32 s0, s0, 8
	s_addc_u32 s1, s1, 0
	s_add_i32 s8, s8, -1
	v_add_u32_e32 v3, v1, v3
	v_lshrrev_b32_e32 v4, s9, v3
	v_mul_lo_u32 v3, v4, s10
	s_cmp_lg_u32 s8, 0
	v_sub_u32_e32 v3, v1, v3
	v_mad_u64_u32 v[0:1], s[10:11], v3, s12, v[0:1]
	v_mad_u64_u32 v[2:3], s[10:11], v3, s13, v[2:3]
	v_mov_b32_e32 v1, v4
	s_cbranch_scc1 .LBB23_12
.LBB23_13:
	s_cbranch_execnz .LBB23_16
.LBB23_14:
	v_mul_hi_u32 v0, s29, v8
	s_andn2_b64 vcc, exec, s[48:49]
	v_add_u32_e32 v0, v8, v0
	v_lshrrev_b32_e32 v1, s30, v0
	v_mul_lo_u32 v0, v1, s28
	v_sub_u32_e32 v2, v8, v0
	v_mul_lo_u32 v0, v2, s36
	v_mul_lo_u32 v2, v2, s37
	s_cbranch_vccnz .LBB23_16
; %bb.15:
	v_mul_hi_u32 v3, s46, v1
	v_add_u32_e32 v3, v1, v3
	v_lshrrev_b32_e32 v3, s47, v3
	v_mul_lo_u32 v3, v3, s31
	v_sub_u32_e32 v3, v1, v3
	v_mad_u64_u32 v[0:1], s[0:1], v3, s38, v[0:1]
	v_mad_u64_u32 v[2:3], s[0:1], v3, s39, v[2:3]
.LBB23_16:
	v_mov_b32_e32 v3, s27
	s_and_b32 s10, 0xffff, s76
	v_add_co_u32_e32 v1, vcc, s26, v2
	s_cmp_lt_i32 s10, 11
	v_addc_co_u32_e32 v2, vcc, 0, v3, vcc
	s_cbranch_scc1 .LBB23_23
; %bb.17:
	s_cmp_gt_i32 s10, 25
	s_cbranch_scc0 .LBB23_29
; %bb.18:
	s_cmp_gt_i32 s10, 28
	s_cbranch_scc0 .LBB23_31
	;; [unrolled: 3-line block ×4, first 2 shown]
; %bb.21:
	s_cmp_eq_u32 s10, 46
	s_mov_b64 s[8:9], 0
	s_cbranch_scc0 .LBB23_57
; %bb.22:
	global_load_dword v3, v[1:2], off
	s_mov_b64 s[0:1], -1
	s_mov_b64 s[2:3], 0
	s_waitcnt vmcnt(0)
	v_lshlrev_b32_e32 v3, 16, v3
	v_cvt_i32_f32_e32 v3, v3
	s_branch .LBB23_59
.LBB23_23:
	s_mov_b64 s[2:3], 0
                                        ; implicit-def: $vgpr3
	s_mov_b64 s[0:1], 0
	s_cbranch_execnz .LBB23_228
.LBB23_24:
	s_andn2_b64 vcc, exec, s[0:1]
	s_cbranch_vccnz .LBB23_275
.LBB23_25:
	s_cmp_lt_i32 s44, 1
	s_mov_b64 s[0:1], 0
	s_cbranch_scc1 .LBB23_30
; %bb.26:
	s_cmp_gt_i32 s44, 1
	s_cbranch_scc0 .LBB23_32
; %bb.27:
	s_cmp_eq_u32 s44, 2
	s_cbranch_scc0 .LBB23_34
; %bb.28:
	s_waitcnt vmcnt(0)
	v_cmp_le_i16_sdwa s[8:9], sext(v3), s45 src0_sel:BYTE_0 src1_sel:DWORD
	s_mov_b64 s[10:11], 0
	s_branch .LBB23_35
.LBB23_29:
	s_mov_b64 s[2:3], 0
	s_mov_b64 s[0:1], 0
                                        ; implicit-def: $vgpr3
	s_cbranch_execnz .LBB23_195
	s_branch .LBB23_227
.LBB23_30:
                                        ; implicit-def: $sgpr8_sgpr9
	s_mov_b64 s[10:11], 0
	s_cbranch_execnz .LBB23_39
	s_branch .LBB23_40
.LBB23_31:
	s_mov_b64 s[8:9], -1
	s_mov_b64 s[2:3], 0
	s_mov_b64 s[0:1], 0
                                        ; implicit-def: $vgpr3
	s_branch .LBB23_178
.LBB23_32:
	s_mov_b64 s[12:13], -1
	s_mov_b64 s[10:11], 0
                                        ; implicit-def: $sgpr8_sgpr9
	s_branch .LBB23_36
.LBB23_33:
	s_mov_b64 s[8:9], -1
	s_mov_b64 s[2:3], 0
	s_mov_b64 s[0:1], 0
                                        ; implicit-def: $vgpr3
	s_branch .LBB23_173
.LBB23_34:
	s_mov_b64 s[10:11], -1
                                        ; implicit-def: $sgpr8_sgpr9
.LBB23_35:
	s_mov_b64 s[12:13], 0
.LBB23_36:
	s_and_b64 vcc, exec, s[12:13]
	s_cbranch_vccz .LBB23_38
; %bb.37:
	s_waitcnt vmcnt(0)
	v_cmp_gt_i16_sdwa s[12:13], sext(v3), s45 src0_sel:BYTE_0 src1_sel:DWORD
	s_andn2_b64 s[8:9], s[8:9], exec
	s_and_b64 s[12:13], s[12:13], exec
	s_or_b64 s[8:9], s[8:9], s[12:13]
.LBB23_38:
	s_branch .LBB23_40
.LBB23_39:
	s_cmp_lg_u32 s44, 0
	s_mov_b64 s[0:1], -1
	s_cselect_b64 s[10:11], -1, 0
.LBB23_40:
	s_andn2_b64 vcc, exec, s[10:11]
	s_cbranch_vccnz .LBB23_42
; %bb.41:
	s_waitcnt vmcnt(0)
	v_cmp_lt_i16_sdwa s[10:11], sext(v3), s45 src0_sel:BYTE_0 src1_sel:DWORD
	s_andn2_b64 s[8:9], s[8:9], exec
	s_and_b64 s[10:11], s[10:11], exec
	s_or_b64 s[8:9], s[8:9], s[10:11]
	s_cbranch_execz .LBB23_43
	s_branch .LBB23_44
.LBB23_42:
	s_andn2_b64 vcc, exec, s[0:1]
	s_cbranch_vccnz .LBB23_44
.LBB23_43:
	s_waitcnt vmcnt(0)
	v_cmp_ge_i16_sdwa s[0:1], sext(v3), s45 src0_sel:BYTE_0 src1_sel:DWORD
	s_andn2_b64 s[8:9], s[8:9], exec
	s_and_b64 s[0:1], s[0:1], exec
	s_or_b64 s[8:9], s[8:9], s[0:1]
.LBB23_44:
	v_mov_b32_e32 v1, s25
	s_and_b32 s16, s75, 0xff
	v_add_co_u32_e32 v0, vcc, s24, v0
	s_cmp_lt_i32 s16, 11
	v_addc_co_u32_e32 v1, vcc, 0, v1, vcc
	s_cbranch_scc1 .LBB23_51
; %bb.45:
	s_and_b32 s17, 0xffff, s16
	s_cmp_gt_i32 s17, 25
	s_cbranch_scc0 .LBB23_53
; %bb.46:
	s_cmp_gt_i32 s17, 28
	s_cbranch_scc0 .LBB23_54
; %bb.47:
	;; [unrolled: 3-line block ×4, first 2 shown]
	s_mov_b64 s[12:13], 0
	s_mov_b64 s[0:1], -1
	s_cmp_eq_u32 s17, 46
	s_mov_b64 s[10:11], 0
	s_cbranch_scc0 .LBB23_63
; %bb.50:
	v_cndmask_b32_e64 v2, 0, 1.0, s[8:9]
	s_waitcnt vmcnt(0)
	v_bfe_u32 v3, v2, 16, 1
	s_movk_i32 s0, 0x7fff
	v_add3_u32 v2, v2, v3, s0
	v_lshrrev_b32_e32 v2, 16, v2
	global_store_dword v[0:1], v2, off
	s_mov_b64 s[10:11], -1
	s_mov_b64 s[0:1], 0
	s_branch .LBB23_63
.LBB23_51:
	s_mov_b64 s[0:1], 0
	s_mov_b64 s[10:11], 0
	s_cbranch_execnz .LBB23_132
.LBB23_52:
	s_andn2_b64 vcc, exec, s[10:11]
	s_cbranch_vccnz .LBB23_276
	s_branch .LBB23_170
.LBB23_53:
	s_mov_b64 s[12:13], -1
	s_mov_b64 s[0:1], 0
	s_mov_b64 s[10:11], 0
	s_branch .LBB23_90
.LBB23_54:
	s_mov_b64 s[12:13], -1
	s_mov_b64 s[0:1], 0
	s_mov_b64 s[10:11], 0
	s_branch .LBB23_73
.LBB23_55:
	s_mov_b64 s[8:9], -1
	s_mov_b64 s[2:3], 0
	s_branch .LBB23_58
.LBB23_56:
	s_mov_b64 s[12:13], -1
	s_mov_b64 s[0:1], 0
	s_mov_b64 s[10:11], 0
	s_branch .LBB23_69
.LBB23_57:
	s_mov_b64 s[2:3], -1
.LBB23_58:
	s_mov_b64 s[0:1], 0
                                        ; implicit-def: $vgpr3
.LBB23_59:
	s_and_b64 vcc, exec, s[8:9]
	s_cbranch_vccz .LBB23_172
; %bb.60:
	s_cmp_eq_u32 s10, 44
	s_cbranch_scc0 .LBB23_171
; %bb.61:
	global_load_ubyte v3, v[1:2], off
	s_mov_b64 s[0:1], -1
	s_mov_b64 s[2:3], 0
	s_waitcnt vmcnt(0)
	v_lshlrev_b32_e32 v4, 23, v3
	v_cvt_i32_f32_e32 v4, v4
	v_cmp_ne_u32_e32 vcc, 0, v3
	v_cndmask_b32_e32 v3, 0, v4, vcc
	s_branch .LBB23_172
.LBB23_62:
	s_mov_b64 s[12:13], -1
	s_mov_b64 s[0:1], 0
	s_mov_b64 s[10:11], 0
.LBB23_63:
	s_and_b64 vcc, exec, s[12:13]
	s_cbranch_vccz .LBB23_68
; %bb.64:
	s_cmp_eq_u32 s17, 44
	s_mov_b64 s[0:1], -1
	s_cbranch_scc0 .LBB23_68
; %bb.65:
	s_waitcnt vmcnt(0)
	v_cndmask_b32_e64 v3, 0, 1.0, s[8:9]
	v_lshrrev_b32_e32 v2, 23, v3
	s_movk_i32 s0, 0xff
	v_cmp_ne_u32_e32 vcc, s0, v2
	v_mov_b32_e32 v4, 0xff
	s_and_saveexec_b64 s[10:11], vcc
; %bb.66:
	s_mov_b32 s0, 0x3fffff
	v_and_b32_e32 v4, 0x400000, v3
	v_and_or_b32 v3, v3, s0, v2
	v_cmp_ne_u32_e32 vcc, 0, v4
	v_cmp_ne_u32_e64 s[0:1], 0, v3
	s_and_b64 s[0:1], vcc, s[0:1]
	v_cndmask_b32_e64 v3, 0, 1, s[0:1]
	v_add_u32_e32 v4, v2, v3
; %bb.67:
	s_or_b64 exec, exec, s[10:11]
	s_mov_b64 s[10:11], -1
	s_mov_b64 s[0:1], 0
	global_store_byte v[0:1], v4, off
.LBB23_68:
	s_mov_b64 s[12:13], 0
.LBB23_69:
	s_and_b64 vcc, exec, s[12:13]
	s_cbranch_vccz .LBB23_72
; %bb.70:
	s_cmp_eq_u32 s17, 29
	s_mov_b64 s[0:1], -1
	s_cbranch_scc0 .LBB23_72
; %bb.71:
	s_mov_b32 s0, 0
	v_cndmask_b32_e64 v2, 0, 1, s[8:9]
	s_waitcnt vmcnt(0)
	v_mov_b32_e32 v3, s0
	global_store_dwordx2 v[0:1], v[2:3], off
	s_mov_b64 s[10:11], -1
	s_mov_b64 s[0:1], 0
.LBB23_72:
	s_mov_b64 s[12:13], 0
.LBB23_73:
	s_and_b64 vcc, exec, s[12:13]
	s_cbranch_vccz .LBB23_89
; %bb.74:
	s_cmp_lt_i32 s17, 27
	s_mov_b64 s[10:11], -1
	s_cbranch_scc1 .LBB23_80
; %bb.75:
	s_cmp_gt_i32 s17, 27
	s_cbranch_scc0 .LBB23_77
; %bb.76:
	v_cndmask_b32_e64 v2, 0, 1, s[8:9]
	s_mov_b64 s[10:11], 0
	global_store_dword v[0:1], v2, off
.LBB23_77:
	s_andn2_b64 vcc, exec, s[10:11]
	s_cbranch_vccnz .LBB23_79
; %bb.78:
	v_cndmask_b32_e64 v2, 0, 1, s[8:9]
	global_store_short v[0:1], v2, off
.LBB23_79:
	s_mov_b64 s[10:11], 0
.LBB23_80:
	s_andn2_b64 vcc, exec, s[10:11]
	s_cbranch_vccnz .LBB23_88
; %bb.81:
	s_waitcnt vmcnt(0)
	v_cndmask_b32_e64 v3, 0, 1.0, s[8:9]
	s_mov_b32 s10, 0x43800000
	v_cmp_gt_u32_e32 vcc, s10, v3
	v_mov_b32_e32 v4, 0x80
	s_and_saveexec_b64 s[10:11], vcc
	s_cbranch_execz .LBB23_87
; %bb.82:
	s_mov_b32 s12, 0x3bffffff
	v_cmp_lt_u32_e32 vcc, s12, v3
	s_mov_b64 s[12:13], 0
                                        ; implicit-def: $vgpr2
	s_and_saveexec_b64 s[14:15], vcc
	s_xor_b64 s[14:15], exec, s[14:15]
	s_cbranch_execz .LBB23_335
; %bb.83:
	v_bfe_u32 v2, v3, 20, 1
	s_mov_b32 s18, 0x487ffff
	v_add3_u32 v2, v3, v2, s18
	s_mov_b64 s[12:13], exec
	v_lshrrev_b32_e32 v2, 20, v2
                                        ; implicit-def: $vgpr3
	s_andn2_saveexec_b64 s[14:15], s[14:15]
	s_cbranch_execnz .LBB23_336
.LBB23_84:
	s_or_b64 exec, exec, s[14:15]
	v_mov_b32_e32 v4, 0
	s_and_saveexec_b64 s[14:15], s[12:13]
.LBB23_85:
	v_mov_b32_e32 v4, v2
.LBB23_86:
	s_or_b64 exec, exec, s[14:15]
.LBB23_87:
	s_or_b64 exec, exec, s[10:11]
	global_store_byte v[0:1], v4, off
.LBB23_88:
	s_mov_b64 s[10:11], -1
.LBB23_89:
	s_mov_b64 s[12:13], 0
.LBB23_90:
	s_and_b64 vcc, exec, s[12:13]
	s_cbranch_vccz .LBB23_131
; %bb.91:
	s_cmp_gt_i32 s17, 22
	s_mov_b64 s[12:13], -1
	s_cbranch_scc0 .LBB23_123
; %bb.92:
	s_cmp_lt_i32 s17, 24
	s_mov_b64 s[10:11], -1
	s_cbranch_scc1 .LBB23_112
; %bb.93:
	s_cmp_gt_i32 s17, 24
	s_cbranch_scc0 .LBB23_101
; %bb.94:
	s_waitcnt vmcnt(0)
	v_cndmask_b32_e64 v3, 0, 1.0, s[8:9]
	s_mov_b32 s10, 0x47800000
	v_cmp_gt_u32_e32 vcc, s10, v3
	v_mov_b32_e32 v4, 0x80
	s_and_saveexec_b64 s[10:11], vcc
	s_cbranch_execz .LBB23_100
; %bb.95:
	s_mov_b32 s12, 0x37ffffff
	v_cmp_lt_u32_e32 vcc, s12, v3
	s_mov_b64 s[12:13], 0
                                        ; implicit-def: $vgpr2
	s_and_saveexec_b64 s[14:15], vcc
	s_xor_b64 s[14:15], exec, s[14:15]
	s_cbranch_execz .LBB23_339
; %bb.96:
	v_bfe_u32 v2, v3, 21, 1
	s_mov_b32 s18, 0x88fffff
	v_add3_u32 v2, v3, v2, s18
	s_mov_b64 s[12:13], exec
	v_lshrrev_b32_e32 v2, 21, v2
                                        ; implicit-def: $vgpr3
	s_andn2_saveexec_b64 s[14:15], s[14:15]
	s_cbranch_execnz .LBB23_340
.LBB23_97:
	s_or_b64 exec, exec, s[14:15]
	v_mov_b32_e32 v4, 0
	s_and_saveexec_b64 s[14:15], s[12:13]
.LBB23_98:
	v_mov_b32_e32 v4, v2
.LBB23_99:
	s_or_b64 exec, exec, s[14:15]
.LBB23_100:
	s_or_b64 exec, exec, s[10:11]
	s_mov_b64 s[10:11], 0
	global_store_byte v[0:1], v4, off
.LBB23_101:
	s_and_b64 vcc, exec, s[10:11]
	s_cbranch_vccz .LBB23_111
; %bb.102:
	v_cndmask_b32_e64 v2, 0, 1.0, s[8:9]
	s_mov_b32 s10, 0x43f00000
	v_cmp_gt_u32_e32 vcc, s10, v2
                                        ; implicit-def: $vgpr3
	s_and_saveexec_b64 s[10:11], vcc
	s_xor_b64 s[10:11], exec, s[10:11]
	s_cbranch_execz .LBB23_108
; %bb.103:
	s_mov_b32 s12, 0x3c7fffff
	v_cmp_lt_u32_e32 vcc, s12, v2
                                        ; implicit-def: $vgpr3
	s_and_saveexec_b64 s[12:13], vcc
	s_xor_b64 s[12:13], exec, s[12:13]
	s_cbranch_execz .LBB23_105
; %bb.104:
	s_waitcnt vmcnt(0)
	v_bfe_u32 v3, v2, 20, 1
	s_mov_b32 s14, 0x407ffff
	v_add3_u32 v2, v2, v3, s14
	v_lshrrev_b32_e32 v3, 20, v2
	v_and_b32_e32 v2, 0xff00000, v2
	s_mov_b32 s14, 0x7f00000
	v_mov_b32_e32 v4, 0x7e
	v_cmp_ne_u32_e32 vcc, s14, v2
	v_cndmask_b32_e32 v3, v4, v3, vcc
                                        ; implicit-def: $vgpr2
.LBB23_105:
	s_andn2_saveexec_b64 s[12:13], s[12:13]
	s_cbranch_execz .LBB23_107
; %bb.106:
	s_waitcnt vmcnt(0)
	v_add_f32_e32 v3, 0x46800000, v2
.LBB23_107:
	s_or_b64 exec, exec, s[12:13]
                                        ; implicit-def: $vgpr2
.LBB23_108:
	s_andn2_saveexec_b64 s[10:11], s[10:11]
	s_cbranch_execz .LBB23_110
; %bb.109:
	s_mov_b32 s12, 0x7f800000
	s_waitcnt vmcnt(0)
	v_mov_b32_e32 v3, 0x7e
	v_mov_b32_e32 v4, 0x7f
	v_cmp_lt_u32_e32 vcc, s12, v2
	v_cndmask_b32_e32 v3, v3, v4, vcc
.LBB23_110:
	s_or_b64 exec, exec, s[10:11]
	s_waitcnt vmcnt(0)
	global_store_byte v[0:1], v3, off
.LBB23_111:
	s_mov_b64 s[10:11], 0
.LBB23_112:
	s_andn2_b64 vcc, exec, s[10:11]
	s_cbranch_vccnz .LBB23_122
; %bb.113:
	v_cndmask_b32_e64 v2, 0, 1.0, s[8:9]
	s_mov_b32 s10, 0x47800000
	v_cmp_gt_u32_e32 vcc, s10, v2
                                        ; implicit-def: $vgpr3
	s_and_saveexec_b64 s[10:11], vcc
	s_xor_b64 s[10:11], exec, s[10:11]
	s_cbranch_execz .LBB23_119
; %bb.114:
	s_mov_b32 s12, 0x387fffff
	v_cmp_lt_u32_e32 vcc, s12, v2
                                        ; implicit-def: $vgpr3
	s_and_saveexec_b64 s[12:13], vcc
	s_xor_b64 s[12:13], exec, s[12:13]
	s_cbranch_execz .LBB23_116
; %bb.115:
	s_waitcnt vmcnt(0)
	v_bfe_u32 v3, v2, 21, 1
	s_mov_b32 s14, 0x80fffff
	v_add3_u32 v2, v2, v3, s14
	v_lshrrev_b32_e32 v3, 21, v2
                                        ; implicit-def: $vgpr2
.LBB23_116:
	s_andn2_saveexec_b64 s[12:13], s[12:13]
	s_cbranch_execz .LBB23_118
; %bb.117:
	s_waitcnt vmcnt(0)
	v_add_f32_e32 v3, 0x43000000, v2
.LBB23_118:
	s_or_b64 exec, exec, s[12:13]
                                        ; implicit-def: $vgpr2
.LBB23_119:
	s_andn2_saveexec_b64 s[10:11], s[10:11]
	s_cbranch_execz .LBB23_121
; %bb.120:
	s_mov_b32 s12, 0x7f800000
	s_waitcnt vmcnt(0)
	v_mov_b32_e32 v3, 0x7c
	v_mov_b32_e32 v4, 0x7f
	v_cmp_lt_u32_e32 vcc, s12, v2
	v_cndmask_b32_e32 v3, v3, v4, vcc
.LBB23_121:
	s_or_b64 exec, exec, s[10:11]
	s_waitcnt vmcnt(0)
	global_store_byte v[0:1], v3, off
.LBB23_122:
	s_mov_b64 s[12:13], 0
	s_mov_b64 s[10:11], -1
.LBB23_123:
	s_andn2_b64 vcc, exec, s[12:13]
	s_cbranch_vccnz .LBB23_131
; %bb.124:
	s_cmp_gt_i32 s17, 14
	s_mov_b64 s[12:13], -1
	s_cbranch_scc0 .LBB23_128
; %bb.125:
	s_cmp_eq_u32 s17, 15
	s_mov_b64 s[0:1], -1
	s_cbranch_scc0 .LBB23_127
; %bb.126:
	v_cndmask_b32_e64 v2, 0, 1.0, s[8:9]
	s_waitcnt vmcnt(0)
	v_bfe_u32 v3, v2, 16, 1
	s_movk_i32 s0, 0x7fff
	v_add3_u32 v2, v2, v3, s0
	global_store_short_d16_hi v[0:1], v2, off
	s_mov_b64 s[10:11], -1
	s_mov_b64 s[0:1], 0
.LBB23_127:
	s_mov_b64 s[12:13], 0
.LBB23_128:
	s_and_b64 vcc, exec, s[12:13]
	s_cbranch_vccz .LBB23_131
; %bb.129:
	s_cmp_eq_u32 s17, 11
	s_mov_b64 s[0:1], -1
	s_cbranch_scc0 .LBB23_131
; %bb.130:
	v_cndmask_b32_e64 v2, 0, 1, s[8:9]
	s_mov_b64 s[10:11], -1
	s_mov_b64 s[0:1], 0
	global_store_byte v[0:1], v2, off
.LBB23_131:
	s_branch .LBB23_52
.LBB23_132:
	s_and_b32 s12, 0xffff, s16
	s_cmp_lt_i32 s12, 5
	s_mov_b64 s[10:11], -1
	s_cbranch_scc1 .LBB23_153
; %bb.133:
	s_cmp_lt_i32 s12, 8
	s_cbranch_scc1 .LBB23_143
; %bb.134:
	s_cmp_lt_i32 s12, 9
	s_cbranch_scc1 .LBB23_140
; %bb.135:
	s_cmp_gt_i32 s12, 9
	s_cbranch_scc0 .LBB23_137
; %bb.136:
	v_cndmask_b32_e64 v2, 0, 1, s[8:9]
	s_waitcnt vmcnt(0)
	v_cvt_f64_u32_e32 v[2:3], v2
	v_mov_b32_e32 v4, 0
	v_mov_b32_e32 v5, v4
	s_mov_b64 s[10:11], 0
	global_store_dwordx4 v[0:1], v[2:5], off
.LBB23_137:
	s_andn2_b64 vcc, exec, s[10:11]
	s_cbranch_vccnz .LBB23_139
; %bb.138:
	v_cndmask_b32_e64 v2, 0, 1.0, s[8:9]
	s_waitcnt vmcnt(0)
	v_mov_b32_e32 v3, 0
	global_store_dwordx2 v[0:1], v[2:3], off
.LBB23_139:
	s_mov_b64 s[10:11], 0
.LBB23_140:
	s_andn2_b64 vcc, exec, s[10:11]
	s_cbranch_vccnz .LBB23_142
; %bb.141:
	v_cndmask_b32_e64 v2, 0, 1.0, s[8:9]
	v_cvt_f16_f32_e32 v2, v2
	global_store_dword v[0:1], v2, off
.LBB23_142:
	s_mov_b64 s[10:11], 0
.LBB23_143:
	s_andn2_b64 vcc, exec, s[10:11]
	s_cbranch_vccnz .LBB23_152
; %bb.144:
	s_cmp_lt_i32 s12, 6
	s_mov_b64 s[10:11], -1
	s_cbranch_scc1 .LBB23_150
; %bb.145:
	s_cmp_gt_i32 s12, 6
	s_cbranch_scc0 .LBB23_147
; %bb.146:
	v_cndmask_b32_e64 v2, 0, 1, s[8:9]
	s_waitcnt vmcnt(0)
	v_cvt_f64_u32_e32 v[2:3], v2
	s_mov_b64 s[10:11], 0
	global_store_dwordx2 v[0:1], v[2:3], off
.LBB23_147:
	s_andn2_b64 vcc, exec, s[10:11]
	s_cbranch_vccnz .LBB23_149
; %bb.148:
	v_cndmask_b32_e64 v2, 0, 1.0, s[8:9]
	global_store_dword v[0:1], v2, off
.LBB23_149:
	s_mov_b64 s[10:11], 0
.LBB23_150:
	s_andn2_b64 vcc, exec, s[10:11]
	s_cbranch_vccnz .LBB23_152
; %bb.151:
	v_cndmask_b32_e64 v2, 0, 1.0, s[8:9]
	v_cvt_f16_f32_e32 v2, v2
	global_store_short v[0:1], v2, off
.LBB23_152:
	s_mov_b64 s[10:11], 0
.LBB23_153:
	s_andn2_b64 vcc, exec, s[10:11]
	s_cbranch_vccnz .LBB23_169
; %bb.154:
	s_cmp_lt_i32 s12, 2
	s_mov_b64 s[10:11], -1
	s_cbranch_scc1 .LBB23_164
; %bb.155:
	s_cmp_lt_i32 s12, 3
	s_cbranch_scc1 .LBB23_161
; %bb.156:
	s_cmp_gt_i32 s12, 3
	s_cbranch_scc0 .LBB23_158
; %bb.157:
	s_mov_b32 s10, 0
	v_cndmask_b32_e64 v2, 0, 1, s[8:9]
	s_waitcnt vmcnt(0)
	v_mov_b32_e32 v3, s10
	global_store_dwordx2 v[0:1], v[2:3], off
	s_mov_b64 s[10:11], 0
.LBB23_158:
	s_andn2_b64 vcc, exec, s[10:11]
	s_cbranch_vccnz .LBB23_160
; %bb.159:
	v_cndmask_b32_e64 v2, 0, 1, s[8:9]
	global_store_dword v[0:1], v2, off
.LBB23_160:
	s_mov_b64 s[10:11], 0
.LBB23_161:
	s_andn2_b64 vcc, exec, s[10:11]
	s_cbranch_vccnz .LBB23_163
; %bb.162:
	v_cndmask_b32_e64 v2, 0, 1, s[8:9]
	global_store_short v[0:1], v2, off
.LBB23_163:
	s_mov_b64 s[10:11], 0
.LBB23_164:
	s_andn2_b64 vcc, exec, s[10:11]
	s_cbranch_vccnz .LBB23_169
; %bb.165:
	s_cmp_gt_i32 s12, 0
	s_mov_b64 s[10:11], -1
	s_cbranch_scc0 .LBB23_167
; %bb.166:
	v_cndmask_b32_e64 v2, 0, 1, s[8:9]
	global_store_byte v[0:1], v2, off
	s_mov_b64 s[10:11], 0
.LBB23_167:
	s_andn2_b64 vcc, exec, s[10:11]
	s_cbranch_vccnz .LBB23_169
; %bb.168:
	v_cndmask_b32_e64 v2, 0, 1, s[8:9]
	global_store_byte v[0:1], v2, off
.LBB23_169:
.LBB23_170:
	v_add_u32_e32 v8, 0x80, v8
	s_mov_b64 s[8:9], -1
	s_branch .LBB23_277
.LBB23_171:
	s_mov_b64 s[2:3], -1
                                        ; implicit-def: $vgpr3
.LBB23_172:
	s_mov_b64 s[8:9], 0
.LBB23_173:
	s_and_b64 vcc, exec, s[8:9]
	s_cbranch_vccz .LBB23_177
; %bb.174:
	s_cmp_eq_u32 s10, 29
	s_cbranch_scc0 .LBB23_176
; %bb.175:
	global_load_dwordx2 v[3:4], v[1:2], off
	s_mov_b64 s[0:1], -1
	s_mov_b64 s[2:3], 0
	s_branch .LBB23_177
.LBB23_176:
	s_mov_b64 s[2:3], -1
                                        ; implicit-def: $vgpr3
.LBB23_177:
	s_mov_b64 s[8:9], 0
.LBB23_178:
	s_and_b64 vcc, exec, s[8:9]
	s_cbranch_vccz .LBB23_194
; %bb.179:
	s_cmp_lt_i32 s10, 27
	s_cbranch_scc1 .LBB23_182
; %bb.180:
	s_cmp_gt_i32 s10, 27
	s_cbranch_scc0 .LBB23_183
; %bb.181:
	global_load_dword v3, v[1:2], off
	s_mov_b64 s[0:1], 0
	s_branch .LBB23_184
.LBB23_182:
	s_mov_b64 s[0:1], -1
                                        ; implicit-def: $vgpr3
	s_branch .LBB23_187
.LBB23_183:
	s_mov_b64 s[0:1], -1
                                        ; implicit-def: $vgpr3
.LBB23_184:
	s_andn2_b64 vcc, exec, s[0:1]
	s_cbranch_vccnz .LBB23_186
; %bb.185:
	global_load_ushort v3, v[1:2], off
.LBB23_186:
	s_mov_b64 s[0:1], 0
.LBB23_187:
	s_andn2_b64 vcc, exec, s[0:1]
	s_cbranch_vccnz .LBB23_193
; %bb.188:
	global_load_ubyte v4, v[1:2], off
	s_movk_i32 s0, 0x7f
	s_mov_b64 s[8:9], 0
	s_waitcnt vmcnt(0)
	v_cmp_lt_i16_e32 vcc, s0, v4
	s_and_saveexec_b64 s[0:1], vcc
	s_xor_b64 s[0:1], exec, s[0:1]
	s_cbranch_execz .LBB23_204
; %bb.189:
	s_movk_i32 s8, 0x80
	v_cmp_ne_u16_e32 vcc, s8, v4
	s_and_b64 s[8:9], vcc, exec
	s_andn2_saveexec_b64 s[0:1], s[0:1]
	s_cbranch_execnz .LBB23_205
.LBB23_190:
	s_or_b64 exec, exec, s[0:1]
	v_mov_b32_e32 v3, 0
	s_and_saveexec_b64 s[0:1], s[8:9]
	s_cbranch_execz .LBB23_192
.LBB23_191:
	v_lshlrev_b32_e32 v3, 24, v4
	v_and_b32_e32 v4, 0xffff, v4
	v_and_b32_e32 v5, 7, v4
	v_ffbh_u32_e32 v7, v5
	v_min_u32_e32 v7, 32, v7
	v_subrev_u32_e32 v9, 28, v7
	v_bfe_u32 v6, v4, 3, 4
	v_lshlrev_b32_e32 v4, v9, v4
	v_sub_u32_e32 v7, 29, v7
	v_and_b32_e32 v4, 7, v4
	v_cmp_eq_u32_e32 vcc, 0, v6
	v_cndmask_b32_e32 v6, v6, v7, vcc
	v_cndmask_b32_e32 v4, v5, v4, vcc
	v_mov_b32_e32 v5, 0x3b800000
	v_lshlrev_b32_e32 v4, 20, v4
	v_and_b32_e32 v3, 0x80000000, v3
	v_lshl_add_u32 v5, v6, 23, v5
	v_or3_b32 v3, v3, v5, v4
	v_cvt_i32_f32_e32 v3, v3
.LBB23_192:
	s_or_b64 exec, exec, s[0:1]
.LBB23_193:
	s_mov_b64 s[0:1], -1
.LBB23_194:
	s_branch .LBB23_227
.LBB23_195:
	s_cmp_gt_i32 s10, 22
	s_cbranch_scc0 .LBB23_203
; %bb.196:
	s_cmp_lt_i32 s10, 24
	s_cbranch_scc1 .LBB23_206
; %bb.197:
	s_cmp_gt_i32 s10, 24
	s_cbranch_scc0 .LBB23_207
; %bb.198:
	global_load_ubyte v4, v[1:2], off
	s_movk_i32 s0, 0x7f
	s_mov_b64 s[8:9], 0
	s_waitcnt vmcnt(0)
	v_cmp_lt_i16_e32 vcc, s0, v4
	s_and_saveexec_b64 s[0:1], vcc
	s_xor_b64 s[0:1], exec, s[0:1]
	s_cbranch_execz .LBB23_219
; %bb.199:
	s_movk_i32 s8, 0x80
	v_cmp_ne_u16_e32 vcc, s8, v4
	s_and_b64 s[8:9], vcc, exec
	s_andn2_saveexec_b64 s[0:1], s[0:1]
	s_cbranch_execnz .LBB23_220
.LBB23_200:
	s_or_b64 exec, exec, s[0:1]
	v_mov_b32_e32 v3, 0
	s_and_saveexec_b64 s[0:1], s[8:9]
	s_cbranch_execz .LBB23_202
.LBB23_201:
	v_lshlrev_b32_e32 v3, 24, v4
	v_and_b32_e32 v4, 0xffff, v4
	v_and_b32_e32 v5, 3, v4
	v_ffbh_u32_e32 v7, v5
	v_min_u32_e32 v7, 32, v7
	v_subrev_u32_e32 v9, 29, v7
	v_bfe_u32 v6, v4, 2, 5
	v_lshlrev_b32_e32 v4, v9, v4
	v_sub_u32_e32 v7, 30, v7
	v_and_b32_e32 v4, 3, v4
	v_cmp_eq_u32_e32 vcc, 0, v6
	v_cndmask_b32_e32 v6, v6, v7, vcc
	v_cndmask_b32_e32 v4, v5, v4, vcc
	v_mov_b32_e32 v5, 0x37800000
	v_lshlrev_b32_e32 v4, 21, v4
	v_and_b32_e32 v3, 0x80000000, v3
	v_lshl_add_u32 v5, v6, 23, v5
	v_or3_b32 v3, v3, v5, v4
	v_cvt_i32_f32_e32 v3, v3
.LBB23_202:
	s_or_b64 exec, exec, s[0:1]
	s_mov_b64 s[0:1], 0
	s_branch .LBB23_208
.LBB23_203:
	s_mov_b64 s[8:9], -1
                                        ; implicit-def: $vgpr3
	s_branch .LBB23_214
.LBB23_204:
	s_andn2_saveexec_b64 s[0:1], s[0:1]
	s_cbranch_execz .LBB23_190
.LBB23_205:
	v_cmp_ne_u16_e32 vcc, 0, v4
	s_andn2_b64 s[8:9], s[8:9], exec
	s_and_b64 s[12:13], vcc, exec
	s_or_b64 s[8:9], s[8:9], s[12:13]
	s_or_b64 exec, exec, s[0:1]
	v_mov_b32_e32 v3, 0
	s_and_saveexec_b64 s[0:1], s[8:9]
	s_cbranch_execnz .LBB23_191
	s_branch .LBB23_192
.LBB23_206:
	s_mov_b64 s[0:1], -1
                                        ; implicit-def: $vgpr3
	s_branch .LBB23_211
.LBB23_207:
	s_mov_b64 s[0:1], -1
                                        ; implicit-def: $vgpr3
.LBB23_208:
	s_and_b64 vcc, exec, s[0:1]
	s_cbranch_vccz .LBB23_210
; %bb.209:
	global_load_ubyte v3, v[1:2], off
	s_mov_b32 s0, 0x7f800000
	s_waitcnt vmcnt(0)
	v_lshlrev_b32_e32 v3, 24, v3
	v_and_b32_e32 v4, 0x7f000000, v3
	v_ffbh_u32_e32 v5, v4
	v_min_u32_e32 v5, 32, v5
	v_sub_u32_e64 v5, v5, 4 clamp
	v_lshlrev_b32_e32 v7, v5, v4
	v_lshlrev_b32_e32 v5, 23, v5
	v_lshrrev_b32_e32 v7, 4, v7
	v_add_u32_e32 v6, 0x1000000, v4
	v_sub_u32_e32 v5, v7, v5
	v_ashrrev_i32_e32 v6, 8, v6
	v_add_u32_e32 v5, 0x3c000000, v5
	v_and_or_b32 v5, v6, s0, v5
	v_cmp_ne_u32_e32 vcc, 0, v4
	v_cndmask_b32_e32 v4, 0, v5, vcc
	s_brev_b32 s0, 1
	v_and_or_b32 v3, v3, s0, v4
	v_cvt_i32_f32_e32 v3, v3
.LBB23_210:
	s_mov_b64 s[0:1], 0
.LBB23_211:
	s_andn2_b64 vcc, exec, s[0:1]
	s_cbranch_vccnz .LBB23_213
; %bb.212:
	global_load_ubyte v3, v[1:2], off
	s_movk_i32 s0, 0x7f00
	s_brev_b32 s1, 16
	s_waitcnt vmcnt(0)
	v_lshlrev_b16_e32 v4, 8, v3
	v_lshlrev_b32_e32 v3, 25, v3
	v_lshrrev_b32_e32 v5, 4, v3
	v_and_or_b32 v6, v4, s0, 0.5
	v_or_b32_e32 v5, 0x70000000, v5
	v_add_f32_e32 v6, -0.5, v6
	v_mul_f32_e32 v5, 0x7800000, v5
	v_cmp_gt_u32_e32 vcc, s1, v3
	v_bfe_i32 v4, v4, 0, 16
	v_cndmask_b32_e32 v3, v5, v6, vcc
	s_brev_b32 s0, 1
	v_and_or_b32 v3, v4, s0, v3
	v_cvt_i32_f32_e32 v3, v3
.LBB23_213:
	s_mov_b64 s[8:9], 0
	s_mov_b64 s[0:1], -1
.LBB23_214:
	s_andn2_b64 vcc, exec, s[8:9]
	s_cbranch_vccnz .LBB23_227
; %bb.215:
	s_cmp_gt_i32 s10, 14
	s_cbranch_scc0 .LBB23_218
; %bb.216:
	s_cmp_eq_u32 s10, 15
	s_cbranch_scc0 .LBB23_221
; %bb.217:
	global_load_ushort v3, v[1:2], off
	s_mov_b64 s[0:1], -1
	s_mov_b64 s[2:3], 0
	s_waitcnt vmcnt(0)
	v_lshlrev_b32_e32 v3, 16, v3
	v_cvt_i32_f32_e32 v3, v3
	s_branch .LBB23_222
.LBB23_218:
	s_mov_b64 s[8:9], -1
                                        ; implicit-def: $vgpr3
	s_branch .LBB23_223
.LBB23_219:
	s_andn2_saveexec_b64 s[0:1], s[0:1]
	s_cbranch_execz .LBB23_200
.LBB23_220:
	v_cmp_ne_u16_e32 vcc, 0, v4
	s_andn2_b64 s[8:9], s[8:9], exec
	s_and_b64 s[12:13], vcc, exec
	s_or_b64 s[8:9], s[8:9], s[12:13]
	s_or_b64 exec, exec, s[0:1]
	v_mov_b32_e32 v3, 0
	s_and_saveexec_b64 s[0:1], s[8:9]
	s_cbranch_execnz .LBB23_201
	s_branch .LBB23_202
.LBB23_221:
	s_mov_b64 s[2:3], -1
                                        ; implicit-def: $vgpr3
.LBB23_222:
	s_mov_b64 s[8:9], 0
.LBB23_223:
	s_and_b64 vcc, exec, s[8:9]
	s_cbranch_vccz .LBB23_227
; %bb.224:
	s_cmp_eq_u32 s10, 11
	s_cbranch_scc0 .LBB23_226
; %bb.225:
	global_load_ubyte v3, v[1:2], off
	s_mov_b64 s[0:1], -1
	s_mov_b64 s[2:3], 0
	s_waitcnt vmcnt(0)
	v_cmp_ne_u16_e32 vcc, 0, v3
	v_cndmask_b32_e64 v3, 0, 1, vcc
	s_branch .LBB23_227
.LBB23_226:
	s_mov_b64 s[2:3], -1
                                        ; implicit-def: $vgpr3
.LBB23_227:
	s_branch .LBB23_24
.LBB23_228:
	s_cmp_lt_i32 s10, 5
	s_cbranch_scc1 .LBB23_233
; %bb.229:
	s_cmp_lt_i32 s10, 8
	s_cbranch_scc1 .LBB23_234
; %bb.230:
	;; [unrolled: 3-line block ×3, first 2 shown]
	s_cmp_gt_i32 s10, 9
	s_cbranch_scc0 .LBB23_236
; %bb.232:
	global_load_dwordx2 v[3:4], v[1:2], off
	s_mov_b64 s[0:1], 0
	s_waitcnt vmcnt(0)
	v_cvt_i32_f64_e32 v3, v[3:4]
	s_branch .LBB23_237
.LBB23_233:
                                        ; implicit-def: $vgpr3
	s_branch .LBB23_255
.LBB23_234:
	s_mov_b64 s[0:1], -1
                                        ; implicit-def: $vgpr3
	s_branch .LBB23_243
.LBB23_235:
	s_mov_b64 s[0:1], -1
                                        ; implicit-def: $vgpr3
	s_branch .LBB23_240
.LBB23_236:
	s_mov_b64 s[0:1], -1
                                        ; implicit-def: $vgpr3
.LBB23_237:
	s_andn2_b64 vcc, exec, s[0:1]
	s_cbranch_vccnz .LBB23_239
; %bb.238:
	global_load_dword v3, v[1:2], off
	s_waitcnt vmcnt(0)
	v_cvt_i32_f32_e32 v3, v3
.LBB23_239:
	s_mov_b64 s[0:1], 0
.LBB23_240:
	s_andn2_b64 vcc, exec, s[0:1]
	s_cbranch_vccnz .LBB23_242
; %bb.241:
	global_load_dword v3, v[1:2], off
	s_waitcnt vmcnt(0)
	v_cvt_i16_f16_e32 v3, v3
.LBB23_242:
	s_mov_b64 s[0:1], 0
.LBB23_243:
	s_andn2_b64 vcc, exec, s[0:1]
	s_cbranch_vccnz .LBB23_254
; %bb.244:
	s_cmp_lt_i32 s10, 6
	s_cbranch_scc1 .LBB23_247
; %bb.245:
	s_cmp_gt_i32 s10, 6
	s_cbranch_scc0 .LBB23_248
; %bb.246:
	global_load_dwordx2 v[3:4], v[1:2], off
	s_mov_b64 s[0:1], 0
	s_waitcnt vmcnt(0)
	v_cvt_i32_f64_e32 v3, v[3:4]
	s_branch .LBB23_249
.LBB23_247:
	s_mov_b64 s[0:1], -1
                                        ; implicit-def: $vgpr3
	s_branch .LBB23_252
.LBB23_248:
	s_mov_b64 s[0:1], -1
                                        ; implicit-def: $vgpr3
.LBB23_249:
	s_andn2_b64 vcc, exec, s[0:1]
	s_cbranch_vccnz .LBB23_251
; %bb.250:
	global_load_dword v3, v[1:2], off
	s_waitcnt vmcnt(0)
	v_cvt_i32_f32_e32 v3, v3
.LBB23_251:
	s_mov_b64 s[0:1], 0
.LBB23_252:
	s_andn2_b64 vcc, exec, s[0:1]
	s_cbranch_vccnz .LBB23_254
; %bb.253:
	global_load_ushort v3, v[1:2], off
	s_waitcnt vmcnt(0)
	v_cvt_i16_f16_e32 v3, v3
.LBB23_254:
	s_cbranch_execnz .LBB23_274
.LBB23_255:
	s_cmp_lt_i32 s10, 2
	s_cbranch_scc1 .LBB23_259
; %bb.256:
	s_cmp_lt_i32 s10, 3
	s_cbranch_scc1 .LBB23_260
; %bb.257:
	s_cmp_gt_i32 s10, 3
	s_cbranch_scc0 .LBB23_261
; %bb.258:
	global_load_dwordx2 v[3:4], v[1:2], off
	s_mov_b64 s[0:1], 0
	s_branch .LBB23_262
.LBB23_259:
	s_mov_b64 s[0:1], -1
                                        ; implicit-def: $vgpr3
	s_branch .LBB23_268
.LBB23_260:
	s_mov_b64 s[0:1], -1
                                        ; implicit-def: $vgpr3
	s_branch .LBB23_265
.LBB23_261:
	s_mov_b64 s[0:1], -1
                                        ; implicit-def: $vgpr3
.LBB23_262:
	s_andn2_b64 vcc, exec, s[0:1]
	s_cbranch_vccnz .LBB23_264
; %bb.263:
	global_load_dword v3, v[1:2], off
.LBB23_264:
	s_mov_b64 s[0:1], 0
.LBB23_265:
	s_andn2_b64 vcc, exec, s[0:1]
	s_cbranch_vccnz .LBB23_267
; %bb.266:
	global_load_ushort v3, v[1:2], off
.LBB23_267:
	s_mov_b64 s[0:1], 0
.LBB23_268:
	s_andn2_b64 vcc, exec, s[0:1]
	s_cbranch_vccnz .LBB23_274
; %bb.269:
	s_cmp_gt_i32 s10, 0
	s_cbranch_scc0 .LBB23_271
; %bb.270:
	global_load_ubyte v3, v[1:2], off
	s_mov_b64 s[0:1], 0
	s_branch .LBB23_272
.LBB23_271:
	s_mov_b64 s[0:1], -1
                                        ; implicit-def: $vgpr3
.LBB23_272:
	s_andn2_b64 vcc, exec, s[0:1]
	s_cbranch_vccnz .LBB23_274
; %bb.273:
	global_load_ubyte v3, v[1:2], off
.LBB23_274:
	s_branch .LBB23_25
.LBB23_275:
	s_mov_b64 s[0:1], 0
.LBB23_276:
	s_mov_b64 s[8:9], 0
                                        ; implicit-def: $vgpr8
.LBB23_277:
	s_and_b64 s[54:55], s[0:1], exec
	s_and_b64 s[56:57], s[2:3], exec
	s_orn2_b64 s[2:3], s[8:9], exec
.LBB23_278:
	s_or_b64 exec, exec, s[58:59]
	s_mov_b64 s[10:11], 0
	s_mov_b64 s[0:1], 0
                                        ; implicit-def: $vgpr1_vgpr2
                                        ; implicit-def: $vgpr0
                                        ; implicit-def: $vgpr3
	s_and_saveexec_b64 s[58:59], s[2:3]
	s_cbranch_execz .LBB23_285
; %bb.279:
	v_cmp_gt_i32_e32 vcc, s72, v8
	s_mov_b64 s[0:1], -1
	s_mov_b64 s[60:61], s[56:57]
	s_mov_b64 s[62:63], s[54:55]
	s_and_saveexec_b64 s[64:65], vcc
	s_cbranch_execz .LBB23_566
; %bb.280:
	s_andn2_b64 vcc, exec, s[40:41]
	s_cbranch_vccnz .LBB23_288
; %bb.281:
	s_andn2_b64 vcc, exec, s[52:53]
	s_cbranch_vccnz .LBB23_289
; %bb.282:
	s_add_i32 s67, s77, 1
	s_cmp_eq_u32 s74, 2
	s_cbranch_scc1 .LBB23_290
; %bb.283:
	s_and_b32 s66, s67, 28
	v_mov_b32_e32 v2, 0
	s_mov_b32 s68, 0
	s_mov_b64 s[60:61], s[34:35]
	s_mov_b64 s[62:63], s[50:51]
	v_mov_b32_e32 v0, 0
	v_mov_b32_e32 v1, v8
.LBB23_284:                             ; =>This Inner Loop Header: Depth=1
	s_load_dwordx8 s[16:23], s[60:61], 0x4
	s_load_dwordx4 s[0:3], s[60:61], 0x24
	s_load_dwordx8 s[8:15], s[62:63], 0x0
	s_add_u32 s60, s60, 48
	s_addc_u32 s61, s61, 0
	s_waitcnt vmcnt(0) lgkmcnt(0)
	v_mul_hi_u32 v3, s17, v1
	s_add_i32 s68, s68, 4
	s_add_u32 s62, s62, 32
	s_addc_u32 s63, s63, 0
	v_add_u32_e32 v3, v1, v3
	v_lshrrev_b32_e32 v3, s18, v3
	v_mul_lo_u32 v4, v3, s16
	v_mul_hi_u32 v5, s20, v3
	s_cmp_eq_u32 s66, s68
	v_sub_u32_e32 v1, v1, v4
	v_add_u32_e32 v4, v3, v5
	v_mul_lo_u32 v5, v1, s8
	v_mul_lo_u32 v6, v1, s9
	v_lshrrev_b32_e32 v1, s21, v4
	v_mul_lo_u32 v4, v1, s19
	v_mul_hi_u32 v7, s23, v1
	v_sub_u32_e32 v3, v3, v4
	v_add_u32_e32 v4, v1, v7
	v_lshrrev_b32_e32 v4, s0, v4
	v_mul_hi_u32 v9, s2, v4
	v_mul_lo_u32 v10, v4, s22
	v_mul_lo_u32 v7, v3, s10
	;; [unrolled: 1-line block ×3, first 2 shown]
	v_sub_u32_e32 v10, v1, v10
	v_add_u32_e32 v1, v4, v9
	v_lshrrev_b32_e32 v1, s3, v1
	v_mul_lo_u32 v9, v1, s1
	v_mul_lo_u32 v11, v10, s12
	;; [unrolled: 1-line block ×3, first 2 shown]
	v_add3_u32 v0, v5, v0, v7
	v_sub_u32_e32 v4, v4, v9
	v_mul_lo_u32 v9, v4, s14
	v_mul_lo_u32 v4, v4, s15
	v_add3_u32 v2, v6, v2, v3
	v_add3_u32 v0, v11, v0, v9
	;; [unrolled: 1-line block ×3, first 2 shown]
	s_cbranch_scc0 .LBB23_284
	s_branch .LBB23_291
.LBB23_285:
	s_or_b64 exec, exec, s[58:59]
	s_mov_b64 s[2:3], 0
	s_and_saveexec_b64 s[8:9], s[56:57]
	s_cbranch_execnz .LBB23_951
.LBB23_286:
	s_or_b64 exec, exec, s[8:9]
	s_and_saveexec_b64 s[8:9], s[62:63]
	s_xor_b64 s[8:9], exec, s[8:9]
	s_cbranch_execz .LBB23_952
.LBB23_287:
	global_load_ubyte v3, v[1:2], off
	s_or_b64 s[0:1], s[0:1], exec
	s_waitcnt vmcnt(0)
	v_cmp_ne_u16_e32 vcc, 0, v3
	v_cndmask_b32_e64 v3, 0, 1, vcc
	s_or_b64 exec, exec, s[8:9]
	s_and_saveexec_b64 s[8:9], s[10:11]
	s_cbranch_execz .LBB23_998
	s_branch .LBB23_953
.LBB23_288:
                                        ; implicit-def: $vgpr0
                                        ; implicit-def: $vgpr2
	s_andn2_b64 vcc, exec, s[0:1]
	s_cbranch_vccz .LBB23_295
	s_branch .LBB23_297
.LBB23_289:
	v_mov_b32_e32 v0, 0
	v_mov_b32_e32 v2, 0
	s_branch .LBB23_294
.LBB23_290:
	s_mov_b32 s66, 0
	v_mov_b32_e32 v0, 0
	v_mov_b32_e32 v2, 0
	;; [unrolled: 1-line block ×3, first 2 shown]
.LBB23_291:
	s_and_b32 s8, s67, 3
	s_cmp_eq_u32 s8, 0
	s_cbranch_scc1 .LBB23_294
; %bb.292:
	s_lshl_b32 s0, s66, 3
	s_add_u32 s0, s34, s0
	s_addc_u32 s1, s35, 0
	s_add_u32 s0, s0, 0xc4
	s_addc_u32 s1, s1, 0
	s_mul_i32 s2, s66, 12
	s_add_u32 s2, s34, s2
	s_addc_u32 s3, s35, 0
.LBB23_293:                             ; =>This Inner Loop Header: Depth=1
	s_load_dwordx2 s[10:11], s[2:3], 0x4
	s_load_dword s9, s[2:3], 0xc
	s_load_dwordx2 s[12:13], s[0:1], 0x0
	s_add_u32 s2, s2, 12
	s_addc_u32 s3, s3, 0
	s_waitcnt vmcnt(0) lgkmcnt(0)
	v_mul_hi_u32 v3, s11, v1
	s_add_u32 s0, s0, 8
	s_addc_u32 s1, s1, 0
	s_add_i32 s8, s8, -1
	v_add_u32_e32 v3, v1, v3
	v_lshrrev_b32_e32 v4, s9, v3
	v_mul_lo_u32 v3, v4, s10
	s_cmp_lg_u32 s8, 0
	v_sub_u32_e32 v3, v1, v3
	v_mad_u64_u32 v[0:1], s[10:11], v3, s12, v[0:1]
	v_mad_u64_u32 v[2:3], s[10:11], v3, s13, v[2:3]
	v_mov_b32_e32 v1, v4
	s_cbranch_scc1 .LBB23_293
.LBB23_294:
	s_cbranch_execnz .LBB23_297
.LBB23_295:
	v_mul_hi_u32 v0, s29, v8
	s_andn2_b64 vcc, exec, s[48:49]
	v_add_u32_e32 v0, v8, v0
	v_lshrrev_b32_e32 v1, s30, v0
	v_mul_lo_u32 v0, v1, s28
	v_sub_u32_e32 v2, v8, v0
	v_mul_lo_u32 v0, v2, s36
	v_mul_lo_u32 v2, v2, s37
	s_cbranch_vccnz .LBB23_297
; %bb.296:
	s_waitcnt vmcnt(0)
	v_mul_hi_u32 v3, s46, v1
	v_add_u32_e32 v3, v1, v3
	v_lshrrev_b32_e32 v3, s47, v3
	v_mul_lo_u32 v3, v3, s31
	v_sub_u32_e32 v3, v1, v3
	v_mad_u64_u32 v[0:1], s[0:1], v3, s38, v[0:1]
	v_mad_u64_u32 v[2:3], s[0:1], v3, s39, v[2:3]
.LBB23_297:
	s_waitcnt vmcnt(0)
	v_mov_b32_e32 v3, s27
	s_and_b32 s10, 0xffff, s76
	v_add_co_u32_e32 v1, vcc, s26, v2
	s_cmp_lt_i32 s10, 11
	v_addc_co_u32_e32 v2, vcc, 0, v3, vcc
	s_cbranch_scc1 .LBB23_304
; %bb.298:
	s_cmp_gt_i32 s10, 25
	s_cbranch_scc0 .LBB23_310
; %bb.299:
	s_cmp_gt_i32 s10, 28
	s_cbranch_scc0 .LBB23_314
	;; [unrolled: 3-line block ×4, first 2 shown]
; %bb.302:
	s_cmp_eq_u32 s10, 46
	s_mov_b64 s[8:9], 0
	s_cbranch_scc0 .LBB23_341
; %bb.303:
	global_load_dword v3, v[1:2], off
	s_mov_b64 s[0:1], -1
	s_mov_b64 s[2:3], 0
	s_waitcnt vmcnt(0)
	v_lshlrev_b32_e32 v3, 16, v3
	v_cvt_i32_f32_e32 v3, v3
	s_branch .LBB23_342
.LBB23_304:
	s_mov_b64 s[0:1], 0
                                        ; implicit-def: $vgpr3
	s_mov_b64 s[2:3], s[56:57]
	s_cbranch_execnz .LBB23_515
.LBB23_305:
	s_andn2_b64 vcc, exec, s[0:1]
	s_cbranch_vccnz .LBB23_563
.LBB23_306:
	s_cmp_lt_i32 s44, 1
	s_mov_b64 s[0:1], 0
	s_cbranch_scc1 .LBB23_311
; %bb.307:
	s_cmp_gt_i32 s44, 1
	s_cbranch_scc0 .LBB23_315
; %bb.308:
	s_cmp_eq_u32 s44, 2
	s_cbranch_scc0 .LBB23_317
; %bb.309:
	s_waitcnt vmcnt(0)
	v_cmp_le_i16_sdwa s[8:9], sext(v3), s45 src0_sel:BYTE_0 src1_sel:DWORD
	s_mov_b64 s[10:11], 0
	s_branch .LBB23_318
.LBB23_310:
	s_mov_b64 s[8:9], -1
	s_mov_b64 s[0:1], 0
	s_mov_b64 s[2:3], s[56:57]
                                        ; implicit-def: $vgpr3
	s_branch .LBB23_481
.LBB23_311:
                                        ; implicit-def: $sgpr8_sgpr9
	s_mov_b64 s[10:11], 0
	s_cbranch_execnz .LBB23_322
.LBB23_312:
	s_andn2_b64 vcc, exec, s[10:11]
	s_cbranch_vccnz .LBB23_323
.LBB23_313:
	s_waitcnt vmcnt(0)
	v_cmp_lt_i16_sdwa s[10:11], sext(v3), s45 src0_sel:BYTE_0 src1_sel:DWORD
	s_andn2_b64 s[8:9], s[8:9], exec
	s_and_b64 s[10:11], s[10:11], exec
	s_or_b64 s[8:9], s[8:9], s[10:11]
	s_cbranch_execz .LBB23_324
	s_branch .LBB23_325
.LBB23_314:
	s_mov_b64 s[8:9], -1
	s_mov_b64 s[0:1], 0
	s_mov_b64 s[2:3], s[56:57]
                                        ; implicit-def: $vgpr3
	s_branch .LBB23_464
.LBB23_315:
	s_mov_b64 s[12:13], -1
	s_mov_b64 s[10:11], 0
                                        ; implicit-def: $sgpr8_sgpr9
	s_branch .LBB23_319
.LBB23_316:
	s_mov_b64 s[8:9], -1
	s_mov_b64 s[0:1], 0
	s_mov_b64 s[2:3], s[56:57]
                                        ; implicit-def: $vgpr3
	s_branch .LBB23_459
.LBB23_317:
	s_mov_b64 s[10:11], -1
                                        ; implicit-def: $sgpr8_sgpr9
.LBB23_318:
	s_mov_b64 s[12:13], 0
.LBB23_319:
	s_and_b64 vcc, exec, s[12:13]
	s_cbranch_vccz .LBB23_321
; %bb.320:
	s_waitcnt vmcnt(0)
	v_cmp_gt_i16_sdwa s[12:13], sext(v3), s45 src0_sel:BYTE_0 src1_sel:DWORD
	s_andn2_b64 s[8:9], s[8:9], exec
	s_and_b64 s[12:13], s[12:13], exec
	s_or_b64 s[8:9], s[8:9], s[12:13]
.LBB23_321:
	s_branch .LBB23_312
.LBB23_322:
	s_cmp_lg_u32 s44, 0
	s_mov_b64 s[0:1], -1
	s_cselect_b64 s[10:11], -1, 0
	s_andn2_b64 vcc, exec, s[10:11]
	s_cbranch_vccz .LBB23_313
.LBB23_323:
	s_andn2_b64 vcc, exec, s[0:1]
	s_cbranch_vccnz .LBB23_325
.LBB23_324:
	s_waitcnt vmcnt(0)
	v_cmp_ge_i16_sdwa s[0:1], sext(v3), s45 src0_sel:BYTE_0 src1_sel:DWORD
	s_andn2_b64 s[8:9], s[8:9], exec
	s_and_b64 s[0:1], s[0:1], exec
	s_or_b64 s[8:9], s[8:9], s[0:1]
.LBB23_325:
	v_mov_b32_e32 v1, s25
	s_and_b32 s16, s75, 0xff
	v_add_co_u32_e32 v0, vcc, s24, v0
	s_cmp_lt_i32 s16, 11
	v_addc_co_u32_e32 v1, vcc, 0, v1, vcc
	s_cbranch_scc1 .LBB23_332
; %bb.326:
	s_and_b32 s17, 0xffff, s16
	s_cmp_gt_i32 s17, 25
	s_cbranch_scc0 .LBB23_333
; %bb.327:
	s_cmp_gt_i32 s17, 28
	s_cbranch_scc0 .LBB23_334
; %bb.328:
	;; [unrolled: 3-line block ×4, first 2 shown]
	s_mov_b64 s[12:13], 0
	s_mov_b64 s[0:1], -1
	s_cmp_eq_u32 s17, 46
	s_mov_b64 s[10:11], 0
	s_cbranch_scc0 .LBB23_346
; %bb.331:
	v_cndmask_b32_e64 v2, 0, 1.0, s[8:9]
	s_waitcnt vmcnt(0)
	v_bfe_u32 v3, v2, 16, 1
	s_movk_i32 s0, 0x7fff
	v_add3_u32 v2, v2, v3, s0
	v_lshrrev_b32_e32 v2, 16, v2
	global_store_dword v[0:1], v2, off
	s_mov_b64 s[10:11], -1
	s_mov_b64 s[0:1], 0
	s_branch .LBB23_346
.LBB23_332:
	s_mov_b64 s[12:13], -1
	s_mov_b64 s[10:11], 0
	s_mov_b64 s[0:1], s[54:55]
	s_branch .LBB23_415
.LBB23_333:
	s_mov_b64 s[12:13], -1
	s_mov_b64 s[10:11], 0
	s_mov_b64 s[0:1], s[54:55]
	s_branch .LBB23_373
.LBB23_334:
	s_mov_b64 s[12:13], -1
	s_mov_b64 s[10:11], 0
	s_mov_b64 s[0:1], s[54:55]
	s_branch .LBB23_356
.LBB23_335:
	s_andn2_saveexec_b64 s[14:15], s[14:15]
	s_cbranch_execz .LBB23_84
.LBB23_336:
	v_add_f32_e32 v2, 0x46000000, v3
	v_and_b32_e32 v2, 0xff, v2
	v_cmp_ne_u32_e32 vcc, 0, v2
	s_andn2_b64 s[12:13], s[12:13], exec
	s_and_b64 s[18:19], vcc, exec
	s_or_b64 s[12:13], s[12:13], s[18:19]
	s_or_b64 exec, exec, s[14:15]
	v_mov_b32_e32 v4, 0
	s_and_saveexec_b64 s[14:15], s[12:13]
	s_cbranch_execnz .LBB23_85
	s_branch .LBB23_86
.LBB23_337:
	s_mov_b64 s[8:9], -1
	s_mov_b64 s[0:1], 0
	s_mov_b64 s[2:3], s[56:57]
                                        ; implicit-def: $vgpr3
	s_branch .LBB23_342
.LBB23_338:
	s_mov_b64 s[12:13], -1
	s_mov_b64 s[10:11], 0
	s_mov_b64 s[0:1], s[54:55]
	s_branch .LBB23_352
.LBB23_339:
	s_andn2_saveexec_b64 s[14:15], s[14:15]
	s_cbranch_execz .LBB23_97
.LBB23_340:
	v_add_f32_e32 v2, 0x42800000, v3
	v_and_b32_e32 v2, 0xff, v2
	v_cmp_ne_u32_e32 vcc, 0, v2
	s_andn2_b64 s[12:13], s[12:13], exec
	s_and_b64 s[18:19], vcc, exec
	s_or_b64 s[12:13], s[12:13], s[18:19]
	s_or_b64 exec, exec, s[14:15]
	v_mov_b32_e32 v4, 0
	s_and_saveexec_b64 s[14:15], s[12:13]
	s_cbranch_execnz .LBB23_98
	s_branch .LBB23_99
.LBB23_341:
	s_mov_b64 s[2:3], -1
                                        ; implicit-def: $vgpr3
	s_mov_b64 s[0:1], 0
.LBB23_342:
	s_and_b64 vcc, exec, s[8:9]
	s_cbranch_vccz .LBB23_458
; %bb.343:
	s_cmp_eq_u32 s10, 44
	s_cbranch_scc0 .LBB23_457
; %bb.344:
	global_load_ubyte v3, v[1:2], off
	s_mov_b64 s[0:1], -1
	s_mov_b64 s[2:3], 0
	s_waitcnt vmcnt(0)
	v_lshlrev_b32_e32 v4, 23, v3
	v_cvt_i32_f32_e32 v4, v4
	v_cmp_ne_u32_e32 vcc, 0, v3
	v_cndmask_b32_e32 v3, 0, v4, vcc
	s_branch .LBB23_458
.LBB23_345:
	s_mov_b64 s[12:13], -1
	s_mov_b64 s[10:11], 0
	s_mov_b64 s[0:1], s[54:55]
.LBB23_346:
	s_and_b64 vcc, exec, s[12:13]
	s_cbranch_vccz .LBB23_351
; %bb.347:
	s_cmp_eq_u32 s17, 44
	s_mov_b64 s[0:1], -1
	s_cbranch_scc0 .LBB23_351
; %bb.348:
	s_waitcnt vmcnt(0)
	v_cndmask_b32_e64 v3, 0, 1.0, s[8:9]
	v_lshrrev_b32_e32 v2, 23, v3
	s_movk_i32 s0, 0xff
	v_cmp_ne_u32_e32 vcc, s0, v2
	v_mov_b32_e32 v4, 0xff
	s_and_saveexec_b64 s[10:11], vcc
; %bb.349:
	s_mov_b32 s0, 0x3fffff
	v_and_b32_e32 v4, 0x400000, v3
	v_and_or_b32 v3, v3, s0, v2
	v_cmp_ne_u32_e32 vcc, 0, v4
	v_cmp_ne_u32_e64 s[0:1], 0, v3
	s_and_b64 s[0:1], vcc, s[0:1]
	v_cndmask_b32_e64 v3, 0, 1, s[0:1]
	v_add_u32_e32 v4, v2, v3
; %bb.350:
	s_or_b64 exec, exec, s[10:11]
	s_mov_b64 s[10:11], -1
	s_mov_b64 s[0:1], 0
	global_store_byte v[0:1], v4, off
.LBB23_351:
	s_mov_b64 s[12:13], 0
.LBB23_352:
	s_and_b64 vcc, exec, s[12:13]
	s_cbranch_vccz .LBB23_355
; %bb.353:
	s_cmp_eq_u32 s17, 29
	s_mov_b64 s[0:1], -1
	s_cbranch_scc0 .LBB23_355
; %bb.354:
	s_mov_b32 s0, 0
	v_cndmask_b32_e64 v2, 0, 1, s[8:9]
	s_waitcnt vmcnt(0)
	v_mov_b32_e32 v3, s0
	global_store_dwordx2 v[0:1], v[2:3], off
	s_mov_b64 s[10:11], -1
	s_mov_b64 s[0:1], 0
.LBB23_355:
	s_mov_b64 s[12:13], 0
.LBB23_356:
	s_and_b64 vcc, exec, s[12:13]
	s_cbranch_vccz .LBB23_372
; %bb.357:
	s_cmp_lt_i32 s17, 27
	s_mov_b64 s[10:11], -1
	s_cbranch_scc1 .LBB23_363
; %bb.358:
	s_cmp_gt_i32 s17, 27
	s_cbranch_scc0 .LBB23_360
; %bb.359:
	v_cndmask_b32_e64 v2, 0, 1, s[8:9]
	s_mov_b64 s[10:11], 0
	global_store_dword v[0:1], v2, off
.LBB23_360:
	s_andn2_b64 vcc, exec, s[10:11]
	s_cbranch_vccnz .LBB23_362
; %bb.361:
	v_cndmask_b32_e64 v2, 0, 1, s[8:9]
	global_store_short v[0:1], v2, off
.LBB23_362:
	s_mov_b64 s[10:11], 0
.LBB23_363:
	s_andn2_b64 vcc, exec, s[10:11]
	s_cbranch_vccnz .LBB23_371
; %bb.364:
	s_waitcnt vmcnt(0)
	v_cndmask_b32_e64 v3, 0, 1.0, s[8:9]
	s_mov_b32 s10, 0x43800000
	v_cmp_gt_u32_e32 vcc, s10, v3
	v_mov_b32_e32 v4, 0x80
	s_and_saveexec_b64 s[10:11], vcc
	s_cbranch_execz .LBB23_370
; %bb.365:
	s_mov_b32 s12, 0x3bffffff
	v_cmp_lt_u32_e32 vcc, s12, v3
	s_mov_b64 s[12:13], 0
                                        ; implicit-def: $vgpr2
	s_and_saveexec_b64 s[14:15], vcc
	s_xor_b64 s[14:15], exec, s[14:15]
	s_cbranch_execz .LBB23_594
; %bb.366:
	v_bfe_u32 v2, v3, 20, 1
	s_mov_b32 s18, 0x487ffff
	v_add3_u32 v2, v3, v2, s18
	s_mov_b64 s[12:13], exec
	v_lshrrev_b32_e32 v2, 20, v2
                                        ; implicit-def: $vgpr3
	s_andn2_saveexec_b64 s[14:15], s[14:15]
	s_cbranch_execnz .LBB23_595
.LBB23_367:
	s_or_b64 exec, exec, s[14:15]
	v_mov_b32_e32 v4, 0
	s_and_saveexec_b64 s[14:15], s[12:13]
.LBB23_368:
	v_mov_b32_e32 v4, v2
.LBB23_369:
	s_or_b64 exec, exec, s[14:15]
.LBB23_370:
	s_or_b64 exec, exec, s[10:11]
	global_store_byte v[0:1], v4, off
.LBB23_371:
	s_mov_b64 s[10:11], -1
.LBB23_372:
	s_mov_b64 s[12:13], 0
.LBB23_373:
	s_and_b64 vcc, exec, s[12:13]
	s_cbranch_vccz .LBB23_414
; %bb.374:
	s_cmp_gt_i32 s17, 22
	s_mov_b64 s[12:13], -1
	s_cbranch_scc0 .LBB23_406
; %bb.375:
	s_cmp_lt_i32 s17, 24
	s_mov_b64 s[10:11], -1
	s_cbranch_scc1 .LBB23_395
; %bb.376:
	s_cmp_gt_i32 s17, 24
	s_cbranch_scc0 .LBB23_384
; %bb.377:
	s_waitcnt vmcnt(0)
	v_cndmask_b32_e64 v3, 0, 1.0, s[8:9]
	s_mov_b32 s10, 0x47800000
	v_cmp_gt_u32_e32 vcc, s10, v3
	v_mov_b32_e32 v4, 0x80
	s_and_saveexec_b64 s[10:11], vcc
	s_cbranch_execz .LBB23_383
; %bb.378:
	s_mov_b32 s12, 0x37ffffff
	v_cmp_lt_u32_e32 vcc, s12, v3
	s_mov_b64 s[12:13], 0
                                        ; implicit-def: $vgpr2
	s_and_saveexec_b64 s[14:15], vcc
	s_xor_b64 s[14:15], exec, s[14:15]
	s_cbranch_execz .LBB23_597
; %bb.379:
	v_bfe_u32 v2, v3, 21, 1
	s_mov_b32 s18, 0x88fffff
	v_add3_u32 v2, v3, v2, s18
	s_mov_b64 s[12:13], exec
	v_lshrrev_b32_e32 v2, 21, v2
                                        ; implicit-def: $vgpr3
	s_andn2_saveexec_b64 s[14:15], s[14:15]
	s_cbranch_execnz .LBB23_598
.LBB23_380:
	s_or_b64 exec, exec, s[14:15]
	v_mov_b32_e32 v4, 0
	s_and_saveexec_b64 s[14:15], s[12:13]
.LBB23_381:
	v_mov_b32_e32 v4, v2
.LBB23_382:
	s_or_b64 exec, exec, s[14:15]
.LBB23_383:
	s_or_b64 exec, exec, s[10:11]
	s_mov_b64 s[10:11], 0
	global_store_byte v[0:1], v4, off
.LBB23_384:
	s_and_b64 vcc, exec, s[10:11]
	s_cbranch_vccz .LBB23_394
; %bb.385:
	v_cndmask_b32_e64 v2, 0, 1.0, s[8:9]
	s_mov_b32 s10, 0x43f00000
	v_cmp_gt_u32_e32 vcc, s10, v2
                                        ; implicit-def: $vgpr3
	s_and_saveexec_b64 s[10:11], vcc
	s_xor_b64 s[10:11], exec, s[10:11]
	s_cbranch_execz .LBB23_391
; %bb.386:
	s_mov_b32 s12, 0x3c7fffff
	v_cmp_lt_u32_e32 vcc, s12, v2
                                        ; implicit-def: $vgpr3
	s_and_saveexec_b64 s[12:13], vcc
	s_xor_b64 s[12:13], exec, s[12:13]
	s_cbranch_execz .LBB23_388
; %bb.387:
	s_waitcnt vmcnt(0)
	v_bfe_u32 v3, v2, 20, 1
	s_mov_b32 s14, 0x407ffff
	v_add3_u32 v2, v2, v3, s14
	v_lshrrev_b32_e32 v3, 20, v2
	v_and_b32_e32 v2, 0xff00000, v2
	s_mov_b32 s14, 0x7f00000
	v_mov_b32_e32 v4, 0x7e
	v_cmp_ne_u32_e32 vcc, s14, v2
	v_cndmask_b32_e32 v3, v4, v3, vcc
                                        ; implicit-def: $vgpr2
.LBB23_388:
	s_andn2_saveexec_b64 s[12:13], s[12:13]
	s_cbranch_execz .LBB23_390
; %bb.389:
	s_waitcnt vmcnt(0)
	v_add_f32_e32 v3, 0x46800000, v2
.LBB23_390:
	s_or_b64 exec, exec, s[12:13]
                                        ; implicit-def: $vgpr2
.LBB23_391:
	s_andn2_saveexec_b64 s[10:11], s[10:11]
	s_cbranch_execz .LBB23_393
; %bb.392:
	s_mov_b32 s12, 0x7f800000
	s_waitcnt vmcnt(0)
	v_mov_b32_e32 v3, 0x7e
	v_mov_b32_e32 v4, 0x7f
	v_cmp_lt_u32_e32 vcc, s12, v2
	v_cndmask_b32_e32 v3, v3, v4, vcc
.LBB23_393:
	s_or_b64 exec, exec, s[10:11]
	s_waitcnt vmcnt(0)
	global_store_byte v[0:1], v3, off
.LBB23_394:
	s_mov_b64 s[10:11], 0
.LBB23_395:
	s_andn2_b64 vcc, exec, s[10:11]
	s_cbranch_vccnz .LBB23_405
; %bb.396:
	v_cndmask_b32_e64 v2, 0, 1.0, s[8:9]
	s_mov_b32 s10, 0x47800000
	v_cmp_gt_u32_e32 vcc, s10, v2
                                        ; implicit-def: $vgpr3
	s_and_saveexec_b64 s[10:11], vcc
	s_xor_b64 s[10:11], exec, s[10:11]
	s_cbranch_execz .LBB23_402
; %bb.397:
	s_mov_b32 s12, 0x387fffff
	v_cmp_lt_u32_e32 vcc, s12, v2
                                        ; implicit-def: $vgpr3
	s_and_saveexec_b64 s[12:13], vcc
	s_xor_b64 s[12:13], exec, s[12:13]
	s_cbranch_execz .LBB23_399
; %bb.398:
	s_waitcnt vmcnt(0)
	v_bfe_u32 v3, v2, 21, 1
	s_mov_b32 s14, 0x80fffff
	v_add3_u32 v2, v2, v3, s14
	v_lshrrev_b32_e32 v3, 21, v2
                                        ; implicit-def: $vgpr2
.LBB23_399:
	s_andn2_saveexec_b64 s[12:13], s[12:13]
	s_cbranch_execz .LBB23_401
; %bb.400:
	s_waitcnt vmcnt(0)
	v_add_f32_e32 v3, 0x43000000, v2
.LBB23_401:
	s_or_b64 exec, exec, s[12:13]
                                        ; implicit-def: $vgpr2
.LBB23_402:
	s_andn2_saveexec_b64 s[10:11], s[10:11]
	s_cbranch_execz .LBB23_404
; %bb.403:
	s_mov_b32 s12, 0x7f800000
	s_waitcnt vmcnt(0)
	v_mov_b32_e32 v3, 0x7c
	v_mov_b32_e32 v4, 0x7f
	v_cmp_lt_u32_e32 vcc, s12, v2
	v_cndmask_b32_e32 v3, v3, v4, vcc
.LBB23_404:
	s_or_b64 exec, exec, s[10:11]
	s_waitcnt vmcnt(0)
	global_store_byte v[0:1], v3, off
.LBB23_405:
	s_mov_b64 s[12:13], 0
	s_mov_b64 s[10:11], -1
.LBB23_406:
	s_andn2_b64 vcc, exec, s[12:13]
	s_cbranch_vccnz .LBB23_414
; %bb.407:
	s_cmp_gt_i32 s17, 14
	s_mov_b64 s[12:13], -1
	s_cbranch_scc0 .LBB23_411
; %bb.408:
	s_cmp_eq_u32 s17, 15
	s_mov_b64 s[0:1], -1
	s_cbranch_scc0 .LBB23_410
; %bb.409:
	v_cndmask_b32_e64 v2, 0, 1.0, s[8:9]
	s_waitcnt vmcnt(0)
	v_bfe_u32 v3, v2, 16, 1
	s_movk_i32 s0, 0x7fff
	v_add3_u32 v2, v2, v3, s0
	global_store_short_d16_hi v[0:1], v2, off
	s_mov_b64 s[10:11], -1
	s_mov_b64 s[0:1], 0
.LBB23_410:
	s_mov_b64 s[12:13], 0
.LBB23_411:
	s_and_b64 vcc, exec, s[12:13]
	s_cbranch_vccz .LBB23_414
; %bb.412:
	s_cmp_eq_u32 s17, 11
	s_mov_b64 s[0:1], -1
	s_cbranch_scc0 .LBB23_414
; %bb.413:
	v_cndmask_b32_e64 v2, 0, 1, s[8:9]
	s_mov_b64 s[10:11], -1
	s_mov_b64 s[0:1], 0
	global_store_byte v[0:1], v2, off
.LBB23_414:
	s_mov_b64 s[12:13], 0
.LBB23_415:
	s_and_b64 vcc, exec, s[12:13]
	s_cbranch_vccz .LBB23_454
; %bb.416:
	s_and_b32 s12, 0xffff, s16
	s_cmp_lt_i32 s12, 5
	s_mov_b64 s[10:11], -1
	s_cbranch_scc1 .LBB23_437
; %bb.417:
	s_cmp_lt_i32 s12, 8
	s_cbranch_scc1 .LBB23_427
; %bb.418:
	s_cmp_lt_i32 s12, 9
	s_cbranch_scc1 .LBB23_424
; %bb.419:
	s_cmp_gt_i32 s12, 9
	s_cbranch_scc0 .LBB23_421
; %bb.420:
	v_cndmask_b32_e64 v2, 0, 1, s[8:9]
	s_waitcnt vmcnt(0)
	v_cvt_f64_u32_e32 v[2:3], v2
	v_mov_b32_e32 v4, 0
	v_mov_b32_e32 v5, v4
	s_mov_b64 s[10:11], 0
	global_store_dwordx4 v[0:1], v[2:5], off
.LBB23_421:
	s_andn2_b64 vcc, exec, s[10:11]
	s_cbranch_vccnz .LBB23_423
; %bb.422:
	v_cndmask_b32_e64 v2, 0, 1.0, s[8:9]
	s_waitcnt vmcnt(0)
	v_mov_b32_e32 v3, 0
	global_store_dwordx2 v[0:1], v[2:3], off
.LBB23_423:
	s_mov_b64 s[10:11], 0
.LBB23_424:
	s_andn2_b64 vcc, exec, s[10:11]
	s_cbranch_vccnz .LBB23_426
; %bb.425:
	v_cndmask_b32_e64 v2, 0, 1.0, s[8:9]
	v_cvt_f16_f32_e32 v2, v2
	global_store_dword v[0:1], v2, off
.LBB23_426:
	s_mov_b64 s[10:11], 0
.LBB23_427:
	s_andn2_b64 vcc, exec, s[10:11]
	s_cbranch_vccnz .LBB23_436
; %bb.428:
	s_cmp_lt_i32 s12, 6
	s_mov_b64 s[10:11], -1
	s_cbranch_scc1 .LBB23_434
; %bb.429:
	s_cmp_gt_i32 s12, 6
	s_cbranch_scc0 .LBB23_431
; %bb.430:
	v_cndmask_b32_e64 v2, 0, 1, s[8:9]
	s_waitcnt vmcnt(0)
	v_cvt_f64_u32_e32 v[2:3], v2
	s_mov_b64 s[10:11], 0
	global_store_dwordx2 v[0:1], v[2:3], off
.LBB23_431:
	s_andn2_b64 vcc, exec, s[10:11]
	s_cbranch_vccnz .LBB23_433
; %bb.432:
	v_cndmask_b32_e64 v2, 0, 1.0, s[8:9]
	global_store_dword v[0:1], v2, off
.LBB23_433:
	s_mov_b64 s[10:11], 0
.LBB23_434:
	s_andn2_b64 vcc, exec, s[10:11]
	s_cbranch_vccnz .LBB23_436
; %bb.435:
	v_cndmask_b32_e64 v2, 0, 1.0, s[8:9]
	v_cvt_f16_f32_e32 v2, v2
	global_store_short v[0:1], v2, off
.LBB23_436:
	s_mov_b64 s[10:11], 0
.LBB23_437:
	s_andn2_b64 vcc, exec, s[10:11]
	s_cbranch_vccnz .LBB23_453
; %bb.438:
	s_cmp_lt_i32 s12, 2
	s_mov_b64 s[10:11], -1
	s_cbranch_scc1 .LBB23_448
; %bb.439:
	s_cmp_lt_i32 s12, 3
	s_cbranch_scc1 .LBB23_445
; %bb.440:
	s_cmp_gt_i32 s12, 3
	s_cbranch_scc0 .LBB23_442
; %bb.441:
	s_mov_b32 s10, 0
	v_cndmask_b32_e64 v2, 0, 1, s[8:9]
	s_waitcnt vmcnt(0)
	v_mov_b32_e32 v3, s10
	s_mov_b64 s[10:11], 0
	global_store_dwordx2 v[0:1], v[2:3], off
.LBB23_442:
	s_andn2_b64 vcc, exec, s[10:11]
	s_cbranch_vccnz .LBB23_444
; %bb.443:
	v_cndmask_b32_e64 v2, 0, 1, s[8:9]
	global_store_dword v[0:1], v2, off
.LBB23_444:
	s_mov_b64 s[10:11], 0
.LBB23_445:
	s_andn2_b64 vcc, exec, s[10:11]
	s_cbranch_vccnz .LBB23_447
; %bb.446:
	v_cndmask_b32_e64 v2, 0, 1, s[8:9]
	global_store_short v[0:1], v2, off
.LBB23_447:
	s_mov_b64 s[10:11], 0
.LBB23_448:
	s_andn2_b64 vcc, exec, s[10:11]
	s_cbranch_vccnz .LBB23_453
; %bb.449:
	s_mov_b64 s[10:11], -1
	s_cmp_gt_i32 s12, 0
	v_cndmask_b32_e64 v2, 0, 1, s[8:9]
	s_cbranch_scc0 .LBB23_451
; %bb.450:
	s_mov_b64 s[10:11], 0
	global_store_byte v[0:1], v2, off
.LBB23_451:
	s_andn2_b64 vcc, exec, s[10:11]
	s_cbranch_vccnz .LBB23_453
; %bb.452:
	global_store_byte v[0:1], v2, off
.LBB23_453:
	s_mov_b64 s[10:11], -1
.LBB23_454:
	s_andn2_b64 vcc, exec, s[10:11]
	s_cbranch_vccnz .LBB23_456
; %bb.455:
	v_add_u32_e32 v8, 0x80, v8
	s_mov_b64 s[8:9], -1
	s_branch .LBB23_565
.LBB23_456:
	s_mov_b64 s[8:9], 0
	s_branch .LBB23_564
.LBB23_457:
	s_mov_b64 s[2:3], -1
                                        ; implicit-def: $vgpr3
.LBB23_458:
	s_mov_b64 s[8:9], 0
.LBB23_459:
	s_and_b64 vcc, exec, s[8:9]
	s_cbranch_vccz .LBB23_463
; %bb.460:
	s_cmp_eq_u32 s10, 29
	s_cbranch_scc0 .LBB23_462
; %bb.461:
	global_load_dwordx2 v[3:4], v[1:2], off
	s_mov_b64 s[0:1], -1
	s_mov_b64 s[2:3], 0
	s_branch .LBB23_463
.LBB23_462:
	s_mov_b64 s[2:3], -1
                                        ; implicit-def: $vgpr3
.LBB23_463:
	s_mov_b64 s[8:9], 0
.LBB23_464:
	s_and_b64 vcc, exec, s[8:9]
	s_cbranch_vccz .LBB23_480
; %bb.465:
	s_cmp_lt_i32 s10, 27
	s_cbranch_scc1 .LBB23_468
; %bb.466:
	s_cmp_gt_i32 s10, 27
	s_cbranch_scc0 .LBB23_469
; %bb.467:
	global_load_dword v3, v[1:2], off
	s_mov_b64 s[0:1], 0
	s_branch .LBB23_470
.LBB23_468:
	s_mov_b64 s[0:1], -1
                                        ; implicit-def: $vgpr3
	s_branch .LBB23_473
.LBB23_469:
	s_mov_b64 s[0:1], -1
                                        ; implicit-def: $vgpr3
.LBB23_470:
	s_andn2_b64 vcc, exec, s[0:1]
	s_cbranch_vccnz .LBB23_472
; %bb.471:
	global_load_ushort v3, v[1:2], off
.LBB23_472:
	s_mov_b64 s[0:1], 0
.LBB23_473:
	s_andn2_b64 vcc, exec, s[0:1]
	s_cbranch_vccnz .LBB23_479
; %bb.474:
	global_load_ubyte v4, v[1:2], off
	s_movk_i32 s0, 0x7f
	s_mov_b64 s[8:9], 0
	s_waitcnt vmcnt(0)
	v_cmp_lt_i16_e32 vcc, s0, v4
	s_and_saveexec_b64 s[0:1], vcc
	s_xor_b64 s[0:1], exec, s[0:1]
	s_cbranch_execz .LBB23_491
; %bb.475:
	s_movk_i32 s8, 0x80
	v_cmp_ne_u16_e32 vcc, s8, v4
	s_and_b64 s[8:9], vcc, exec
	s_andn2_saveexec_b64 s[0:1], s[0:1]
	s_cbranch_execnz .LBB23_492
.LBB23_476:
	s_or_b64 exec, exec, s[0:1]
	v_mov_b32_e32 v3, 0
	s_and_saveexec_b64 s[0:1], s[8:9]
	s_cbranch_execz .LBB23_478
.LBB23_477:
	v_lshlrev_b32_e32 v3, 24, v4
	v_and_b32_e32 v4, 0xffff, v4
	v_and_b32_e32 v5, 7, v4
	v_ffbh_u32_e32 v7, v5
	v_min_u32_e32 v7, 32, v7
	v_subrev_u32_e32 v9, 28, v7
	v_bfe_u32 v6, v4, 3, 4
	v_lshlrev_b32_e32 v4, v9, v4
	v_sub_u32_e32 v7, 29, v7
	v_and_b32_e32 v4, 7, v4
	v_cmp_eq_u32_e32 vcc, 0, v6
	v_cndmask_b32_e32 v6, v6, v7, vcc
	v_cndmask_b32_e32 v4, v5, v4, vcc
	v_mov_b32_e32 v5, 0x3b800000
	v_lshlrev_b32_e32 v4, 20, v4
	v_and_b32_e32 v3, 0x80000000, v3
	v_lshl_add_u32 v5, v6, 23, v5
	v_or3_b32 v3, v3, v5, v4
	v_cvt_i32_f32_e32 v3, v3
.LBB23_478:
	s_or_b64 exec, exec, s[0:1]
.LBB23_479:
	s_mov_b64 s[0:1], -1
.LBB23_480:
	s_mov_b64 s[8:9], 0
.LBB23_481:
	s_and_b64 vcc, exec, s[8:9]
	s_cbranch_vccz .LBB23_514
; %bb.482:
	s_cmp_gt_i32 s10, 22
	s_cbranch_scc0 .LBB23_490
; %bb.483:
	s_cmp_lt_i32 s10, 24
	s_cbranch_scc1 .LBB23_493
; %bb.484:
	s_cmp_gt_i32 s10, 24
	s_cbranch_scc0 .LBB23_494
; %bb.485:
	global_load_ubyte v4, v[1:2], off
	s_movk_i32 s0, 0x7f
	s_mov_b64 s[8:9], 0
	s_waitcnt vmcnt(0)
	v_cmp_lt_i16_e32 vcc, s0, v4
	s_and_saveexec_b64 s[0:1], vcc
	s_xor_b64 s[0:1], exec, s[0:1]
	s_cbranch_execz .LBB23_506
; %bb.486:
	s_movk_i32 s8, 0x80
	v_cmp_ne_u16_e32 vcc, s8, v4
	s_and_b64 s[8:9], vcc, exec
	s_andn2_saveexec_b64 s[0:1], s[0:1]
	s_cbranch_execnz .LBB23_507
.LBB23_487:
	s_or_b64 exec, exec, s[0:1]
	v_mov_b32_e32 v3, 0
	s_and_saveexec_b64 s[0:1], s[8:9]
	s_cbranch_execz .LBB23_489
.LBB23_488:
	v_lshlrev_b32_e32 v3, 24, v4
	v_and_b32_e32 v4, 0xffff, v4
	v_and_b32_e32 v5, 3, v4
	v_ffbh_u32_e32 v7, v5
	v_min_u32_e32 v7, 32, v7
	v_subrev_u32_e32 v9, 29, v7
	v_bfe_u32 v6, v4, 2, 5
	v_lshlrev_b32_e32 v4, v9, v4
	v_sub_u32_e32 v7, 30, v7
	v_and_b32_e32 v4, 3, v4
	v_cmp_eq_u32_e32 vcc, 0, v6
	v_cndmask_b32_e32 v6, v6, v7, vcc
	v_cndmask_b32_e32 v4, v5, v4, vcc
	v_mov_b32_e32 v5, 0x37800000
	v_lshlrev_b32_e32 v4, 21, v4
	v_and_b32_e32 v3, 0x80000000, v3
	v_lshl_add_u32 v5, v6, 23, v5
	v_or3_b32 v3, v3, v5, v4
	v_cvt_i32_f32_e32 v3, v3
.LBB23_489:
	s_or_b64 exec, exec, s[0:1]
	s_mov_b64 s[0:1], 0
	s_branch .LBB23_495
.LBB23_490:
	s_mov_b64 s[8:9], -1
                                        ; implicit-def: $vgpr3
	s_branch .LBB23_501
.LBB23_491:
	s_andn2_saveexec_b64 s[0:1], s[0:1]
	s_cbranch_execz .LBB23_476
.LBB23_492:
	v_cmp_ne_u16_e32 vcc, 0, v4
	s_andn2_b64 s[8:9], s[8:9], exec
	s_and_b64 s[12:13], vcc, exec
	s_or_b64 s[8:9], s[8:9], s[12:13]
	s_or_b64 exec, exec, s[0:1]
	v_mov_b32_e32 v3, 0
	s_and_saveexec_b64 s[0:1], s[8:9]
	s_cbranch_execnz .LBB23_477
	s_branch .LBB23_478
.LBB23_493:
	s_mov_b64 s[0:1], -1
                                        ; implicit-def: $vgpr3
	s_branch .LBB23_498
.LBB23_494:
	s_mov_b64 s[0:1], -1
                                        ; implicit-def: $vgpr3
.LBB23_495:
	s_and_b64 vcc, exec, s[0:1]
	s_cbranch_vccz .LBB23_497
; %bb.496:
	global_load_ubyte v3, v[1:2], off
	s_mov_b32 s0, 0x7f800000
	s_waitcnt vmcnt(0)
	v_lshlrev_b32_e32 v3, 24, v3
	v_and_b32_e32 v4, 0x7f000000, v3
	v_ffbh_u32_e32 v5, v4
	v_min_u32_e32 v5, 32, v5
	v_sub_u32_e64 v5, v5, 4 clamp
	v_lshlrev_b32_e32 v7, v5, v4
	v_lshlrev_b32_e32 v5, 23, v5
	v_lshrrev_b32_e32 v7, 4, v7
	v_add_u32_e32 v6, 0x1000000, v4
	v_sub_u32_e32 v5, v7, v5
	v_ashrrev_i32_e32 v6, 8, v6
	v_add_u32_e32 v5, 0x3c000000, v5
	v_and_or_b32 v5, v6, s0, v5
	v_cmp_ne_u32_e32 vcc, 0, v4
	v_cndmask_b32_e32 v4, 0, v5, vcc
	s_brev_b32 s0, 1
	v_and_or_b32 v3, v3, s0, v4
	v_cvt_i32_f32_e32 v3, v3
.LBB23_497:
	s_mov_b64 s[0:1], 0
.LBB23_498:
	s_andn2_b64 vcc, exec, s[0:1]
	s_cbranch_vccnz .LBB23_500
; %bb.499:
	global_load_ubyte v3, v[1:2], off
	s_movk_i32 s0, 0x7f00
	s_brev_b32 s1, 16
	s_waitcnt vmcnt(0)
	v_lshlrev_b16_e32 v4, 8, v3
	v_lshlrev_b32_e32 v3, 25, v3
	v_lshrrev_b32_e32 v5, 4, v3
	v_and_or_b32 v6, v4, s0, 0.5
	v_or_b32_e32 v5, 0x70000000, v5
	v_add_f32_e32 v6, -0.5, v6
	v_mul_f32_e32 v5, 0x7800000, v5
	v_cmp_gt_u32_e32 vcc, s1, v3
	v_bfe_i32 v4, v4, 0, 16
	v_cndmask_b32_e32 v3, v5, v6, vcc
	s_brev_b32 s0, 1
	v_and_or_b32 v3, v4, s0, v3
	v_cvt_i32_f32_e32 v3, v3
.LBB23_500:
	s_mov_b64 s[8:9], 0
	s_mov_b64 s[0:1], -1
.LBB23_501:
	s_andn2_b64 vcc, exec, s[8:9]
	s_cbranch_vccnz .LBB23_514
; %bb.502:
	s_cmp_gt_i32 s10, 14
	s_cbranch_scc0 .LBB23_505
; %bb.503:
	s_cmp_eq_u32 s10, 15
	s_cbranch_scc0 .LBB23_508
; %bb.504:
	global_load_ushort v3, v[1:2], off
	s_mov_b64 s[0:1], -1
	s_mov_b64 s[2:3], 0
	s_waitcnt vmcnt(0)
	v_lshlrev_b32_e32 v3, 16, v3
	v_cvt_i32_f32_e32 v3, v3
	s_branch .LBB23_509
.LBB23_505:
	s_mov_b64 s[8:9], -1
                                        ; implicit-def: $vgpr3
	s_branch .LBB23_510
.LBB23_506:
	s_andn2_saveexec_b64 s[0:1], s[0:1]
	s_cbranch_execz .LBB23_487
.LBB23_507:
	v_cmp_ne_u16_e32 vcc, 0, v4
	s_andn2_b64 s[8:9], s[8:9], exec
	s_and_b64 s[12:13], vcc, exec
	s_or_b64 s[8:9], s[8:9], s[12:13]
	s_or_b64 exec, exec, s[0:1]
	v_mov_b32_e32 v3, 0
	s_and_saveexec_b64 s[0:1], s[8:9]
	s_cbranch_execnz .LBB23_488
	s_branch .LBB23_489
.LBB23_508:
	s_mov_b64 s[2:3], -1
                                        ; implicit-def: $vgpr3
.LBB23_509:
	s_mov_b64 s[8:9], 0
.LBB23_510:
	s_and_b64 vcc, exec, s[8:9]
	s_cbranch_vccz .LBB23_514
; %bb.511:
	s_cmp_eq_u32 s10, 11
	s_cbranch_scc0 .LBB23_513
; %bb.512:
	global_load_ubyte v3, v[1:2], off
	s_mov_b64 s[0:1], -1
	s_mov_b64 s[2:3], 0
	s_waitcnt vmcnt(0)
	v_cmp_ne_u16_e32 vcc, 0, v3
	v_cndmask_b32_e64 v3, 0, 1, vcc
	s_branch .LBB23_514
.LBB23_513:
	s_mov_b64 s[2:3], -1
                                        ; implicit-def: $vgpr3
.LBB23_514:
	s_branch .LBB23_305
.LBB23_515:
	s_cmp_lt_i32 s10, 5
	s_cbranch_scc1 .LBB23_520
; %bb.516:
	s_cmp_lt_i32 s10, 8
	s_cbranch_scc1 .LBB23_521
; %bb.517:
	;; [unrolled: 3-line block ×3, first 2 shown]
	s_cmp_gt_i32 s10, 9
	s_cbranch_scc0 .LBB23_523
; %bb.519:
	global_load_dwordx2 v[3:4], v[1:2], off
	s_mov_b64 s[0:1], 0
	s_waitcnt vmcnt(0)
	v_cvt_i32_f64_e32 v3, v[3:4]
	s_branch .LBB23_524
.LBB23_520:
	s_mov_b64 s[0:1], -1
                                        ; implicit-def: $vgpr3
	s_branch .LBB23_542
.LBB23_521:
	s_mov_b64 s[0:1], -1
                                        ; implicit-def: $vgpr3
	s_branch .LBB23_530
.LBB23_522:
	s_mov_b64 s[0:1], -1
                                        ; implicit-def: $vgpr3
	s_branch .LBB23_527
.LBB23_523:
	s_mov_b64 s[0:1], -1
                                        ; implicit-def: $vgpr3
.LBB23_524:
	s_andn2_b64 vcc, exec, s[0:1]
	s_cbranch_vccnz .LBB23_526
; %bb.525:
	global_load_dword v3, v[1:2], off
	s_waitcnt vmcnt(0)
	v_cvt_i32_f32_e32 v3, v3
.LBB23_526:
	s_mov_b64 s[0:1], 0
.LBB23_527:
	s_andn2_b64 vcc, exec, s[0:1]
	s_cbranch_vccnz .LBB23_529
; %bb.528:
	global_load_dword v3, v[1:2], off
	s_waitcnt vmcnt(0)
	v_cvt_i16_f16_e32 v3, v3
.LBB23_529:
	s_mov_b64 s[0:1], 0
.LBB23_530:
	s_andn2_b64 vcc, exec, s[0:1]
	s_cbranch_vccnz .LBB23_541
; %bb.531:
	s_cmp_lt_i32 s10, 6
	s_cbranch_scc1 .LBB23_534
; %bb.532:
	s_cmp_gt_i32 s10, 6
	s_cbranch_scc0 .LBB23_535
; %bb.533:
	global_load_dwordx2 v[3:4], v[1:2], off
	s_mov_b64 s[0:1], 0
	s_waitcnt vmcnt(0)
	v_cvt_i32_f64_e32 v3, v[3:4]
	s_branch .LBB23_536
.LBB23_534:
	s_mov_b64 s[0:1], -1
                                        ; implicit-def: $vgpr3
	s_branch .LBB23_539
.LBB23_535:
	s_mov_b64 s[0:1], -1
                                        ; implicit-def: $vgpr3
.LBB23_536:
	s_andn2_b64 vcc, exec, s[0:1]
	s_cbranch_vccnz .LBB23_538
; %bb.537:
	global_load_dword v3, v[1:2], off
	s_waitcnt vmcnt(0)
	v_cvt_i32_f32_e32 v3, v3
.LBB23_538:
	s_mov_b64 s[0:1], 0
.LBB23_539:
	s_andn2_b64 vcc, exec, s[0:1]
	s_cbranch_vccnz .LBB23_541
; %bb.540:
	global_load_ushort v3, v[1:2], off
	s_waitcnt vmcnt(0)
	v_cvt_i16_f16_e32 v3, v3
.LBB23_541:
	s_mov_b64 s[0:1], 0
.LBB23_542:
	s_andn2_b64 vcc, exec, s[0:1]
	s_cbranch_vccnz .LBB23_562
; %bb.543:
	s_cmp_lt_i32 s10, 2
	s_cbranch_scc1 .LBB23_547
; %bb.544:
	s_cmp_lt_i32 s10, 3
	s_cbranch_scc1 .LBB23_548
; %bb.545:
	s_cmp_gt_i32 s10, 3
	s_cbranch_scc0 .LBB23_549
; %bb.546:
	global_load_dwordx2 v[3:4], v[1:2], off
	s_mov_b64 s[0:1], 0
	s_branch .LBB23_550
.LBB23_547:
	s_mov_b64 s[0:1], -1
                                        ; implicit-def: $vgpr3
	s_branch .LBB23_556
.LBB23_548:
	s_mov_b64 s[0:1], -1
                                        ; implicit-def: $vgpr3
	s_branch .LBB23_553
.LBB23_549:
	s_mov_b64 s[0:1], -1
                                        ; implicit-def: $vgpr3
.LBB23_550:
	s_andn2_b64 vcc, exec, s[0:1]
	s_cbranch_vccnz .LBB23_552
; %bb.551:
	global_load_dword v3, v[1:2], off
.LBB23_552:
	s_mov_b64 s[0:1], 0
.LBB23_553:
	s_andn2_b64 vcc, exec, s[0:1]
	s_cbranch_vccnz .LBB23_555
; %bb.554:
	global_load_ushort v3, v[1:2], off
.LBB23_555:
	s_mov_b64 s[0:1], 0
.LBB23_556:
	s_andn2_b64 vcc, exec, s[0:1]
	s_cbranch_vccnz .LBB23_562
; %bb.557:
	s_cmp_gt_i32 s10, 0
	s_cbranch_scc0 .LBB23_559
; %bb.558:
	global_load_ubyte v3, v[1:2], off
	s_mov_b64 s[0:1], 0
	s_branch .LBB23_560
.LBB23_559:
	s_mov_b64 s[0:1], -1
                                        ; implicit-def: $vgpr3
.LBB23_560:
	s_andn2_b64 vcc, exec, s[0:1]
	s_cbranch_vccnz .LBB23_562
; %bb.561:
	global_load_ubyte v3, v[1:2], off
.LBB23_562:
	s_branch .LBB23_306
.LBB23_563:
	s_mov_b64 s[8:9], 0
	s_mov_b64 s[0:1], s[54:55]
.LBB23_564:
                                        ; implicit-def: $vgpr8
.LBB23_565:
	s_andn2_b64 s[10:11], s[54:55], exec
	s_and_b64 s[0:1], s[0:1], exec
	s_or_b64 s[62:63], s[10:11], s[0:1]
	s_andn2_b64 s[0:1], s[56:57], exec
	s_and_b64 s[2:3], s[2:3], exec
	s_or_b64 s[60:61], s[0:1], s[2:3]
	s_orn2_b64 s[0:1], s[8:9], exec
.LBB23_566:
	s_or_b64 exec, exec, s[64:65]
	s_mov_b64 s[2:3], 0
	s_mov_b64 s[8:9], 0
	;; [unrolled: 1-line block ×3, first 2 shown]
                                        ; implicit-def: $vgpr1_vgpr2
                                        ; implicit-def: $vgpr0
                                        ; implicit-def: $vgpr3
	s_and_saveexec_b64 s[64:65], s[0:1]
	s_cbranch_execz .LBB23_950
; %bb.567:
	v_cmp_gt_i32_e32 vcc, s72, v8
	s_mov_b64 s[2:3], -1
	s_mov_b64 s[68:69], s[60:61]
	s_mov_b64 s[70:71], s[62:63]
	s_and_saveexec_b64 s[66:67], vcc
	s_cbranch_execz .LBB23_854
; %bb.568:
	s_andn2_b64 vcc, exec, s[40:41]
	s_cbranch_vccnz .LBB23_573
; %bb.569:
	s_andn2_b64 vcc, exec, s[52:53]
	s_cbranch_vccnz .LBB23_574
; %bb.570:
	s_add_i32 s78, s77, 1
	s_cmp_eq_u32 s74, 2
	s_cbranch_scc1 .LBB23_575
; %bb.571:
	s_and_b32 s73, s78, 28
	v_mov_b32_e32 v2, 0
	s_mov_b32 s79, 0
	s_mov_b64 s[68:69], s[34:35]
	s_mov_b64 s[70:71], s[50:51]
	v_mov_b32_e32 v0, 0
	v_mov_b32_e32 v1, v8
.LBB23_572:                             ; =>This Inner Loop Header: Depth=1
	s_load_dwordx8 s[16:23], s[68:69], 0x4
	s_load_dwordx4 s[0:3], s[68:69], 0x24
	s_load_dwordx8 s[8:15], s[70:71], 0x0
	s_add_u32 s68, s68, 48
	s_addc_u32 s69, s69, 0
	s_waitcnt vmcnt(0) lgkmcnt(0)
	v_mul_hi_u32 v3, s17, v1
	s_add_i32 s79, s79, 4
	s_add_u32 s70, s70, 32
	s_addc_u32 s71, s71, 0
	v_add_u32_e32 v3, v1, v3
	v_lshrrev_b32_e32 v3, s18, v3
	v_mul_lo_u32 v4, v3, s16
	v_mul_hi_u32 v5, s20, v3
	s_cmp_eq_u32 s73, s79
	v_sub_u32_e32 v1, v1, v4
	v_add_u32_e32 v4, v3, v5
	v_mul_lo_u32 v5, v1, s8
	v_mul_lo_u32 v6, v1, s9
	v_lshrrev_b32_e32 v1, s21, v4
	v_mul_lo_u32 v4, v1, s19
	v_mul_hi_u32 v7, s23, v1
	v_sub_u32_e32 v3, v3, v4
	v_add_u32_e32 v4, v1, v7
	v_lshrrev_b32_e32 v4, s0, v4
	v_mul_hi_u32 v9, s2, v4
	v_mul_lo_u32 v10, v4, s22
	v_mul_lo_u32 v7, v3, s10
	;; [unrolled: 1-line block ×3, first 2 shown]
	v_sub_u32_e32 v10, v1, v10
	v_add_u32_e32 v1, v4, v9
	v_lshrrev_b32_e32 v1, s3, v1
	v_mul_lo_u32 v9, v1, s1
	v_mul_lo_u32 v11, v10, s12
	;; [unrolled: 1-line block ×3, first 2 shown]
	v_add3_u32 v0, v5, v0, v7
	v_sub_u32_e32 v4, v4, v9
	v_mul_lo_u32 v9, v4, s14
	v_mul_lo_u32 v4, v4, s15
	v_add3_u32 v2, v6, v2, v3
	v_add3_u32 v0, v11, v0, v9
	;; [unrolled: 1-line block ×3, first 2 shown]
	s_cbranch_scc0 .LBB23_572
	s_branch .LBB23_576
.LBB23_573:
	s_mov_b64 s[0:1], -1
                                        ; implicit-def: $vgpr0
                                        ; implicit-def: $vgpr2
	s_branch .LBB23_580
.LBB23_574:
	v_mov_b32_e32 v0, 0
	v_mov_b32_e32 v2, 0
	s_branch .LBB23_579
.LBB23_575:
	s_mov_b32 s73, 0
	v_mov_b32_e32 v0, 0
	v_mov_b32_e32 v2, 0
	;; [unrolled: 1-line block ×3, first 2 shown]
.LBB23_576:
	s_and_b32 s8, s78, 3
	s_cmp_eq_u32 s8, 0
	s_cbranch_scc1 .LBB23_579
; %bb.577:
	s_lshl_b32 s0, s73, 3
	s_add_u32 s0, s34, s0
	s_addc_u32 s1, s35, 0
	s_add_u32 s0, s0, 0xc4
	s_addc_u32 s1, s1, 0
	s_mul_i32 s2, s73, 12
	s_add_u32 s2, s34, s2
	s_addc_u32 s3, s35, 0
.LBB23_578:                             ; =>This Inner Loop Header: Depth=1
	s_load_dwordx2 s[10:11], s[2:3], 0x4
	s_load_dword s9, s[2:3], 0xc
	s_load_dwordx2 s[12:13], s[0:1], 0x0
	s_add_u32 s2, s2, 12
	s_addc_u32 s3, s3, 0
	s_waitcnt vmcnt(0) lgkmcnt(0)
	v_mul_hi_u32 v3, s11, v1
	s_add_u32 s0, s0, 8
	s_addc_u32 s1, s1, 0
	s_add_i32 s8, s8, -1
	v_add_u32_e32 v3, v1, v3
	v_lshrrev_b32_e32 v4, s9, v3
	v_mul_lo_u32 v3, v4, s10
	s_cmp_lg_u32 s8, 0
	v_sub_u32_e32 v3, v1, v3
	v_mad_u64_u32 v[0:1], s[10:11], v3, s12, v[0:1]
	v_mad_u64_u32 v[2:3], s[10:11], v3, s13, v[2:3]
	v_mov_b32_e32 v1, v4
	s_cbranch_scc1 .LBB23_578
.LBB23_579:
	s_mov_b64 s[0:1], 0
.LBB23_580:
	s_andn2_b64 vcc, exec, s[0:1]
	s_cbranch_vccnz .LBB23_583
; %bb.581:
	v_mul_hi_u32 v0, s29, v8
	s_andn2_b64 vcc, exec, s[48:49]
	v_add_u32_e32 v0, v8, v0
	v_lshrrev_b32_e32 v1, s30, v0
	v_mul_lo_u32 v0, v1, s28
	v_sub_u32_e32 v2, v8, v0
	v_mul_lo_u32 v0, v2, s36
	v_mul_lo_u32 v2, v2, s37
	s_cbranch_vccnz .LBB23_583
; %bb.582:
	s_waitcnt vmcnt(0)
	v_mul_hi_u32 v3, s46, v1
	v_add_u32_e32 v3, v1, v3
	v_lshrrev_b32_e32 v3, s47, v3
	v_mul_lo_u32 v3, v3, s31
	v_sub_u32_e32 v3, v1, v3
	v_mad_u64_u32 v[0:1], s[0:1], v3, s38, v[0:1]
	v_mad_u64_u32 v[2:3], s[0:1], v3, s39, v[2:3]
.LBB23_583:
	s_waitcnt vmcnt(0)
	v_mov_b32_e32 v3, s27
	s_and_b32 s10, 0xffff, s76
	v_add_co_u32_e32 v1, vcc, s26, v2
	s_cmp_lt_i32 s10, 11
	v_addc_co_u32_e32 v2, vcc, 0, v3, vcc
	s_cbranch_scc1 .LBB23_590
; %bb.584:
	s_cmp_gt_i32 s10, 25
	s_cbranch_scc0 .LBB23_591
; %bb.585:
	s_cmp_gt_i32 s10, 28
	s_cbranch_scc0 .LBB23_592
	;; [unrolled: 3-line block ×4, first 2 shown]
; %bb.588:
	s_cmp_eq_u32 s10, 46
	s_mov_b64 s[8:9], 0
	s_cbranch_scc0 .LBB23_599
; %bb.589:
	global_load_dword v3, v[1:2], off
	s_mov_b64 s[0:1], -1
	s_mov_b64 s[2:3], 0
	s_waitcnt vmcnt(0)
	v_lshlrev_b32_e32 v3, 16, v3
	v_cvt_i32_f32_e32 v3, v3
	s_branch .LBB23_600
.LBB23_590:
	s_mov_b64 s[8:9], -1
	s_mov_b64 s[0:1], 0
                                        ; implicit-def: $vgpr3
	s_mov_b64 s[2:3], s[60:61]
	s_branch .LBB23_661
.LBB23_591:
	s_mov_b64 s[8:9], -1
	s_mov_b64 s[0:1], 0
	s_mov_b64 s[2:3], s[60:61]
                                        ; implicit-def: $vgpr3
	s_branch .LBB23_627
.LBB23_592:
	s_mov_b64 s[8:9], -1
	s_mov_b64 s[0:1], 0
	s_mov_b64 s[2:3], s[60:61]
                                        ; implicit-def: $vgpr3
	s_branch .LBB23_610
.LBB23_593:
	s_mov_b64 s[8:9], -1
	s_mov_b64 s[0:1], 0
	s_mov_b64 s[2:3], s[60:61]
                                        ; implicit-def: $vgpr3
	s_branch .LBB23_605
.LBB23_594:
	s_andn2_saveexec_b64 s[14:15], s[14:15]
	s_cbranch_execz .LBB23_367
.LBB23_595:
	v_add_f32_e32 v2, 0x46000000, v3
	v_and_b32_e32 v2, 0xff, v2
	v_cmp_ne_u32_e32 vcc, 0, v2
	s_andn2_b64 s[12:13], s[12:13], exec
	s_and_b64 s[18:19], vcc, exec
	s_or_b64 s[12:13], s[12:13], s[18:19]
	s_or_b64 exec, exec, s[14:15]
	v_mov_b32_e32 v4, 0
	s_and_saveexec_b64 s[14:15], s[12:13]
	s_cbranch_execnz .LBB23_368
	s_branch .LBB23_369
.LBB23_596:
	s_mov_b64 s[8:9], -1
	s_mov_b64 s[0:1], 0
	s_mov_b64 s[2:3], s[60:61]
                                        ; implicit-def: $vgpr3
	s_branch .LBB23_600
.LBB23_597:
	s_andn2_saveexec_b64 s[14:15], s[14:15]
	s_cbranch_execz .LBB23_380
.LBB23_598:
	v_add_f32_e32 v2, 0x42800000, v3
	v_and_b32_e32 v2, 0xff, v2
	v_cmp_ne_u32_e32 vcc, 0, v2
	s_andn2_b64 s[12:13], s[12:13], exec
	s_and_b64 s[18:19], vcc, exec
	s_or_b64 s[12:13], s[12:13], s[18:19]
	s_or_b64 exec, exec, s[14:15]
	v_mov_b32_e32 v4, 0
	s_and_saveexec_b64 s[14:15], s[12:13]
	s_cbranch_execnz .LBB23_381
	s_branch .LBB23_382
.LBB23_599:
	s_mov_b64 s[2:3], -1
                                        ; implicit-def: $vgpr3
	s_mov_b64 s[0:1], 0
.LBB23_600:
	s_and_b64 vcc, exec, s[8:9]
	s_cbranch_vccz .LBB23_604
; %bb.601:
	s_cmp_eq_u32 s10, 44
	s_cbranch_scc0 .LBB23_603
; %bb.602:
	global_load_ubyte v3, v[1:2], off
	s_mov_b64 s[0:1], -1
	s_mov_b64 s[2:3], 0
	s_waitcnt vmcnt(0)
	v_lshlrev_b32_e32 v4, 23, v3
	v_cvt_i32_f32_e32 v4, v4
	v_cmp_ne_u32_e32 vcc, 0, v3
	v_cndmask_b32_e32 v3, 0, v4, vcc
	s_branch .LBB23_604
.LBB23_603:
	s_mov_b64 s[2:3], -1
                                        ; implicit-def: $vgpr3
.LBB23_604:
	s_mov_b64 s[8:9], 0
.LBB23_605:
	s_and_b64 vcc, exec, s[8:9]
	s_cbranch_vccz .LBB23_609
; %bb.606:
	s_cmp_eq_u32 s10, 29
	s_cbranch_scc0 .LBB23_608
; %bb.607:
	global_load_dwordx2 v[3:4], v[1:2], off
	s_mov_b64 s[0:1], -1
	s_mov_b64 s[2:3], 0
	s_branch .LBB23_609
.LBB23_608:
	s_mov_b64 s[2:3], -1
                                        ; implicit-def: $vgpr3
.LBB23_609:
	s_mov_b64 s[8:9], 0
.LBB23_610:
	s_and_b64 vcc, exec, s[8:9]
	s_cbranch_vccz .LBB23_626
; %bb.611:
	s_cmp_lt_i32 s10, 27
	s_cbranch_scc1 .LBB23_614
; %bb.612:
	s_cmp_gt_i32 s10, 27
	s_cbranch_scc0 .LBB23_615
; %bb.613:
	global_load_dword v3, v[1:2], off
	s_mov_b64 s[0:1], 0
	s_branch .LBB23_616
.LBB23_614:
	s_mov_b64 s[0:1], -1
                                        ; implicit-def: $vgpr3
	s_branch .LBB23_619
.LBB23_615:
	s_mov_b64 s[0:1], -1
                                        ; implicit-def: $vgpr3
.LBB23_616:
	s_andn2_b64 vcc, exec, s[0:1]
	s_cbranch_vccnz .LBB23_618
; %bb.617:
	global_load_ushort v3, v[1:2], off
.LBB23_618:
	s_mov_b64 s[0:1], 0
.LBB23_619:
	s_andn2_b64 vcc, exec, s[0:1]
	s_cbranch_vccnz .LBB23_625
; %bb.620:
	global_load_ubyte v4, v[1:2], off
	s_movk_i32 s0, 0x7f
	s_mov_b64 s[8:9], 0
	s_waitcnt vmcnt(0)
	v_cmp_lt_i16_e32 vcc, s0, v4
	s_and_saveexec_b64 s[0:1], vcc
	s_xor_b64 s[0:1], exec, s[0:1]
	s_cbranch_execz .LBB23_637
; %bb.621:
	s_movk_i32 s8, 0x80
	v_cmp_ne_u16_e32 vcc, s8, v4
	s_and_b64 s[8:9], vcc, exec
	s_andn2_saveexec_b64 s[0:1], s[0:1]
	s_cbranch_execnz .LBB23_638
.LBB23_622:
	s_or_b64 exec, exec, s[0:1]
	v_mov_b32_e32 v3, 0
	s_and_saveexec_b64 s[0:1], s[8:9]
	s_cbranch_execz .LBB23_624
.LBB23_623:
	v_lshlrev_b32_e32 v3, 24, v4
	v_and_b32_e32 v4, 0xffff, v4
	v_and_b32_e32 v5, 7, v4
	v_ffbh_u32_e32 v7, v5
	v_min_u32_e32 v7, 32, v7
	v_subrev_u32_e32 v9, 28, v7
	v_bfe_u32 v6, v4, 3, 4
	v_lshlrev_b32_e32 v4, v9, v4
	v_sub_u32_e32 v7, 29, v7
	v_and_b32_e32 v4, 7, v4
	v_cmp_eq_u32_e32 vcc, 0, v6
	v_cndmask_b32_e32 v6, v6, v7, vcc
	v_cndmask_b32_e32 v4, v5, v4, vcc
	v_mov_b32_e32 v5, 0x3b800000
	v_lshlrev_b32_e32 v4, 20, v4
	v_and_b32_e32 v3, 0x80000000, v3
	v_lshl_add_u32 v5, v6, 23, v5
	v_or3_b32 v3, v3, v5, v4
	v_cvt_i32_f32_e32 v3, v3
.LBB23_624:
	s_or_b64 exec, exec, s[0:1]
.LBB23_625:
	s_mov_b64 s[0:1], -1
.LBB23_626:
	s_mov_b64 s[8:9], 0
.LBB23_627:
	s_and_b64 vcc, exec, s[8:9]
	s_cbranch_vccz .LBB23_660
; %bb.628:
	s_cmp_gt_i32 s10, 22
	s_cbranch_scc0 .LBB23_636
; %bb.629:
	s_cmp_lt_i32 s10, 24
	s_cbranch_scc1 .LBB23_639
; %bb.630:
	s_cmp_gt_i32 s10, 24
	s_cbranch_scc0 .LBB23_640
; %bb.631:
	global_load_ubyte v4, v[1:2], off
	s_movk_i32 s0, 0x7f
	s_mov_b64 s[8:9], 0
	s_waitcnt vmcnt(0)
	v_cmp_lt_i16_e32 vcc, s0, v4
	s_and_saveexec_b64 s[0:1], vcc
	s_xor_b64 s[0:1], exec, s[0:1]
	s_cbranch_execz .LBB23_652
; %bb.632:
	s_movk_i32 s8, 0x80
	v_cmp_ne_u16_e32 vcc, s8, v4
	s_and_b64 s[8:9], vcc, exec
	s_andn2_saveexec_b64 s[0:1], s[0:1]
	s_cbranch_execnz .LBB23_653
.LBB23_633:
	s_or_b64 exec, exec, s[0:1]
	v_mov_b32_e32 v3, 0
	s_and_saveexec_b64 s[0:1], s[8:9]
	s_cbranch_execz .LBB23_635
.LBB23_634:
	v_lshlrev_b32_e32 v3, 24, v4
	v_and_b32_e32 v4, 0xffff, v4
	v_and_b32_e32 v5, 3, v4
	v_ffbh_u32_e32 v7, v5
	v_min_u32_e32 v7, 32, v7
	v_subrev_u32_e32 v9, 29, v7
	v_bfe_u32 v6, v4, 2, 5
	v_lshlrev_b32_e32 v4, v9, v4
	v_sub_u32_e32 v7, 30, v7
	v_and_b32_e32 v4, 3, v4
	v_cmp_eq_u32_e32 vcc, 0, v6
	v_cndmask_b32_e32 v6, v6, v7, vcc
	v_cndmask_b32_e32 v4, v5, v4, vcc
	v_mov_b32_e32 v5, 0x37800000
	v_lshlrev_b32_e32 v4, 21, v4
	v_and_b32_e32 v3, 0x80000000, v3
	v_lshl_add_u32 v5, v6, 23, v5
	v_or3_b32 v3, v3, v5, v4
	v_cvt_i32_f32_e32 v3, v3
.LBB23_635:
	s_or_b64 exec, exec, s[0:1]
	s_mov_b64 s[0:1], 0
	s_branch .LBB23_641
.LBB23_636:
	s_mov_b64 s[8:9], -1
                                        ; implicit-def: $vgpr3
	s_branch .LBB23_647
.LBB23_637:
	s_andn2_saveexec_b64 s[0:1], s[0:1]
	s_cbranch_execz .LBB23_622
.LBB23_638:
	v_cmp_ne_u16_e32 vcc, 0, v4
	s_andn2_b64 s[8:9], s[8:9], exec
	s_and_b64 s[12:13], vcc, exec
	s_or_b64 s[8:9], s[8:9], s[12:13]
	s_or_b64 exec, exec, s[0:1]
	v_mov_b32_e32 v3, 0
	s_and_saveexec_b64 s[0:1], s[8:9]
	s_cbranch_execnz .LBB23_623
	s_branch .LBB23_624
.LBB23_639:
	s_mov_b64 s[0:1], -1
                                        ; implicit-def: $vgpr3
	s_branch .LBB23_644
.LBB23_640:
	s_mov_b64 s[0:1], -1
                                        ; implicit-def: $vgpr3
.LBB23_641:
	s_and_b64 vcc, exec, s[0:1]
	s_cbranch_vccz .LBB23_643
; %bb.642:
	global_load_ubyte v3, v[1:2], off
	s_mov_b32 s0, 0x7f800000
	s_waitcnt vmcnt(0)
	v_lshlrev_b32_e32 v3, 24, v3
	v_and_b32_e32 v4, 0x7f000000, v3
	v_ffbh_u32_e32 v5, v4
	v_min_u32_e32 v5, 32, v5
	v_sub_u32_e64 v5, v5, 4 clamp
	v_lshlrev_b32_e32 v7, v5, v4
	v_lshlrev_b32_e32 v5, 23, v5
	v_lshrrev_b32_e32 v7, 4, v7
	v_add_u32_e32 v6, 0x1000000, v4
	v_sub_u32_e32 v5, v7, v5
	v_ashrrev_i32_e32 v6, 8, v6
	v_add_u32_e32 v5, 0x3c000000, v5
	v_and_or_b32 v5, v6, s0, v5
	v_cmp_ne_u32_e32 vcc, 0, v4
	v_cndmask_b32_e32 v4, 0, v5, vcc
	s_brev_b32 s0, 1
	v_and_or_b32 v3, v3, s0, v4
	v_cvt_i32_f32_e32 v3, v3
.LBB23_643:
	s_mov_b64 s[0:1], 0
.LBB23_644:
	s_andn2_b64 vcc, exec, s[0:1]
	s_cbranch_vccnz .LBB23_646
; %bb.645:
	global_load_ubyte v3, v[1:2], off
	s_movk_i32 s0, 0x7f00
	s_brev_b32 s1, 16
	s_waitcnt vmcnt(0)
	v_lshlrev_b16_e32 v4, 8, v3
	v_lshlrev_b32_e32 v3, 25, v3
	v_lshrrev_b32_e32 v5, 4, v3
	v_and_or_b32 v6, v4, s0, 0.5
	v_or_b32_e32 v5, 0x70000000, v5
	v_add_f32_e32 v6, -0.5, v6
	v_mul_f32_e32 v5, 0x7800000, v5
	v_cmp_gt_u32_e32 vcc, s1, v3
	v_bfe_i32 v4, v4, 0, 16
	v_cndmask_b32_e32 v3, v5, v6, vcc
	s_brev_b32 s0, 1
	v_and_or_b32 v3, v4, s0, v3
	v_cvt_i32_f32_e32 v3, v3
.LBB23_646:
	s_mov_b64 s[8:9], 0
	s_mov_b64 s[0:1], -1
.LBB23_647:
	s_andn2_b64 vcc, exec, s[8:9]
	s_cbranch_vccnz .LBB23_660
; %bb.648:
	s_cmp_gt_i32 s10, 14
	s_cbranch_scc0 .LBB23_651
; %bb.649:
	s_cmp_eq_u32 s10, 15
	s_cbranch_scc0 .LBB23_654
; %bb.650:
	global_load_ushort v3, v[1:2], off
	s_mov_b64 s[0:1], -1
	s_mov_b64 s[2:3], 0
	s_waitcnt vmcnt(0)
	v_lshlrev_b32_e32 v3, 16, v3
	v_cvt_i32_f32_e32 v3, v3
	s_branch .LBB23_655
.LBB23_651:
	s_mov_b64 s[8:9], -1
                                        ; implicit-def: $vgpr3
	s_branch .LBB23_656
.LBB23_652:
	s_andn2_saveexec_b64 s[0:1], s[0:1]
	s_cbranch_execz .LBB23_633
.LBB23_653:
	v_cmp_ne_u16_e32 vcc, 0, v4
	s_andn2_b64 s[8:9], s[8:9], exec
	s_and_b64 s[12:13], vcc, exec
	s_or_b64 s[8:9], s[8:9], s[12:13]
	s_or_b64 exec, exec, s[0:1]
	v_mov_b32_e32 v3, 0
	s_and_saveexec_b64 s[0:1], s[8:9]
	s_cbranch_execnz .LBB23_634
	s_branch .LBB23_635
.LBB23_654:
	s_mov_b64 s[2:3], -1
                                        ; implicit-def: $vgpr3
.LBB23_655:
	s_mov_b64 s[8:9], 0
.LBB23_656:
	s_and_b64 vcc, exec, s[8:9]
	s_cbranch_vccz .LBB23_660
; %bb.657:
	s_cmp_eq_u32 s10, 11
	s_cbranch_scc0 .LBB23_659
; %bb.658:
	global_load_ubyte v3, v[1:2], off
	s_mov_b64 s[0:1], -1
	s_mov_b64 s[2:3], 0
	s_waitcnt vmcnt(0)
	v_cmp_ne_u16_e32 vcc, 0, v3
	v_cndmask_b32_e64 v3, 0, 1, vcc
	s_branch .LBB23_660
.LBB23_659:
	s_mov_b64 s[2:3], -1
                                        ; implicit-def: $vgpr3
.LBB23_660:
	s_mov_b64 s[8:9], 0
.LBB23_661:
	s_and_b64 vcc, exec, s[8:9]
	s_cbranch_vccz .LBB23_710
; %bb.662:
	s_cmp_lt_i32 s10, 5
	s_cbranch_scc1 .LBB23_667
; %bb.663:
	s_cmp_lt_i32 s10, 8
	s_cbranch_scc1 .LBB23_668
	;; [unrolled: 3-line block ×3, first 2 shown]
; %bb.665:
	s_cmp_gt_i32 s10, 9
	s_cbranch_scc0 .LBB23_670
; %bb.666:
	global_load_dwordx2 v[3:4], v[1:2], off
	s_mov_b64 s[0:1], 0
	s_waitcnt vmcnt(0)
	v_cvt_i32_f64_e32 v3, v[3:4]
	s_branch .LBB23_671
.LBB23_667:
	s_mov_b64 s[0:1], -1
                                        ; implicit-def: $vgpr3
	s_branch .LBB23_689
.LBB23_668:
	s_mov_b64 s[0:1], -1
                                        ; implicit-def: $vgpr3
	s_branch .LBB23_677
.LBB23_669:
	s_mov_b64 s[0:1], -1
                                        ; implicit-def: $vgpr3
	s_branch .LBB23_674
.LBB23_670:
	s_mov_b64 s[0:1], -1
                                        ; implicit-def: $vgpr3
.LBB23_671:
	s_andn2_b64 vcc, exec, s[0:1]
	s_cbranch_vccnz .LBB23_673
; %bb.672:
	global_load_dword v3, v[1:2], off
	s_waitcnt vmcnt(0)
	v_cvt_i32_f32_e32 v3, v3
.LBB23_673:
	s_mov_b64 s[0:1], 0
.LBB23_674:
	s_andn2_b64 vcc, exec, s[0:1]
	s_cbranch_vccnz .LBB23_676
; %bb.675:
	global_load_dword v3, v[1:2], off
	s_waitcnt vmcnt(0)
	v_cvt_i16_f16_e32 v3, v3
.LBB23_676:
	s_mov_b64 s[0:1], 0
.LBB23_677:
	s_andn2_b64 vcc, exec, s[0:1]
	s_cbranch_vccnz .LBB23_688
; %bb.678:
	s_cmp_lt_i32 s10, 6
	s_cbranch_scc1 .LBB23_681
; %bb.679:
	s_cmp_gt_i32 s10, 6
	s_cbranch_scc0 .LBB23_682
; %bb.680:
	global_load_dwordx2 v[3:4], v[1:2], off
	s_mov_b64 s[0:1], 0
	s_waitcnt vmcnt(0)
	v_cvt_i32_f64_e32 v3, v[3:4]
	s_branch .LBB23_683
.LBB23_681:
	s_mov_b64 s[0:1], -1
                                        ; implicit-def: $vgpr3
	s_branch .LBB23_686
.LBB23_682:
	s_mov_b64 s[0:1], -1
                                        ; implicit-def: $vgpr3
.LBB23_683:
	s_andn2_b64 vcc, exec, s[0:1]
	s_cbranch_vccnz .LBB23_685
; %bb.684:
	global_load_dword v3, v[1:2], off
	s_waitcnt vmcnt(0)
	v_cvt_i32_f32_e32 v3, v3
.LBB23_685:
	s_mov_b64 s[0:1], 0
.LBB23_686:
	s_andn2_b64 vcc, exec, s[0:1]
	s_cbranch_vccnz .LBB23_688
; %bb.687:
	global_load_ushort v3, v[1:2], off
	s_waitcnt vmcnt(0)
	v_cvt_i16_f16_e32 v3, v3
.LBB23_688:
	s_mov_b64 s[0:1], 0
.LBB23_689:
	s_andn2_b64 vcc, exec, s[0:1]
	s_cbranch_vccnz .LBB23_709
; %bb.690:
	s_cmp_lt_i32 s10, 2
	s_cbranch_scc1 .LBB23_694
; %bb.691:
	s_cmp_lt_i32 s10, 3
	s_cbranch_scc1 .LBB23_695
; %bb.692:
	s_cmp_gt_i32 s10, 3
	s_cbranch_scc0 .LBB23_696
; %bb.693:
	global_load_dwordx2 v[3:4], v[1:2], off
	s_mov_b64 s[0:1], 0
	s_branch .LBB23_697
.LBB23_694:
	s_mov_b64 s[0:1], -1
                                        ; implicit-def: $vgpr3
	s_branch .LBB23_703
.LBB23_695:
	s_mov_b64 s[0:1], -1
                                        ; implicit-def: $vgpr3
	s_branch .LBB23_700
.LBB23_696:
	s_mov_b64 s[0:1], -1
                                        ; implicit-def: $vgpr3
.LBB23_697:
	s_andn2_b64 vcc, exec, s[0:1]
	s_cbranch_vccnz .LBB23_699
; %bb.698:
	global_load_dword v3, v[1:2], off
.LBB23_699:
	s_mov_b64 s[0:1], 0
.LBB23_700:
	s_andn2_b64 vcc, exec, s[0:1]
	s_cbranch_vccnz .LBB23_702
; %bb.701:
	global_load_ushort v3, v[1:2], off
.LBB23_702:
	s_mov_b64 s[0:1], 0
.LBB23_703:
	s_andn2_b64 vcc, exec, s[0:1]
	s_cbranch_vccnz .LBB23_709
; %bb.704:
	s_cmp_gt_i32 s10, 0
	s_cbranch_scc0 .LBB23_706
; %bb.705:
	global_load_ubyte v3, v[1:2], off
	s_mov_b64 s[0:1], 0
	s_branch .LBB23_707
.LBB23_706:
	s_mov_b64 s[0:1], -1
                                        ; implicit-def: $vgpr3
.LBB23_707:
	s_andn2_b64 vcc, exec, s[0:1]
	s_cbranch_vccnz .LBB23_709
; %bb.708:
	global_load_ubyte v3, v[1:2], off
.LBB23_709:
	s_mov_b64 s[0:1], -1
.LBB23_710:
	s_andn2_b64 vcc, exec, s[0:1]
	s_cbranch_vccnz .LBB23_715
; %bb.711:
	s_cmp_lt_i32 s44, 1
	s_mov_b64 s[0:1], 0
	s_cbranch_scc1 .LBB23_716
; %bb.712:
	s_cmp_gt_i32 s44, 1
	s_cbranch_scc0 .LBB23_717
; %bb.713:
	s_cmp_eq_u32 s44, 2
	s_cbranch_scc0 .LBB23_718
; %bb.714:
	s_waitcnt vmcnt(0)
	v_cmp_le_i16_sdwa s[8:9], sext(v3), s45 src0_sel:BYTE_0 src1_sel:DWORD
	s_mov_b64 s[10:11], 0
	s_branch .LBB23_719
.LBB23_715:
	s_mov_b64 s[8:9], 0
	s_mov_b64 s[0:1], s[62:63]
	s_branch .LBB23_852
.LBB23_716:
	s_mov_b64 s[12:13], -1
                                        ; implicit-def: $sgpr8_sgpr9
	s_mov_b64 s[10:11], 0
	s_branch .LBB23_723
.LBB23_717:
	s_mov_b64 s[12:13], -1
	s_mov_b64 s[10:11], 0
                                        ; implicit-def: $sgpr8_sgpr9
	s_branch .LBB23_720
.LBB23_718:
	s_mov_b64 s[10:11], -1
                                        ; implicit-def: $sgpr8_sgpr9
.LBB23_719:
	s_mov_b64 s[12:13], 0
.LBB23_720:
	s_and_b64 vcc, exec, s[12:13]
	s_cbranch_vccz .LBB23_722
; %bb.721:
	s_waitcnt vmcnt(0)
	v_cmp_gt_i16_sdwa s[12:13], sext(v3), s45 src0_sel:BYTE_0 src1_sel:DWORD
	s_andn2_b64 s[8:9], s[8:9], exec
	s_and_b64 s[12:13], s[12:13], exec
	s_or_b64 s[8:9], s[8:9], s[12:13]
.LBB23_722:
	s_mov_b64 s[12:13], 0
.LBB23_723:
	s_and_b64 vcc, exec, s[12:13]
	s_cbranch_vccz .LBB23_734
; %bb.724:
	s_cmp_lg_u32 s44, 0
	s_mov_b64 s[0:1], -1
	s_cselect_b64 s[10:11], -1, 0
	s_andn2_b64 vcc, exec, s[10:11]
	s_cbranch_vccz .LBB23_735
.LBB23_725:
	s_andn2_b64 vcc, exec, s[0:1]
	s_cbranch_vccnz .LBB23_727
.LBB23_726:
	s_waitcnt vmcnt(0)
	v_cmp_ge_i16_sdwa s[0:1], sext(v3), s45 src0_sel:BYTE_0 src1_sel:DWORD
	s_andn2_b64 s[8:9], s[8:9], exec
	s_and_b64 s[0:1], s[0:1], exec
	s_or_b64 s[8:9], s[8:9], s[0:1]
.LBB23_727:
	v_mov_b32_e32 v1, s25
	s_and_b32 s16, s75, 0xff
	v_add_co_u32_e32 v0, vcc, s24, v0
	s_cmp_lt_i32 s16, 11
	v_addc_co_u32_e32 v1, vcc, 0, v1, vcc
	s_cbranch_scc1 .LBB23_736
; %bb.728:
	s_and_b32 s17, 0xffff, s16
	s_cmp_gt_i32 s17, 25
	s_cbranch_scc0 .LBB23_737
; %bb.729:
	s_cmp_gt_i32 s17, 28
	s_cbranch_scc0 .LBB23_738
; %bb.730:
	;; [unrolled: 3-line block ×4, first 2 shown]
	s_mov_b64 s[12:13], 0
	s_mov_b64 s[0:1], -1
	s_cmp_eq_u32 s17, 46
	s_mov_b64 s[10:11], 0
	s_cbranch_scc0 .LBB23_741
; %bb.733:
	v_cndmask_b32_e64 v2, 0, 1.0, s[8:9]
	s_waitcnt vmcnt(0)
	v_bfe_u32 v3, v2, 16, 1
	s_movk_i32 s0, 0x7fff
	v_add3_u32 v2, v2, v3, s0
	v_lshrrev_b32_e32 v2, 16, v2
	global_store_dword v[0:1], v2, off
	s_mov_b64 s[10:11], -1
	s_mov_b64 s[0:1], 0
	s_branch .LBB23_741
.LBB23_734:
	s_andn2_b64 vcc, exec, s[10:11]
	s_cbranch_vccnz .LBB23_725
.LBB23_735:
	s_waitcnt vmcnt(0)
	v_cmp_lt_i16_sdwa s[10:11], sext(v3), s45 src0_sel:BYTE_0 src1_sel:DWORD
	s_andn2_b64 s[8:9], s[8:9], exec
	s_and_b64 s[10:11], s[10:11], exec
	s_or_b64 s[8:9], s[8:9], s[10:11]
	s_cbranch_execz .LBB23_726
	s_branch .LBB23_727
.LBB23_736:
	s_mov_b64 s[12:13], -1
	s_mov_b64 s[10:11], 0
	s_mov_b64 s[0:1], s[62:63]
	s_branch .LBB23_810
.LBB23_737:
	s_mov_b64 s[12:13], -1
	s_mov_b64 s[10:11], 0
	s_mov_b64 s[0:1], s[62:63]
	s_branch .LBB23_768
.LBB23_738:
	s_mov_b64 s[12:13], -1
	s_mov_b64 s[10:11], 0
	s_mov_b64 s[0:1], s[62:63]
	s_branch .LBB23_751
.LBB23_739:
	s_mov_b64 s[12:13], -1
	s_mov_b64 s[10:11], 0
	s_mov_b64 s[0:1], s[62:63]
	s_branch .LBB23_747
.LBB23_740:
	s_mov_b64 s[12:13], -1
	s_mov_b64 s[10:11], 0
	s_mov_b64 s[0:1], s[62:63]
.LBB23_741:
	s_and_b64 vcc, exec, s[12:13]
	s_cbranch_vccz .LBB23_746
; %bb.742:
	s_cmp_eq_u32 s17, 44
	s_mov_b64 s[0:1], -1
	s_cbranch_scc0 .LBB23_746
; %bb.743:
	s_waitcnt vmcnt(0)
	v_cndmask_b32_e64 v3, 0, 1.0, s[8:9]
	v_lshrrev_b32_e32 v2, 23, v3
	s_movk_i32 s0, 0xff
	v_cmp_ne_u32_e32 vcc, s0, v2
	v_mov_b32_e32 v4, 0xff
	s_and_saveexec_b64 s[10:11], vcc
; %bb.744:
	s_mov_b32 s0, 0x3fffff
	v_and_b32_e32 v4, 0x400000, v3
	v_and_or_b32 v3, v3, s0, v2
	v_cmp_ne_u32_e32 vcc, 0, v4
	v_cmp_ne_u32_e64 s[0:1], 0, v3
	s_and_b64 s[0:1], vcc, s[0:1]
	v_cndmask_b32_e64 v3, 0, 1, s[0:1]
	v_add_u32_e32 v4, v2, v3
; %bb.745:
	s_or_b64 exec, exec, s[10:11]
	s_mov_b64 s[10:11], -1
	s_mov_b64 s[0:1], 0
	global_store_byte v[0:1], v4, off
.LBB23_746:
	s_mov_b64 s[12:13], 0
.LBB23_747:
	s_and_b64 vcc, exec, s[12:13]
	s_cbranch_vccz .LBB23_750
; %bb.748:
	s_cmp_eq_u32 s17, 29
	s_mov_b64 s[0:1], -1
	s_cbranch_scc0 .LBB23_750
; %bb.749:
	s_mov_b32 s0, 0
	v_cndmask_b32_e64 v2, 0, 1, s[8:9]
	s_waitcnt vmcnt(0)
	v_mov_b32_e32 v3, s0
	global_store_dwordx2 v[0:1], v[2:3], off
	s_mov_b64 s[10:11], -1
	s_mov_b64 s[0:1], 0
.LBB23_750:
	s_mov_b64 s[12:13], 0
.LBB23_751:
	s_and_b64 vcc, exec, s[12:13]
	s_cbranch_vccz .LBB23_767
; %bb.752:
	s_cmp_lt_i32 s17, 27
	s_mov_b64 s[10:11], -1
	s_cbranch_scc1 .LBB23_758
; %bb.753:
	s_cmp_gt_i32 s17, 27
	s_cbranch_scc0 .LBB23_755
; %bb.754:
	v_cndmask_b32_e64 v2, 0, 1, s[8:9]
	s_mov_b64 s[10:11], 0
	global_store_dword v[0:1], v2, off
.LBB23_755:
	s_andn2_b64 vcc, exec, s[10:11]
	s_cbranch_vccnz .LBB23_757
; %bb.756:
	v_cndmask_b32_e64 v2, 0, 1, s[8:9]
	global_store_short v[0:1], v2, off
.LBB23_757:
	s_mov_b64 s[10:11], 0
.LBB23_758:
	s_andn2_b64 vcc, exec, s[10:11]
	s_cbranch_vccnz .LBB23_766
; %bb.759:
	s_waitcnt vmcnt(0)
	v_cndmask_b32_e64 v3, 0, 1.0, s[8:9]
	s_mov_b32 s10, 0x43800000
	v_cmp_gt_u32_e32 vcc, s10, v3
	v_mov_b32_e32 v4, 0x80
	s_and_saveexec_b64 s[10:11], vcc
	s_cbranch_execz .LBB23_765
; %bb.760:
	s_mov_b32 s12, 0x3bffffff
	v_cmp_lt_u32_e32 vcc, s12, v3
	s_mov_b64 s[12:13], 0
                                        ; implicit-def: $vgpr2
	s_and_saveexec_b64 s[14:15], vcc
	s_xor_b64 s[14:15], exec, s[14:15]
	s_cbranch_execz .LBB23_882
; %bb.761:
	v_bfe_u32 v2, v3, 20, 1
	s_mov_b32 s18, 0x487ffff
	v_add3_u32 v2, v3, v2, s18
	s_mov_b64 s[12:13], exec
	v_lshrrev_b32_e32 v2, 20, v2
                                        ; implicit-def: $vgpr3
	s_andn2_saveexec_b64 s[14:15], s[14:15]
	s_cbranch_execnz .LBB23_883
.LBB23_762:
	s_or_b64 exec, exec, s[14:15]
	v_mov_b32_e32 v4, 0
	s_and_saveexec_b64 s[14:15], s[12:13]
.LBB23_763:
	v_mov_b32_e32 v4, v2
.LBB23_764:
	s_or_b64 exec, exec, s[14:15]
.LBB23_765:
	s_or_b64 exec, exec, s[10:11]
	global_store_byte v[0:1], v4, off
.LBB23_766:
	s_mov_b64 s[10:11], -1
.LBB23_767:
	s_mov_b64 s[12:13], 0
.LBB23_768:
	s_and_b64 vcc, exec, s[12:13]
	s_cbranch_vccz .LBB23_809
; %bb.769:
	s_cmp_gt_i32 s17, 22
	s_mov_b64 s[12:13], -1
	s_cbranch_scc0 .LBB23_801
; %bb.770:
	s_cmp_lt_i32 s17, 24
	s_mov_b64 s[10:11], -1
	s_cbranch_scc1 .LBB23_790
; %bb.771:
	s_cmp_gt_i32 s17, 24
	s_cbranch_scc0 .LBB23_779
; %bb.772:
	s_waitcnt vmcnt(0)
	v_cndmask_b32_e64 v3, 0, 1.0, s[8:9]
	s_mov_b32 s10, 0x47800000
	v_cmp_gt_u32_e32 vcc, s10, v3
	v_mov_b32_e32 v4, 0x80
	s_and_saveexec_b64 s[10:11], vcc
	s_cbranch_execz .LBB23_778
; %bb.773:
	s_mov_b32 s12, 0x37ffffff
	v_cmp_lt_u32_e32 vcc, s12, v3
	s_mov_b64 s[12:13], 0
                                        ; implicit-def: $vgpr2
	s_and_saveexec_b64 s[14:15], vcc
	s_xor_b64 s[14:15], exec, s[14:15]
	s_cbranch_execz .LBB23_885
; %bb.774:
	v_bfe_u32 v2, v3, 21, 1
	s_mov_b32 s18, 0x88fffff
	v_add3_u32 v2, v3, v2, s18
	s_mov_b64 s[12:13], exec
	v_lshrrev_b32_e32 v2, 21, v2
                                        ; implicit-def: $vgpr3
	s_andn2_saveexec_b64 s[14:15], s[14:15]
	s_cbranch_execnz .LBB23_886
.LBB23_775:
	s_or_b64 exec, exec, s[14:15]
	v_mov_b32_e32 v4, 0
	s_and_saveexec_b64 s[14:15], s[12:13]
.LBB23_776:
	v_mov_b32_e32 v4, v2
.LBB23_777:
	s_or_b64 exec, exec, s[14:15]
.LBB23_778:
	s_or_b64 exec, exec, s[10:11]
	s_mov_b64 s[10:11], 0
	global_store_byte v[0:1], v4, off
.LBB23_779:
	s_and_b64 vcc, exec, s[10:11]
	s_cbranch_vccz .LBB23_789
; %bb.780:
	v_cndmask_b32_e64 v2, 0, 1.0, s[8:9]
	s_mov_b32 s10, 0x43f00000
	v_cmp_gt_u32_e32 vcc, s10, v2
                                        ; implicit-def: $vgpr3
	s_and_saveexec_b64 s[10:11], vcc
	s_xor_b64 s[10:11], exec, s[10:11]
	s_cbranch_execz .LBB23_786
; %bb.781:
	s_mov_b32 s12, 0x3c7fffff
	v_cmp_lt_u32_e32 vcc, s12, v2
                                        ; implicit-def: $vgpr3
	s_and_saveexec_b64 s[12:13], vcc
	s_xor_b64 s[12:13], exec, s[12:13]
	s_cbranch_execz .LBB23_783
; %bb.782:
	s_waitcnt vmcnt(0)
	v_bfe_u32 v3, v2, 20, 1
	s_mov_b32 s14, 0x407ffff
	v_add3_u32 v2, v2, v3, s14
	v_lshrrev_b32_e32 v3, 20, v2
	v_and_b32_e32 v2, 0xff00000, v2
	s_mov_b32 s14, 0x7f00000
	v_mov_b32_e32 v4, 0x7e
	v_cmp_ne_u32_e32 vcc, s14, v2
	v_cndmask_b32_e32 v3, v4, v3, vcc
                                        ; implicit-def: $vgpr2
.LBB23_783:
	s_andn2_saveexec_b64 s[12:13], s[12:13]
	s_cbranch_execz .LBB23_785
; %bb.784:
	s_waitcnt vmcnt(0)
	v_add_f32_e32 v3, 0x46800000, v2
.LBB23_785:
	s_or_b64 exec, exec, s[12:13]
                                        ; implicit-def: $vgpr2
.LBB23_786:
	s_andn2_saveexec_b64 s[10:11], s[10:11]
	s_cbranch_execz .LBB23_788
; %bb.787:
	s_mov_b32 s12, 0x7f800000
	s_waitcnt vmcnt(0)
	v_mov_b32_e32 v3, 0x7e
	v_mov_b32_e32 v4, 0x7f
	v_cmp_lt_u32_e32 vcc, s12, v2
	v_cndmask_b32_e32 v3, v3, v4, vcc
.LBB23_788:
	s_or_b64 exec, exec, s[10:11]
	s_waitcnt vmcnt(0)
	global_store_byte v[0:1], v3, off
.LBB23_789:
	s_mov_b64 s[10:11], 0
.LBB23_790:
	s_andn2_b64 vcc, exec, s[10:11]
	s_cbranch_vccnz .LBB23_800
; %bb.791:
	v_cndmask_b32_e64 v2, 0, 1.0, s[8:9]
	s_mov_b32 s10, 0x47800000
	v_cmp_gt_u32_e32 vcc, s10, v2
                                        ; implicit-def: $vgpr3
	s_and_saveexec_b64 s[10:11], vcc
	s_xor_b64 s[10:11], exec, s[10:11]
	s_cbranch_execz .LBB23_797
; %bb.792:
	s_mov_b32 s12, 0x387fffff
	v_cmp_lt_u32_e32 vcc, s12, v2
                                        ; implicit-def: $vgpr3
	s_and_saveexec_b64 s[12:13], vcc
	s_xor_b64 s[12:13], exec, s[12:13]
	s_cbranch_execz .LBB23_794
; %bb.793:
	s_waitcnt vmcnt(0)
	v_bfe_u32 v3, v2, 21, 1
	s_mov_b32 s14, 0x80fffff
	v_add3_u32 v2, v2, v3, s14
	v_lshrrev_b32_e32 v3, 21, v2
                                        ; implicit-def: $vgpr2
.LBB23_794:
	s_andn2_saveexec_b64 s[12:13], s[12:13]
	s_cbranch_execz .LBB23_796
; %bb.795:
	s_waitcnt vmcnt(0)
	v_add_f32_e32 v3, 0x43000000, v2
.LBB23_796:
	s_or_b64 exec, exec, s[12:13]
                                        ; implicit-def: $vgpr2
.LBB23_797:
	s_andn2_saveexec_b64 s[10:11], s[10:11]
	s_cbranch_execz .LBB23_799
; %bb.798:
	s_mov_b32 s12, 0x7f800000
	s_waitcnt vmcnt(0)
	v_mov_b32_e32 v3, 0x7c
	v_mov_b32_e32 v4, 0x7f
	v_cmp_lt_u32_e32 vcc, s12, v2
	v_cndmask_b32_e32 v3, v3, v4, vcc
.LBB23_799:
	s_or_b64 exec, exec, s[10:11]
	s_waitcnt vmcnt(0)
	global_store_byte v[0:1], v3, off
.LBB23_800:
	s_mov_b64 s[12:13], 0
	s_mov_b64 s[10:11], -1
.LBB23_801:
	s_andn2_b64 vcc, exec, s[12:13]
	s_cbranch_vccnz .LBB23_809
; %bb.802:
	s_cmp_gt_i32 s17, 14
	s_mov_b64 s[12:13], -1
	s_cbranch_scc0 .LBB23_806
; %bb.803:
	s_cmp_eq_u32 s17, 15
	s_mov_b64 s[0:1], -1
	s_cbranch_scc0 .LBB23_805
; %bb.804:
	v_cndmask_b32_e64 v2, 0, 1.0, s[8:9]
	s_waitcnt vmcnt(0)
	v_bfe_u32 v3, v2, 16, 1
	s_movk_i32 s0, 0x7fff
	v_add3_u32 v2, v2, v3, s0
	global_store_short_d16_hi v[0:1], v2, off
	s_mov_b64 s[10:11], -1
	s_mov_b64 s[0:1], 0
.LBB23_805:
	s_mov_b64 s[12:13], 0
.LBB23_806:
	s_and_b64 vcc, exec, s[12:13]
	s_cbranch_vccz .LBB23_809
; %bb.807:
	s_cmp_eq_u32 s17, 11
	s_mov_b64 s[0:1], -1
	s_cbranch_scc0 .LBB23_809
; %bb.808:
	v_cndmask_b32_e64 v2, 0, 1, s[8:9]
	s_mov_b64 s[10:11], -1
	s_mov_b64 s[0:1], 0
	global_store_byte v[0:1], v2, off
.LBB23_809:
	s_mov_b64 s[12:13], 0
.LBB23_810:
	s_and_b64 vcc, exec, s[12:13]
	s_cbranch_vccz .LBB23_849
; %bb.811:
	s_and_b32 s12, 0xffff, s16
	s_cmp_lt_i32 s12, 5
	s_mov_b64 s[10:11], -1
	s_cbranch_scc1 .LBB23_832
; %bb.812:
	s_cmp_lt_i32 s12, 8
	s_cbranch_scc1 .LBB23_822
; %bb.813:
	s_cmp_lt_i32 s12, 9
	s_cbranch_scc1 .LBB23_819
; %bb.814:
	s_cmp_gt_i32 s12, 9
	s_cbranch_scc0 .LBB23_816
; %bb.815:
	v_cndmask_b32_e64 v2, 0, 1, s[8:9]
	s_waitcnt vmcnt(0)
	v_cvt_f64_u32_e32 v[2:3], v2
	v_mov_b32_e32 v4, 0
	v_mov_b32_e32 v5, v4
	s_mov_b64 s[10:11], 0
	global_store_dwordx4 v[0:1], v[2:5], off
.LBB23_816:
	s_andn2_b64 vcc, exec, s[10:11]
	s_cbranch_vccnz .LBB23_818
; %bb.817:
	v_cndmask_b32_e64 v2, 0, 1.0, s[8:9]
	s_waitcnt vmcnt(0)
	v_mov_b32_e32 v3, 0
	global_store_dwordx2 v[0:1], v[2:3], off
.LBB23_818:
	s_mov_b64 s[10:11], 0
.LBB23_819:
	s_andn2_b64 vcc, exec, s[10:11]
	s_cbranch_vccnz .LBB23_821
; %bb.820:
	v_cndmask_b32_e64 v2, 0, 1.0, s[8:9]
	v_cvt_f16_f32_e32 v2, v2
	global_store_dword v[0:1], v2, off
.LBB23_821:
	s_mov_b64 s[10:11], 0
.LBB23_822:
	s_andn2_b64 vcc, exec, s[10:11]
	s_cbranch_vccnz .LBB23_831
; %bb.823:
	s_cmp_lt_i32 s12, 6
	s_mov_b64 s[10:11], -1
	s_cbranch_scc1 .LBB23_829
; %bb.824:
	s_cmp_gt_i32 s12, 6
	s_cbranch_scc0 .LBB23_826
; %bb.825:
	v_cndmask_b32_e64 v2, 0, 1, s[8:9]
	s_waitcnt vmcnt(0)
	v_cvt_f64_u32_e32 v[2:3], v2
	s_mov_b64 s[10:11], 0
	global_store_dwordx2 v[0:1], v[2:3], off
.LBB23_826:
	s_andn2_b64 vcc, exec, s[10:11]
	s_cbranch_vccnz .LBB23_828
; %bb.827:
	v_cndmask_b32_e64 v2, 0, 1.0, s[8:9]
	global_store_dword v[0:1], v2, off
.LBB23_828:
	s_mov_b64 s[10:11], 0
.LBB23_829:
	s_andn2_b64 vcc, exec, s[10:11]
	s_cbranch_vccnz .LBB23_831
; %bb.830:
	v_cndmask_b32_e64 v2, 0, 1.0, s[8:9]
	v_cvt_f16_f32_e32 v2, v2
	global_store_short v[0:1], v2, off
.LBB23_831:
	s_mov_b64 s[10:11], 0
.LBB23_832:
	s_andn2_b64 vcc, exec, s[10:11]
	s_cbranch_vccnz .LBB23_848
; %bb.833:
	s_cmp_lt_i32 s12, 2
	s_mov_b64 s[10:11], -1
	s_cbranch_scc1 .LBB23_843
; %bb.834:
	s_cmp_lt_i32 s12, 3
	s_cbranch_scc1 .LBB23_840
; %bb.835:
	s_cmp_gt_i32 s12, 3
	s_cbranch_scc0 .LBB23_837
; %bb.836:
	s_mov_b32 s10, 0
	v_cndmask_b32_e64 v2, 0, 1, s[8:9]
	s_waitcnt vmcnt(0)
	v_mov_b32_e32 v3, s10
	s_mov_b64 s[10:11], 0
	global_store_dwordx2 v[0:1], v[2:3], off
.LBB23_837:
	s_andn2_b64 vcc, exec, s[10:11]
	s_cbranch_vccnz .LBB23_839
; %bb.838:
	v_cndmask_b32_e64 v2, 0, 1, s[8:9]
	global_store_dword v[0:1], v2, off
.LBB23_839:
	s_mov_b64 s[10:11], 0
.LBB23_840:
	s_andn2_b64 vcc, exec, s[10:11]
	s_cbranch_vccnz .LBB23_842
; %bb.841:
	v_cndmask_b32_e64 v2, 0, 1, s[8:9]
	global_store_short v[0:1], v2, off
.LBB23_842:
	s_mov_b64 s[10:11], 0
.LBB23_843:
	s_andn2_b64 vcc, exec, s[10:11]
	s_cbranch_vccnz .LBB23_848
; %bb.844:
	s_mov_b64 s[10:11], -1
	s_cmp_gt_i32 s12, 0
	v_cndmask_b32_e64 v2, 0, 1, s[8:9]
	s_cbranch_scc0 .LBB23_846
; %bb.845:
	s_mov_b64 s[10:11], 0
	global_store_byte v[0:1], v2, off
.LBB23_846:
	s_andn2_b64 vcc, exec, s[10:11]
	s_cbranch_vccnz .LBB23_848
; %bb.847:
	global_store_byte v[0:1], v2, off
.LBB23_848:
	s_mov_b64 s[10:11], -1
.LBB23_849:
	s_andn2_b64 vcc, exec, s[10:11]
	s_cbranch_vccnz .LBB23_851
; %bb.850:
	v_add_u32_e32 v8, 0x80, v8
	s_mov_b64 s[8:9], -1
	s_branch .LBB23_853
.LBB23_851:
	s_mov_b64 s[8:9], 0
.LBB23_852:
                                        ; implicit-def: $vgpr8
.LBB23_853:
	s_andn2_b64 s[10:11], s[62:63], exec
	s_and_b64 s[0:1], s[0:1], exec
	s_or_b64 s[70:71], s[10:11], s[0:1]
	s_andn2_b64 s[0:1], s[60:61], exec
	s_and_b64 s[2:3], s[2:3], exec
	s_or_b64 s[68:69], s[0:1], s[2:3]
	s_orn2_b64 s[2:3], s[8:9], exec
.LBB23_854:
	s_or_b64 exec, exec, s[66:67]
	s_mov_b64 s[0:1], 0
	s_mov_b64 s[8:9], 0
	;; [unrolled: 1-line block ×3, first 2 shown]
                                        ; implicit-def: $vgpr1_vgpr2
                                        ; implicit-def: $vgpr0
                                        ; implicit-def: $vgpr3
	s_and_saveexec_b64 s[66:67], s[2:3]
	s_cbranch_execz .LBB23_949
; %bb.855:
	v_cmp_gt_i32_e32 vcc, s72, v8
	s_mov_b64 s[2:3], 0
	s_mov_b64 s[12:13], s[68:69]
                                        ; implicit-def: $vgpr1_vgpr2
                                        ; implicit-def: $vgpr0
                                        ; implicit-def: $vgpr3
	s_and_saveexec_b64 s[72:73], vcc
	s_cbranch_execz .LBB23_948
; %bb.856:
	s_andn2_b64 vcc, exec, s[40:41]
	s_cbranch_vccnz .LBB23_861
; %bb.857:
	s_andn2_b64 vcc, exec, s[52:53]
	s_cbranch_vccnz .LBB23_862
; %bb.858:
	s_add_i32 s78, s77, 1
	s_cmp_eq_u32 s74, 2
	s_cbranch_scc1 .LBB23_863
; %bb.859:
	s_and_b32 s77, s78, 28
	v_mov_b32_e32 v2, 0
	s_mov_b32 s79, 0
	s_mov_b64 s[52:53], s[34:35]
	v_mov_b32_e32 v0, 0
	v_mov_b32_e32 v1, v8
.LBB23_860:                             ; =>This Inner Loop Header: Depth=1
	s_load_dwordx8 s[16:23], s[52:53], 0x4
	s_load_dwordx4 s[0:3], s[52:53], 0x24
	s_load_dwordx8 s[8:15], s[50:51], 0x0
	s_add_u32 s52, s52, 48
	s_addc_u32 s53, s53, 0
	s_waitcnt vmcnt(0) lgkmcnt(0)
	v_mul_hi_u32 v3, s17, v1
	s_add_i32 s79, s79, 4
	s_add_u32 s50, s50, 32
	s_addc_u32 s51, s51, 0
	v_add_u32_e32 v3, v1, v3
	v_lshrrev_b32_e32 v3, s18, v3
	v_mul_lo_u32 v4, v3, s16
	v_mul_hi_u32 v5, s20, v3
	s_cmp_eq_u32 s77, s79
	v_sub_u32_e32 v1, v1, v4
	v_add_u32_e32 v4, v3, v5
	v_mul_lo_u32 v5, v1, s8
	v_mul_lo_u32 v6, v1, s9
	v_lshrrev_b32_e32 v1, s21, v4
	v_mul_lo_u32 v4, v1, s19
	v_mul_hi_u32 v7, s23, v1
	v_sub_u32_e32 v3, v3, v4
	v_add_u32_e32 v4, v1, v7
	v_lshrrev_b32_e32 v4, s0, v4
	v_mul_hi_u32 v9, s2, v4
	v_mul_lo_u32 v10, v4, s22
	v_mul_lo_u32 v7, v3, s10
	;; [unrolled: 1-line block ×3, first 2 shown]
	v_sub_u32_e32 v10, v1, v10
	v_add_u32_e32 v1, v4, v9
	v_lshrrev_b32_e32 v1, s3, v1
	v_mul_lo_u32 v9, v1, s1
	v_mul_lo_u32 v11, v10, s12
	;; [unrolled: 1-line block ×3, first 2 shown]
	v_add3_u32 v0, v5, v0, v7
	v_sub_u32_e32 v4, v4, v9
	v_mul_lo_u32 v9, v4, s14
	v_mul_lo_u32 v4, v4, s15
	v_add3_u32 v2, v6, v2, v3
	v_add3_u32 v0, v11, v0, v9
	v_add3_u32 v2, v10, v2, v4
	s_cbranch_scc0 .LBB23_860
	s_branch .LBB23_864
.LBB23_861:
	s_mov_b64 s[0:1], -1
                                        ; implicit-def: $vgpr0
                                        ; implicit-def: $vgpr2
	s_branch .LBB23_868
.LBB23_862:
	v_mov_b32_e32 v0, 0
	v_mov_b32_e32 v2, 0
	s_branch .LBB23_867
.LBB23_863:
	s_mov_b32 s77, 0
	v_mov_b32_e32 v0, 0
	v_mov_b32_e32 v2, 0
	v_mov_b32_e32 v1, v8
.LBB23_864:
	s_and_b32 s8, s78, 3
	s_cmp_eq_u32 s8, 0
	s_cbranch_scc1 .LBB23_867
; %bb.865:
	s_lshl_b32 s0, s77, 3
	s_add_u32 s0, s34, s0
	s_addc_u32 s1, s35, 0
	s_add_u32 s0, s0, 0xc4
	s_addc_u32 s1, s1, 0
	s_mul_i32 s2, s77, 12
	s_add_u32 s2, s34, s2
	s_addc_u32 s3, s35, 0
.LBB23_866:                             ; =>This Inner Loop Header: Depth=1
	s_load_dwordx2 s[10:11], s[2:3], 0x4
	s_load_dword s9, s[2:3], 0xc
	s_load_dwordx2 s[12:13], s[0:1], 0x0
	s_add_u32 s2, s2, 12
	s_addc_u32 s3, s3, 0
	s_waitcnt vmcnt(0) lgkmcnt(0)
	v_mul_hi_u32 v3, s11, v1
	s_add_u32 s0, s0, 8
	s_addc_u32 s1, s1, 0
	s_add_i32 s8, s8, -1
	v_add_u32_e32 v3, v1, v3
	v_lshrrev_b32_e32 v4, s9, v3
	v_mul_lo_u32 v3, v4, s10
	s_cmp_lg_u32 s8, 0
	v_sub_u32_e32 v3, v1, v3
	v_mad_u64_u32 v[0:1], s[10:11], v3, s12, v[0:1]
	v_mad_u64_u32 v[2:3], s[10:11], v3, s13, v[2:3]
	v_mov_b32_e32 v1, v4
	s_cbranch_scc1 .LBB23_866
.LBB23_867:
	s_mov_b64 s[0:1], 0
.LBB23_868:
	s_andn2_b64 vcc, exec, s[0:1]
	s_cbranch_vccnz .LBB23_871
; %bb.869:
	v_mul_hi_u32 v0, s29, v8
	s_andn2_b64 vcc, exec, s[48:49]
	v_add_u32_e32 v0, v8, v0
	v_lshrrev_b32_e32 v1, s30, v0
	v_mul_lo_u32 v0, v1, s28
	v_sub_u32_e32 v2, v8, v0
	v_mul_lo_u32 v0, v2, s36
	v_mul_lo_u32 v2, v2, s37
	s_cbranch_vccnz .LBB23_871
; %bb.870:
	s_waitcnt vmcnt(0)
	v_mul_hi_u32 v3, s46, v1
	v_add_u32_e32 v3, v1, v3
	v_lshrrev_b32_e32 v3, s47, v3
	v_mul_lo_u32 v3, v3, s31
	v_sub_u32_e32 v3, v1, v3
	v_mad_u64_u32 v[0:1], s[0:1], v3, s38, v[0:1]
	v_mad_u64_u32 v[2:3], s[0:1], v3, s39, v[2:3]
.LBB23_871:
	s_waitcnt vmcnt(0)
	v_mov_b32_e32 v3, s27
	s_and_b32 s12, 0xffff, s76
	v_add_co_u32_e32 v1, vcc, s26, v2
	s_cmp_lt_i32 s12, 11
	v_addc_co_u32_e32 v2, vcc, 0, v3, vcc
	s_cbranch_scc1 .LBB23_878
; %bb.872:
	s_cmp_gt_i32 s12, 25
	s_mov_b64 s[2:3], 0
	s_cbranch_scc0 .LBB23_879
; %bb.873:
	s_cmp_gt_i32 s12, 28
	s_cbranch_scc0 .LBB23_880
; %bb.874:
	s_cmp_gt_i32 s12, 43
	s_cbranch_scc0 .LBB23_881
; %bb.875:
	s_cmp_gt_i32 s12, 45
	s_cbranch_scc0 .LBB23_884
; %bb.876:
	s_cmp_eq_u32 s12, 46
	s_mov_b64 s[10:11], 0
	s_cbranch_scc0 .LBB23_887
; %bb.877:
	global_load_dword v3, v[1:2], off
	s_mov_b64 s[0:1], 0
	s_mov_b64 s[8:9], -1
	s_waitcnt vmcnt(0)
	v_lshlrev_b32_e32 v3, 16, v3
	v_cvt_i32_f32_e32 v3, v3
	s_branch .LBB23_888
.LBB23_878:
	s_mov_b64 s[12:13], -1
	s_mov_b64 s[8:9], 0
	s_mov_b64 s[2:3], 0
	;; [unrolled: 1-line block ×3, first 2 shown]
                                        ; implicit-def: $vgpr3
	s_branch .LBB23_947
.LBB23_879:
	s_mov_b64 s[10:11], -1
	s_mov_b64 s[8:9], 0
	s_mov_b64 s[0:1], s[68:69]
                                        ; implicit-def: $vgpr3
	s_branch .LBB23_915
.LBB23_880:
	s_mov_b64 s[10:11], -1
	s_mov_b64 s[8:9], 0
	s_mov_b64 s[0:1], s[68:69]
                                        ; implicit-def: $vgpr3
	s_branch .LBB23_898
.LBB23_881:
	s_mov_b64 s[10:11], -1
	s_mov_b64 s[8:9], 0
	s_mov_b64 s[0:1], s[68:69]
                                        ; implicit-def: $vgpr3
	s_branch .LBB23_893
.LBB23_882:
	s_andn2_saveexec_b64 s[14:15], s[14:15]
	s_cbranch_execz .LBB23_762
.LBB23_883:
	v_add_f32_e32 v2, 0x46000000, v3
	v_and_b32_e32 v2, 0xff, v2
	v_cmp_ne_u32_e32 vcc, 0, v2
	s_andn2_b64 s[12:13], s[12:13], exec
	s_and_b64 s[18:19], vcc, exec
	s_or_b64 s[12:13], s[12:13], s[18:19]
	s_or_b64 exec, exec, s[14:15]
	v_mov_b32_e32 v4, 0
	s_and_saveexec_b64 s[14:15], s[12:13]
	s_cbranch_execnz .LBB23_763
	s_branch .LBB23_764
.LBB23_884:
	s_mov_b64 s[10:11], -1
	s_mov_b64 s[8:9], 0
	s_mov_b64 s[0:1], s[68:69]
                                        ; implicit-def: $vgpr3
	s_branch .LBB23_888
.LBB23_885:
	s_andn2_saveexec_b64 s[14:15], s[14:15]
	s_cbranch_execz .LBB23_775
.LBB23_886:
	v_add_f32_e32 v2, 0x42800000, v3
	v_and_b32_e32 v2, 0xff, v2
	v_cmp_ne_u32_e32 vcc, 0, v2
	s_andn2_b64 s[12:13], s[12:13], exec
	s_and_b64 s[18:19], vcc, exec
	s_or_b64 s[12:13], s[12:13], s[18:19]
	s_or_b64 exec, exec, s[14:15]
	v_mov_b32_e32 v4, 0
	s_and_saveexec_b64 s[14:15], s[12:13]
	s_cbranch_execnz .LBB23_776
	s_branch .LBB23_777
.LBB23_887:
	s_mov_b64 s[0:1], -1
                                        ; implicit-def: $vgpr3
	s_mov_b64 s[8:9], 0
.LBB23_888:
	s_and_b64 vcc, exec, s[10:11]
	s_cbranch_vccz .LBB23_892
; %bb.889:
	s_cmp_eq_u32 s12, 44
	s_cbranch_scc0 .LBB23_891
; %bb.890:
	global_load_ubyte v3, v[1:2], off
	s_mov_b64 s[0:1], 0
	s_mov_b64 s[8:9], -1
	s_waitcnt vmcnt(0)
	v_lshlrev_b32_e32 v4, 23, v3
	v_cvt_i32_f32_e32 v4, v4
	v_cmp_ne_u32_e32 vcc, 0, v3
	v_cndmask_b32_e32 v3, 0, v4, vcc
	s_branch .LBB23_892
.LBB23_891:
	s_mov_b64 s[0:1], -1
                                        ; implicit-def: $vgpr3
.LBB23_892:
	s_mov_b64 s[10:11], 0
.LBB23_893:
	s_and_b64 vcc, exec, s[10:11]
	s_cbranch_vccz .LBB23_897
; %bb.894:
	s_cmp_eq_u32 s12, 29
	s_cbranch_scc0 .LBB23_896
; %bb.895:
	global_load_dwordx2 v[3:4], v[1:2], off
	s_mov_b64 s[0:1], 0
	s_mov_b64 s[8:9], -1
	s_branch .LBB23_897
.LBB23_896:
	s_mov_b64 s[0:1], -1
                                        ; implicit-def: $vgpr3
.LBB23_897:
	s_mov_b64 s[10:11], 0
.LBB23_898:
	s_and_b64 vcc, exec, s[10:11]
	s_cbranch_vccz .LBB23_914
; %bb.899:
	s_cmp_lt_i32 s12, 27
	s_cbranch_scc1 .LBB23_902
; %bb.900:
	s_cmp_gt_i32 s12, 27
	s_cbranch_scc0 .LBB23_903
; %bb.901:
	global_load_dword v3, v[1:2], off
	s_mov_b64 s[8:9], 0
	s_branch .LBB23_904
.LBB23_902:
	s_mov_b64 s[8:9], -1
                                        ; implicit-def: $vgpr3
	s_branch .LBB23_907
.LBB23_903:
	s_mov_b64 s[8:9], -1
                                        ; implicit-def: $vgpr3
.LBB23_904:
	s_andn2_b64 vcc, exec, s[8:9]
	s_cbranch_vccnz .LBB23_906
; %bb.905:
	global_load_ushort v3, v[1:2], off
.LBB23_906:
	s_mov_b64 s[8:9], 0
.LBB23_907:
	s_andn2_b64 vcc, exec, s[8:9]
	s_cbranch_vccnz .LBB23_913
; %bb.908:
	global_load_ubyte v4, v[1:2], off
	s_movk_i32 s8, 0x7f
	s_mov_b64 s[10:11], 0
	s_waitcnt vmcnt(0)
	v_cmp_lt_i16_e32 vcc, s8, v4
	s_and_saveexec_b64 s[8:9], vcc
	s_xor_b64 s[8:9], exec, s[8:9]
	s_cbranch_execz .LBB23_925
; %bb.909:
	s_movk_i32 s10, 0x80
	v_cmp_ne_u16_e32 vcc, s10, v4
	s_and_b64 s[10:11], vcc, exec
	s_andn2_saveexec_b64 s[8:9], s[8:9]
	s_cbranch_execnz .LBB23_926
.LBB23_910:
	s_or_b64 exec, exec, s[8:9]
	v_mov_b32_e32 v3, 0
	s_and_saveexec_b64 s[8:9], s[10:11]
	s_cbranch_execz .LBB23_912
.LBB23_911:
	v_lshlrev_b32_e32 v3, 24, v4
	v_and_b32_e32 v4, 0xffff, v4
	v_and_b32_e32 v5, 7, v4
	v_ffbh_u32_e32 v7, v5
	v_min_u32_e32 v7, 32, v7
	v_subrev_u32_e32 v8, 28, v7
	v_bfe_u32 v6, v4, 3, 4
	v_lshlrev_b32_e32 v4, v8, v4
	v_sub_u32_e32 v7, 29, v7
	v_and_b32_e32 v4, 7, v4
	v_cmp_eq_u32_e32 vcc, 0, v6
	v_cndmask_b32_e32 v6, v6, v7, vcc
	v_cndmask_b32_e32 v4, v5, v4, vcc
	v_mov_b32_e32 v5, 0x3b800000
	v_lshlrev_b32_e32 v4, 20, v4
	v_and_b32_e32 v3, 0x80000000, v3
	v_lshl_add_u32 v5, v6, 23, v5
	v_or3_b32 v3, v3, v5, v4
	v_cvt_i32_f32_e32 v3, v3
.LBB23_912:
	s_or_b64 exec, exec, s[8:9]
.LBB23_913:
	s_mov_b64 s[8:9], -1
.LBB23_914:
	s_mov_b64 s[10:11], 0
.LBB23_915:
	s_and_b64 vcc, exec, s[10:11]
	s_cbranch_vccz .LBB23_946
; %bb.916:
	s_cmp_gt_i32 s12, 22
	s_cbranch_scc0 .LBB23_924
; %bb.917:
	s_cmp_lt_i32 s12, 24
	s_cbranch_scc1 .LBB23_927
; %bb.918:
	s_cmp_gt_i32 s12, 24
	s_cbranch_scc0 .LBB23_928
; %bb.919:
	global_load_ubyte v4, v[1:2], off
	s_movk_i32 s2, 0x7f
	s_mov_b64 s[8:9], 0
	s_waitcnt vmcnt(0)
	v_cmp_lt_i16_e32 vcc, s2, v4
	s_and_saveexec_b64 s[2:3], vcc
	s_xor_b64 s[2:3], exec, s[2:3]
	s_cbranch_execz .LBB23_940
; %bb.920:
	s_movk_i32 s8, 0x80
	v_cmp_ne_u16_e32 vcc, s8, v4
	s_and_b64 s[8:9], vcc, exec
	s_andn2_saveexec_b64 s[2:3], s[2:3]
	s_cbranch_execnz .LBB23_941
.LBB23_921:
	s_or_b64 exec, exec, s[2:3]
	v_mov_b32_e32 v3, 0
	s_and_saveexec_b64 s[2:3], s[8:9]
	s_cbranch_execz .LBB23_923
.LBB23_922:
	v_lshlrev_b32_e32 v3, 24, v4
	v_and_b32_e32 v4, 0xffff, v4
	v_and_b32_e32 v5, 3, v4
	v_ffbh_u32_e32 v7, v5
	v_min_u32_e32 v7, 32, v7
	v_subrev_u32_e32 v8, 29, v7
	v_bfe_u32 v6, v4, 2, 5
	v_lshlrev_b32_e32 v4, v8, v4
	v_sub_u32_e32 v7, 30, v7
	v_and_b32_e32 v4, 3, v4
	v_cmp_eq_u32_e32 vcc, 0, v6
	v_cndmask_b32_e32 v6, v6, v7, vcc
	v_cndmask_b32_e32 v4, v5, v4, vcc
	v_mov_b32_e32 v5, 0x37800000
	v_lshlrev_b32_e32 v4, 21, v4
	v_and_b32_e32 v3, 0x80000000, v3
	v_lshl_add_u32 v5, v6, 23, v5
	v_or3_b32 v3, v3, v5, v4
	v_cvt_i32_f32_e32 v3, v3
.LBB23_923:
	s_or_b64 exec, exec, s[2:3]
	s_mov_b64 s[2:3], 0
	s_branch .LBB23_929
.LBB23_924:
	s_mov_b64 s[2:3], -1
                                        ; implicit-def: $vgpr3
	s_branch .LBB23_935
.LBB23_925:
	s_andn2_saveexec_b64 s[8:9], s[8:9]
	s_cbranch_execz .LBB23_910
.LBB23_926:
	v_cmp_ne_u16_e32 vcc, 0, v4
	s_andn2_b64 s[10:11], s[10:11], exec
	s_and_b64 s[14:15], vcc, exec
	s_or_b64 s[10:11], s[10:11], s[14:15]
	s_or_b64 exec, exec, s[8:9]
	v_mov_b32_e32 v3, 0
	s_and_saveexec_b64 s[8:9], s[10:11]
	s_cbranch_execnz .LBB23_911
	s_branch .LBB23_912
.LBB23_927:
	s_mov_b64 s[2:3], -1
                                        ; implicit-def: $vgpr3
	s_branch .LBB23_932
.LBB23_928:
	s_mov_b64 s[2:3], -1
                                        ; implicit-def: $vgpr3
.LBB23_929:
	s_and_b64 vcc, exec, s[2:3]
	s_cbranch_vccz .LBB23_931
; %bb.930:
	global_load_ubyte v3, v[1:2], off
	s_mov_b32 s2, 0x7f800000
	s_waitcnt vmcnt(0)
	v_lshlrev_b32_e32 v3, 24, v3
	v_and_b32_e32 v4, 0x7f000000, v3
	v_ffbh_u32_e32 v5, v4
	v_min_u32_e32 v5, 32, v5
	v_sub_u32_e64 v5, v5, 4 clamp
	v_lshlrev_b32_e32 v7, v5, v4
	v_lshlrev_b32_e32 v5, 23, v5
	v_lshrrev_b32_e32 v7, 4, v7
	v_add_u32_e32 v6, 0x1000000, v4
	v_sub_u32_e32 v5, v7, v5
	v_ashrrev_i32_e32 v6, 8, v6
	v_add_u32_e32 v5, 0x3c000000, v5
	v_and_or_b32 v5, v6, s2, v5
	v_cmp_ne_u32_e32 vcc, 0, v4
	v_cndmask_b32_e32 v4, 0, v5, vcc
	s_brev_b32 s2, 1
	v_and_or_b32 v3, v3, s2, v4
	v_cvt_i32_f32_e32 v3, v3
.LBB23_931:
	s_mov_b64 s[2:3], 0
.LBB23_932:
	s_andn2_b64 vcc, exec, s[2:3]
	s_cbranch_vccnz .LBB23_934
; %bb.933:
	global_load_ubyte v3, v[1:2], off
	s_movk_i32 s2, 0x7f00
	s_brev_b32 s3, 16
	s_waitcnt vmcnt(0)
	v_lshlrev_b16_e32 v4, 8, v3
	v_lshlrev_b32_e32 v3, 25, v3
	v_lshrrev_b32_e32 v5, 4, v3
	v_and_or_b32 v6, v4, s2, 0.5
	v_or_b32_e32 v5, 0x70000000, v5
	v_add_f32_e32 v6, -0.5, v6
	v_mul_f32_e32 v5, 0x7800000, v5
	v_cmp_gt_u32_e32 vcc, s3, v3
	v_bfe_i32 v4, v4, 0, 16
	v_cndmask_b32_e32 v3, v5, v6, vcc
	s_brev_b32 s2, 1
	v_and_or_b32 v3, v4, s2, v3
	v_cvt_i32_f32_e32 v3, v3
.LBB23_934:
	s_mov_b64 s[2:3], 0
	s_mov_b64 s[8:9], -1
.LBB23_935:
	s_andn2_b64 vcc, exec, s[2:3]
	s_mov_b64 s[2:3], 0
	s_cbranch_vccnz .LBB23_946
; %bb.936:
	s_cmp_gt_i32 s12, 14
	s_cbranch_scc0 .LBB23_939
; %bb.937:
	s_cmp_eq_u32 s12, 15
	s_cbranch_scc0 .LBB23_942
; %bb.938:
	global_load_ushort v3, v[1:2], off
	s_mov_b64 s[0:1], 0
	s_mov_b64 s[8:9], -1
	s_waitcnt vmcnt(0)
	v_lshlrev_b32_e32 v3, 16, v3
	v_cvt_i32_f32_e32 v3, v3
	s_branch .LBB23_943
.LBB23_939:
	s_mov_b64 s[10:11], -1
                                        ; implicit-def: $vgpr3
	s_branch .LBB23_944
.LBB23_940:
	s_andn2_saveexec_b64 s[2:3], s[2:3]
	s_cbranch_execz .LBB23_921
.LBB23_941:
	v_cmp_ne_u16_e32 vcc, 0, v4
	s_andn2_b64 s[8:9], s[8:9], exec
	s_and_b64 s[10:11], vcc, exec
	s_or_b64 s[8:9], s[8:9], s[10:11]
	s_or_b64 exec, exec, s[2:3]
	v_mov_b32_e32 v3, 0
	s_and_saveexec_b64 s[2:3], s[8:9]
	s_cbranch_execnz .LBB23_922
	s_branch .LBB23_923
.LBB23_942:
	s_mov_b64 s[0:1], -1
                                        ; implicit-def: $vgpr3
.LBB23_943:
	s_mov_b64 s[10:11], 0
.LBB23_944:
	s_and_b64 vcc, exec, s[10:11]
	s_cbranch_vccz .LBB23_946
; %bb.945:
	s_cmp_lg_u32 s12, 11
	s_cselect_b64 s[10:11], -1, 0
	s_andn2_b64 s[0:1], s[0:1], exec
	s_and_b64 s[10:11], s[10:11], exec
	s_mov_b64 s[2:3], -1
	s_or_b64 s[0:1], s[0:1], s[10:11]
.LBB23_946:
	s_mov_b64 s[12:13], 0
.LBB23_947:
	s_and_b64 s[10:11], s[8:9], exec
	s_and_b64 s[8:9], s[12:13], exec
	s_andn2_b64 s[12:13], s[68:69], exec
	s_and_b64 s[0:1], s[0:1], exec
	s_and_b64 s[2:3], s[2:3], exec
	s_or_b64 s[12:13], s[12:13], s[0:1]
.LBB23_948:
	s_or_b64 exec, exec, s[72:73]
	s_and_b64 s[0:1], s[2:3], exec
	s_andn2_b64 s[2:3], s[68:69], exec
	s_and_b64 s[12:13], s[12:13], exec
	s_and_b64 s[10:11], s[10:11], exec
	;; [unrolled: 1-line block ×3, first 2 shown]
	s_or_b64 s[68:69], s[2:3], s[12:13]
.LBB23_949:
	s_or_b64 exec, exec, s[66:67]
	s_andn2_b64 s[2:3], s[62:63], exec
	s_and_b64 s[12:13], s[70:71], exec
	s_or_b64 s[62:63], s[2:3], s[12:13]
	s_and_b64 s[2:3], s[0:1], exec
	s_andn2_b64 s[0:1], s[60:61], exec
	s_and_b64 s[12:13], s[68:69], exec
	s_and_b64 s[10:11], s[10:11], exec
	;; [unrolled: 1-line block ×3, first 2 shown]
	s_or_b64 s[60:61], s[0:1], s[12:13]
.LBB23_950:
	s_or_b64 exec, exec, s[64:65]
	s_andn2_b64 s[0:1], s[54:55], exec
	s_and_b64 s[12:13], s[62:63], exec
	s_or_b64 s[54:55], s[0:1], s[12:13]
	s_and_b64 s[0:1], s[10:11], exec
	s_and_b64 s[10:11], s[8:9], exec
	;; [unrolled: 1-line block ×3, first 2 shown]
	s_andn2_b64 s[2:3], s[56:57], exec
	s_and_b64 s[8:9], s[60:61], exec
	s_or_b64 s[56:57], s[2:3], s[8:9]
	s_or_b64 exec, exec, s[58:59]
	s_mov_b64 s[2:3], 0
	s_and_saveexec_b64 s[8:9], s[56:57]
	s_cbranch_execz .LBB23_286
.LBB23_951:
	s_mov_b64 s[2:3], exec
	s_andn2_b64 s[62:63], s[62:63], exec
	s_trap 2
	s_or_b64 exec, exec, s[8:9]
	s_and_saveexec_b64 s[8:9], s[62:63]
	s_xor_b64 s[8:9], exec, s[8:9]
	s_cbranch_execnz .LBB23_287
.LBB23_952:
	s_or_b64 exec, exec, s[8:9]
	s_and_saveexec_b64 s[8:9], s[10:11]
	s_cbranch_execz .LBB23_998
.LBB23_953:
	s_sext_i32_i16 s10, s76
	s_cmp_lt_i32 s10, 5
	s_cbranch_scc1 .LBB23_958
; %bb.954:
	s_cmp_lt_i32 s10, 8
	s_cbranch_scc1 .LBB23_959
; %bb.955:
	;; [unrolled: 3-line block ×3, first 2 shown]
	s_cmp_gt_i32 s10, 9
	s_cbranch_scc0 .LBB23_961
; %bb.957:
	global_load_dwordx2 v[3:4], v[1:2], off
	s_mov_b64 s[10:11], 0
	s_waitcnt vmcnt(0)
	v_cvt_i32_f64_e32 v3, v[3:4]
	s_branch .LBB23_962
.LBB23_958:
                                        ; implicit-def: $vgpr3
	s_branch .LBB23_979
.LBB23_959:
                                        ; implicit-def: $vgpr3
	s_branch .LBB23_968
.LBB23_960:
	s_mov_b64 s[10:11], -1
                                        ; implicit-def: $vgpr3
	s_branch .LBB23_965
.LBB23_961:
	s_mov_b64 s[10:11], -1
                                        ; implicit-def: $vgpr3
.LBB23_962:
	s_andn2_b64 vcc, exec, s[10:11]
	s_cbranch_vccnz .LBB23_964
; %bb.963:
	global_load_dword v3, v[1:2], off
	s_waitcnt vmcnt(0)
	v_cvt_i32_f32_e32 v3, v3
.LBB23_964:
	s_mov_b64 s[10:11], 0
.LBB23_965:
	s_andn2_b64 vcc, exec, s[10:11]
	s_cbranch_vccnz .LBB23_967
; %bb.966:
	global_load_dword v3, v[1:2], off
	s_waitcnt vmcnt(0)
	v_cvt_i16_f16_e32 v3, v3
.LBB23_967:
	s_cbranch_execnz .LBB23_978
.LBB23_968:
	s_sext_i32_i16 s10, s76
	s_cmp_lt_i32 s10, 6
	s_cbranch_scc1 .LBB23_971
; %bb.969:
	s_cmp_gt_i32 s10, 6
	s_cbranch_scc0 .LBB23_972
; %bb.970:
	global_load_dwordx2 v[3:4], v[1:2], off
	s_mov_b64 s[10:11], 0
	s_waitcnt vmcnt(0)
	v_cvt_i32_f64_e32 v3, v[3:4]
	s_branch .LBB23_973
.LBB23_971:
	s_mov_b64 s[10:11], -1
                                        ; implicit-def: $vgpr3
	s_branch .LBB23_976
.LBB23_972:
	s_mov_b64 s[10:11], -1
                                        ; implicit-def: $vgpr3
.LBB23_973:
	s_andn2_b64 vcc, exec, s[10:11]
	s_cbranch_vccnz .LBB23_975
; %bb.974:
	global_load_dword v3, v[1:2], off
	s_waitcnt vmcnt(0)
	v_cvt_i32_f32_e32 v3, v3
.LBB23_975:
	s_mov_b64 s[10:11], 0
.LBB23_976:
	s_andn2_b64 vcc, exec, s[10:11]
	s_cbranch_vccnz .LBB23_978
; %bb.977:
	global_load_ushort v3, v[1:2], off
	s_waitcnt vmcnt(0)
	v_cvt_i16_f16_e32 v3, v3
.LBB23_978:
	s_cbranch_execnz .LBB23_997
.LBB23_979:
	s_sext_i32_i16 s10, s76
	s_cmp_lt_i32 s10, 2
	s_cbranch_scc1 .LBB23_983
; %bb.980:
	s_cmp_lt_i32 s10, 3
	s_cbranch_scc1 .LBB23_984
; %bb.981:
	s_cmp_gt_i32 s10, 3
	s_cbranch_scc0 .LBB23_985
; %bb.982:
	global_load_dwordx2 v[3:4], v[1:2], off
	s_mov_b64 s[10:11], 0
	s_branch .LBB23_986
.LBB23_983:
                                        ; implicit-def: $vgpr3
	s_branch .LBB23_992
.LBB23_984:
	s_mov_b64 s[10:11], -1
                                        ; implicit-def: $vgpr3
	s_branch .LBB23_989
.LBB23_985:
	s_mov_b64 s[10:11], -1
                                        ; implicit-def: $vgpr3
.LBB23_986:
	s_andn2_b64 vcc, exec, s[10:11]
	s_cbranch_vccnz .LBB23_988
; %bb.987:
	global_load_dword v3, v[1:2], off
.LBB23_988:
	s_mov_b64 s[10:11], 0
.LBB23_989:
	s_andn2_b64 vcc, exec, s[10:11]
	s_cbranch_vccnz .LBB23_991
; %bb.990:
	global_load_ushort v3, v[1:2], off
.LBB23_991:
	s_cbranch_execnz .LBB23_997
.LBB23_992:
	s_sext_i32_i16 s10, s76
	s_cmp_gt_i32 s10, 0
	s_cbranch_scc0 .LBB23_994
; %bb.993:
	global_load_ubyte v3, v[1:2], off
	s_mov_b64 s[10:11], 0
	s_branch .LBB23_995
.LBB23_994:
	s_mov_b64 s[10:11], -1
                                        ; implicit-def: $vgpr3
.LBB23_995:
	s_andn2_b64 vcc, exec, s[10:11]
	s_cbranch_vccnz .LBB23_997
; %bb.996:
	global_load_ubyte v3, v[1:2], off
.LBB23_997:
	s_or_b64 s[0:1], s[0:1], exec
.LBB23_998:
	s_or_b64 exec, exec, s[8:9]
	s_mov_b64 s[14:15], 0
	s_mov_b64 s[12:13], 0
                                        ; implicit-def: $sgpr8_sgpr9
                                        ; implicit-def: $sgpr20
                                        ; implicit-def: $vgpr1_vgpr2
	s_and_saveexec_b64 s[10:11], s[0:1]
	s_cbranch_execz .LBB23_1003
; %bb.999:
	s_cmp_lt_i32 s44, 1
	s_mov_b64 s[0:1], 0
	s_cbranch_scc1 .LBB23_1006
; %bb.1000:
	s_cmp_gt_i32 s44, 1
	s_cbranch_scc0 .LBB23_1007
; %bb.1001:
	s_cmp_eq_u32 s44, 2
	s_cbranch_scc0 .LBB23_1008
; %bb.1002:
	s_waitcnt vmcnt(0)
	v_cmp_le_i16_sdwa s[8:9], sext(v3), s45 src0_sel:BYTE_0 src1_sel:DWORD
	s_branch .LBB23_1010
.LBB23_1003:
	s_or_b64 exec, exec, s[10:11]
	s_and_saveexec_b64 s[0:1], s[54:55]
	s_cbranch_execnz .LBB23_1095
.LBB23_1004:
	s_or_b64 exec, exec, s[0:1]
	s_and_saveexec_b64 s[0:1], s[14:15]
	s_xor_b64 s[0:1], exec, s[0:1]
	s_cbranch_execz .LBB23_1096
.LBB23_1005:
	v_cndmask_b32_e64 v0, 0, 1, s[8:9]
	global_store_byte v[1:2], v0, off
	s_or_b64 exec, exec, s[0:1]
	s_and_saveexec_b64 s[0:1], s[12:13]
	s_xor_b64 s[0:1], exec, s[0:1]
	s_cbranch_execz .LBB23_1134
	s_branch .LBB23_1097
.LBB23_1006:
                                        ; implicit-def: $sgpr8_sgpr9
	s_cbranch_execnz .LBB23_1013
	s_branch .LBB23_1014
.LBB23_1007:
	s_mov_b64 s[14:15], -1
	s_branch .LBB23_1009
.LBB23_1008:
	s_mov_b64 s[12:13], -1
.LBB23_1009:
                                        ; implicit-def: $sgpr8_sgpr9
.LBB23_1010:
	s_and_b64 vcc, exec, s[14:15]
	s_cbranch_vccz .LBB23_1012
; %bb.1011:
	s_waitcnt vmcnt(0)
	v_cmp_gt_i16_sdwa s[14:15], sext(v3), s45 src0_sel:BYTE_0 src1_sel:DWORD
	s_andn2_b64 s[8:9], s[8:9], exec
	s_and_b64 s[14:15], s[14:15], exec
	s_or_b64 s[8:9], s[8:9], s[14:15]
.LBB23_1012:
	s_branch .LBB23_1014
.LBB23_1013:
	s_cmp_lg_u32 s44, 0
	s_mov_b64 s[0:1], -1
	s_cselect_b64 s[12:13], -1, 0
.LBB23_1014:
	s_andn2_b64 vcc, exec, s[12:13]
	s_cbranch_vccnz .LBB23_1016
; %bb.1015:
	s_waitcnt vmcnt(0)
	v_cmp_lt_i16_sdwa s[12:13], sext(v3), s45 src0_sel:BYTE_0 src1_sel:DWORD
	s_andn2_b64 s[8:9], s[8:9], exec
	s_and_b64 s[12:13], s[12:13], exec
	s_or_b64 s[8:9], s[8:9], s[12:13]
	s_cbranch_execz .LBB23_1017
	s_branch .LBB23_1018
.LBB23_1016:
	s_andn2_b64 vcc, exec, s[0:1]
	s_cbranch_vccnz .LBB23_1018
.LBB23_1017:
	s_waitcnt vmcnt(0)
	v_cmp_ge_i16_sdwa s[0:1], sext(v3), s45 src0_sel:BYTE_0 src1_sel:DWORD
	s_andn2_b64 s[8:9], s[8:9], exec
	s_and_b64 s[0:1], s[0:1], exec
	s_or_b64 s[8:9], s[8:9], s[0:1]
.LBB23_1018:
	v_mov_b32_e32 v2, s25
	s_and_b32 s20, s75, 0xff
	v_add_co_u32_e32 v1, vcc, s24, v0
	s_cmp_lt_i32 s20, 11
	v_addc_co_u32_e32 v2, vcc, 0, v2, vcc
	s_cbranch_scc1 .LBB23_1092
; %bb.1019:
	s_and_b32 s21, 0xffff, s20
	s_mov_b64 s[14:15], -1
	s_cmp_gt_i32 s21, 25
	s_mov_b64 s[0:1], s[54:55]
	s_cbranch_scc0 .LBB23_1052
; %bb.1020:
	s_mov_b64 s[12:13], -1
	s_cmp_gt_i32 s21, 28
	s_mov_b64 s[0:1], s[54:55]
	s_cbranch_scc0 .LBB23_1036
; %bb.1021:
	s_cmp_gt_i32 s21, 43
	s_mov_b64 s[0:1], s[54:55]
	s_cbranch_scc0 .LBB23_1032
; %bb.1022:
	;; [unrolled: 4-line block ×3, first 2 shown]
	s_cmp_eq_u32 s21, 46
	s_mov_b64 s[0:1], -1
	s_cbranch_scc0 .LBB23_1025
; %bb.1024:
	v_cndmask_b32_e64 v0, 0, 1.0, s[8:9]
	s_waitcnt vmcnt(0)
	v_bfe_u32 v3, v0, 16, 1
	s_movk_i32 s0, 0x7fff
	v_add3_u32 v0, v0, v3, s0
	v_lshrrev_b32_e32 v0, 16, v0
	global_store_dword v[1:2], v0, off
	s_mov_b64 s[0:1], 0
.LBB23_1025:
	s_mov_b64 s[12:13], 0
.LBB23_1026:
	s_and_b64 vcc, exec, s[12:13]
	s_cbranch_vccz .LBB23_1031
; %bb.1027:
	s_cmp_eq_u32 s21, 44
	s_mov_b64 s[0:1], -1
	s_cbranch_scc0 .LBB23_1031
; %bb.1028:
	s_waitcnt vmcnt(0)
	v_cndmask_b32_e64 v3, 0, 1.0, s[8:9]
	v_lshrrev_b32_e32 v0, 23, v3
	s_movk_i32 s0, 0xff
	v_cmp_ne_u32_e32 vcc, s0, v0
	v_mov_b32_e32 v4, 0xff
	s_and_saveexec_b64 s[12:13], vcc
; %bb.1029:
	s_mov_b32 s0, 0x3fffff
	v_and_b32_e32 v4, 0x400000, v3
	v_and_or_b32 v3, v3, s0, v0
	v_cmp_ne_u32_e32 vcc, 0, v4
	v_cmp_ne_u32_e64 s[0:1], 0, v3
	s_and_b64 s[0:1], vcc, s[0:1]
	v_cndmask_b32_e64 v3, 0, 1, s[0:1]
	v_add_u32_e32 v4, v0, v3
; %bb.1030:
	s_or_b64 exec, exec, s[12:13]
	s_mov_b64 s[0:1], 0
	global_store_byte v[1:2], v4, off
.LBB23_1031:
	s_mov_b64 s[12:13], 0
.LBB23_1032:
	s_and_b64 vcc, exec, s[12:13]
	s_cbranch_vccz .LBB23_1035
; %bb.1033:
	s_cmp_eq_u32 s21, 29
	s_mov_b64 s[0:1], -1
	s_cbranch_scc0 .LBB23_1035
; %bb.1034:
	s_mov_b32 s0, 0
	s_waitcnt vmcnt(0)
	v_cndmask_b32_e64 v3, 0, 1, s[8:9]
	v_mov_b32_e32 v4, s0
	global_store_dwordx2 v[1:2], v[3:4], off
	s_mov_b64 s[0:1], 0
.LBB23_1035:
	s_mov_b64 s[12:13], 0
.LBB23_1036:
	s_and_b64 vcc, exec, s[12:13]
	s_cbranch_vccz .LBB23_1051
; %bb.1037:
	s_cmp_lt_i32 s21, 27
	s_mov_b64 s[12:13], -1
	s_cbranch_scc1 .LBB23_1043
; %bb.1038:
	s_cmp_gt_i32 s21, 27
	s_cbranch_scc0 .LBB23_1040
; %bb.1039:
	v_cndmask_b32_e64 v0, 0, 1, s[8:9]
	s_mov_b64 s[12:13], 0
	global_store_dword v[1:2], v0, off
.LBB23_1040:
	s_andn2_b64 vcc, exec, s[12:13]
	s_cbranch_vccnz .LBB23_1042
; %bb.1041:
	v_cndmask_b32_e64 v0, 0, 1, s[8:9]
	global_store_short v[1:2], v0, off
.LBB23_1042:
	s_mov_b64 s[12:13], 0
.LBB23_1043:
	s_andn2_b64 vcc, exec, s[12:13]
	s_cbranch_vccnz .LBB23_1051
; %bb.1044:
	s_waitcnt vmcnt(0)
	v_cndmask_b32_e64 v3, 0, 1.0, s[8:9]
	s_mov_b32 s12, 0x43800000
	v_cmp_gt_u32_e32 vcc, s12, v3
	v_mov_b32_e32 v4, 0x80
	s_and_saveexec_b64 s[12:13], vcc
	s_cbranch_execz .LBB23_1050
; %bb.1045:
	s_mov_b32 s14, 0x3bffffff
	v_cmp_lt_u32_e32 vcc, s14, v3
	s_mov_b64 s[14:15], 0
                                        ; implicit-def: $vgpr0
	s_and_saveexec_b64 s[16:17], vcc
	s_xor_b64 s[16:17], exec, s[16:17]
	s_cbranch_execz .LBB23_1205
; %bb.1046:
	v_bfe_u32 v0, v3, 20, 1
	s_mov_b32 s18, 0x487ffff
	v_add3_u32 v0, v3, v0, s18
	s_mov_b64 s[14:15], exec
	v_lshrrev_b32_e32 v0, 20, v0
                                        ; implicit-def: $vgpr3
	s_andn2_saveexec_b64 s[16:17], s[16:17]
	s_cbranch_execnz .LBB23_1206
.LBB23_1047:
	s_or_b64 exec, exec, s[16:17]
	v_mov_b32_e32 v4, 0
	s_and_saveexec_b64 s[16:17], s[14:15]
.LBB23_1048:
	v_mov_b32_e32 v4, v0
.LBB23_1049:
	s_or_b64 exec, exec, s[16:17]
.LBB23_1050:
	s_or_b64 exec, exec, s[12:13]
	global_store_byte v[1:2], v4, off
.LBB23_1051:
	s_mov_b64 s[14:15], 0
.LBB23_1052:
	s_mov_b64 s[12:13], 0
	s_and_b64 vcc, exec, s[14:15]
	s_cbranch_vccz .LBB23_1093
; %bb.1053:
	s_cmp_gt_i32 s21, 22
	s_mov_b64 s[14:15], -1
	s_cbranch_scc0 .LBB23_1085
; %bb.1054:
	s_cmp_lt_i32 s21, 24
	s_cbranch_scc1 .LBB23_1074
; %bb.1055:
	s_cmp_gt_i32 s21, 24
	s_cbranch_scc0 .LBB23_1063
; %bb.1056:
	s_waitcnt vmcnt(0)
	v_cndmask_b32_e64 v3, 0, 1.0, s[8:9]
	s_mov_b32 s14, 0x47800000
	v_cmp_gt_u32_e32 vcc, s14, v3
	v_mov_b32_e32 v4, 0x80
	s_and_saveexec_b64 s[14:15], vcc
	s_cbranch_execz .LBB23_1062
; %bb.1057:
	s_mov_b32 s16, 0x37ffffff
	v_cmp_lt_u32_e32 vcc, s16, v3
	s_mov_b64 s[16:17], 0
                                        ; implicit-def: $vgpr0
	s_and_saveexec_b64 s[18:19], vcc
	s_xor_b64 s[18:19], exec, s[18:19]
	s_cbranch_execz .LBB23_1340
; %bb.1058:
	v_bfe_u32 v0, v3, 21, 1
	s_mov_b32 s22, 0x88fffff
	v_add3_u32 v0, v3, v0, s22
	s_mov_b64 s[16:17], exec
	v_lshrrev_b32_e32 v0, 21, v0
                                        ; implicit-def: $vgpr3
	s_andn2_saveexec_b64 s[18:19], s[18:19]
	s_cbranch_execnz .LBB23_1341
.LBB23_1059:
	s_or_b64 exec, exec, s[18:19]
	v_mov_b32_e32 v4, 0
	s_and_saveexec_b64 s[18:19], s[16:17]
.LBB23_1060:
	v_mov_b32_e32 v4, v0
.LBB23_1061:
	s_or_b64 exec, exec, s[18:19]
.LBB23_1062:
	s_or_b64 exec, exec, s[14:15]
	s_mov_b64 s[14:15], 0
	global_store_byte v[1:2], v4, off
.LBB23_1063:
	s_and_b64 vcc, exec, s[14:15]
	s_cbranch_vccz .LBB23_1073
; %bb.1064:
	v_cndmask_b32_e64 v0, 0, 1.0, s[8:9]
	s_mov_b32 s14, 0x43f00000
	v_cmp_gt_u32_e32 vcc, s14, v0
                                        ; implicit-def: $vgpr3
	s_and_saveexec_b64 s[14:15], vcc
	s_xor_b64 s[14:15], exec, s[14:15]
	s_cbranch_execz .LBB23_1070
; %bb.1065:
	s_mov_b32 s16, 0x3c7fffff
	v_cmp_lt_u32_e32 vcc, s16, v0
                                        ; implicit-def: $vgpr3
	s_and_saveexec_b64 s[16:17], vcc
	s_xor_b64 s[16:17], exec, s[16:17]
	s_cbranch_execz .LBB23_1067
; %bb.1066:
	s_waitcnt vmcnt(0)
	v_bfe_u32 v3, v0, 20, 1
	s_mov_b32 s18, 0x407ffff
	v_add3_u32 v0, v0, v3, s18
	v_lshrrev_b32_e32 v3, 20, v0
	v_and_b32_e32 v0, 0xff00000, v0
	s_mov_b32 s18, 0x7f00000
	v_mov_b32_e32 v4, 0x7e
	v_cmp_ne_u32_e32 vcc, s18, v0
	v_cndmask_b32_e32 v3, v4, v3, vcc
                                        ; implicit-def: $vgpr0
.LBB23_1067:
	s_andn2_saveexec_b64 s[16:17], s[16:17]
	s_cbranch_execz .LBB23_1069
; %bb.1068:
	s_waitcnt vmcnt(0)
	v_add_f32_e32 v3, 0x46800000, v0
.LBB23_1069:
	s_or_b64 exec, exec, s[16:17]
                                        ; implicit-def: $vgpr0
.LBB23_1070:
	s_andn2_saveexec_b64 s[14:15], s[14:15]
	s_cbranch_execz .LBB23_1072
; %bb.1071:
	s_mov_b32 s16, 0x7f800000
	s_waitcnt vmcnt(0)
	v_mov_b32_e32 v3, 0x7e
	v_mov_b32_e32 v4, 0x7f
	v_cmp_lt_u32_e32 vcc, s16, v0
	v_cndmask_b32_e32 v3, v3, v4, vcc
.LBB23_1072:
	s_or_b64 exec, exec, s[14:15]
	s_waitcnt vmcnt(0)
	global_store_byte v[1:2], v3, off
.LBB23_1073:
	s_mov_b64 s[14:15], 0
.LBB23_1074:
	s_andn2_b64 vcc, exec, s[14:15]
	s_cbranch_vccnz .LBB23_1084
; %bb.1075:
	v_cndmask_b32_e64 v0, 0, 1.0, s[8:9]
	s_mov_b32 s14, 0x47800000
	v_cmp_gt_u32_e32 vcc, s14, v0
                                        ; implicit-def: $vgpr3
	s_and_saveexec_b64 s[14:15], vcc
	s_xor_b64 s[14:15], exec, s[14:15]
	s_cbranch_execz .LBB23_1081
; %bb.1076:
	s_mov_b32 s16, 0x387fffff
	v_cmp_lt_u32_e32 vcc, s16, v0
                                        ; implicit-def: $vgpr3
	s_and_saveexec_b64 s[16:17], vcc
	s_xor_b64 s[16:17], exec, s[16:17]
	s_cbranch_execz .LBB23_1078
; %bb.1077:
	s_waitcnt vmcnt(0)
	v_bfe_u32 v3, v0, 21, 1
	s_mov_b32 s18, 0x80fffff
	v_add3_u32 v0, v0, v3, s18
	v_lshrrev_b32_e32 v3, 21, v0
                                        ; implicit-def: $vgpr0
.LBB23_1078:
	s_andn2_saveexec_b64 s[16:17], s[16:17]
	s_cbranch_execz .LBB23_1080
; %bb.1079:
	s_waitcnt vmcnt(0)
	v_add_f32_e32 v3, 0x43000000, v0
.LBB23_1080:
	s_or_b64 exec, exec, s[16:17]
                                        ; implicit-def: $vgpr0
.LBB23_1081:
	s_andn2_saveexec_b64 s[14:15], s[14:15]
	s_cbranch_execz .LBB23_1083
; %bb.1082:
	s_mov_b32 s16, 0x7f800000
	s_waitcnt vmcnt(0)
	v_mov_b32_e32 v3, 0x7c
	v_mov_b32_e32 v4, 0x7f
	v_cmp_lt_u32_e32 vcc, s16, v0
	v_cndmask_b32_e32 v3, v3, v4, vcc
.LBB23_1083:
	s_or_b64 exec, exec, s[14:15]
	s_waitcnt vmcnt(0)
	global_store_byte v[1:2], v3, off
.LBB23_1084:
	s_mov_b64 s[14:15], 0
.LBB23_1085:
	s_andn2_b64 vcc, exec, s[14:15]
	s_mov_b64 s[14:15], 0
	s_cbranch_vccnz .LBB23_1094
; %bb.1086:
	s_cmp_gt_i32 s21, 14
	s_mov_b64 s[16:17], -1
	s_cbranch_scc0 .LBB23_1090
; %bb.1087:
	s_cmp_eq_u32 s21, 15
	s_mov_b64 s[0:1], -1
	s_cbranch_scc0 .LBB23_1089
; %bb.1088:
	v_cndmask_b32_e64 v0, 0, 1.0, s[8:9]
	s_waitcnt vmcnt(0)
	v_bfe_u32 v3, v0, 16, 1
	s_movk_i32 s0, 0x7fff
	v_add3_u32 v0, v0, v3, s0
	global_store_short_d16_hi v[1:2], v0, off
	s_mov_b64 s[0:1], 0
.LBB23_1089:
	s_mov_b64 s[16:17], 0
.LBB23_1090:
	s_and_b64 vcc, exec, s[16:17]
	s_cbranch_vccz .LBB23_1094
; %bb.1091:
	s_cmp_lg_u32 s21, 11
	s_cselect_b64 s[16:17], -1, 0
	s_andn2_b64 s[0:1], s[0:1], exec
	s_and_b64 s[16:17], s[16:17], exec
	s_mov_b64 s[14:15], -1
	s_or_b64 s[0:1], s[0:1], s[16:17]
	s_branch .LBB23_1094
.LBB23_1092:
	s_mov_b64 s[14:15], 0
	s_mov_b64 s[12:13], -1
	s_mov_b64 s[0:1], s[54:55]
	s_branch .LBB23_1094
.LBB23_1093:
	s_mov_b64 s[14:15], 0
.LBB23_1094:
	s_andn2_b64 s[16:17], s[54:55], exec
	s_and_b64 s[0:1], s[0:1], exec
	s_and_b64 s[12:13], s[12:13], exec
	;; [unrolled: 1-line block ×3, first 2 shown]
	s_or_b64 s[54:55], s[16:17], s[0:1]
	s_or_b64 exec, exec, s[10:11]
	s_and_saveexec_b64 s[0:1], s[54:55]
	s_cbranch_execz .LBB23_1004
.LBB23_1095:
	s_or_b64 s[2:3], s[2:3], exec
	s_andn2_b64 s[14:15], s[14:15], exec
	s_trap 2
	s_or_b64 exec, exec, s[0:1]
	s_and_saveexec_b64 s[0:1], s[14:15]
	s_xor_b64 s[0:1], exec, s[0:1]
	s_cbranch_execnz .LBB23_1005
.LBB23_1096:
	s_or_b64 exec, exec, s[0:1]
	s_and_saveexec_b64 s[0:1], s[12:13]
	s_xor_b64 s[0:1], exec, s[0:1]
	s_cbranch_execz .LBB23_1134
.LBB23_1097:
	s_sext_i32_i16 s12, s20
	s_cmp_lt_i32 s12, 5
	s_mov_b64 s[10:11], -1
	s_cbranch_scc1 .LBB23_1118
; %bb.1098:
	s_cmp_lt_i32 s12, 8
	s_cbranch_scc1 .LBB23_1108
; %bb.1099:
	s_cmp_lt_i32 s12, 9
	s_cbranch_scc1 .LBB23_1105
; %bb.1100:
	s_cmp_gt_i32 s12, 9
	s_cbranch_scc0 .LBB23_1102
; %bb.1101:
	v_cndmask_b32_e64 v0, 0, 1, s[8:9]
	s_waitcnt vmcnt(0)
	v_cvt_f64_u32_e32 v[3:4], v0
	v_mov_b32_e32 v5, 0
	v_mov_b32_e32 v6, v5
	s_mov_b64 s[10:11], 0
	global_store_dwordx4 v[1:2], v[3:6], off
.LBB23_1102:
	s_andn2_b64 vcc, exec, s[10:11]
	s_cbranch_vccnz .LBB23_1104
; %bb.1103:
	s_waitcnt vmcnt(0)
	v_cndmask_b32_e64 v3, 0, 1.0, s[8:9]
	v_mov_b32_e32 v4, 0
	global_store_dwordx2 v[1:2], v[3:4], off
.LBB23_1104:
	s_mov_b64 s[10:11], 0
.LBB23_1105:
	s_andn2_b64 vcc, exec, s[10:11]
	s_cbranch_vccnz .LBB23_1107
; %bb.1106:
	v_cndmask_b32_e64 v0, 0, 1.0, s[8:9]
	v_cvt_f16_f32_e32 v0, v0
	global_store_dword v[1:2], v0, off
.LBB23_1107:
	s_mov_b64 s[10:11], 0
.LBB23_1108:
	s_andn2_b64 vcc, exec, s[10:11]
	s_cbranch_vccnz .LBB23_1117
; %bb.1109:
	s_sext_i32_i16 s12, s20
	s_cmp_lt_i32 s12, 6
	s_mov_b64 s[10:11], -1
	s_cbranch_scc1 .LBB23_1115
; %bb.1110:
	s_cmp_gt_i32 s12, 6
	s_cbranch_scc0 .LBB23_1112
; %bb.1111:
	v_cndmask_b32_e64 v0, 0, 1, s[8:9]
	s_waitcnt vmcnt(0)
	v_cvt_f64_u32_e32 v[3:4], v0
	s_mov_b64 s[10:11], 0
	global_store_dwordx2 v[1:2], v[3:4], off
.LBB23_1112:
	s_andn2_b64 vcc, exec, s[10:11]
	s_cbranch_vccnz .LBB23_1114
; %bb.1113:
	v_cndmask_b32_e64 v0, 0, 1.0, s[8:9]
	global_store_dword v[1:2], v0, off
.LBB23_1114:
	s_mov_b64 s[10:11], 0
.LBB23_1115:
	s_andn2_b64 vcc, exec, s[10:11]
	s_cbranch_vccnz .LBB23_1117
; %bb.1116:
	v_cndmask_b32_e64 v0, 0, 1.0, s[8:9]
	v_cvt_f16_f32_e32 v0, v0
	global_store_short v[1:2], v0, off
.LBB23_1117:
	s_mov_b64 s[10:11], 0
.LBB23_1118:
	s_andn2_b64 vcc, exec, s[10:11]
	s_cbranch_vccnz .LBB23_1134
; %bb.1119:
	s_sext_i32_i16 s12, s20
	s_cmp_lt_i32 s12, 2
	s_mov_b64 s[10:11], -1
	s_cbranch_scc1 .LBB23_1129
; %bb.1120:
	s_cmp_lt_i32 s12, 3
	s_cbranch_scc1 .LBB23_1126
; %bb.1121:
	s_cmp_gt_i32 s12, 3
	s_cbranch_scc0 .LBB23_1123
; %bb.1122:
	s_mov_b32 s10, 0
	s_waitcnt vmcnt(0)
	v_cndmask_b32_e64 v3, 0, 1, s[8:9]
	v_mov_b32_e32 v4, s10
	s_mov_b64 s[10:11], 0
	global_store_dwordx2 v[1:2], v[3:4], off
.LBB23_1123:
	s_andn2_b64 vcc, exec, s[10:11]
	s_cbranch_vccnz .LBB23_1125
; %bb.1124:
	v_cndmask_b32_e64 v0, 0, 1, s[8:9]
	global_store_dword v[1:2], v0, off
.LBB23_1125:
	s_mov_b64 s[10:11], 0
.LBB23_1126:
	s_andn2_b64 vcc, exec, s[10:11]
	s_cbranch_vccnz .LBB23_1128
; %bb.1127:
	v_cndmask_b32_e64 v0, 0, 1, s[8:9]
	global_store_short v[1:2], v0, off
.LBB23_1128:
	s_mov_b64 s[10:11], 0
.LBB23_1129:
	s_andn2_b64 vcc, exec, s[10:11]
	s_cbranch_vccnz .LBB23_1134
; %bb.1130:
	s_sext_i32_i16 s10, s20
	s_cmp_gt_i32 s10, 0
	s_mov_b64 s[10:11], -1
	s_cbranch_scc0 .LBB23_1132
; %bb.1131:
	v_cndmask_b32_e64 v0, 0, 1, s[8:9]
	s_mov_b64 s[10:11], 0
	global_store_byte v[1:2], v0, off
.LBB23_1132:
	s_andn2_b64 vcc, exec, s[10:11]
	s_cbranch_vccnz .LBB23_1134
; %bb.1133:
	v_cndmask_b32_e64 v0, 0, 1, s[8:9]
	global_store_byte v[1:2], v0, off
.LBB23_1134:
	s_or_b64 exec, exec, s[0:1]
	s_and_b64 s[28:29], s[2:3], exec
                                        ; implicit-def: $vgpr15
                                        ; implicit-def: $vgpr8
.LBB23_1135:
	s_or_saveexec_b64 s[30:31], s[42:43]
	s_mov_b64 s[0:1], 0
                                        ; implicit-def: $sgpr10_sgpr11
                                        ; implicit-def: $vgpr0_vgpr1
                                        ; implicit-def: $sgpr22
	s_xor_b64 exec, exec, s[30:31]
	s_cbranch_execz .LBB23_1741
; %bb.1136:
	v_cndmask_b32_e64 v0, 0, 1, s[40:41]
	v_cmp_ne_u32_e64 s[0:1], 1, v0
	s_andn2_b64 vcc, exec, s[40:41]
	s_cbranch_vccnz .LBB23_1142
; %bb.1137:
	s_cmp_lg_u32 s33, 0
	s_mov_b32 s36, 0
	s_cbranch_scc0 .LBB23_1143
; %bb.1138:
	s_min_u32 s37, s74, 15
	s_add_i32 s37, s37, 1
	s_cmp_eq_u32 s74, 2
	s_cbranch_scc1 .LBB23_1144
; %bb.1139:
	s_and_b32 s36, s37, 28
	s_add_u32 s2, s34, 0xc4
	s_addc_u32 s3, s35, 0
	v_mov_b32_e32 v13, 0
	s_mov_b32 s38, 0
	s_mov_b64 s[6:7], s[34:35]
	v_mov_b32_e32 v6, 0
	v_mov_b32_e32 v0, v8
.LBB23_1140:                            ; =>This Inner Loop Header: Depth=1
	s_load_dwordx8 s[16:23], s[6:7], 0x4
	s_load_dwordx4 s[24:27], s[6:7], 0x24
	s_load_dwordx8 s[8:15], s[2:3], 0x0
	s_add_u32 s6, s6, 48
	s_addc_u32 s7, s7, 0
	s_waitcnt lgkmcnt(0)
	v_mul_hi_u32 v1, s17, v0
	s_add_i32 s38, s38, 4
	s_add_u32 s2, s2, 32
	s_addc_u32 s3, s3, 0
	v_add_u32_e32 v1, v0, v1
	v_lshrrev_b32_e32 v1, s18, v1
	v_mul_lo_u32 v2, v1, s16
	s_waitcnt vmcnt(0)
	v_mul_hi_u32 v3, s20, v1
	s_cmp_lg_u32 s36, s38
	v_sub_u32_e32 v0, v0, v2
	v_add_u32_e32 v2, v1, v3
	v_mul_lo_u32 v3, v0, s8
	v_mul_lo_u32 v4, v0, s9
	v_lshrrev_b32_e32 v0, s21, v2
	v_mul_lo_u32 v2, v0, s19
	v_mul_hi_u32 v5, s23, v0
	v_sub_u32_e32 v1, v1, v2
	v_add_u32_e32 v2, v0, v5
	v_lshrrev_b32_e32 v2, s24, v2
	v_mul_hi_u32 v7, s26, v2
	v_mul_lo_u32 v9, v2, s22
	v_mul_lo_u32 v5, v1, s10
	;; [unrolled: 1-line block ×3, first 2 shown]
	v_sub_u32_e32 v9, v0, v9
	v_add_u32_e32 v0, v2, v7
	v_lshrrev_b32_e32 v0, s27, v0
	v_mul_lo_u32 v7, v0, s25
	v_mul_lo_u32 v10, v9, s12
	v_mul_lo_u32 v9, v9, s13
	v_add3_u32 v3, v3, v6, v5
	v_sub_u32_e32 v2, v2, v7
	v_mul_lo_u32 v7, v2, s14
	v_mul_lo_u32 v2, v2, s15
	v_add3_u32 v1, v4, v13, v1
	v_add3_u32 v6, v10, v3, v7
	;; [unrolled: 1-line block ×3, first 2 shown]
	s_cbranch_scc1 .LBB23_1140
; %bb.1141:
	s_and_b32 s8, s37, 3
	s_cmp_eq_u32 s8, 0
	s_cbranch_scc0 .LBB23_1145
	s_branch .LBB23_1147
.LBB23_1142:
                                        ; implicit-def: $vgpr6
                                        ; implicit-def: $vgpr13
	s_branch .LBB23_1148
.LBB23_1143:
	v_mov_b32_e32 v6, 0
	v_mov_b32_e32 v13, 0
	s_branch .LBB23_1147
.LBB23_1144:
	v_mov_b32_e32 v6, 0
	v_mov_b32_e32 v13, 0
	;; [unrolled: 1-line block ×3, first 2 shown]
	s_and_b32 s8, s37, 3
	s_cmp_eq_u32 s8, 0
	s_cbranch_scc1 .LBB23_1147
.LBB23_1145:
	s_lshl_b32 s2, s36, 3
	s_add_u32 s2, s34, s2
	s_addc_u32 s3, s35, 0
	s_add_u32 s2, s2, 0xc4
	s_addc_u32 s3, s3, 0
	s_mul_i32 s6, s36, 12
	s_add_u32 s6, s34, s6
	s_addc_u32 s7, s35, 0
.LBB23_1146:                            ; =>This Inner Loop Header: Depth=1
	s_load_dwordx2 s[10:11], s[6:7], 0x4
	s_load_dword s9, s[6:7], 0xc
	s_load_dwordx2 s[12:13], s[2:3], 0x0
	s_add_u32 s6, s6, 12
	s_addc_u32 s7, s7, 0
	s_waitcnt lgkmcnt(0)
	v_mul_hi_u32 v1, s11, v0
	s_add_u32 s2, s2, 8
	s_addc_u32 s3, s3, 0
	s_add_i32 s8, s8, -1
	v_add_u32_e32 v1, v0, v1
	v_lshrrev_b32_e32 v1, s9, v1
	v_mul_lo_u32 v2, v1, s10
	s_cmp_lg_u32 s8, 0
	v_sub_u32_e32 v0, v0, v2
	v_mad_u64_u32 v[6:7], s[10:11], v0, s12, v[6:7]
	v_mad_u64_u32 v[13:14], s[10:11], v0, s13, v[13:14]
	v_mov_b32_e32 v0, v1
	s_cbranch_scc1 .LBB23_1146
.LBB23_1147:
	s_cbranch_execnz .LBB23_1150
.LBB23_1148:
	s_load_dwordx4 s[8:11], s[34:35], 0x4
	s_load_dwordx2 s[2:3], s[34:35], 0xc4
	s_cmp_lt_u32 s33, 2
	s_waitcnt lgkmcnt(0)
	v_mul_hi_u32 v0, s9, v8
	v_add_u32_e32 v0, v8, v0
	v_lshrrev_b32_e32 v0, s10, v0
	v_mul_lo_u32 v1, v0, s8
	v_sub_u32_e32 v1, v8, v1
	v_mul_lo_u32 v6, v1, s2
	v_mul_lo_u32 v13, v1, s3
	s_cbranch_scc1 .LBB23_1150
; %bb.1149:
	s_load_dwordx4 s[8:11], s[34:35], 0x10
	s_load_dwordx2 s[2:3], s[34:35], 0xcc
	s_waitcnt lgkmcnt(0)
	v_mul_hi_u32 v1, s9, v0
	v_add_u32_e32 v1, v0, v1
	v_lshrrev_b32_e32 v1, s10, v1
	v_mul_lo_u32 v1, v1, s8
	v_sub_u32_e32 v0, v0, v1
	v_mad_u64_u32 v[6:7], s[6:7], v0, s2, v[6:7]
	v_mad_u64_u32 v[13:14], s[2:3], v0, s3, v[13:14]
.LBB23_1150:
	s_and_b64 vcc, exec, s[0:1]
	v_add_u32_e32 v0, 0x80, v8
	s_cbranch_vccnz .LBB23_1156
; %bb.1151:
	s_cmp_lg_u32 s33, 0
	s_mov_b32 s36, 0
	s_cbranch_scc0 .LBB23_1157
; %bb.1152:
	s_min_u32 s37, s74, 15
	s_add_i32 s37, s37, 1
	s_cmp_eq_u32 s74, 2
	s_cbranch_scc1 .LBB23_1158
; %bb.1153:
	s_and_b32 s36, s37, 28
	s_add_u32 s2, s34, 0xc4
	s_addc_u32 s3, s35, 0
	v_mov_b32_e32 v11, 0
	s_mov_b32 s38, 0
	s_mov_b64 s[6:7], s[34:35]
	s_waitcnt vmcnt(0)
	v_mov_b32_e32 v4, 0
	v_mov_b32_e32 v1, v0
.LBB23_1154:                            ; =>This Inner Loop Header: Depth=1
	s_load_dwordx8 s[16:23], s[6:7], 0x4
	s_load_dwordx4 s[24:27], s[6:7], 0x24
	s_load_dwordx8 s[8:15], s[2:3], 0x0
	s_add_u32 s6, s6, 48
	s_addc_u32 s7, s7, 0
	s_waitcnt lgkmcnt(0)
	v_mul_hi_u32 v2, s17, v1
	s_add_i32 s38, s38, 4
	s_add_u32 s2, s2, 32
	s_addc_u32 s3, s3, 0
	v_add_u32_e32 v2, v1, v2
	v_lshrrev_b32_e32 v2, s18, v2
	v_mul_lo_u32 v3, v2, s16
	v_mul_hi_u32 v5, s20, v2
	s_cmp_lg_u32 s36, s38
	v_sub_u32_e32 v1, v1, v3
	v_add_u32_e32 v3, v2, v5
	v_mul_lo_u32 v5, v1, s8
	v_mul_lo_u32 v7, v1, s9
	v_lshrrev_b32_e32 v1, s21, v3
	v_mul_lo_u32 v3, v1, s19
	v_mul_hi_u32 v9, s23, v1
	v_sub_u32_e32 v2, v2, v3
	v_add_u32_e32 v3, v1, v9
	v_lshrrev_b32_e32 v3, s24, v3
	v_mul_hi_u32 v10, s26, v3
	v_mul_lo_u32 v12, v3, s22
	v_mul_lo_u32 v9, v2, s10
	;; [unrolled: 1-line block ×3, first 2 shown]
	v_sub_u32_e32 v12, v1, v12
	v_add_u32_e32 v1, v3, v10
	v_lshrrev_b32_e32 v1, s27, v1
	v_mul_lo_u32 v10, v1, s25
	v_mul_lo_u32 v14, v12, s12
	;; [unrolled: 1-line block ×3, first 2 shown]
	v_add3_u32 v4, v5, v4, v9
	v_sub_u32_e32 v3, v3, v10
	v_mul_lo_u32 v10, v3, s14
	v_mul_lo_u32 v3, v3, s15
	v_add3_u32 v2, v7, v11, v2
	v_add3_u32 v4, v14, v4, v10
	;; [unrolled: 1-line block ×3, first 2 shown]
	s_cbranch_scc1 .LBB23_1154
; %bb.1155:
	s_and_b32 s8, s37, 3
	s_cmp_eq_u32 s8, 0
	s_cbranch_scc0 .LBB23_1159
	s_branch .LBB23_1161
.LBB23_1156:
                                        ; implicit-def: $vgpr4
                                        ; implicit-def: $vgpr11
	s_branch .LBB23_1162
.LBB23_1157:
	s_waitcnt vmcnt(0)
	v_mov_b32_e32 v4, 0
	v_mov_b32_e32 v11, 0
	s_branch .LBB23_1161
.LBB23_1158:
	s_waitcnt vmcnt(0)
	v_mov_b32_e32 v4, 0
	v_mov_b32_e32 v11, 0
	;; [unrolled: 1-line block ×3, first 2 shown]
	s_and_b32 s8, s37, 3
	s_cmp_eq_u32 s8, 0
	s_cbranch_scc1 .LBB23_1161
.LBB23_1159:
	s_lshl_b32 s2, s36, 3
	s_add_u32 s2, s34, s2
	s_addc_u32 s3, s35, 0
	s_add_u32 s2, s2, 0xc4
	s_addc_u32 s3, s3, 0
	s_mul_i32 s6, s36, 12
	s_add_u32 s6, s34, s6
	s_addc_u32 s7, s35, 0
.LBB23_1160:                            ; =>This Inner Loop Header: Depth=1
	s_load_dwordx2 s[10:11], s[6:7], 0x4
	s_load_dword s9, s[6:7], 0xc
	s_load_dwordx2 s[12:13], s[2:3], 0x0
	s_add_u32 s6, s6, 12
	s_addc_u32 s7, s7, 0
	s_waitcnt lgkmcnt(0)
	v_mul_hi_u32 v2, s11, v1
	s_add_u32 s2, s2, 8
	s_addc_u32 s3, s3, 0
	s_add_i32 s8, s8, -1
	v_add_u32_e32 v2, v1, v2
	v_lshrrev_b32_e32 v2, s9, v2
	v_mul_lo_u32 v3, v2, s10
	s_cmp_lg_u32 s8, 0
	v_sub_u32_e32 v1, v1, v3
	v_mad_u64_u32 v[4:5], s[10:11], v1, s12, v[4:5]
	v_mad_u64_u32 v[11:12], s[10:11], v1, s13, v[11:12]
	v_mov_b32_e32 v1, v2
	s_cbranch_scc1 .LBB23_1160
.LBB23_1161:
	s_cbranch_execnz .LBB23_1164
.LBB23_1162:
	s_load_dwordx4 s[8:11], s[34:35], 0x4
	s_load_dwordx2 s[2:3], s[34:35], 0xc4
	s_cmp_lt_u32 s33, 2
	s_waitcnt lgkmcnt(0)
	v_mul_hi_u32 v1, s9, v0
	v_add_u32_e32 v1, v0, v1
	v_lshrrev_b32_e32 v1, s10, v1
	v_mul_lo_u32 v2, v1, s8
	v_sub_u32_e32 v0, v0, v2
	s_waitcnt vmcnt(0)
	v_mul_lo_u32 v4, v0, s2
	v_mul_lo_u32 v11, v0, s3
	s_cbranch_scc1 .LBB23_1164
; %bb.1163:
	s_load_dwordx4 s[8:11], s[34:35], 0x10
	s_load_dwordx2 s[2:3], s[34:35], 0xcc
	s_waitcnt lgkmcnt(0)
	v_mul_hi_u32 v0, s9, v1
	v_add_u32_e32 v0, v1, v0
	v_lshrrev_b32_e32 v0, s10, v0
	v_mul_lo_u32 v0, v0, s8
	v_sub_u32_e32 v0, v1, v0
	v_mad_u64_u32 v[4:5], s[6:7], v0, s2, v[4:5]
	v_mad_u64_u32 v[11:12], s[2:3], v0, s3, v[11:12]
.LBB23_1164:
	s_and_b64 vcc, exec, s[0:1]
	v_add_u32_e32 v0, 0x100, v8
	s_cbranch_vccnz .LBB23_1170
; %bb.1165:
	s_cmp_lg_u32 s33, 0
	s_mov_b32 s36, 0
	s_cbranch_scc0 .LBB23_1171
; %bb.1166:
	s_min_u32 s37, s74, 15
	s_add_i32 s37, s37, 1
	s_cmp_eq_u32 s74, 2
	s_cbranch_scc1 .LBB23_1172
; %bb.1167:
	s_and_b32 s36, s37, 28
	s_add_u32 s2, s34, 0xc4
	s_addc_u32 s3, s35, 0
	v_mov_b32_e32 v9, 0
	s_mov_b32 s38, 0
	s_mov_b64 s[6:7], s[34:35]
	v_mov_b32_e32 v2, 0
	v_mov_b32_e32 v1, v0
.LBB23_1168:                            ; =>This Inner Loop Header: Depth=1
	s_load_dwordx8 s[16:23], s[6:7], 0x4
	s_load_dwordx4 s[24:27], s[6:7], 0x24
	s_load_dwordx8 s[8:15], s[2:3], 0x0
	s_add_u32 s6, s6, 48
	s_addc_u32 s7, s7, 0
	s_waitcnt vmcnt(0) lgkmcnt(0)
	v_mul_hi_u32 v3, s17, v1
	s_add_i32 s38, s38, 4
	s_add_u32 s2, s2, 32
	s_addc_u32 s3, s3, 0
	v_add_u32_e32 v3, v1, v3
	v_lshrrev_b32_e32 v3, s18, v3
	v_mul_lo_u32 v5, v3, s16
	v_mul_hi_u32 v7, s20, v3
	s_cmp_lg_u32 s36, s38
	v_sub_u32_e32 v1, v1, v5
	v_add_u32_e32 v5, v3, v7
	v_mul_lo_u32 v7, v1, s8
	v_mul_lo_u32 v8, v1, s9
	v_lshrrev_b32_e32 v1, s21, v5
	v_mul_lo_u32 v5, v1, s19
	v_mul_hi_u32 v10, s23, v1
	v_sub_u32_e32 v3, v3, v5
	v_add_u32_e32 v5, v1, v10
	v_lshrrev_b32_e32 v5, s24, v5
	v_mul_hi_u32 v12, s26, v5
	v_mul_lo_u32 v14, v5, s22
	v_mul_lo_u32 v10, v3, s10
	;; [unrolled: 1-line block ×3, first 2 shown]
	v_sub_u32_e32 v14, v1, v14
	v_add_u32_e32 v1, v5, v12
	v_lshrrev_b32_e32 v1, s27, v1
	v_mul_lo_u32 v12, v1, s25
	v_mul_lo_u32 v16, v14, s12
	;; [unrolled: 1-line block ×3, first 2 shown]
	v_add3_u32 v2, v7, v2, v10
	v_sub_u32_e32 v5, v5, v12
	v_mul_lo_u32 v12, v5, s14
	v_mul_lo_u32 v5, v5, s15
	v_add3_u32 v3, v8, v9, v3
	v_add3_u32 v2, v16, v2, v12
	;; [unrolled: 1-line block ×3, first 2 shown]
	s_cbranch_scc1 .LBB23_1168
; %bb.1169:
	s_and_b32 s8, s37, 3
	s_cmp_eq_u32 s8, 0
	s_cbranch_scc0 .LBB23_1173
	s_branch .LBB23_1175
.LBB23_1170:
                                        ; implicit-def: $vgpr2
                                        ; implicit-def: $vgpr9
	s_branch .LBB23_1176
.LBB23_1171:
	v_mov_b32_e32 v2, 0
	v_mov_b32_e32 v9, 0
	s_branch .LBB23_1175
.LBB23_1172:
	v_mov_b32_e32 v2, 0
	v_mov_b32_e32 v9, 0
	v_mov_b32_e32 v1, v0
	s_and_b32 s8, s37, 3
	s_cmp_eq_u32 s8, 0
	s_cbranch_scc1 .LBB23_1175
.LBB23_1173:
	s_lshl_b32 s2, s36, 3
	s_add_u32 s2, s34, s2
	s_addc_u32 s3, s35, 0
	s_add_u32 s2, s2, 0xc4
	s_addc_u32 s3, s3, 0
	s_mul_i32 s6, s36, 12
	s_add_u32 s6, s34, s6
	s_addc_u32 s7, s35, 0
.LBB23_1174:                            ; =>This Inner Loop Header: Depth=1
	s_load_dwordx2 s[10:11], s[6:7], 0x4
	s_load_dword s9, s[6:7], 0xc
	s_load_dwordx2 s[12:13], s[2:3], 0x0
	s_add_u32 s6, s6, 12
	s_addc_u32 s7, s7, 0
	s_waitcnt vmcnt(0) lgkmcnt(0)
	v_mul_hi_u32 v3, s11, v1
	s_add_u32 s2, s2, 8
	s_addc_u32 s3, s3, 0
	s_add_i32 s8, s8, -1
	v_add_u32_e32 v3, v1, v3
	v_lshrrev_b32_e32 v5, s9, v3
	v_mul_lo_u32 v3, v5, s10
	s_cmp_lg_u32 s8, 0
	v_sub_u32_e32 v1, v1, v3
	v_mad_u64_u32 v[2:3], s[10:11], v1, s12, v[2:3]
	v_mad_u64_u32 v[9:10], s[10:11], v1, s13, v[9:10]
	v_mov_b32_e32 v1, v5
	s_cbranch_scc1 .LBB23_1174
.LBB23_1175:
	s_cbranch_execnz .LBB23_1178
.LBB23_1176:
	s_load_dwordx4 s[8:11], s[34:35], 0x4
	s_load_dwordx2 s[2:3], s[34:35], 0xc4
	s_cmp_lt_u32 s33, 2
	s_waitcnt lgkmcnt(0)
	v_mul_hi_u32 v1, s9, v0
	v_add_u32_e32 v1, v0, v1
	v_lshrrev_b32_e32 v1, s10, v1
	v_mul_lo_u32 v2, v1, s8
	v_sub_u32_e32 v0, v0, v2
	v_mul_lo_u32 v2, v0, s2
	v_mul_lo_u32 v9, v0, s3
	s_cbranch_scc1 .LBB23_1178
; %bb.1177:
	s_load_dwordx4 s[8:11], s[34:35], 0x10
	s_load_dwordx2 s[2:3], s[34:35], 0xcc
	s_waitcnt lgkmcnt(0)
	v_mul_hi_u32 v0, s9, v1
	v_add_u32_e32 v0, v1, v0
	v_lshrrev_b32_e32 v0, s10, v0
	v_mul_lo_u32 v0, v0, s8
	v_sub_u32_e32 v0, v1, v0
	s_waitcnt vmcnt(0)
	v_mad_u64_u32 v[2:3], s[6:7], v0, s2, v[2:3]
	v_mad_u64_u32 v[9:10], s[2:3], v0, s3, v[9:10]
.LBB23_1178:
	s_and_b64 vcc, exec, s[0:1]
	s_cbranch_vccnz .LBB23_1184
; %bb.1179:
	s_cmp_lg_u32 s33, 0
	s_mov_b32 s26, 0
	s_cbranch_scc0 .LBB23_1185
; %bb.1180:
	s_min_u32 s27, s74, 15
	s_add_i32 s27, s27, 1
	s_cmp_eq_u32 s74, 2
	s_cbranch_scc1 .LBB23_1186
; %bb.1181:
	s_and_b32 s26, s27, 28
	s_add_u32 s6, s34, 0xc4
	s_addc_u32 s7, s35, 0
	v_mov_b32_e32 v7, 0
	s_mov_b32 s36, 0
	s_mov_b64 s[24:25], s[34:35]
	v_mov_b32_e32 v0, 0
	v_mov_b32_e32 v1, v15
.LBB23_1182:                            ; =>This Inner Loop Header: Depth=1
	s_load_dwordx8 s[16:23], s[24:25], 0x4
	s_load_dwordx4 s[0:3], s[24:25], 0x24
	s_load_dwordx8 s[8:15], s[6:7], 0x0
	s_add_u32 s24, s24, 48
	s_addc_u32 s25, s25, 0
	s_waitcnt vmcnt(0) lgkmcnt(0)
	v_mul_hi_u32 v3, s17, v1
	s_add_i32 s36, s36, 4
	s_add_u32 s6, s6, 32
	s_addc_u32 s7, s7, 0
	v_add_u32_e32 v3, v1, v3
	v_lshrrev_b32_e32 v3, s18, v3
	v_mul_lo_u32 v5, v3, s16
	v_mul_hi_u32 v8, s20, v3
	s_cmp_lg_u32 s26, s36
	v_sub_u32_e32 v1, v1, v5
	v_add_u32_e32 v5, v3, v8
	v_mul_lo_u32 v8, v1, s8
	v_mul_lo_u32 v10, v1, s9
	v_lshrrev_b32_e32 v1, s21, v5
	v_mul_lo_u32 v5, v1, s19
	v_mul_hi_u32 v12, s23, v1
	v_sub_u32_e32 v3, v3, v5
	v_add_u32_e32 v5, v1, v12
	v_lshrrev_b32_e32 v5, s0, v5
	v_mul_hi_u32 v14, s2, v5
	v_mul_lo_u32 v16, v5, s22
	v_mul_lo_u32 v12, v3, s10
	;; [unrolled: 1-line block ×3, first 2 shown]
	v_sub_u32_e32 v16, v1, v16
	v_add_u32_e32 v1, v5, v14
	v_lshrrev_b32_e32 v1, s3, v1
	v_mul_lo_u32 v14, v1, s1
	v_mul_lo_u32 v17, v16, s12
	v_mul_lo_u32 v16, v16, s13
	v_add3_u32 v0, v8, v0, v12
	v_sub_u32_e32 v5, v5, v14
	v_mul_lo_u32 v14, v5, s14
	v_mul_lo_u32 v5, v5, s15
	v_add3_u32 v3, v10, v7, v3
	v_add3_u32 v0, v17, v0, v14
	;; [unrolled: 1-line block ×3, first 2 shown]
	s_cbranch_scc1 .LBB23_1182
; %bb.1183:
	s_and_b32 s6, s27, 3
	s_cmp_eq_u32 s6, 0
	s_cbranch_scc0 .LBB23_1187
	s_branch .LBB23_1189
.LBB23_1184:
                                        ; implicit-def: $vgpr0
                                        ; implicit-def: $vgpr7
	s_branch .LBB23_1190
.LBB23_1185:
	v_mov_b32_e32 v0, 0
	v_mov_b32_e32 v7, 0
	s_branch .LBB23_1189
.LBB23_1186:
	v_mov_b32_e32 v0, 0
	v_mov_b32_e32 v7, 0
	;; [unrolled: 1-line block ×3, first 2 shown]
	s_and_b32 s6, s27, 3
	s_cmp_eq_u32 s6, 0
	s_cbranch_scc1 .LBB23_1189
.LBB23_1187:
	s_lshl_b32 s0, s26, 3
	s_add_u32 s0, s34, s0
	s_addc_u32 s1, s35, 0
	s_add_u32 s0, s0, 0xc4
	s_addc_u32 s1, s1, 0
	s_mul_i32 s2, s26, 12
	s_add_u32 s2, s34, s2
	s_addc_u32 s3, s35, 0
.LBB23_1188:                            ; =>This Inner Loop Header: Depth=1
	s_load_dwordx2 s[8:9], s[2:3], 0x4
	s_load_dword s7, s[2:3], 0xc
	s_load_dwordx2 s[10:11], s[0:1], 0x0
	s_add_u32 s2, s2, 12
	s_addc_u32 s3, s3, 0
	s_waitcnt vmcnt(0) lgkmcnt(0)
	v_mul_hi_u32 v3, s9, v1
	s_add_u32 s0, s0, 8
	s_addc_u32 s1, s1, 0
	s_add_i32 s6, s6, -1
	v_add_u32_e32 v3, v1, v3
	v_lshrrev_b32_e32 v3, s7, v3
	v_mul_lo_u32 v5, v3, s8
	s_cmp_lg_u32 s6, 0
	v_sub_u32_e32 v5, v1, v5
	v_mad_u64_u32 v[0:1], s[8:9], v5, s10, v[0:1]
	v_mad_u64_u32 v[7:8], s[8:9], v5, s11, v[7:8]
	v_mov_b32_e32 v1, v3
	s_cbranch_scc1 .LBB23_1188
.LBB23_1189:
	s_cbranch_execnz .LBB23_1192
.LBB23_1190:
	s_load_dwordx4 s[0:3], s[34:35], 0x4
	s_load_dwordx2 s[6:7], s[34:35], 0xc4
	s_cmp_lt_u32 s33, 2
	s_waitcnt lgkmcnt(0)
	v_mul_hi_u32 v0, s1, v15
	v_add_u32_e32 v0, v15, v0
	v_lshrrev_b32_e32 v1, s2, v0
	v_mul_lo_u32 v0, v1, s0
	s_waitcnt vmcnt(0)
	v_sub_u32_e32 v3, v15, v0
	v_mul_lo_u32 v0, v3, s6
	v_mul_lo_u32 v7, v3, s7
	s_cbranch_scc1 .LBB23_1192
; %bb.1191:
	s_load_dwordx4 s[0:3], s[34:35], 0x10
	s_load_dwordx2 s[6:7], s[34:35], 0xcc
	s_waitcnt lgkmcnt(0)
	v_mul_hi_u32 v3, s1, v1
	v_add_u32_e32 v3, v1, v3
	v_lshrrev_b32_e32 v3, s2, v3
	v_mul_lo_u32 v3, v3, s0
	v_sub_u32_e32 v3, v1, v3
	v_mad_u64_u32 v[0:1], s[0:1], v3, s6, v[0:1]
	v_mad_u64_u32 v[7:8], s[0:1], v3, s7, v[7:8]
.LBB23_1192:
	s_load_dwordx4 s[8:11], s[34:35], 0x148
	s_load_dword s16, s[4:5], 0x168
	s_waitcnt lgkmcnt(0)
	v_mov_b32_e32 v1, s11
	s_bfe_u32 s12, s16, 0x80008
	v_add_co_u32_e32 v12, vcc, s10, v13
	s_cmp_lt_i32 s12, 11
	v_addc_co_u32_e32 v13, vcc, 0, v1, vcc
	s_cbranch_scc1 .LBB23_1199
; %bb.1193:
	s_and_b32 s13, 0xffff, s12
	s_cmp_gt_i32 s13, 25
	s_mov_b64 s[4:5], 0
	s_cbranch_scc0 .LBB23_1201
; %bb.1194:
	s_cmp_gt_i32 s13, 28
	s_cbranch_scc0 .LBB23_1202
; %bb.1195:
	s_cmp_gt_i32 s13, 43
	;; [unrolled: 3-line block ×3, first 2 shown]
	s_cbranch_scc0 .LBB23_1204
; %bb.1197:
	s_cmp_eq_u32 s13, 46
	s_mov_b64 s[2:3], 0
	s_cbranch_scc0 .LBB23_1207
; %bb.1198:
	global_load_dword v1, v[12:13], off
	s_mov_b64 s[0:1], 0
	s_mov_b64 s[6:7], -1
	s_waitcnt vmcnt(0)
	v_lshlrev_b32_e32 v1, 16, v1
	v_cvt_i32_f32_e32 v14, v1
	s_branch .LBB23_1208
.LBB23_1199:
	s_mov_b64 s[6:7], 0
                                        ; implicit-def: $vgpr14
	s_mov_b64 s[2:3], s[28:29]
	s_cbranch_execnz .LBB23_1266
.LBB23_1200:
	s_andn2_b64 vcc, exec, s[6:7]
	s_cbranch_vccz .LBB23_1311
	s_branch .LBB23_1738
.LBB23_1201:
	s_mov_b64 s[6:7], 0
	s_mov_b64 s[0:1], 0
                                        ; implicit-def: $vgpr14
	s_cbranch_execnz .LBB23_1233
	s_branch .LBB23_1262
.LBB23_1202:
	s_mov_b64 s[6:7], 0
	s_mov_b64 s[0:1], 0
                                        ; implicit-def: $vgpr14
	s_cbranch_execz .LBB23_1232
	s_branch .LBB23_1217
.LBB23_1203:
	s_mov_b64 s[6:7], 0
	s_mov_b64 s[0:1], 0
                                        ; implicit-def: $vgpr14
	s_cbranch_execnz .LBB23_1213
	s_branch .LBB23_1216
.LBB23_1204:
	s_mov_b64 s[2:3], -1
	s_mov_b64 s[6:7], 0
	s_mov_b64 s[0:1], 0
                                        ; implicit-def: $vgpr14
	s_branch .LBB23_1208
.LBB23_1205:
	s_andn2_saveexec_b64 s[16:17], s[16:17]
	s_cbranch_execz .LBB23_1047
.LBB23_1206:
	v_add_f32_e32 v0, 0x46000000, v3
	v_and_b32_e32 v0, 0xff, v0
	v_cmp_ne_u32_e32 vcc, 0, v0
	s_andn2_b64 s[14:15], s[14:15], exec
	s_and_b64 s[18:19], vcc, exec
	s_or_b64 s[14:15], s[14:15], s[18:19]
	s_or_b64 exec, exec, s[16:17]
	v_mov_b32_e32 v4, 0
	s_and_saveexec_b64 s[16:17], s[14:15]
	s_cbranch_execnz .LBB23_1048
	s_branch .LBB23_1049
.LBB23_1207:
	s_mov_b64 s[0:1], -1
                                        ; implicit-def: $vgpr14
	s_mov_b64 s[6:7], 0
.LBB23_1208:
	s_and_b64 vcc, exec, s[2:3]
	s_cbranch_vccz .LBB23_1211
; %bb.1209:
	s_cmp_eq_u32 s13, 44
	s_cbranch_scc0 .LBB23_1212
; %bb.1210:
	global_load_ubyte v1, v[12:13], off
	s_mov_b64 s[0:1], 0
	s_mov_b64 s[6:7], -1
	s_waitcnt vmcnt(0)
	v_lshlrev_b32_e32 v3, 23, v1
	v_cvt_i32_f32_e32 v3, v3
	v_cmp_ne_u32_e32 vcc, 0, v1
	v_cndmask_b32_e32 v14, 0, v3, vcc
.LBB23_1211:
	s_branch .LBB23_1216
.LBB23_1212:
	s_mov_b64 s[0:1], -1
                                        ; implicit-def: $vgpr14
	s_branch .LBB23_1216
.LBB23_1213:
	s_cmp_eq_u32 s13, 29
	s_cbranch_scc0 .LBB23_1215
; %bb.1214:
	global_load_dwordx2 v[14:15], v[12:13], off
	s_mov_b64 s[0:1], 0
	s_mov_b64 s[6:7], -1
	s_branch .LBB23_1216
.LBB23_1215:
	s_mov_b64 s[0:1], -1
                                        ; implicit-def: $vgpr14
.LBB23_1216:
	s_branch .LBB23_1232
.LBB23_1217:
	s_cmp_lt_i32 s13, 27
	s_cbranch_scc1 .LBB23_1220
; %bb.1218:
	s_cmp_gt_i32 s13, 27
	s_cbranch_scc0 .LBB23_1221
; %bb.1219:
	global_load_dword v14, v[12:13], off
	s_mov_b64 s[2:3], 0
	s_branch .LBB23_1222
.LBB23_1220:
	s_mov_b64 s[2:3], -1
                                        ; implicit-def: $vgpr14
	s_branch .LBB23_1225
.LBB23_1221:
	s_mov_b64 s[2:3], -1
                                        ; implicit-def: $vgpr14
.LBB23_1222:
	s_andn2_b64 vcc, exec, s[2:3]
	s_cbranch_vccnz .LBB23_1224
; %bb.1223:
	global_load_ushort v14, v[12:13], off
.LBB23_1224:
	s_mov_b64 s[2:3], 0
.LBB23_1225:
	s_andn2_b64 vcc, exec, s[2:3]
	s_cbranch_vccnz .LBB23_1231
; %bb.1226:
	global_load_ubyte v1, v[12:13], off
	s_movk_i32 s2, 0x7f
	s_mov_b64 s[6:7], 0
	s_waitcnt vmcnt(0)
	v_cmp_lt_i16_e32 vcc, s2, v1
	s_and_saveexec_b64 s[2:3], vcc
	s_xor_b64 s[2:3], exec, s[2:3]
	s_cbranch_execz .LBB23_1242
; %bb.1227:
	s_movk_i32 s6, 0x80
	v_cmp_ne_u16_e32 vcc, s6, v1
	s_and_b64 s[6:7], vcc, exec
	s_andn2_saveexec_b64 s[2:3], s[2:3]
	s_cbranch_execnz .LBB23_1243
.LBB23_1228:
	s_or_b64 exec, exec, s[2:3]
	v_mov_b32_e32 v14, 0
	s_and_saveexec_b64 s[2:3], s[6:7]
	s_cbranch_execz .LBB23_1230
.LBB23_1229:
	v_lshlrev_b32_e32 v3, 24, v1
	v_and_b32_e32 v1, 0xffff, v1
	v_and_b32_e32 v5, 7, v1
	v_ffbh_u32_e32 v10, v5
	v_min_u32_e32 v10, 32, v10
	v_subrev_u32_e32 v14, 28, v10
	v_bfe_u32 v8, v1, 3, 4
	v_lshlrev_b32_e32 v1, v14, v1
	v_sub_u32_e32 v10, 29, v10
	v_and_b32_e32 v1, 7, v1
	v_cmp_eq_u32_e32 vcc, 0, v8
	v_cndmask_b32_e32 v8, v8, v10, vcc
	v_cndmask_b32_e32 v1, v5, v1, vcc
	v_mov_b32_e32 v5, 0x3b800000
	v_lshlrev_b32_e32 v1, 20, v1
	v_and_b32_e32 v3, 0x80000000, v3
	v_lshl_add_u32 v5, v8, 23, v5
	v_or3_b32 v1, v3, v5, v1
	v_cvt_i32_f32_e32 v14, v1
.LBB23_1230:
	s_or_b64 exec, exec, s[2:3]
.LBB23_1231:
	s_mov_b64 s[6:7], -1
.LBB23_1232:
	s_branch .LBB23_1262
.LBB23_1233:
	s_cmp_gt_i32 s13, 22
	s_cbranch_scc0 .LBB23_1241
; %bb.1234:
	s_cmp_lt_i32 s13, 24
	s_cbranch_scc1 .LBB23_1244
; %bb.1235:
	s_cmp_gt_i32 s13, 24
	s_cbranch_scc0 .LBB23_1245
; %bb.1236:
	global_load_ubyte v1, v[12:13], off
	s_movk_i32 s2, 0x7f
	s_waitcnt vmcnt(0)
	v_cmp_lt_i16_e32 vcc, s2, v1
	s_and_saveexec_b64 s[2:3], vcc
	s_xor_b64 s[2:3], exec, s[2:3]
	s_cbranch_execz .LBB23_1256
; %bb.1237:
	s_movk_i32 s4, 0x80
	v_cmp_ne_u16_e32 vcc, s4, v1
	s_and_b64 s[4:5], vcc, exec
	s_andn2_saveexec_b64 s[2:3], s[2:3]
	s_cbranch_execnz .LBB23_1257
.LBB23_1238:
	s_or_b64 exec, exec, s[2:3]
	v_mov_b32_e32 v14, 0
	s_and_saveexec_b64 s[2:3], s[4:5]
	s_cbranch_execz .LBB23_1240
.LBB23_1239:
	v_lshlrev_b32_e32 v3, 24, v1
	v_and_b32_e32 v1, 0xffff, v1
	v_and_b32_e32 v5, 3, v1
	v_ffbh_u32_e32 v10, v5
	v_min_u32_e32 v10, 32, v10
	v_subrev_u32_e32 v14, 29, v10
	v_bfe_u32 v8, v1, 2, 5
	v_lshlrev_b32_e32 v1, v14, v1
	v_sub_u32_e32 v10, 30, v10
	v_and_b32_e32 v1, 3, v1
	v_cmp_eq_u32_e32 vcc, 0, v8
	v_cndmask_b32_e32 v8, v8, v10, vcc
	v_cndmask_b32_e32 v1, v5, v1, vcc
	v_mov_b32_e32 v5, 0x37800000
	v_lshlrev_b32_e32 v1, 21, v1
	v_and_b32_e32 v3, 0x80000000, v3
	v_lshl_add_u32 v5, v8, 23, v5
	v_or3_b32 v1, v3, v5, v1
	v_cvt_i32_f32_e32 v14, v1
.LBB23_1240:
	s_or_b64 exec, exec, s[2:3]
	s_mov_b64 s[2:3], 0
	s_branch .LBB23_1246
.LBB23_1241:
                                        ; implicit-def: $vgpr14
	s_mov_b64 s[4:5], 0
	s_branch .LBB23_1252
.LBB23_1242:
	s_andn2_saveexec_b64 s[2:3], s[2:3]
	s_cbranch_execz .LBB23_1228
.LBB23_1243:
	v_cmp_ne_u16_e32 vcc, 0, v1
	s_andn2_b64 s[6:7], s[6:7], exec
	s_and_b64 s[14:15], vcc, exec
	s_or_b64 s[6:7], s[6:7], s[14:15]
	s_or_b64 exec, exec, s[2:3]
	v_mov_b32_e32 v14, 0
	s_and_saveexec_b64 s[2:3], s[6:7]
	s_cbranch_execnz .LBB23_1229
	s_branch .LBB23_1230
.LBB23_1244:
	s_mov_b64 s[2:3], -1
                                        ; implicit-def: $vgpr14
	s_branch .LBB23_1249
.LBB23_1245:
	s_mov_b64 s[2:3], -1
                                        ; implicit-def: $vgpr14
.LBB23_1246:
	s_and_b64 vcc, exec, s[2:3]
	s_cbranch_vccz .LBB23_1248
; %bb.1247:
	global_load_ubyte v1, v[12:13], off
	s_mov_b32 s2, 0x7f800000
	s_waitcnt vmcnt(0)
	v_lshlrev_b32_e32 v1, 24, v1
	v_and_b32_e32 v3, 0x7f000000, v1
	v_ffbh_u32_e32 v5, v3
	v_min_u32_e32 v5, 32, v5
	v_sub_u32_e64 v5, v5, 4 clamp
	v_lshlrev_b32_e32 v10, v5, v3
	v_lshlrev_b32_e32 v5, 23, v5
	v_lshrrev_b32_e32 v10, 4, v10
	v_add_u32_e32 v8, 0x1000000, v3
	v_sub_u32_e32 v5, v10, v5
	v_ashrrev_i32_e32 v8, 8, v8
	v_add_u32_e32 v5, 0x3c000000, v5
	v_and_or_b32 v5, v8, s2, v5
	v_cmp_ne_u32_e32 vcc, 0, v3
	v_cndmask_b32_e32 v3, 0, v5, vcc
	s_brev_b32 s2, 1
	v_and_or_b32 v1, v1, s2, v3
	v_cvt_i32_f32_e32 v14, v1
.LBB23_1248:
	s_mov_b64 s[2:3], 0
.LBB23_1249:
	s_andn2_b64 vcc, exec, s[2:3]
	s_cbranch_vccnz .LBB23_1251
; %bb.1250:
	global_load_ubyte v1, v[12:13], off
	s_movk_i32 s2, 0x7f00
	s_brev_b32 s3, 16
	s_waitcnt vmcnt(0)
	v_lshlrev_b16_e32 v3, 8, v1
	v_lshlrev_b32_e32 v1, 25, v1
	v_lshrrev_b32_e32 v5, 4, v1
	v_and_or_b32 v8, v3, s2, 0.5
	v_or_b32_e32 v5, 0x70000000, v5
	v_add_f32_e32 v8, -0.5, v8
	v_mul_f32_e32 v5, 0x7800000, v5
	v_cmp_gt_u32_e32 vcc, s3, v1
	v_bfe_i32 v3, v3, 0, 16
	v_cndmask_b32_e32 v1, v5, v8, vcc
	s_brev_b32 s2, 1
	v_and_or_b32 v1, v3, s2, v1
	v_cvt_i32_f32_e32 v14, v1
.LBB23_1251:
	s_mov_b64 s[6:7], -1
	s_mov_b64 s[4:5], 0
	s_cbranch_execnz .LBB23_1262
.LBB23_1252:
	s_cmp_gt_i32 s13, 14
	s_cbranch_scc0 .LBB23_1255
; %bb.1253:
	s_cmp_eq_u32 s13, 15
	s_cbranch_scc0 .LBB23_1258
; %bb.1254:
	global_load_ushort v1, v[12:13], off
	s_mov_b64 s[0:1], 0
	s_mov_b64 s[6:7], -1
	s_waitcnt vmcnt(0)
	v_lshlrev_b32_e32 v1, 16, v1
	v_cvt_i32_f32_e32 v14, v1
	s_branch .LBB23_1259
.LBB23_1255:
	s_mov_b64 s[2:3], -1
                                        ; implicit-def: $vgpr14
	s_branch .LBB23_1260
.LBB23_1256:
	s_andn2_saveexec_b64 s[2:3], s[2:3]
	s_cbranch_execz .LBB23_1238
.LBB23_1257:
	v_cmp_ne_u16_e32 vcc, 0, v1
	s_andn2_b64 s[4:5], s[4:5], exec
	s_and_b64 s[6:7], vcc, exec
	s_or_b64 s[4:5], s[4:5], s[6:7]
	s_or_b64 exec, exec, s[2:3]
	v_mov_b32_e32 v14, 0
	s_and_saveexec_b64 s[2:3], s[4:5]
	s_cbranch_execnz .LBB23_1239
	s_branch .LBB23_1240
.LBB23_1258:
	s_mov_b64 s[0:1], -1
                                        ; implicit-def: $vgpr14
.LBB23_1259:
	s_mov_b64 s[2:3], 0
.LBB23_1260:
	s_and_b64 vcc, exec, s[2:3]
	s_cbranch_vccz .LBB23_1262
; %bb.1261:
	s_cmp_lg_u32 s13, 11
	s_mov_b64 s[4:5], -1
	s_cselect_b64 s[0:1], -1, 0
.LBB23_1262:
	s_and_b64 vcc, exec, s[0:1]
	s_mov_b64 s[2:3], s[28:29]
	s_cbranch_vccnz .LBB23_1338
; %bb.1263:
	s_andn2_b64 vcc, exec, s[4:5]
	s_cbranch_vccnz .LBB23_1265
.LBB23_1264:
	global_load_ubyte v1, v[12:13], off
	s_mov_b64 s[6:7], -1
	s_waitcnt vmcnt(0)
	v_cmp_ne_u16_e32 vcc, 0, v1
	v_cndmask_b32_e64 v14, 0, 1, vcc
.LBB23_1265:
	s_branch .LBB23_1200
.LBB23_1266:
	s_and_b32 s4, 0xffff, s12
	s_cmp_lt_i32 s4, 5
	s_cbranch_scc1 .LBB23_1271
; %bb.1267:
	s_cmp_lt_i32 s4, 8
	s_cbranch_scc1 .LBB23_1272
; %bb.1268:
	;; [unrolled: 3-line block ×3, first 2 shown]
	s_cmp_gt_i32 s4, 9
	s_cbranch_scc0 .LBB23_1274
; %bb.1270:
	global_load_dwordx2 v[14:15], v[12:13], off
	s_mov_b64 s[0:1], 0
	s_waitcnt vmcnt(0)
	v_cvt_i32_f64_e32 v14, v[14:15]
	s_branch .LBB23_1275
.LBB23_1271:
                                        ; implicit-def: $vgpr14
	s_branch .LBB23_1292
.LBB23_1272:
                                        ; implicit-def: $vgpr14
	s_branch .LBB23_1281
.LBB23_1273:
	s_mov_b64 s[0:1], -1
                                        ; implicit-def: $vgpr14
	s_branch .LBB23_1278
.LBB23_1274:
	s_mov_b64 s[0:1], -1
                                        ; implicit-def: $vgpr14
.LBB23_1275:
	s_andn2_b64 vcc, exec, s[0:1]
	s_cbranch_vccnz .LBB23_1277
; %bb.1276:
	global_load_dword v1, v[12:13], off
	s_waitcnt vmcnt(0)
	v_cvt_i32_f32_e32 v14, v1
.LBB23_1277:
	s_mov_b64 s[0:1], 0
.LBB23_1278:
	s_andn2_b64 vcc, exec, s[0:1]
	s_cbranch_vccnz .LBB23_1280
; %bb.1279:
	global_load_dword v1, v[12:13], off
	s_waitcnt vmcnt(0)
	v_cvt_i16_f16_e32 v14, v1
.LBB23_1280:
	s_cbranch_execnz .LBB23_1291
.LBB23_1281:
	s_cmp_lt_i32 s4, 6
	s_cbranch_scc1 .LBB23_1284
; %bb.1282:
	s_cmp_gt_i32 s4, 6
	s_cbranch_scc0 .LBB23_1285
; %bb.1283:
	global_load_dwordx2 v[14:15], v[12:13], off
	s_mov_b64 s[0:1], 0
	s_waitcnt vmcnt(0)
	v_cvt_i32_f64_e32 v14, v[14:15]
	s_branch .LBB23_1286
.LBB23_1284:
	s_mov_b64 s[0:1], -1
                                        ; implicit-def: $vgpr14
	s_branch .LBB23_1289
.LBB23_1285:
	s_mov_b64 s[0:1], -1
                                        ; implicit-def: $vgpr14
.LBB23_1286:
	s_andn2_b64 vcc, exec, s[0:1]
	s_cbranch_vccnz .LBB23_1288
; %bb.1287:
	global_load_dword v1, v[12:13], off
	s_waitcnt vmcnt(0)
	v_cvt_i32_f32_e32 v14, v1
.LBB23_1288:
	s_mov_b64 s[0:1], 0
.LBB23_1289:
	s_andn2_b64 vcc, exec, s[0:1]
	s_cbranch_vccnz .LBB23_1291
; %bb.1290:
	global_load_ushort v1, v[12:13], off
	s_waitcnt vmcnt(0)
	v_cvt_i16_f16_e32 v14, v1
.LBB23_1291:
	s_cbranch_execnz .LBB23_1310
.LBB23_1292:
	s_cmp_lt_i32 s4, 2
	s_cbranch_scc1 .LBB23_1296
; %bb.1293:
	s_cmp_lt_i32 s4, 3
	s_cbranch_scc1 .LBB23_1297
; %bb.1294:
	s_cmp_gt_i32 s4, 3
	s_cbranch_scc0 .LBB23_1298
; %bb.1295:
	global_load_dwordx2 v[14:15], v[12:13], off
	s_mov_b64 s[0:1], 0
	s_branch .LBB23_1299
.LBB23_1296:
                                        ; implicit-def: $vgpr14
	s_branch .LBB23_1305
.LBB23_1297:
	s_mov_b64 s[0:1], -1
                                        ; implicit-def: $vgpr14
	s_branch .LBB23_1302
.LBB23_1298:
	s_mov_b64 s[0:1], -1
                                        ; implicit-def: $vgpr14
.LBB23_1299:
	s_andn2_b64 vcc, exec, s[0:1]
	s_cbranch_vccnz .LBB23_1301
; %bb.1300:
	global_load_dword v14, v[12:13], off
.LBB23_1301:
	s_mov_b64 s[0:1], 0
.LBB23_1302:
	s_andn2_b64 vcc, exec, s[0:1]
	s_cbranch_vccnz .LBB23_1304
; %bb.1303:
	global_load_ushort v14, v[12:13], off
.LBB23_1304:
	s_cbranch_execnz .LBB23_1310
.LBB23_1305:
	s_cmp_gt_i32 s4, 0
	s_cbranch_scc0 .LBB23_1307
; %bb.1306:
	global_load_ubyte v14, v[12:13], off
	s_mov_b64 s[0:1], 0
	s_branch .LBB23_1308
.LBB23_1307:
	s_mov_b64 s[0:1], -1
                                        ; implicit-def: $vgpr14
.LBB23_1308:
	s_andn2_b64 vcc, exec, s[0:1]
	s_cbranch_vccnz .LBB23_1310
; %bb.1309:
	global_load_ubyte v14, v[12:13], off
.LBB23_1310:
.LBB23_1311:
	s_load_dwordx2 s[0:1], s[34:35], 0x158
	s_mov_b64 s[6:7], 0
	s_waitcnt lgkmcnt(0)
	s_sext_i32_i8 s1, s1
	s_cmp_lt_i32 s0, 1
	s_cbranch_scc1 .LBB23_1315
; %bb.1312:
	s_cmp_gt_i32 s0, 1
	s_cbranch_scc0 .LBB23_1316
; %bb.1313:
	s_cmp_eq_u32 s0, 2
	s_cbranch_scc0 .LBB23_1317
; %bb.1314:
	s_waitcnt vmcnt(0)
	v_cmp_le_i16_sdwa s[4:5], sext(v14), s1 src0_sel:BYTE_0 src1_sel:DWORD
	s_mov_b64 s[12:13], 0
	s_branch .LBB23_1318
.LBB23_1315:
                                        ; implicit-def: $sgpr4_sgpr5
	s_mov_b64 s[12:13], 0
	s_cbranch_execnz .LBB23_1321
	s_branch .LBB23_1322
.LBB23_1316:
	s_mov_b64 s[12:13], 0
                                        ; implicit-def: $sgpr4_sgpr5
	s_cbranch_execnz .LBB23_1319
	s_branch .LBB23_1320
.LBB23_1317:
	s_mov_b64 s[12:13], -1
                                        ; implicit-def: $sgpr4_sgpr5
.LBB23_1318:
	s_branch .LBB23_1320
.LBB23_1319:
	s_waitcnt vmcnt(0)
	v_cmp_gt_i16_sdwa s[14:15], sext(v14), s1 src0_sel:BYTE_0 src1_sel:DWORD
	s_andn2_b64 s[4:5], s[4:5], exec
	s_and_b64 s[14:15], s[14:15], exec
	s_or_b64 s[4:5], s[4:5], s[14:15]
.LBB23_1320:
	s_branch .LBB23_1322
.LBB23_1321:
	s_cmp_lg_u32 s0, 0
	s_mov_b64 s[6:7], -1
	s_cselect_b64 s[12:13], -1, 0
.LBB23_1322:
	s_andn2_b64 vcc, exec, s[12:13]
	s_cbranch_vccnz .LBB23_1324
; %bb.1323:
	s_waitcnt vmcnt(0)
	v_cmp_lt_i16_sdwa s[12:13], sext(v14), s1 src0_sel:BYTE_0 src1_sel:DWORD
	s_andn2_b64 s[4:5], s[4:5], exec
	s_and_b64 s[12:13], s[12:13], exec
	s_or_b64 s[4:5], s[4:5], s[12:13]
	s_cbranch_execz .LBB23_1325
	s_branch .LBB23_1326
.LBB23_1324:
	s_andn2_b64 vcc, exec, s[6:7]
	s_cbranch_vccnz .LBB23_1326
.LBB23_1325:
	s_waitcnt vmcnt(0)
	v_cmp_ge_i16_sdwa s[6:7], sext(v14), s1 src0_sel:BYTE_0 src1_sel:DWORD
	s_andn2_b64 s[4:5], s[4:5], exec
	s_and_b64 s[6:7], s[6:7], exec
	s_or_b64 s[4:5], s[4:5], s[6:7]
.LBB23_1326:
	s_lshr_b32 s6, s16, 8
	v_mov_b32_e32 v1, s11
	s_and_b32 s20, s6, 0xff
	v_add_co_u32_e32 v10, vcc, s10, v11
	s_cmp_lt_i32 s20, 11
	v_addc_co_u32_e32 v11, vcc, 0, v1, vcc
	s_cbranch_scc1 .LBB23_1333
; %bb.1327:
	s_and_b32 s18, 0xffff, s20
	s_cmp_gt_i32 s18, 25
	s_mov_b64 s[12:13], 0
	s_cbranch_scc0 .LBB23_1335
; %bb.1328:
	s_cmp_gt_i32 s18, 28
	s_cbranch_scc0 .LBB23_1336
; %bb.1329:
	s_cmp_gt_i32 s18, 43
	;; [unrolled: 3-line block ×3, first 2 shown]
	s_cbranch_scc0 .LBB23_1339
; %bb.1331:
	s_cmp_eq_u32 s18, 46
	s_mov_b64 s[16:17], 0
	s_cbranch_scc0 .LBB23_1342
; %bb.1332:
	global_load_dword v1, v[10:11], off
	s_mov_b64 s[6:7], 0
	s_mov_b64 s[14:15], -1
	s_waitcnt vmcnt(0)
	v_lshlrev_b32_e32 v1, 16, v1
	v_cvt_i32_f32_e32 v12, v1
	s_branch .LBB23_1343
.LBB23_1333:
	s_mov_b64 s[14:15], 0
                                        ; implicit-def: $vgpr12
	s_cbranch_execnz .LBB23_1404
.LBB23_1334:
	s_andn2_b64 vcc, exec, s[14:15]
	s_cbranch_vccnz .LBB23_1738
	s_branch .LBB23_1451
.LBB23_1335:
	s_mov_b64 s[14:15], 0
	s_mov_b64 s[6:7], 0
                                        ; implicit-def: $vgpr12
	s_cbranch_execnz .LBB23_1370
	s_branch .LBB23_1400
.LBB23_1336:
	s_mov_b64 s[16:17], -1
	s_mov_b64 s[14:15], 0
	s_mov_b64 s[6:7], 0
                                        ; implicit-def: $vgpr12
	s_branch .LBB23_1353
.LBB23_1337:
	s_mov_b64 s[16:17], -1
	s_mov_b64 s[14:15], 0
	s_mov_b64 s[6:7], 0
                                        ; implicit-def: $vgpr12
	s_branch .LBB23_1348
.LBB23_1338:
	s_or_b64 s[2:3], s[28:29], exec
	s_trap 2
	s_cbranch_execz .LBB23_1264
	s_branch .LBB23_1265
.LBB23_1339:
	s_mov_b64 s[16:17], -1
	s_mov_b64 s[14:15], 0
	s_mov_b64 s[6:7], 0
                                        ; implicit-def: $vgpr12
	s_branch .LBB23_1343
.LBB23_1340:
	s_andn2_saveexec_b64 s[18:19], s[18:19]
	s_cbranch_execz .LBB23_1059
.LBB23_1341:
	v_add_f32_e32 v0, 0x42800000, v3
	v_and_b32_e32 v0, 0xff, v0
	v_cmp_ne_u32_e32 vcc, 0, v0
	s_andn2_b64 s[16:17], s[16:17], exec
	s_and_b64 s[22:23], vcc, exec
	s_or_b64 s[16:17], s[16:17], s[22:23]
	s_or_b64 exec, exec, s[18:19]
	v_mov_b32_e32 v4, 0
	s_and_saveexec_b64 s[18:19], s[16:17]
	s_cbranch_execnz .LBB23_1060
	s_branch .LBB23_1061
.LBB23_1342:
	s_mov_b64 s[6:7], -1
                                        ; implicit-def: $vgpr12
	s_mov_b64 s[14:15], 0
.LBB23_1343:
	s_and_b64 vcc, exec, s[16:17]
	s_cbranch_vccz .LBB23_1347
; %bb.1344:
	s_cmp_eq_u32 s18, 44
	s_cbranch_scc0 .LBB23_1346
; %bb.1345:
	global_load_ubyte v1, v[10:11], off
	s_mov_b64 s[6:7], 0
	s_mov_b64 s[14:15], -1
	s_waitcnt vmcnt(0)
	v_lshlrev_b32_e32 v3, 23, v1
	v_cvt_i32_f32_e32 v3, v3
	v_cmp_ne_u32_e32 vcc, 0, v1
	v_cndmask_b32_e32 v12, 0, v3, vcc
	s_branch .LBB23_1347
.LBB23_1346:
	s_mov_b64 s[6:7], -1
                                        ; implicit-def: $vgpr12
.LBB23_1347:
	s_mov_b64 s[16:17], 0
.LBB23_1348:
	s_and_b64 vcc, exec, s[16:17]
	s_cbranch_vccz .LBB23_1352
; %bb.1349:
	s_cmp_eq_u32 s18, 29
	s_cbranch_scc0 .LBB23_1351
; %bb.1350:
	global_load_dwordx2 v[12:13], v[10:11], off
	s_mov_b64 s[6:7], 0
	s_mov_b64 s[14:15], -1
	s_branch .LBB23_1352
.LBB23_1351:
	s_mov_b64 s[6:7], -1
                                        ; implicit-def: $vgpr12
.LBB23_1352:
	s_mov_b64 s[16:17], 0
.LBB23_1353:
	s_and_b64 vcc, exec, s[16:17]
	s_cbranch_vccz .LBB23_1369
; %bb.1354:
	s_cmp_lt_i32 s18, 27
	s_cbranch_scc1 .LBB23_1357
; %bb.1355:
	s_cmp_gt_i32 s18, 27
	s_cbranch_scc0 .LBB23_1358
; %bb.1356:
	global_load_dword v12, v[10:11], off
	s_mov_b64 s[14:15], 0
	s_branch .LBB23_1359
.LBB23_1357:
	s_mov_b64 s[14:15], -1
                                        ; implicit-def: $vgpr12
	s_branch .LBB23_1362
.LBB23_1358:
	s_mov_b64 s[14:15], -1
                                        ; implicit-def: $vgpr12
.LBB23_1359:
	s_andn2_b64 vcc, exec, s[14:15]
	s_cbranch_vccnz .LBB23_1361
; %bb.1360:
	global_load_ushort v12, v[10:11], off
.LBB23_1361:
	s_mov_b64 s[14:15], 0
.LBB23_1362:
	s_andn2_b64 vcc, exec, s[14:15]
	s_cbranch_vccnz .LBB23_1368
; %bb.1363:
	global_load_ubyte v1, v[10:11], off
	s_movk_i32 s14, 0x7f
	s_mov_b64 s[16:17], 0
	s_waitcnt vmcnt(0)
	v_cmp_lt_i16_e32 vcc, s14, v1
	s_and_saveexec_b64 s[14:15], vcc
	s_xor_b64 s[14:15], exec, s[14:15]
	s_cbranch_execz .LBB23_1379
; %bb.1364:
	s_movk_i32 s16, 0x80
	v_cmp_ne_u16_e32 vcc, s16, v1
	s_and_b64 s[16:17], vcc, exec
	s_andn2_saveexec_b64 s[14:15], s[14:15]
	s_cbranch_execnz .LBB23_1380
.LBB23_1365:
	s_or_b64 exec, exec, s[14:15]
	v_mov_b32_e32 v12, 0
	s_and_saveexec_b64 s[14:15], s[16:17]
	s_cbranch_execz .LBB23_1367
.LBB23_1366:
	v_lshlrev_b32_e32 v3, 24, v1
	v_and_b32_e32 v1, 0xffff, v1
	v_and_b32_e32 v5, 7, v1
	v_ffbh_u32_e32 v12, v5
	v_min_u32_e32 v12, 32, v12
	v_subrev_u32_e32 v13, 28, v12
	v_bfe_u32 v8, v1, 3, 4
	v_lshlrev_b32_e32 v1, v13, v1
	v_sub_u32_e32 v12, 29, v12
	v_and_b32_e32 v1, 7, v1
	v_cmp_eq_u32_e32 vcc, 0, v8
	v_cndmask_b32_e32 v8, v8, v12, vcc
	v_cndmask_b32_e32 v1, v5, v1, vcc
	v_mov_b32_e32 v5, 0x3b800000
	v_lshlrev_b32_e32 v1, 20, v1
	v_and_b32_e32 v3, 0x80000000, v3
	v_lshl_add_u32 v5, v8, 23, v5
	v_or3_b32 v1, v3, v5, v1
	v_cvt_i32_f32_e32 v12, v1
.LBB23_1367:
	s_or_b64 exec, exec, s[14:15]
.LBB23_1368:
	s_mov_b64 s[14:15], -1
.LBB23_1369:
	s_branch .LBB23_1400
.LBB23_1370:
	s_cmp_gt_i32 s18, 22
	s_cbranch_scc0 .LBB23_1378
; %bb.1371:
	s_cmp_lt_i32 s18, 24
	s_cbranch_scc1 .LBB23_1381
; %bb.1372:
	s_cmp_gt_i32 s18, 24
	s_cbranch_scc0 .LBB23_1382
; %bb.1373:
	global_load_ubyte v1, v[10:11], off
	s_movk_i32 s12, 0x7f
	s_mov_b64 s[14:15], 0
	s_waitcnt vmcnt(0)
	v_cmp_lt_i16_e32 vcc, s12, v1
	s_and_saveexec_b64 s[12:13], vcc
	s_xor_b64 s[12:13], exec, s[12:13]
	s_cbranch_execz .LBB23_1394
; %bb.1374:
	s_movk_i32 s14, 0x80
	v_cmp_ne_u16_e32 vcc, s14, v1
	s_and_b64 s[14:15], vcc, exec
	s_andn2_saveexec_b64 s[12:13], s[12:13]
	s_cbranch_execnz .LBB23_1395
.LBB23_1375:
	s_or_b64 exec, exec, s[12:13]
	v_mov_b32_e32 v12, 0
	s_and_saveexec_b64 s[12:13], s[14:15]
	s_cbranch_execz .LBB23_1377
.LBB23_1376:
	v_lshlrev_b32_e32 v3, 24, v1
	v_and_b32_e32 v1, 0xffff, v1
	v_and_b32_e32 v5, 3, v1
	v_ffbh_u32_e32 v12, v5
	v_min_u32_e32 v12, 32, v12
	v_subrev_u32_e32 v13, 29, v12
	v_bfe_u32 v8, v1, 2, 5
	v_lshlrev_b32_e32 v1, v13, v1
	v_sub_u32_e32 v12, 30, v12
	v_and_b32_e32 v1, 3, v1
	v_cmp_eq_u32_e32 vcc, 0, v8
	v_cndmask_b32_e32 v8, v8, v12, vcc
	v_cndmask_b32_e32 v1, v5, v1, vcc
	v_mov_b32_e32 v5, 0x37800000
	v_lshlrev_b32_e32 v1, 21, v1
	v_and_b32_e32 v3, 0x80000000, v3
	v_lshl_add_u32 v5, v8, 23, v5
	v_or3_b32 v1, v3, v5, v1
	v_cvt_i32_f32_e32 v12, v1
.LBB23_1377:
	s_or_b64 exec, exec, s[12:13]
	s_mov_b64 s[12:13], 0
	s_branch .LBB23_1383
.LBB23_1378:
	s_mov_b64 s[12:13], -1
                                        ; implicit-def: $vgpr12
	s_branch .LBB23_1389
.LBB23_1379:
	s_andn2_saveexec_b64 s[14:15], s[14:15]
	s_cbranch_execz .LBB23_1365
.LBB23_1380:
	v_cmp_ne_u16_e32 vcc, 0, v1
	s_andn2_b64 s[16:17], s[16:17], exec
	s_and_b64 s[22:23], vcc, exec
	s_or_b64 s[16:17], s[16:17], s[22:23]
	s_or_b64 exec, exec, s[14:15]
	v_mov_b32_e32 v12, 0
	s_and_saveexec_b64 s[14:15], s[16:17]
	s_cbranch_execnz .LBB23_1366
	s_branch .LBB23_1367
.LBB23_1381:
	s_mov_b64 s[12:13], -1
                                        ; implicit-def: $vgpr12
	s_branch .LBB23_1386
.LBB23_1382:
	s_mov_b64 s[12:13], -1
                                        ; implicit-def: $vgpr12
.LBB23_1383:
	s_and_b64 vcc, exec, s[12:13]
	s_cbranch_vccz .LBB23_1385
; %bb.1384:
	global_load_ubyte v1, v[10:11], off
	s_mov_b32 s12, 0x7f800000
	s_waitcnt vmcnt(0)
	v_lshlrev_b32_e32 v1, 24, v1
	v_and_b32_e32 v3, 0x7f000000, v1
	v_ffbh_u32_e32 v5, v3
	v_min_u32_e32 v5, 32, v5
	v_sub_u32_e64 v5, v5, 4 clamp
	v_lshlrev_b32_e32 v12, v5, v3
	v_lshlrev_b32_e32 v5, 23, v5
	v_lshrrev_b32_e32 v12, 4, v12
	v_add_u32_e32 v8, 0x1000000, v3
	v_sub_u32_e32 v5, v12, v5
	v_ashrrev_i32_e32 v8, 8, v8
	v_add_u32_e32 v5, 0x3c000000, v5
	v_and_or_b32 v5, v8, s12, v5
	v_cmp_ne_u32_e32 vcc, 0, v3
	v_cndmask_b32_e32 v3, 0, v5, vcc
	s_brev_b32 s12, 1
	v_and_or_b32 v1, v1, s12, v3
	v_cvt_i32_f32_e32 v12, v1
.LBB23_1385:
	s_mov_b64 s[12:13], 0
.LBB23_1386:
	s_andn2_b64 vcc, exec, s[12:13]
	s_cbranch_vccnz .LBB23_1388
; %bb.1387:
	global_load_ubyte v1, v[10:11], off
	s_movk_i32 s12, 0x7f00
	s_brev_b32 s13, 16
	s_waitcnt vmcnt(0)
	v_lshlrev_b16_e32 v3, 8, v1
	v_lshlrev_b32_e32 v1, 25, v1
	v_lshrrev_b32_e32 v5, 4, v1
	v_and_or_b32 v8, v3, s12, 0.5
	v_or_b32_e32 v5, 0x70000000, v5
	v_add_f32_e32 v8, -0.5, v8
	v_mul_f32_e32 v5, 0x7800000, v5
	v_cmp_gt_u32_e32 vcc, s13, v1
	v_bfe_i32 v3, v3, 0, 16
	v_cndmask_b32_e32 v1, v5, v8, vcc
	s_brev_b32 s12, 1
	v_and_or_b32 v1, v3, s12, v1
	v_cvt_i32_f32_e32 v12, v1
.LBB23_1388:
	s_mov_b64 s[12:13], 0
	s_mov_b64 s[14:15], -1
.LBB23_1389:
	s_andn2_b64 vcc, exec, s[12:13]
	s_mov_b64 s[12:13], 0
	s_cbranch_vccnz .LBB23_1400
; %bb.1390:
	s_cmp_gt_i32 s18, 14
	s_cbranch_scc0 .LBB23_1393
; %bb.1391:
	s_cmp_eq_u32 s18, 15
	s_cbranch_scc0 .LBB23_1396
; %bb.1392:
	global_load_ushort v1, v[10:11], off
	s_mov_b64 s[6:7], 0
	s_mov_b64 s[14:15], -1
	s_waitcnt vmcnt(0)
	v_lshlrev_b32_e32 v1, 16, v1
	v_cvt_i32_f32_e32 v12, v1
	s_branch .LBB23_1397
.LBB23_1393:
	s_mov_b64 s[16:17], -1
                                        ; implicit-def: $vgpr12
	s_branch .LBB23_1398
.LBB23_1394:
	s_andn2_saveexec_b64 s[12:13], s[12:13]
	s_cbranch_execz .LBB23_1375
.LBB23_1395:
	v_cmp_ne_u16_e32 vcc, 0, v1
	s_andn2_b64 s[14:15], s[14:15], exec
	s_and_b64 s[16:17], vcc, exec
	s_or_b64 s[14:15], s[14:15], s[16:17]
	s_or_b64 exec, exec, s[12:13]
	v_mov_b32_e32 v12, 0
	s_and_saveexec_b64 s[12:13], s[14:15]
	s_cbranch_execnz .LBB23_1376
	s_branch .LBB23_1377
.LBB23_1396:
	s_mov_b64 s[6:7], -1
                                        ; implicit-def: $vgpr12
.LBB23_1397:
	s_mov_b64 s[16:17], 0
.LBB23_1398:
	s_and_b64 vcc, exec, s[16:17]
	s_cbranch_vccz .LBB23_1400
; %bb.1399:
	s_cmp_lg_u32 s18, 11
	s_mov_b64 s[12:13], -1
	s_cselect_b64 s[6:7], -1, 0
.LBB23_1400:
	s_and_b64 vcc, exec, s[6:7]
	s_cbranch_vccnz .LBB23_1479
; %bb.1401:
	s_andn2_b64 vcc, exec, s[12:13]
	s_cbranch_vccnz .LBB23_1403
.LBB23_1402:
	global_load_ubyte v1, v[10:11], off
	s_mov_b64 s[14:15], -1
	s_waitcnt vmcnt(0)
	v_cmp_ne_u16_e32 vcc, 0, v1
	v_cndmask_b32_e64 v12, 0, 1, vcc
.LBB23_1403:
	s_branch .LBB23_1334
.LBB23_1404:
	s_and_b32 s12, 0xffff, s20
	s_cmp_lt_i32 s12, 5
	s_cbranch_scc1 .LBB23_1409
; %bb.1405:
	s_cmp_lt_i32 s12, 8
	s_cbranch_scc1 .LBB23_1410
; %bb.1406:
	;; [unrolled: 3-line block ×3, first 2 shown]
	s_cmp_gt_i32 s12, 9
	s_cbranch_scc0 .LBB23_1412
; %bb.1408:
	global_load_dwordx2 v[12:13], v[10:11], off
	s_mov_b64 s[6:7], 0
	s_waitcnt vmcnt(0)
	v_cvt_i32_f64_e32 v12, v[12:13]
	s_branch .LBB23_1413
.LBB23_1409:
                                        ; implicit-def: $vgpr12
	s_branch .LBB23_1431
.LBB23_1410:
	s_mov_b64 s[6:7], -1
                                        ; implicit-def: $vgpr12
	s_branch .LBB23_1419
.LBB23_1411:
	s_mov_b64 s[6:7], -1
                                        ; implicit-def: $vgpr12
	s_branch .LBB23_1416
.LBB23_1412:
	s_mov_b64 s[6:7], -1
                                        ; implicit-def: $vgpr12
.LBB23_1413:
	s_andn2_b64 vcc, exec, s[6:7]
	s_cbranch_vccnz .LBB23_1415
; %bb.1414:
	global_load_dword v1, v[10:11], off
	s_waitcnt vmcnt(0)
	v_cvt_i32_f32_e32 v12, v1
.LBB23_1415:
	s_mov_b64 s[6:7], 0
.LBB23_1416:
	s_andn2_b64 vcc, exec, s[6:7]
	s_cbranch_vccnz .LBB23_1418
; %bb.1417:
	global_load_dword v1, v[10:11], off
	s_waitcnt vmcnt(0)
	v_cvt_i16_f16_e32 v12, v1
.LBB23_1418:
	s_mov_b64 s[6:7], 0
.LBB23_1419:
	s_andn2_b64 vcc, exec, s[6:7]
	s_cbranch_vccnz .LBB23_1430
; %bb.1420:
	s_cmp_lt_i32 s12, 6
	s_cbranch_scc1 .LBB23_1423
; %bb.1421:
	s_cmp_gt_i32 s12, 6
	s_cbranch_scc0 .LBB23_1424
; %bb.1422:
	global_load_dwordx2 v[12:13], v[10:11], off
	s_mov_b64 s[6:7], 0
	s_waitcnt vmcnt(0)
	v_cvt_i32_f64_e32 v12, v[12:13]
	s_branch .LBB23_1425
.LBB23_1423:
	s_mov_b64 s[6:7], -1
                                        ; implicit-def: $vgpr12
	s_branch .LBB23_1428
.LBB23_1424:
	s_mov_b64 s[6:7], -1
                                        ; implicit-def: $vgpr12
.LBB23_1425:
	s_andn2_b64 vcc, exec, s[6:7]
	s_cbranch_vccnz .LBB23_1427
; %bb.1426:
	global_load_dword v1, v[10:11], off
	s_waitcnt vmcnt(0)
	v_cvt_i32_f32_e32 v12, v1
.LBB23_1427:
	s_mov_b64 s[6:7], 0
.LBB23_1428:
	s_andn2_b64 vcc, exec, s[6:7]
	s_cbranch_vccnz .LBB23_1430
; %bb.1429:
	global_load_ushort v1, v[10:11], off
	s_waitcnt vmcnt(0)
	v_cvt_i16_f16_e32 v12, v1
.LBB23_1430:
	s_cbranch_execnz .LBB23_1450
.LBB23_1431:
	s_cmp_lt_i32 s12, 2
	s_cbranch_scc1 .LBB23_1435
; %bb.1432:
	s_cmp_lt_i32 s12, 3
	s_cbranch_scc1 .LBB23_1436
; %bb.1433:
	s_cmp_gt_i32 s12, 3
	s_cbranch_scc0 .LBB23_1437
; %bb.1434:
	global_load_dwordx2 v[12:13], v[10:11], off
	s_mov_b64 s[6:7], 0
	s_branch .LBB23_1438
.LBB23_1435:
	s_mov_b64 s[6:7], -1
                                        ; implicit-def: $vgpr12
	s_branch .LBB23_1444
.LBB23_1436:
	s_mov_b64 s[6:7], -1
                                        ; implicit-def: $vgpr12
	s_branch .LBB23_1441
.LBB23_1437:
	s_mov_b64 s[6:7], -1
                                        ; implicit-def: $vgpr12
.LBB23_1438:
	s_andn2_b64 vcc, exec, s[6:7]
	s_cbranch_vccnz .LBB23_1440
; %bb.1439:
	global_load_dword v12, v[10:11], off
.LBB23_1440:
	s_mov_b64 s[6:7], 0
.LBB23_1441:
	s_andn2_b64 vcc, exec, s[6:7]
	s_cbranch_vccnz .LBB23_1443
; %bb.1442:
	global_load_ushort v12, v[10:11], off
.LBB23_1443:
	s_mov_b64 s[6:7], 0
.LBB23_1444:
	s_andn2_b64 vcc, exec, s[6:7]
	s_cbranch_vccnz .LBB23_1450
; %bb.1445:
	s_cmp_gt_i32 s12, 0
	s_cbranch_scc0 .LBB23_1447
; %bb.1446:
	global_load_ubyte v12, v[10:11], off
	s_mov_b64 s[6:7], 0
	s_branch .LBB23_1448
.LBB23_1447:
	s_mov_b64 s[6:7], -1
                                        ; implicit-def: $vgpr12
.LBB23_1448:
	s_andn2_b64 vcc, exec, s[6:7]
	s_cbranch_vccnz .LBB23_1450
; %bb.1449:
	global_load_ubyte v12, v[10:11], off
.LBB23_1450:
.LBB23_1451:
	s_cmp_lt_i32 s0, 1
	s_mov_b64 s[12:13], 0
	s_cbranch_scc1 .LBB23_1455
; %bb.1452:
	s_cmp_gt_i32 s0, 1
	s_cbranch_scc0 .LBB23_1456
; %bb.1453:
	s_cmp_eq_u32 s0, 2
	s_cbranch_scc0 .LBB23_1457
; %bb.1454:
	s_waitcnt vmcnt(0)
	v_cmp_le_i16_sdwa s[6:7], sext(v12), s1 src0_sel:BYTE_0 src1_sel:DWORD
	s_mov_b64 s[14:15], 0
	s_branch .LBB23_1458
.LBB23_1455:
                                        ; implicit-def: $sgpr6_sgpr7
	s_mov_b64 s[14:15], 0
	s_cbranch_execnz .LBB23_1462
	s_branch .LBB23_1463
.LBB23_1456:
	s_mov_b64 s[16:17], -1
	s_mov_b64 s[14:15], 0
                                        ; implicit-def: $sgpr6_sgpr7
	s_branch .LBB23_1459
.LBB23_1457:
	s_mov_b64 s[14:15], -1
                                        ; implicit-def: $sgpr6_sgpr7
.LBB23_1458:
	s_mov_b64 s[16:17], 0
.LBB23_1459:
	s_and_b64 vcc, exec, s[16:17]
	s_cbranch_vccz .LBB23_1461
; %bb.1460:
	s_waitcnt vmcnt(0)
	v_cmp_gt_i16_sdwa s[16:17], sext(v12), s1 src0_sel:BYTE_0 src1_sel:DWORD
	s_andn2_b64 s[6:7], s[6:7], exec
	s_and_b64 s[16:17], s[16:17], exec
	s_or_b64 s[6:7], s[6:7], s[16:17]
.LBB23_1461:
	s_branch .LBB23_1463
.LBB23_1462:
	s_cmp_lg_u32 s0, 0
	s_mov_b64 s[12:13], -1
	s_cselect_b64 s[14:15], -1, 0
.LBB23_1463:
	s_andn2_b64 vcc, exec, s[14:15]
	s_cbranch_vccnz .LBB23_1465
; %bb.1464:
	s_waitcnt vmcnt(0)
	v_cmp_lt_i16_sdwa s[14:15], sext(v12), s1 src0_sel:BYTE_0 src1_sel:DWORD
	s_andn2_b64 s[6:7], s[6:7], exec
	s_and_b64 s[14:15], s[14:15], exec
	s_or_b64 s[6:7], s[6:7], s[14:15]
	s_cbranch_execz .LBB23_1466
	s_branch .LBB23_1467
.LBB23_1465:
	s_andn2_b64 vcc, exec, s[12:13]
	s_cbranch_vccnz .LBB23_1467
.LBB23_1466:
	s_waitcnt vmcnt(0)
	v_cmp_ge_i16_sdwa s[12:13], sext(v12), s1 src0_sel:BYTE_0 src1_sel:DWORD
	s_andn2_b64 s[6:7], s[6:7], exec
	s_and_b64 s[12:13], s[12:13], exec
	s_or_b64 s[6:7], s[6:7], s[12:13]
.LBB23_1467:
	v_mov_b32_e32 v1, s11
	v_add_co_u32_e32 v8, vcc, s10, v9
	s_cmp_lt_i32 s20, 11
	v_addc_co_u32_e32 v9, vcc, 0, v1, vcc
	s_cbranch_scc1 .LBB23_1474
; %bb.1468:
	s_and_b32 s21, 0xffff, s20
	s_cmp_gt_i32 s21, 25
	s_mov_b64 s[14:15], 0
	s_cbranch_scc0 .LBB23_1476
; %bb.1469:
	s_cmp_gt_i32 s21, 28
	s_cbranch_scc0 .LBB23_1477
; %bb.1470:
	s_cmp_gt_i32 s21, 43
	;; [unrolled: 3-line block ×3, first 2 shown]
	s_cbranch_scc0 .LBB23_1480
; %bb.1472:
	s_cmp_eq_u32 s21, 46
	s_mov_b64 s[18:19], 0
	s_cbranch_scc0 .LBB23_1481
; %bb.1473:
	global_load_dword v1, v[8:9], off
	s_mov_b64 s[12:13], 0
	s_mov_b64 s[16:17], -1
	s_waitcnt vmcnt(0)
	v_lshlrev_b32_e32 v1, 16, v1
	v_cvt_i32_f32_e32 v10, v1
	s_branch .LBB23_1482
.LBB23_1474:
	s_mov_b64 s[16:17], 0
                                        ; implicit-def: $vgpr10
	s_cbranch_execnz .LBB23_1544
.LBB23_1475:
	s_andn2_b64 vcc, exec, s[16:17]
	s_cbranch_vccnz .LBB23_1738
	s_branch .LBB23_1592
.LBB23_1476:
	s_mov_b64 s[18:19], -1
	s_mov_b64 s[16:17], 0
	s_mov_b64 s[12:13], 0
                                        ; implicit-def: $vgpr10
	s_branch .LBB23_1509
.LBB23_1477:
	s_mov_b64 s[18:19], -1
	s_mov_b64 s[16:17], 0
	s_mov_b64 s[12:13], 0
                                        ; implicit-def: $vgpr10
	s_branch .LBB23_1492
.LBB23_1478:
	s_mov_b64 s[18:19], -1
	s_mov_b64 s[16:17], 0
	s_mov_b64 s[12:13], 0
                                        ; implicit-def: $vgpr10
	s_branch .LBB23_1487
.LBB23_1479:
	s_trap 2
	s_or_b64 s[2:3], s[2:3], exec
	s_cbranch_execz .LBB23_1402
	s_branch .LBB23_1403
.LBB23_1480:
	s_mov_b64 s[18:19], -1
	s_mov_b64 s[16:17], 0
	s_mov_b64 s[12:13], 0
                                        ; implicit-def: $vgpr10
	s_branch .LBB23_1482
.LBB23_1481:
	s_mov_b64 s[12:13], -1
                                        ; implicit-def: $vgpr10
	s_mov_b64 s[16:17], 0
.LBB23_1482:
	s_and_b64 vcc, exec, s[18:19]
	s_cbranch_vccz .LBB23_1486
; %bb.1483:
	s_cmp_eq_u32 s21, 44
	s_cbranch_scc0 .LBB23_1485
; %bb.1484:
	global_load_ubyte v1, v[8:9], off
	s_mov_b64 s[12:13], 0
	s_mov_b64 s[16:17], -1
	s_waitcnt vmcnt(0)
	v_lshlrev_b32_e32 v3, 23, v1
	v_cvt_i32_f32_e32 v3, v3
	v_cmp_ne_u32_e32 vcc, 0, v1
	v_cndmask_b32_e32 v10, 0, v3, vcc
	s_branch .LBB23_1486
.LBB23_1485:
	s_mov_b64 s[12:13], -1
                                        ; implicit-def: $vgpr10
.LBB23_1486:
	s_mov_b64 s[18:19], 0
.LBB23_1487:
	s_and_b64 vcc, exec, s[18:19]
	s_cbranch_vccz .LBB23_1491
; %bb.1488:
	s_cmp_eq_u32 s21, 29
	s_cbranch_scc0 .LBB23_1490
; %bb.1489:
	global_load_dwordx2 v[10:11], v[8:9], off
	s_mov_b64 s[12:13], 0
	s_mov_b64 s[16:17], -1
	s_branch .LBB23_1491
.LBB23_1490:
	s_mov_b64 s[12:13], -1
                                        ; implicit-def: $vgpr10
.LBB23_1491:
	s_mov_b64 s[18:19], 0
.LBB23_1492:
	s_and_b64 vcc, exec, s[18:19]
	s_cbranch_vccz .LBB23_1508
; %bb.1493:
	s_cmp_lt_i32 s21, 27
	s_cbranch_scc1 .LBB23_1496
; %bb.1494:
	s_cmp_gt_i32 s21, 27
	s_cbranch_scc0 .LBB23_1497
; %bb.1495:
	global_load_dword v10, v[8:9], off
	s_mov_b64 s[16:17], 0
	s_branch .LBB23_1498
.LBB23_1496:
	s_mov_b64 s[16:17], -1
                                        ; implicit-def: $vgpr10
	s_branch .LBB23_1501
.LBB23_1497:
	s_mov_b64 s[16:17], -1
                                        ; implicit-def: $vgpr10
.LBB23_1498:
	s_andn2_b64 vcc, exec, s[16:17]
	s_cbranch_vccnz .LBB23_1500
; %bb.1499:
	global_load_ushort v10, v[8:9], off
.LBB23_1500:
	s_mov_b64 s[16:17], 0
.LBB23_1501:
	s_andn2_b64 vcc, exec, s[16:17]
	s_cbranch_vccnz .LBB23_1507
; %bb.1502:
	global_load_ubyte v1, v[8:9], off
	s_movk_i32 s16, 0x7f
	s_mov_b64 s[18:19], 0
	s_waitcnt vmcnt(0)
	v_cmp_lt_i16_e32 vcc, s16, v1
	s_and_saveexec_b64 s[16:17], vcc
	s_xor_b64 s[16:17], exec, s[16:17]
	s_cbranch_execz .LBB23_1519
; %bb.1503:
	s_movk_i32 s18, 0x80
	v_cmp_ne_u16_e32 vcc, s18, v1
	s_and_b64 s[18:19], vcc, exec
	s_andn2_saveexec_b64 s[16:17], s[16:17]
	s_cbranch_execnz .LBB23_1520
.LBB23_1504:
	s_or_b64 exec, exec, s[16:17]
	v_mov_b32_e32 v10, 0
	s_and_saveexec_b64 s[16:17], s[18:19]
	s_cbranch_execz .LBB23_1506
.LBB23_1505:
	v_lshlrev_b32_e32 v3, 24, v1
	v_and_b32_e32 v1, 0xffff, v1
	v_and_b32_e32 v5, 7, v1
	v_ffbh_u32_e32 v11, v5
	v_min_u32_e32 v11, 32, v11
	v_subrev_u32_e32 v12, 28, v11
	v_bfe_u32 v10, v1, 3, 4
	v_lshlrev_b32_e32 v1, v12, v1
	v_sub_u32_e32 v11, 29, v11
	v_and_b32_e32 v1, 7, v1
	v_cmp_eq_u32_e32 vcc, 0, v10
	v_cndmask_b32_e32 v10, v10, v11, vcc
	v_cndmask_b32_e32 v1, v5, v1, vcc
	v_mov_b32_e32 v5, 0x3b800000
	v_lshlrev_b32_e32 v1, 20, v1
	v_and_b32_e32 v3, 0x80000000, v3
	v_lshl_add_u32 v5, v10, 23, v5
	v_or3_b32 v1, v3, v5, v1
	v_cvt_i32_f32_e32 v10, v1
.LBB23_1506:
	s_or_b64 exec, exec, s[16:17]
.LBB23_1507:
	s_mov_b64 s[16:17], -1
.LBB23_1508:
	s_mov_b64 s[18:19], 0
.LBB23_1509:
	s_and_b64 vcc, exec, s[18:19]
	s_cbranch_vccz .LBB23_1540
; %bb.1510:
	s_cmp_gt_i32 s21, 22
	s_cbranch_scc0 .LBB23_1518
; %bb.1511:
	s_cmp_lt_i32 s21, 24
	s_cbranch_scc1 .LBB23_1521
; %bb.1512:
	s_cmp_gt_i32 s21, 24
	s_cbranch_scc0 .LBB23_1522
; %bb.1513:
	global_load_ubyte v1, v[8:9], off
	s_movk_i32 s14, 0x7f
	s_mov_b64 s[16:17], 0
	s_waitcnt vmcnt(0)
	v_cmp_lt_i16_e32 vcc, s14, v1
	s_and_saveexec_b64 s[14:15], vcc
	s_xor_b64 s[14:15], exec, s[14:15]
	s_cbranch_execz .LBB23_1534
; %bb.1514:
	s_movk_i32 s16, 0x80
	v_cmp_ne_u16_e32 vcc, s16, v1
	s_and_b64 s[16:17], vcc, exec
	s_andn2_saveexec_b64 s[14:15], s[14:15]
	s_cbranch_execnz .LBB23_1535
.LBB23_1515:
	s_or_b64 exec, exec, s[14:15]
	v_mov_b32_e32 v10, 0
	s_and_saveexec_b64 s[14:15], s[16:17]
	s_cbranch_execz .LBB23_1517
.LBB23_1516:
	v_lshlrev_b32_e32 v3, 24, v1
	v_and_b32_e32 v1, 0xffff, v1
	v_and_b32_e32 v5, 3, v1
	v_ffbh_u32_e32 v11, v5
	v_min_u32_e32 v11, 32, v11
	v_subrev_u32_e32 v12, 29, v11
	v_bfe_u32 v10, v1, 2, 5
	v_lshlrev_b32_e32 v1, v12, v1
	v_sub_u32_e32 v11, 30, v11
	v_and_b32_e32 v1, 3, v1
	v_cmp_eq_u32_e32 vcc, 0, v10
	v_cndmask_b32_e32 v10, v10, v11, vcc
	v_cndmask_b32_e32 v1, v5, v1, vcc
	v_mov_b32_e32 v5, 0x37800000
	v_lshlrev_b32_e32 v1, 21, v1
	v_and_b32_e32 v3, 0x80000000, v3
	v_lshl_add_u32 v5, v10, 23, v5
	v_or3_b32 v1, v3, v5, v1
	v_cvt_i32_f32_e32 v10, v1
.LBB23_1517:
	s_or_b64 exec, exec, s[14:15]
	s_mov_b64 s[14:15], 0
	s_branch .LBB23_1523
.LBB23_1518:
	s_mov_b64 s[14:15], -1
                                        ; implicit-def: $vgpr10
	s_branch .LBB23_1529
.LBB23_1519:
	s_andn2_saveexec_b64 s[16:17], s[16:17]
	s_cbranch_execz .LBB23_1504
.LBB23_1520:
	v_cmp_ne_u16_e32 vcc, 0, v1
	s_andn2_b64 s[18:19], s[18:19], exec
	s_and_b64 s[22:23], vcc, exec
	s_or_b64 s[18:19], s[18:19], s[22:23]
	s_or_b64 exec, exec, s[16:17]
	v_mov_b32_e32 v10, 0
	s_and_saveexec_b64 s[16:17], s[18:19]
	s_cbranch_execnz .LBB23_1505
	s_branch .LBB23_1506
.LBB23_1521:
	s_mov_b64 s[14:15], -1
                                        ; implicit-def: $vgpr10
	s_branch .LBB23_1526
.LBB23_1522:
	s_mov_b64 s[14:15], -1
                                        ; implicit-def: $vgpr10
.LBB23_1523:
	s_and_b64 vcc, exec, s[14:15]
	s_cbranch_vccz .LBB23_1525
; %bb.1524:
	global_load_ubyte v1, v[8:9], off
	s_mov_b32 s14, 0x7f800000
	s_waitcnt vmcnt(0)
	v_lshlrev_b32_e32 v1, 24, v1
	v_and_b32_e32 v3, 0x7f000000, v1
	v_ffbh_u32_e32 v5, v3
	v_min_u32_e32 v5, 32, v5
	v_sub_u32_e64 v5, v5, 4 clamp
	v_lshlrev_b32_e32 v11, v5, v3
	v_lshlrev_b32_e32 v5, 23, v5
	v_lshrrev_b32_e32 v11, 4, v11
	v_add_u32_e32 v10, 0x1000000, v3
	v_sub_u32_e32 v5, v11, v5
	v_ashrrev_i32_e32 v10, 8, v10
	v_add_u32_e32 v5, 0x3c000000, v5
	v_and_or_b32 v5, v10, s14, v5
	v_cmp_ne_u32_e32 vcc, 0, v3
	v_cndmask_b32_e32 v3, 0, v5, vcc
	s_brev_b32 s14, 1
	v_and_or_b32 v1, v1, s14, v3
	v_cvt_i32_f32_e32 v10, v1
.LBB23_1525:
	s_mov_b64 s[14:15], 0
.LBB23_1526:
	s_andn2_b64 vcc, exec, s[14:15]
	s_cbranch_vccnz .LBB23_1528
; %bb.1527:
	global_load_ubyte v1, v[8:9], off
	s_movk_i32 s14, 0x7f00
	s_brev_b32 s15, 16
	s_waitcnt vmcnt(0)
	v_lshlrev_b16_e32 v3, 8, v1
	v_lshlrev_b32_e32 v1, 25, v1
	v_lshrrev_b32_e32 v5, 4, v1
	v_and_or_b32 v10, v3, s14, 0.5
	v_or_b32_e32 v5, 0x70000000, v5
	v_add_f32_e32 v10, -0.5, v10
	v_mul_f32_e32 v5, 0x7800000, v5
	v_cmp_gt_u32_e32 vcc, s15, v1
	v_bfe_i32 v3, v3, 0, 16
	v_cndmask_b32_e32 v1, v5, v10, vcc
	s_brev_b32 s14, 1
	v_and_or_b32 v1, v3, s14, v1
	v_cvt_i32_f32_e32 v10, v1
.LBB23_1528:
	s_mov_b64 s[14:15], 0
	s_mov_b64 s[16:17], -1
.LBB23_1529:
	s_andn2_b64 vcc, exec, s[14:15]
	s_mov_b64 s[14:15], 0
	s_cbranch_vccnz .LBB23_1540
; %bb.1530:
	s_cmp_gt_i32 s21, 14
	s_cbranch_scc0 .LBB23_1533
; %bb.1531:
	s_cmp_eq_u32 s21, 15
	s_cbranch_scc0 .LBB23_1536
; %bb.1532:
	global_load_ushort v1, v[8:9], off
	s_mov_b64 s[12:13], 0
	s_mov_b64 s[16:17], -1
	s_waitcnt vmcnt(0)
	v_lshlrev_b32_e32 v1, 16, v1
	v_cvt_i32_f32_e32 v10, v1
	s_branch .LBB23_1537
.LBB23_1533:
	s_mov_b64 s[18:19], -1
                                        ; implicit-def: $vgpr10
	s_branch .LBB23_1538
.LBB23_1534:
	s_andn2_saveexec_b64 s[14:15], s[14:15]
	s_cbranch_execz .LBB23_1515
.LBB23_1535:
	v_cmp_ne_u16_e32 vcc, 0, v1
	s_andn2_b64 s[16:17], s[16:17], exec
	s_and_b64 s[18:19], vcc, exec
	s_or_b64 s[16:17], s[16:17], s[18:19]
	s_or_b64 exec, exec, s[14:15]
	v_mov_b32_e32 v10, 0
	s_and_saveexec_b64 s[14:15], s[16:17]
	s_cbranch_execnz .LBB23_1516
	s_branch .LBB23_1517
.LBB23_1536:
	s_mov_b64 s[12:13], -1
                                        ; implicit-def: $vgpr10
.LBB23_1537:
	s_mov_b64 s[18:19], 0
.LBB23_1538:
	s_and_b64 vcc, exec, s[18:19]
	s_cbranch_vccz .LBB23_1540
; %bb.1539:
	s_cmp_lg_u32 s21, 11
	s_mov_b64 s[14:15], -1
	s_cselect_b64 s[12:13], -1, 0
.LBB23_1540:
	s_and_b64 vcc, exec, s[12:13]
	s_cbranch_vccnz .LBB23_1619
; %bb.1541:
	s_andn2_b64 vcc, exec, s[14:15]
	s_cbranch_vccnz .LBB23_1543
.LBB23_1542:
	global_load_ubyte v1, v[8:9], off
	s_mov_b64 s[16:17], -1
	s_waitcnt vmcnt(0)
	v_cmp_ne_u16_e32 vcc, 0, v1
	v_cndmask_b32_e64 v10, 0, 1, vcc
.LBB23_1543:
	s_branch .LBB23_1475
.LBB23_1544:
	s_and_b32 s14, 0xffff, s20
	s_cmp_lt_i32 s14, 5
	s_cbranch_scc1 .LBB23_1549
; %bb.1545:
	s_cmp_lt_i32 s14, 8
	s_cbranch_scc1 .LBB23_1550
; %bb.1546:
	;; [unrolled: 3-line block ×3, first 2 shown]
	s_cmp_gt_i32 s14, 9
	s_cbranch_scc0 .LBB23_1552
; %bb.1548:
	global_load_dwordx2 v[10:11], v[8:9], off
	s_mov_b64 s[12:13], 0
	s_waitcnt vmcnt(0)
	v_cvt_i32_f64_e32 v10, v[10:11]
	s_branch .LBB23_1553
.LBB23_1549:
	s_mov_b64 s[12:13], -1
                                        ; implicit-def: $vgpr10
	s_branch .LBB23_1571
.LBB23_1550:
	s_mov_b64 s[12:13], -1
                                        ; implicit-def: $vgpr10
	s_branch .LBB23_1559
.LBB23_1551:
	s_mov_b64 s[12:13], -1
                                        ; implicit-def: $vgpr10
	s_branch .LBB23_1556
.LBB23_1552:
	s_mov_b64 s[12:13], -1
                                        ; implicit-def: $vgpr10
.LBB23_1553:
	s_andn2_b64 vcc, exec, s[12:13]
	s_cbranch_vccnz .LBB23_1555
; %bb.1554:
	global_load_dword v1, v[8:9], off
	s_waitcnt vmcnt(0)
	v_cvt_i32_f32_e32 v10, v1
.LBB23_1555:
	s_mov_b64 s[12:13], 0
.LBB23_1556:
	s_andn2_b64 vcc, exec, s[12:13]
	s_cbranch_vccnz .LBB23_1558
; %bb.1557:
	global_load_dword v1, v[8:9], off
	s_waitcnt vmcnt(0)
	v_cvt_i16_f16_e32 v10, v1
.LBB23_1558:
	s_mov_b64 s[12:13], 0
.LBB23_1559:
	s_andn2_b64 vcc, exec, s[12:13]
	s_cbranch_vccnz .LBB23_1570
; %bb.1560:
	s_cmp_lt_i32 s14, 6
	s_cbranch_scc1 .LBB23_1563
; %bb.1561:
	s_cmp_gt_i32 s14, 6
	s_cbranch_scc0 .LBB23_1564
; %bb.1562:
	global_load_dwordx2 v[10:11], v[8:9], off
	s_mov_b64 s[12:13], 0
	s_waitcnt vmcnt(0)
	v_cvt_i32_f64_e32 v10, v[10:11]
	s_branch .LBB23_1565
.LBB23_1563:
	s_mov_b64 s[12:13], -1
                                        ; implicit-def: $vgpr10
	s_branch .LBB23_1568
.LBB23_1564:
	s_mov_b64 s[12:13], -1
                                        ; implicit-def: $vgpr10
.LBB23_1565:
	s_andn2_b64 vcc, exec, s[12:13]
	s_cbranch_vccnz .LBB23_1567
; %bb.1566:
	global_load_dword v1, v[8:9], off
	s_waitcnt vmcnt(0)
	v_cvt_i32_f32_e32 v10, v1
.LBB23_1567:
	s_mov_b64 s[12:13], 0
.LBB23_1568:
	s_andn2_b64 vcc, exec, s[12:13]
	s_cbranch_vccnz .LBB23_1570
; %bb.1569:
	global_load_ushort v1, v[8:9], off
	s_waitcnt vmcnt(0)
	v_cvt_i16_f16_e32 v10, v1
.LBB23_1570:
	s_mov_b64 s[12:13], 0
.LBB23_1571:
	s_andn2_b64 vcc, exec, s[12:13]
	s_cbranch_vccnz .LBB23_1591
; %bb.1572:
	s_cmp_lt_i32 s14, 2
	s_cbranch_scc1 .LBB23_1576
; %bb.1573:
	s_cmp_lt_i32 s14, 3
	s_cbranch_scc1 .LBB23_1577
; %bb.1574:
	s_cmp_gt_i32 s14, 3
	s_cbranch_scc0 .LBB23_1578
; %bb.1575:
	global_load_dwordx2 v[10:11], v[8:9], off
	s_mov_b64 s[12:13], 0
	s_branch .LBB23_1579
.LBB23_1576:
	s_mov_b64 s[12:13], -1
                                        ; implicit-def: $vgpr10
	s_branch .LBB23_1585
.LBB23_1577:
	s_mov_b64 s[12:13], -1
                                        ; implicit-def: $vgpr10
	s_branch .LBB23_1582
.LBB23_1578:
	s_mov_b64 s[12:13], -1
                                        ; implicit-def: $vgpr10
.LBB23_1579:
	s_andn2_b64 vcc, exec, s[12:13]
	s_cbranch_vccnz .LBB23_1581
; %bb.1580:
	global_load_dword v10, v[8:9], off
.LBB23_1581:
	s_mov_b64 s[12:13], 0
.LBB23_1582:
	s_andn2_b64 vcc, exec, s[12:13]
	s_cbranch_vccnz .LBB23_1584
; %bb.1583:
	global_load_ushort v10, v[8:9], off
.LBB23_1584:
	s_mov_b64 s[12:13], 0
.LBB23_1585:
	s_andn2_b64 vcc, exec, s[12:13]
	s_cbranch_vccnz .LBB23_1591
; %bb.1586:
	s_cmp_gt_i32 s14, 0
	s_cbranch_scc0 .LBB23_1588
; %bb.1587:
	global_load_ubyte v10, v[8:9], off
	s_mov_b64 s[12:13], 0
	s_branch .LBB23_1589
.LBB23_1588:
	s_mov_b64 s[12:13], -1
                                        ; implicit-def: $vgpr10
.LBB23_1589:
	s_andn2_b64 vcc, exec, s[12:13]
	s_cbranch_vccnz .LBB23_1591
; %bb.1590:
	global_load_ubyte v10, v[8:9], off
.LBB23_1591:
.LBB23_1592:
	s_cmp_lt_i32 s0, 1
	s_mov_b64 s[14:15], 0
	s_cbranch_scc1 .LBB23_1596
; %bb.1593:
	s_cmp_gt_i32 s0, 1
	s_cbranch_scc0 .LBB23_1599
; %bb.1594:
	s_cmp_eq_u32 s0, 2
	s_cbranch_scc0 .LBB23_1600
; %bb.1595:
	s_waitcnt vmcnt(0)
	v_cmp_le_i16_sdwa s[12:13], sext(v10), s1 src0_sel:BYTE_0 src1_sel:DWORD
	s_mov_b64 s[16:17], 0
	s_branch .LBB23_1601
.LBB23_1596:
                                        ; implicit-def: $sgpr12_sgpr13
	s_mov_b64 s[16:17], 0
	s_cbranch_execnz .LBB23_1605
.LBB23_1597:
	s_andn2_b64 vcc, exec, s[16:17]
	s_cbranch_vccnz .LBB23_1606
.LBB23_1598:
	s_waitcnt vmcnt(0)
	v_cmp_lt_i16_sdwa s[16:17], sext(v10), s1 src0_sel:BYTE_0 src1_sel:DWORD
	s_andn2_b64 s[12:13], s[12:13], exec
	s_and_b64 s[16:17], s[16:17], exec
	s_or_b64 s[12:13], s[12:13], s[16:17]
	s_cbranch_execz .LBB23_1607
	s_branch .LBB23_1608
.LBB23_1599:
	s_mov_b64 s[18:19], -1
	s_mov_b64 s[16:17], 0
                                        ; implicit-def: $sgpr12_sgpr13
	s_branch .LBB23_1602
.LBB23_1600:
	s_mov_b64 s[16:17], -1
                                        ; implicit-def: $sgpr12_sgpr13
.LBB23_1601:
	s_mov_b64 s[18:19], 0
.LBB23_1602:
	s_and_b64 vcc, exec, s[18:19]
	s_cbranch_vccz .LBB23_1604
; %bb.1603:
	s_waitcnt vmcnt(0)
	v_cmp_gt_i16_sdwa s[18:19], sext(v10), s1 src0_sel:BYTE_0 src1_sel:DWORD
	s_andn2_b64 s[12:13], s[12:13], exec
	s_and_b64 s[18:19], s[18:19], exec
	s_or_b64 s[12:13], s[12:13], s[18:19]
.LBB23_1604:
	s_branch .LBB23_1597
.LBB23_1605:
	s_cmp_lg_u32 s0, 0
	s_mov_b64 s[14:15], -1
	s_cselect_b64 s[16:17], -1, 0
	s_andn2_b64 vcc, exec, s[16:17]
	s_cbranch_vccz .LBB23_1598
.LBB23_1606:
	s_andn2_b64 vcc, exec, s[14:15]
	s_cbranch_vccnz .LBB23_1608
.LBB23_1607:
	s_waitcnt vmcnt(0)
	v_cmp_ge_i16_sdwa s[14:15], sext(v10), s1 src0_sel:BYTE_0 src1_sel:DWORD
	s_andn2_b64 s[12:13], s[12:13], exec
	s_and_b64 s[14:15], s[14:15], exec
	s_or_b64 s[12:13], s[12:13], s[14:15]
.LBB23_1608:
	v_mov_b32_e32 v1, s11
	v_add_co_u32_e32 v7, vcc, s10, v7
	s_cmp_lt_i32 s20, 11
	v_addc_co_u32_e32 v8, vcc, 0, v1, vcc
	s_cbranch_scc1 .LBB23_1615
; %bb.1609:
	s_and_b32 s21, 0xffff, s20
	s_cmp_gt_i32 s21, 25
	s_mov_b64 s[14:15], 0
	s_cbranch_scc0 .LBB23_1616
; %bb.1610:
	s_cmp_gt_i32 s21, 28
	s_cbranch_scc0 .LBB23_1617
; %bb.1611:
	s_cmp_gt_i32 s21, 43
	;; [unrolled: 3-line block ×3, first 2 shown]
	s_cbranch_scc0 .LBB23_1620
; %bb.1613:
	s_cmp_eq_u32 s21, 46
	s_mov_b64 s[18:19], 0
	s_cbranch_scc0 .LBB23_1621
; %bb.1614:
	global_load_dword v1, v[7:8], off
	s_mov_b64 s[10:11], 0
	s_mov_b64 s[16:17], -1
	s_waitcnt vmcnt(0)
	v_lshlrev_b32_e32 v1, 16, v1
	v_cvt_i32_f32_e32 v9, v1
	s_branch .LBB23_1622
.LBB23_1615:
	s_mov_b64 s[10:11], -1
	s_mov_b64 s[16:17], 0
                                        ; implicit-def: $vgpr9
	s_branch .LBB23_1684
.LBB23_1616:
	s_mov_b64 s[18:19], -1
	s_mov_b64 s[16:17], 0
	s_mov_b64 s[10:11], 0
                                        ; implicit-def: $vgpr9
	s_branch .LBB23_1649
.LBB23_1617:
	s_mov_b64 s[18:19], -1
	s_mov_b64 s[16:17], 0
	s_mov_b64 s[10:11], 0
                                        ; implicit-def: $vgpr9
	s_branch .LBB23_1632
.LBB23_1618:
	s_mov_b64 s[18:19], -1
	s_mov_b64 s[16:17], 0
	s_mov_b64 s[10:11], 0
                                        ; implicit-def: $vgpr9
	s_branch .LBB23_1627
.LBB23_1619:
	s_trap 2
	s_or_b64 s[2:3], s[2:3], exec
	s_cbranch_execz .LBB23_1542
	s_branch .LBB23_1543
.LBB23_1620:
	s_mov_b64 s[18:19], -1
	s_mov_b64 s[16:17], 0
	s_mov_b64 s[10:11], 0
                                        ; implicit-def: $vgpr9
	s_branch .LBB23_1622
.LBB23_1621:
	s_mov_b64 s[10:11], -1
                                        ; implicit-def: $vgpr9
	s_mov_b64 s[16:17], 0
.LBB23_1622:
	s_and_b64 vcc, exec, s[18:19]
	s_cbranch_vccz .LBB23_1626
; %bb.1623:
	s_cmp_eq_u32 s21, 44
	s_cbranch_scc0 .LBB23_1625
; %bb.1624:
	global_load_ubyte v1, v[7:8], off
	s_mov_b64 s[10:11], 0
	s_mov_b64 s[16:17], -1
	s_waitcnt vmcnt(0)
	v_lshlrev_b32_e32 v3, 23, v1
	v_cvt_i32_f32_e32 v3, v3
	v_cmp_ne_u32_e32 vcc, 0, v1
	v_cndmask_b32_e32 v9, 0, v3, vcc
	s_branch .LBB23_1626
.LBB23_1625:
	s_mov_b64 s[10:11], -1
                                        ; implicit-def: $vgpr9
.LBB23_1626:
	s_mov_b64 s[18:19], 0
.LBB23_1627:
	s_and_b64 vcc, exec, s[18:19]
	s_cbranch_vccz .LBB23_1631
; %bb.1628:
	s_cmp_eq_u32 s21, 29
	s_cbranch_scc0 .LBB23_1630
; %bb.1629:
	global_load_dwordx2 v[9:10], v[7:8], off
	s_mov_b64 s[10:11], 0
	s_mov_b64 s[16:17], -1
	s_branch .LBB23_1631
.LBB23_1630:
	s_mov_b64 s[10:11], -1
                                        ; implicit-def: $vgpr9
.LBB23_1631:
	s_mov_b64 s[18:19], 0
.LBB23_1632:
	s_and_b64 vcc, exec, s[18:19]
	s_cbranch_vccz .LBB23_1648
; %bb.1633:
	s_cmp_lt_i32 s21, 27
	s_cbranch_scc1 .LBB23_1636
; %bb.1634:
	s_cmp_gt_i32 s21, 27
	s_cbranch_scc0 .LBB23_1637
; %bb.1635:
	global_load_dword v9, v[7:8], off
	s_mov_b64 s[16:17], 0
	s_branch .LBB23_1638
.LBB23_1636:
	s_mov_b64 s[16:17], -1
                                        ; implicit-def: $vgpr9
	s_branch .LBB23_1641
.LBB23_1637:
	s_mov_b64 s[16:17], -1
                                        ; implicit-def: $vgpr9
.LBB23_1638:
	s_andn2_b64 vcc, exec, s[16:17]
	s_cbranch_vccnz .LBB23_1640
; %bb.1639:
	global_load_ushort v9, v[7:8], off
.LBB23_1640:
	s_mov_b64 s[16:17], 0
.LBB23_1641:
	s_andn2_b64 vcc, exec, s[16:17]
	s_cbranch_vccnz .LBB23_1647
; %bb.1642:
	global_load_ubyte v1, v[7:8], off
	s_movk_i32 s16, 0x7f
	s_mov_b64 s[18:19], 0
	s_waitcnt vmcnt(0)
	v_cmp_lt_i16_e32 vcc, s16, v1
	s_and_saveexec_b64 s[16:17], vcc
	s_xor_b64 s[16:17], exec, s[16:17]
	s_cbranch_execz .LBB23_1659
; %bb.1643:
	s_movk_i32 s18, 0x80
	v_cmp_ne_u16_e32 vcc, s18, v1
	s_and_b64 s[18:19], vcc, exec
	s_andn2_saveexec_b64 s[16:17], s[16:17]
	s_cbranch_execnz .LBB23_1660
.LBB23_1644:
	s_or_b64 exec, exec, s[16:17]
	v_mov_b32_e32 v9, 0
	s_and_saveexec_b64 s[16:17], s[18:19]
	s_cbranch_execz .LBB23_1646
.LBB23_1645:
	v_lshlrev_b32_e32 v3, 24, v1
	v_and_b32_e32 v1, 0xffff, v1
	v_and_b32_e32 v5, 7, v1
	v_ffbh_u32_e32 v10, v5
	v_min_u32_e32 v10, 32, v10
	v_subrev_u32_e32 v11, 28, v10
	v_bfe_u32 v9, v1, 3, 4
	v_lshlrev_b32_e32 v1, v11, v1
	v_sub_u32_e32 v10, 29, v10
	v_and_b32_e32 v1, 7, v1
	v_cmp_eq_u32_e32 vcc, 0, v9
	v_cndmask_b32_e32 v9, v9, v10, vcc
	v_cndmask_b32_e32 v1, v5, v1, vcc
	v_mov_b32_e32 v5, 0x3b800000
	v_lshlrev_b32_e32 v1, 20, v1
	v_and_b32_e32 v3, 0x80000000, v3
	v_lshl_add_u32 v5, v9, 23, v5
	v_or3_b32 v1, v3, v5, v1
	v_cvt_i32_f32_e32 v9, v1
.LBB23_1646:
	s_or_b64 exec, exec, s[16:17]
.LBB23_1647:
	s_mov_b64 s[16:17], -1
.LBB23_1648:
	s_mov_b64 s[18:19], 0
.LBB23_1649:
	s_and_b64 vcc, exec, s[18:19]
	s_cbranch_vccz .LBB23_1680
; %bb.1650:
	s_cmp_gt_i32 s21, 22
	s_cbranch_scc0 .LBB23_1658
; %bb.1651:
	s_cmp_lt_i32 s21, 24
	s_cbranch_scc1 .LBB23_1661
; %bb.1652:
	s_cmp_gt_i32 s21, 24
	s_cbranch_scc0 .LBB23_1662
; %bb.1653:
	global_load_ubyte v1, v[7:8], off
	s_movk_i32 s14, 0x7f
	s_mov_b64 s[16:17], 0
	s_waitcnt vmcnt(0)
	v_cmp_lt_i16_e32 vcc, s14, v1
	s_and_saveexec_b64 s[14:15], vcc
	s_xor_b64 s[14:15], exec, s[14:15]
	s_cbranch_execz .LBB23_1674
; %bb.1654:
	s_movk_i32 s16, 0x80
	v_cmp_ne_u16_e32 vcc, s16, v1
	s_and_b64 s[16:17], vcc, exec
	s_andn2_saveexec_b64 s[14:15], s[14:15]
	s_cbranch_execnz .LBB23_1675
.LBB23_1655:
	s_or_b64 exec, exec, s[14:15]
	v_mov_b32_e32 v9, 0
	s_and_saveexec_b64 s[14:15], s[16:17]
	s_cbranch_execz .LBB23_1657
.LBB23_1656:
	v_lshlrev_b32_e32 v3, 24, v1
	v_and_b32_e32 v1, 0xffff, v1
	v_and_b32_e32 v5, 3, v1
	v_ffbh_u32_e32 v10, v5
	v_min_u32_e32 v10, 32, v10
	v_subrev_u32_e32 v11, 29, v10
	v_bfe_u32 v9, v1, 2, 5
	v_lshlrev_b32_e32 v1, v11, v1
	v_sub_u32_e32 v10, 30, v10
	v_and_b32_e32 v1, 3, v1
	v_cmp_eq_u32_e32 vcc, 0, v9
	v_cndmask_b32_e32 v9, v9, v10, vcc
	v_cndmask_b32_e32 v1, v5, v1, vcc
	v_mov_b32_e32 v5, 0x37800000
	v_lshlrev_b32_e32 v1, 21, v1
	v_and_b32_e32 v3, 0x80000000, v3
	v_lshl_add_u32 v5, v9, 23, v5
	v_or3_b32 v1, v3, v5, v1
	v_cvt_i32_f32_e32 v9, v1
.LBB23_1657:
	s_or_b64 exec, exec, s[14:15]
	s_mov_b64 s[14:15], 0
	s_branch .LBB23_1663
.LBB23_1658:
	s_mov_b64 s[14:15], -1
                                        ; implicit-def: $vgpr9
	s_branch .LBB23_1669
.LBB23_1659:
	s_andn2_saveexec_b64 s[16:17], s[16:17]
	s_cbranch_execz .LBB23_1644
.LBB23_1660:
	v_cmp_ne_u16_e32 vcc, 0, v1
	s_andn2_b64 s[18:19], s[18:19], exec
	s_and_b64 s[22:23], vcc, exec
	s_or_b64 s[18:19], s[18:19], s[22:23]
	s_or_b64 exec, exec, s[16:17]
	v_mov_b32_e32 v9, 0
	s_and_saveexec_b64 s[16:17], s[18:19]
	s_cbranch_execnz .LBB23_1645
	s_branch .LBB23_1646
.LBB23_1661:
	s_mov_b64 s[14:15], -1
                                        ; implicit-def: $vgpr9
	s_branch .LBB23_1666
.LBB23_1662:
	s_mov_b64 s[14:15], -1
                                        ; implicit-def: $vgpr9
.LBB23_1663:
	s_and_b64 vcc, exec, s[14:15]
	s_cbranch_vccz .LBB23_1665
; %bb.1664:
	global_load_ubyte v1, v[7:8], off
	s_mov_b32 s14, 0x7f800000
	s_waitcnt vmcnt(0)
	v_lshlrev_b32_e32 v1, 24, v1
	v_and_b32_e32 v3, 0x7f000000, v1
	v_ffbh_u32_e32 v5, v3
	v_min_u32_e32 v5, 32, v5
	v_sub_u32_e64 v5, v5, 4 clamp
	v_lshlrev_b32_e32 v10, v5, v3
	v_lshlrev_b32_e32 v5, 23, v5
	v_lshrrev_b32_e32 v10, 4, v10
	v_add_u32_e32 v9, 0x1000000, v3
	v_sub_u32_e32 v5, v10, v5
	v_ashrrev_i32_e32 v9, 8, v9
	v_add_u32_e32 v5, 0x3c000000, v5
	v_and_or_b32 v5, v9, s14, v5
	v_cmp_ne_u32_e32 vcc, 0, v3
	v_cndmask_b32_e32 v3, 0, v5, vcc
	s_brev_b32 s14, 1
	v_and_or_b32 v1, v1, s14, v3
	v_cvt_i32_f32_e32 v9, v1
.LBB23_1665:
	s_mov_b64 s[14:15], 0
.LBB23_1666:
	s_andn2_b64 vcc, exec, s[14:15]
	s_cbranch_vccnz .LBB23_1668
; %bb.1667:
	global_load_ubyte v1, v[7:8], off
	s_movk_i32 s14, 0x7f00
	s_brev_b32 s15, 16
	s_waitcnt vmcnt(0)
	v_lshlrev_b16_e32 v3, 8, v1
	v_lshlrev_b32_e32 v1, 25, v1
	v_lshrrev_b32_e32 v5, 4, v1
	v_and_or_b32 v9, v3, s14, 0.5
	v_or_b32_e32 v5, 0x70000000, v5
	v_add_f32_e32 v9, -0.5, v9
	v_mul_f32_e32 v5, 0x7800000, v5
	v_cmp_gt_u32_e32 vcc, s15, v1
	v_bfe_i32 v3, v3, 0, 16
	v_cndmask_b32_e32 v1, v5, v9, vcc
	s_brev_b32 s14, 1
	v_and_or_b32 v1, v3, s14, v1
	v_cvt_i32_f32_e32 v9, v1
.LBB23_1668:
	s_mov_b64 s[14:15], 0
	s_mov_b64 s[16:17], -1
.LBB23_1669:
	s_andn2_b64 vcc, exec, s[14:15]
	s_mov_b64 s[14:15], 0
	s_cbranch_vccnz .LBB23_1680
; %bb.1670:
	s_cmp_gt_i32 s21, 14
	s_cbranch_scc0 .LBB23_1673
; %bb.1671:
	s_cmp_eq_u32 s21, 15
	s_cbranch_scc0 .LBB23_1676
; %bb.1672:
	global_load_ushort v1, v[7:8], off
	s_mov_b64 s[10:11], 0
	s_mov_b64 s[16:17], -1
	s_waitcnt vmcnt(0)
	v_lshlrev_b32_e32 v1, 16, v1
	v_cvt_i32_f32_e32 v9, v1
	s_branch .LBB23_1677
.LBB23_1673:
	s_mov_b64 s[18:19], -1
                                        ; implicit-def: $vgpr9
	s_branch .LBB23_1678
.LBB23_1674:
	s_andn2_saveexec_b64 s[14:15], s[14:15]
	s_cbranch_execz .LBB23_1655
.LBB23_1675:
	v_cmp_ne_u16_e32 vcc, 0, v1
	s_andn2_b64 s[16:17], s[16:17], exec
	s_and_b64 s[18:19], vcc, exec
	s_or_b64 s[16:17], s[16:17], s[18:19]
	s_or_b64 exec, exec, s[14:15]
	v_mov_b32_e32 v9, 0
	s_and_saveexec_b64 s[14:15], s[16:17]
	s_cbranch_execnz .LBB23_1656
	s_branch .LBB23_1657
.LBB23_1676:
	s_mov_b64 s[10:11], -1
                                        ; implicit-def: $vgpr9
.LBB23_1677:
	s_mov_b64 s[18:19], 0
.LBB23_1678:
	s_and_b64 vcc, exec, s[18:19]
	s_cbranch_vccz .LBB23_1680
; %bb.1679:
	s_cmp_lg_u32 s21, 11
	s_mov_b64 s[14:15], -1
	s_cselect_b64 s[10:11], -1, 0
.LBB23_1680:
	s_and_b64 vcc, exec, s[10:11]
	s_cbranch_vccnz .LBB23_2232
; %bb.1681:
	s_andn2_b64 vcc, exec, s[14:15]
	s_cbranch_vccnz .LBB23_1683
.LBB23_1682:
	global_load_ubyte v1, v[7:8], off
	s_mov_b64 s[16:17], -1
	s_waitcnt vmcnt(0)
	v_cmp_ne_u16_e32 vcc, 0, v1
	v_cndmask_b32_e64 v9, 0, 1, vcc
.LBB23_1683:
	s_mov_b64 s[10:11], 0
.LBB23_1684:
	s_and_b64 vcc, exec, s[10:11]
	s_cbranch_vccz .LBB23_1733
; %bb.1685:
	s_and_b32 s14, 0xffff, s20
	s_cmp_lt_i32 s14, 5
	s_cbranch_scc1 .LBB23_1690
; %bb.1686:
	s_cmp_lt_i32 s14, 8
	s_cbranch_scc1 .LBB23_1691
; %bb.1687:
	;; [unrolled: 3-line block ×3, first 2 shown]
	s_cmp_gt_i32 s14, 9
	s_cbranch_scc0 .LBB23_1693
; %bb.1689:
	global_load_dwordx2 v[9:10], v[7:8], off
	s_mov_b64 s[10:11], 0
	s_waitcnt vmcnt(0)
	v_cvt_i32_f64_e32 v9, v[9:10]
	s_branch .LBB23_1694
.LBB23_1690:
	s_mov_b64 s[10:11], -1
                                        ; implicit-def: $vgpr9
	s_branch .LBB23_1712
.LBB23_1691:
	s_mov_b64 s[10:11], -1
                                        ; implicit-def: $vgpr9
	s_branch .LBB23_1700
.LBB23_1692:
	s_mov_b64 s[10:11], -1
                                        ; implicit-def: $vgpr9
	s_branch .LBB23_1697
.LBB23_1693:
	s_mov_b64 s[10:11], -1
                                        ; implicit-def: $vgpr9
.LBB23_1694:
	s_andn2_b64 vcc, exec, s[10:11]
	s_cbranch_vccnz .LBB23_1696
; %bb.1695:
	global_load_dword v1, v[7:8], off
	s_waitcnt vmcnt(0)
	v_cvt_i32_f32_e32 v9, v1
.LBB23_1696:
	s_mov_b64 s[10:11], 0
.LBB23_1697:
	s_andn2_b64 vcc, exec, s[10:11]
	s_cbranch_vccnz .LBB23_1699
; %bb.1698:
	global_load_dword v1, v[7:8], off
	s_waitcnt vmcnt(0)
	v_cvt_i16_f16_e32 v9, v1
.LBB23_1699:
	s_mov_b64 s[10:11], 0
.LBB23_1700:
	s_andn2_b64 vcc, exec, s[10:11]
	s_cbranch_vccnz .LBB23_1711
; %bb.1701:
	s_cmp_lt_i32 s14, 6
	s_cbranch_scc1 .LBB23_1704
; %bb.1702:
	s_cmp_gt_i32 s14, 6
	s_cbranch_scc0 .LBB23_1705
; %bb.1703:
	global_load_dwordx2 v[9:10], v[7:8], off
	s_mov_b64 s[10:11], 0
	s_waitcnt vmcnt(0)
	v_cvt_i32_f64_e32 v9, v[9:10]
	s_branch .LBB23_1706
.LBB23_1704:
	s_mov_b64 s[10:11], -1
                                        ; implicit-def: $vgpr9
	s_branch .LBB23_1709
.LBB23_1705:
	s_mov_b64 s[10:11], -1
                                        ; implicit-def: $vgpr9
.LBB23_1706:
	s_andn2_b64 vcc, exec, s[10:11]
	s_cbranch_vccnz .LBB23_1708
; %bb.1707:
	global_load_dword v1, v[7:8], off
	s_waitcnt vmcnt(0)
	v_cvt_i32_f32_e32 v9, v1
.LBB23_1708:
	s_mov_b64 s[10:11], 0
.LBB23_1709:
	s_andn2_b64 vcc, exec, s[10:11]
	s_cbranch_vccnz .LBB23_1711
; %bb.1710:
	global_load_ushort v1, v[7:8], off
	s_waitcnt vmcnt(0)
	v_cvt_i16_f16_e32 v9, v1
.LBB23_1711:
	s_mov_b64 s[10:11], 0
.LBB23_1712:
	s_andn2_b64 vcc, exec, s[10:11]
	s_cbranch_vccnz .LBB23_1732
; %bb.1713:
	s_cmp_lt_i32 s14, 2
	s_cbranch_scc1 .LBB23_1717
; %bb.1714:
	s_cmp_lt_i32 s14, 3
	s_cbranch_scc1 .LBB23_1718
; %bb.1715:
	s_cmp_gt_i32 s14, 3
	s_cbranch_scc0 .LBB23_1719
; %bb.1716:
	global_load_dwordx2 v[9:10], v[7:8], off
	s_mov_b64 s[10:11], 0
	s_branch .LBB23_1720
.LBB23_1717:
	s_mov_b64 s[10:11], -1
                                        ; implicit-def: $vgpr9
	s_branch .LBB23_1726
.LBB23_1718:
	s_mov_b64 s[10:11], -1
                                        ; implicit-def: $vgpr9
	s_branch .LBB23_1723
.LBB23_1719:
	s_mov_b64 s[10:11], -1
                                        ; implicit-def: $vgpr9
.LBB23_1720:
	s_andn2_b64 vcc, exec, s[10:11]
	s_cbranch_vccnz .LBB23_1722
; %bb.1721:
	global_load_dword v9, v[7:8], off
.LBB23_1722:
	s_mov_b64 s[10:11], 0
.LBB23_1723:
	s_andn2_b64 vcc, exec, s[10:11]
	s_cbranch_vccnz .LBB23_1725
; %bb.1724:
	global_load_ushort v9, v[7:8], off
.LBB23_1725:
	s_mov_b64 s[10:11], 0
.LBB23_1726:
	s_andn2_b64 vcc, exec, s[10:11]
	s_cbranch_vccnz .LBB23_1732
; %bb.1727:
	s_cmp_gt_i32 s14, 0
	s_cbranch_scc0 .LBB23_1729
; %bb.1728:
	global_load_ubyte v9, v[7:8], off
	s_mov_b64 s[10:11], 0
	s_branch .LBB23_1730
.LBB23_1729:
	s_mov_b64 s[10:11], -1
                                        ; implicit-def: $vgpr9
.LBB23_1730:
	s_andn2_b64 vcc, exec, s[10:11]
	s_cbranch_vccnz .LBB23_1732
; %bb.1731:
	global_load_ubyte v9, v[7:8], off
.LBB23_1732:
	s_mov_b64 s[16:17], -1
.LBB23_1733:
	s_andn2_b64 vcc, exec, s[16:17]
	s_cbranch_vccnz .LBB23_1738
; %bb.1734:
	s_cmp_lt_i32 s0, 1
	s_mov_b64 s[14:15], 0
	s_cbranch_scc1 .LBB23_1784
; %bb.1735:
	s_cmp_gt_i32 s0, 1
	s_cbranch_scc0 .LBB23_1785
; %bb.1736:
	s_cmp_eq_u32 s0, 2
	s_cbranch_scc0 .LBB23_1786
; %bb.1737:
	s_waitcnt vmcnt(0)
	v_cmp_le_i16_sdwa s[10:11], sext(v9), s1 src0_sel:BYTE_0 src1_sel:DWORD
	s_mov_b64 s[16:17], 0
	s_branch .LBB23_1787
.LBB23_1738:
	s_mov_b64 s[0:1], 0
                                        ; implicit-def: $sgpr10_sgpr11
.LBB23_1739:
	s_mov_b64 s[4:5], 0
                                        ; implicit-def: $vgpr0_vgpr1
                                        ; implicit-def: $sgpr22
.LBB23_1740:
	s_and_b64 s[6:7], s[4:5], exec
	s_andn2_b64 s[4:5], s[28:29], exec
	s_and_b64 s[2:3], s[2:3], exec
	s_and_b64 s[0:1], s[0:1], exec
	s_or_b64 s[28:29], s[4:5], s[2:3]
.LBB23_1741:
	s_or_b64 exec, exec, s[30:31]
	s_and_saveexec_b64 s[2:3], s[28:29]
	s_cbranch_execz .LBB23_1744
; %bb.1742:
	; divergent unreachable
	s_or_b64 exec, exec, s[2:3]
	s_and_saveexec_b64 s[2:3], s[6:7]
	s_xor_b64 s[2:3], exec, s[2:3]
	s_cbranch_execnz .LBB23_1745
.LBB23_1743:
	s_or_b64 exec, exec, s[2:3]
	s_and_saveexec_b64 s[2:3], s[0:1]
	s_cbranch_execnz .LBB23_1746
	s_branch .LBB23_1783
.LBB23_1744:
	s_or_b64 exec, exec, s[2:3]
	s_and_saveexec_b64 s[2:3], s[6:7]
	s_xor_b64 s[2:3], exec, s[2:3]
	s_cbranch_execz .LBB23_1743
.LBB23_1745:
	v_cndmask_b32_e64 v2, 0, 1, s[10:11]
	global_store_byte v[0:1], v2, off
	s_or_b64 exec, exec, s[2:3]
	s_and_saveexec_b64 s[2:3], s[0:1]
	s_cbranch_execz .LBB23_1783
.LBB23_1746:
	s_sext_i32_i16 s2, s22
	s_cmp_lt_i32 s2, 5
	s_mov_b64 s[0:1], -1
	s_cbranch_scc1 .LBB23_1767
; %bb.1747:
	s_cmp_lt_i32 s2, 8
	s_cbranch_scc1 .LBB23_1757
; %bb.1748:
	s_cmp_lt_i32 s2, 9
	s_cbranch_scc1 .LBB23_1754
; %bb.1749:
	s_cmp_gt_i32 s2, 9
	s_cbranch_scc0 .LBB23_1751
; %bb.1750:
	v_cndmask_b32_e64 v2, 0, 1, s[10:11]
	s_waitcnt vmcnt(0)
	v_cvt_f64_u32_e32 v[2:3], v2
	v_mov_b32_e32 v4, 0
	v_mov_b32_e32 v5, v4
	s_mov_b64 s[0:1], 0
	global_store_dwordx4 v[0:1], v[2:5], off
.LBB23_1751:
	s_andn2_b64 vcc, exec, s[0:1]
	s_cbranch_vccnz .LBB23_1753
; %bb.1752:
	v_cndmask_b32_e64 v2, 0, 1.0, s[10:11]
	s_waitcnt vmcnt(0)
	v_mov_b32_e32 v3, 0
	global_store_dwordx2 v[0:1], v[2:3], off
.LBB23_1753:
	s_mov_b64 s[0:1], 0
.LBB23_1754:
	s_andn2_b64 vcc, exec, s[0:1]
	s_cbranch_vccnz .LBB23_1756
; %bb.1755:
	v_cndmask_b32_e64 v2, 0, 1.0, s[10:11]
	v_cvt_f16_f32_e32 v2, v2
	global_store_dword v[0:1], v2, off
.LBB23_1756:
	s_mov_b64 s[0:1], 0
.LBB23_1757:
	s_andn2_b64 vcc, exec, s[0:1]
	s_cbranch_vccnz .LBB23_1766
; %bb.1758:
	s_sext_i32_i16 s2, s22
	s_cmp_lt_i32 s2, 6
	s_mov_b64 s[0:1], -1
	s_cbranch_scc1 .LBB23_1764
; %bb.1759:
	s_cmp_gt_i32 s2, 6
	s_cbranch_scc0 .LBB23_1761
; %bb.1760:
	v_cndmask_b32_e64 v2, 0, 1, s[10:11]
	s_waitcnt vmcnt(0)
	v_cvt_f64_u32_e32 v[2:3], v2
	s_mov_b64 s[0:1], 0
	global_store_dwordx2 v[0:1], v[2:3], off
.LBB23_1761:
	s_andn2_b64 vcc, exec, s[0:1]
	s_cbranch_vccnz .LBB23_1763
; %bb.1762:
	v_cndmask_b32_e64 v2, 0, 1.0, s[10:11]
	global_store_dword v[0:1], v2, off
.LBB23_1763:
	s_mov_b64 s[0:1], 0
.LBB23_1764:
	s_andn2_b64 vcc, exec, s[0:1]
	s_cbranch_vccnz .LBB23_1766
; %bb.1765:
	v_cndmask_b32_e64 v2, 0, 1.0, s[10:11]
	v_cvt_f16_f32_e32 v2, v2
	global_store_short v[0:1], v2, off
.LBB23_1766:
	s_mov_b64 s[0:1], 0
.LBB23_1767:
	s_andn2_b64 vcc, exec, s[0:1]
	s_cbranch_vccnz .LBB23_1783
; %bb.1768:
	s_sext_i32_i16 s2, s22
	s_cmp_lt_i32 s2, 2
	s_mov_b64 s[0:1], -1
	s_cbranch_scc1 .LBB23_1778
; %bb.1769:
	s_cmp_lt_i32 s2, 3
	s_cbranch_scc1 .LBB23_1775
; %bb.1770:
	s_cmp_gt_i32 s2, 3
	s_cbranch_scc0 .LBB23_1772
; %bb.1771:
	s_mov_b32 s0, 0
	v_cndmask_b32_e64 v2, 0, 1, s[10:11]
	s_waitcnt vmcnt(0)
	v_mov_b32_e32 v3, s0
	global_store_dwordx2 v[0:1], v[2:3], off
	s_mov_b64 s[0:1], 0
.LBB23_1772:
	s_andn2_b64 vcc, exec, s[0:1]
	s_cbranch_vccnz .LBB23_1774
; %bb.1773:
	v_cndmask_b32_e64 v2, 0, 1, s[10:11]
	global_store_dword v[0:1], v2, off
.LBB23_1774:
	s_mov_b64 s[0:1], 0
.LBB23_1775:
	s_andn2_b64 vcc, exec, s[0:1]
	s_cbranch_vccnz .LBB23_1777
; %bb.1776:
	v_cndmask_b32_e64 v2, 0, 1, s[10:11]
	global_store_short v[0:1], v2, off
.LBB23_1777:
	s_mov_b64 s[0:1], 0
.LBB23_1778:
	s_andn2_b64 vcc, exec, s[0:1]
	s_cbranch_vccnz .LBB23_1783
; %bb.1779:
	s_sext_i32_i16 s0, s22
	s_cmp_gt_i32 s0, 0
	s_mov_b64 s[0:1], -1
	s_cbranch_scc0 .LBB23_1781
; %bb.1780:
	v_cndmask_b32_e64 v2, 0, 1, s[10:11]
	global_store_byte v[0:1], v2, off
	s_mov_b64 s[0:1], 0
.LBB23_1781:
	s_andn2_b64 vcc, exec, s[0:1]
	s_cbranch_vccnz .LBB23_1783
; %bb.1782:
	v_cndmask_b32_e64 v2, 0, 1, s[10:11]
	global_store_byte v[0:1], v2, off
	s_endpgm
.LBB23_1783:
	s_endpgm
.LBB23_1784:
	s_mov_b64 s[18:19], -1
                                        ; implicit-def: $sgpr10_sgpr11
	s_mov_b64 s[16:17], 0
	s_branch .LBB23_1791
.LBB23_1785:
	s_mov_b64 s[18:19], -1
	s_mov_b64 s[16:17], 0
                                        ; implicit-def: $sgpr10_sgpr11
	s_branch .LBB23_1788
.LBB23_1786:
	s_mov_b64 s[16:17], -1
                                        ; implicit-def: $sgpr10_sgpr11
.LBB23_1787:
	s_mov_b64 s[18:19], 0
.LBB23_1788:
	s_and_b64 vcc, exec, s[18:19]
	s_cbranch_vccz .LBB23_1790
; %bb.1789:
	s_waitcnt vmcnt(0)
	v_cmp_gt_i16_sdwa s[18:19], sext(v9), s1 src0_sel:BYTE_0 src1_sel:DWORD
	s_andn2_b64 s[10:11], s[10:11], exec
	s_and_b64 s[18:19], s[18:19], exec
	s_or_b64 s[10:11], s[10:11], s[18:19]
.LBB23_1790:
	s_mov_b64 s[18:19], 0
.LBB23_1791:
	s_and_b64 vcc, exec, s[18:19]
	s_cbranch_vccz .LBB23_1873
; %bb.1792:
	s_cmp_lg_u32 s0, 0
	s_mov_b64 s[14:15], -1
	s_cselect_b64 s[16:17], -1, 0
	s_andn2_b64 vcc, exec, s[16:17]
	s_cbranch_vccz .LBB23_1874
.LBB23_1793:
	s_andn2_b64 vcc, exec, s[14:15]
	s_cbranch_vccnz .LBB23_1795
.LBB23_1794:
	s_waitcnt vmcnt(0)
	v_cmp_ge_i16_sdwa s[0:1], sext(v9), s1 src0_sel:BYTE_0 src1_sel:DWORD
	s_andn2_b64 s[10:11], s[10:11], exec
	s_and_b64 s[0:1], s[0:1], exec
	s_or_b64 s[10:11], s[10:11], s[0:1]
.LBB23_1795:
	s_load_dword s0, s[34:35], 0x160
	v_mov_b32_e32 v1, s9
	v_add_co_u32_e32 v5, vcc, s8, v6
	v_addc_co_u32_e32 v6, vcc, 0, v1, vcc
	s_waitcnt lgkmcnt(0)
	s_and_b32 s22, s0, 0xff
	s_cmp_lt_i32 s22, 11
	s_cbranch_scc1 .LBB23_1875
; %bb.1796:
	s_and_b32 s23, 0xffff, s22
	s_mov_b64 s[18:19], -1
	s_mov_b64 s[14:15], 0
	s_cmp_gt_i32 s23, 25
	s_mov_b64 s[16:17], 0
	s_mov_b64 s[0:1], 0
	s_cbranch_scc0 .LBB23_1829
; %bb.1797:
	s_cmp_gt_i32 s23, 28
	s_cbranch_scc0 .LBB23_1812
; %bb.1798:
	s_cmp_gt_i32 s23, 43
	;; [unrolled: 3-line block ×3, first 2 shown]
	s_cbranch_scc0 .LBB23_1802
; %bb.1800:
	s_mov_b64 s[0:1], -1
	s_mov_b64 s[18:19], 0
	s_cmp_eq_u32 s23, 46
	s_cbranch_scc0 .LBB23_1802
; %bb.1801:
	v_cndmask_b32_e64 v1, 0, 1.0, s[4:5]
	s_waitcnt vmcnt(0)
	v_bfe_u32 v3, v1, 16, 1
	s_movk_i32 s0, 0x7fff
	v_add3_u32 v1, v1, v3, s0
	v_lshrrev_b32_e32 v1, 16, v1
	global_store_dword v[5:6], v1, off
	s_mov_b64 s[0:1], 0
	s_mov_b64 s[16:17], -1
.LBB23_1802:
	s_and_b64 vcc, exec, s[18:19]
	s_cbranch_vccz .LBB23_1807
; %bb.1803:
	s_cmp_eq_u32 s23, 44
	s_mov_b64 s[0:1], -1
	s_cbranch_scc0 .LBB23_1807
; %bb.1804:
	s_waitcnt vmcnt(0)
	v_cndmask_b32_e64 v3, 0, 1.0, s[4:5]
	v_lshrrev_b32_e32 v1, 23, v3
	s_movk_i32 s0, 0xff
	v_cmp_ne_u32_e32 vcc, s0, v1
	v_mov_b32_e32 v7, 0xff
	s_and_saveexec_b64 s[16:17], vcc
; %bb.1805:
	s_mov_b32 s0, 0x3fffff
	v_and_b32_e32 v7, 0x400000, v3
	v_and_or_b32 v3, v3, s0, v1
	v_cmp_ne_u32_e32 vcc, 0, v7
	v_cmp_ne_u32_e64 s[0:1], 0, v3
	s_and_b64 s[0:1], vcc, s[0:1]
	v_cndmask_b32_e64 v3, 0, 1, s[0:1]
	v_add_u32_e32 v7, v1, v3
; %bb.1806:
	s_or_b64 exec, exec, s[16:17]
	s_mov_b64 s[0:1], 0
	s_mov_b64 s[16:17], -1
	global_store_byte v[5:6], v7, off
.LBB23_1807:
	s_mov_b64 s[18:19], 0
.LBB23_1808:
	s_and_b64 vcc, exec, s[18:19]
	s_cbranch_vccz .LBB23_1811
; %bb.1809:
	s_cmp_eq_u32 s23, 29
	s_mov_b64 s[0:1], -1
	s_cbranch_scc0 .LBB23_1811
; %bb.1810:
	s_mov_b32 s0, 0
	v_cndmask_b32_e64 v7, 0, 1, s[4:5]
	v_mov_b32_e32 v8, s0
	global_store_dwordx2 v[5:6], v[7:8], off
	s_mov_b64 s[0:1], 0
	s_mov_b64 s[16:17], -1
.LBB23_1811:
	s_mov_b64 s[18:19], 0
.LBB23_1812:
	s_and_b64 vcc, exec, s[18:19]
	s_cbranch_vccz .LBB23_1828
; %bb.1813:
	s_cmp_lt_i32 s23, 27
	s_mov_b64 s[16:17], -1
	s_cbranch_scc1 .LBB23_1819
; %bb.1814:
	s_cmp_gt_i32 s23, 27
	s_cbranch_scc0 .LBB23_1816
; %bb.1815:
	v_cndmask_b32_e64 v1, 0, 1, s[4:5]
	s_mov_b64 s[16:17], 0
	global_store_dword v[5:6], v1, off
.LBB23_1816:
	s_andn2_b64 vcc, exec, s[16:17]
	s_cbranch_vccnz .LBB23_1818
; %bb.1817:
	v_cndmask_b32_e64 v1, 0, 1, s[4:5]
	global_store_short v[5:6], v1, off
.LBB23_1818:
	s_mov_b64 s[16:17], 0
.LBB23_1819:
	s_andn2_b64 vcc, exec, s[16:17]
	s_cbranch_vccnz .LBB23_1827
; %bb.1820:
	s_waitcnt vmcnt(0)
	v_cndmask_b32_e64 v3, 0, 1.0, s[4:5]
	s_mov_b32 s16, 0x43800000
	v_cmp_gt_u32_e32 vcc, s16, v3
	v_mov_b32_e32 v7, 0x80
	s_and_saveexec_b64 s[16:17], vcc
	s_cbranch_execz .LBB23_1826
; %bb.1821:
	s_mov_b32 s18, 0x3bffffff
	v_cmp_lt_u32_e32 vcc, s18, v3
	s_mov_b64 s[18:19], 0
                                        ; implicit-def: $vgpr1
	s_and_saveexec_b64 s[20:21], vcc
	s_xor_b64 s[20:21], exec, s[20:21]
	s_cbranch_execz .LBB23_2233
; %bb.1822:
	v_bfe_u32 v1, v3, 20, 1
	s_mov_b32 s24, 0x487ffff
	v_add3_u32 v1, v3, v1, s24
	s_mov_b64 s[18:19], exec
	v_lshrrev_b32_e32 v1, 20, v1
                                        ; implicit-def: $vgpr3
	s_andn2_saveexec_b64 s[20:21], s[20:21]
	s_cbranch_execnz .LBB23_2234
.LBB23_1823:
	s_or_b64 exec, exec, s[20:21]
	v_mov_b32_e32 v7, 0
	s_and_saveexec_b64 s[20:21], s[18:19]
.LBB23_1824:
	v_mov_b32_e32 v7, v1
.LBB23_1825:
	s_or_b64 exec, exec, s[20:21]
.LBB23_1826:
	s_or_b64 exec, exec, s[16:17]
	global_store_byte v[5:6], v7, off
.LBB23_1827:
	s_mov_b64 s[16:17], -1
.LBB23_1828:
	s_mov_b64 s[18:19], 0
.LBB23_1829:
	s_and_b64 vcc, exec, s[18:19]
	s_cbranch_vccz .LBB23_1869
; %bb.1830:
	s_cmp_gt_i32 s23, 22
	s_mov_b64 s[14:15], -1
	s_cbranch_scc0 .LBB23_1862
; %bb.1831:
	s_cmp_lt_i32 s23, 24
	s_cbranch_scc1 .LBB23_1851
; %bb.1832:
	s_cmp_gt_i32 s23, 24
	s_cbranch_scc0 .LBB23_1840
; %bb.1833:
	s_waitcnt vmcnt(0)
	v_cndmask_b32_e64 v3, 0, 1.0, s[4:5]
	s_mov_b32 s14, 0x47800000
	v_cmp_gt_u32_e32 vcc, s14, v3
	v_mov_b32_e32 v7, 0x80
	s_and_saveexec_b64 s[14:15], vcc
	s_cbranch_execz .LBB23_1839
; %bb.1834:
	s_mov_b32 s16, 0x37ffffff
	v_cmp_lt_u32_e32 vcc, s16, v3
	s_mov_b64 s[16:17], 0
                                        ; implicit-def: $vgpr1
	s_and_saveexec_b64 s[18:19], vcc
	s_xor_b64 s[18:19], exec, s[18:19]
	s_cbranch_execz .LBB23_2236
; %bb.1835:
	v_bfe_u32 v1, v3, 21, 1
	s_mov_b32 s20, 0x88fffff
	v_add3_u32 v1, v3, v1, s20
	s_mov_b64 s[16:17], exec
	v_lshrrev_b32_e32 v1, 21, v1
                                        ; implicit-def: $vgpr3
	s_andn2_saveexec_b64 s[18:19], s[18:19]
	s_cbranch_execnz .LBB23_2237
.LBB23_1836:
	s_or_b64 exec, exec, s[18:19]
	v_mov_b32_e32 v7, 0
	s_and_saveexec_b64 s[18:19], s[16:17]
.LBB23_1837:
	v_mov_b32_e32 v7, v1
.LBB23_1838:
	s_or_b64 exec, exec, s[18:19]
.LBB23_1839:
	s_or_b64 exec, exec, s[14:15]
	s_mov_b64 s[14:15], 0
	global_store_byte v[5:6], v7, off
.LBB23_1840:
	s_and_b64 vcc, exec, s[14:15]
	s_cbranch_vccz .LBB23_1850
; %bb.1841:
	v_cndmask_b32_e64 v1, 0, 1.0, s[4:5]
	s_mov_b32 s14, 0x43f00000
	v_cmp_gt_u32_e32 vcc, s14, v1
                                        ; implicit-def: $vgpr3
	s_and_saveexec_b64 s[14:15], vcc
	s_xor_b64 s[14:15], exec, s[14:15]
	s_cbranch_execz .LBB23_1847
; %bb.1842:
	s_mov_b32 s16, 0x3c7fffff
	v_cmp_lt_u32_e32 vcc, s16, v1
                                        ; implicit-def: $vgpr3
	s_and_saveexec_b64 s[16:17], vcc
	s_xor_b64 s[16:17], exec, s[16:17]
	s_cbranch_execz .LBB23_1844
; %bb.1843:
	s_waitcnt vmcnt(0)
	v_bfe_u32 v3, v1, 20, 1
	s_mov_b32 s18, 0x407ffff
	v_add3_u32 v1, v1, v3, s18
	v_lshrrev_b32_e32 v3, 20, v1
	v_and_b32_e32 v1, 0xff00000, v1
	s_mov_b32 s18, 0x7f00000
	v_mov_b32_e32 v7, 0x7e
	v_cmp_ne_u32_e32 vcc, s18, v1
	v_cndmask_b32_e32 v3, v7, v3, vcc
                                        ; implicit-def: $vgpr1
.LBB23_1844:
	s_andn2_saveexec_b64 s[16:17], s[16:17]
	s_cbranch_execz .LBB23_1846
; %bb.1845:
	s_waitcnt vmcnt(0)
	v_add_f32_e32 v3, 0x46800000, v1
.LBB23_1846:
	s_or_b64 exec, exec, s[16:17]
                                        ; implicit-def: $vgpr1
.LBB23_1847:
	s_andn2_saveexec_b64 s[14:15], s[14:15]
	s_cbranch_execz .LBB23_1849
; %bb.1848:
	s_mov_b32 s16, 0x7f800000
	s_waitcnt vmcnt(0)
	v_mov_b32_e32 v3, 0x7e
	v_mov_b32_e32 v7, 0x7f
	v_cmp_lt_u32_e32 vcc, s16, v1
	v_cndmask_b32_e32 v3, v3, v7, vcc
.LBB23_1849:
	s_or_b64 exec, exec, s[14:15]
	s_waitcnt vmcnt(0)
	global_store_byte v[5:6], v3, off
.LBB23_1850:
	s_mov_b64 s[14:15], 0
.LBB23_1851:
	s_andn2_b64 vcc, exec, s[14:15]
	s_cbranch_vccnz .LBB23_1861
; %bb.1852:
	v_cndmask_b32_e64 v1, 0, 1.0, s[4:5]
	s_mov_b32 s14, 0x47800000
	v_cmp_gt_u32_e32 vcc, s14, v1
                                        ; implicit-def: $vgpr3
	s_and_saveexec_b64 s[14:15], vcc
	s_xor_b64 s[14:15], exec, s[14:15]
	s_cbranch_execz .LBB23_1858
; %bb.1853:
	s_mov_b32 s16, 0x387fffff
	v_cmp_lt_u32_e32 vcc, s16, v1
                                        ; implicit-def: $vgpr3
	s_and_saveexec_b64 s[16:17], vcc
	s_xor_b64 s[16:17], exec, s[16:17]
	s_cbranch_execz .LBB23_1855
; %bb.1854:
	s_waitcnt vmcnt(0)
	v_bfe_u32 v3, v1, 21, 1
	s_mov_b32 s18, 0x80fffff
	v_add3_u32 v1, v1, v3, s18
	v_lshrrev_b32_e32 v3, 21, v1
                                        ; implicit-def: $vgpr1
.LBB23_1855:
	s_andn2_saveexec_b64 s[16:17], s[16:17]
	s_cbranch_execz .LBB23_1857
; %bb.1856:
	s_waitcnt vmcnt(0)
	v_add_f32_e32 v3, 0x43000000, v1
.LBB23_1857:
	s_or_b64 exec, exec, s[16:17]
                                        ; implicit-def: $vgpr1
.LBB23_1858:
	s_andn2_saveexec_b64 s[14:15], s[14:15]
	s_cbranch_execz .LBB23_1860
; %bb.1859:
	s_mov_b32 s16, 0x7f800000
	s_waitcnt vmcnt(0)
	v_mov_b32_e32 v3, 0x7c
	v_mov_b32_e32 v7, 0x7f
	v_cmp_lt_u32_e32 vcc, s16, v1
	v_cndmask_b32_e32 v3, v3, v7, vcc
.LBB23_1860:
	s_or_b64 exec, exec, s[14:15]
	s_waitcnt vmcnt(0)
	global_store_byte v[5:6], v3, off
.LBB23_1861:
	s_mov_b64 s[14:15], 0
	s_mov_b64 s[16:17], -1
.LBB23_1862:
	s_andn2_b64 vcc, exec, s[14:15]
	s_mov_b64 s[14:15], 0
	s_cbranch_vccnz .LBB23_1869
; %bb.1863:
	s_cmp_gt_i32 s23, 14
	s_mov_b64 s[18:19], -1
	s_cbranch_scc0 .LBB23_1867
; %bb.1864:
	s_cmp_eq_u32 s23, 15
	s_mov_b64 s[0:1], -1
	s_cbranch_scc0 .LBB23_1866
; %bb.1865:
	v_cndmask_b32_e64 v1, 0, 1.0, s[4:5]
	s_waitcnt vmcnt(0)
	v_bfe_u32 v3, v1, 16, 1
	s_movk_i32 s0, 0x7fff
	v_add3_u32 v1, v1, v3, s0
	global_store_short_d16_hi v[5:6], v1, off
	s_mov_b64 s[0:1], 0
	s_mov_b64 s[16:17], -1
.LBB23_1866:
	s_mov_b64 s[18:19], 0
.LBB23_1867:
	s_and_b64 vcc, exec, s[18:19]
	s_cbranch_vccz .LBB23_1869
; %bb.1868:
	s_cmp_lg_u32 s23, 11
	s_mov_b64 s[14:15], -1
	s_cselect_b64 s[0:1], -1, 0
.LBB23_1869:
	s_and_b64 vcc, exec, s[0:1]
	s_cbranch_vccnz .LBB23_2235
; %bb.1870:
	s_andn2_b64 vcc, exec, s[14:15]
	s_cbranch_vccnz .LBB23_1872
.LBB23_1871:
	v_cndmask_b32_e64 v1, 0, 1, s[4:5]
	s_mov_b64 s[16:17], -1
	global_store_byte v[5:6], v1, off
.LBB23_1872:
	s_mov_b64 s[0:1], 0
	s_branch .LBB23_1876
.LBB23_1873:
	s_andn2_b64 vcc, exec, s[16:17]
	s_cbranch_vccnz .LBB23_1793
.LBB23_1874:
	s_waitcnt vmcnt(0)
	v_cmp_lt_i16_sdwa s[16:17], sext(v9), s1 src0_sel:BYTE_0 src1_sel:DWORD
	s_andn2_b64 s[10:11], s[10:11], exec
	s_and_b64 s[16:17], s[16:17], exec
	s_or_b64 s[10:11], s[10:11], s[16:17]
	s_cbranch_execz .LBB23_1794
	s_branch .LBB23_1795
.LBB23_1875:
	s_mov_b64 s[0:1], -1
	s_mov_b64 s[16:17], 0
.LBB23_1876:
	s_and_b64 vcc, exec, s[0:1]
	s_cbranch_vccz .LBB23_1915
; %bb.1877:
	s_and_b32 s14, 0xffff, s22
	s_cmp_lt_i32 s14, 5
	s_mov_b64 s[0:1], -1
	s_cbranch_scc1 .LBB23_1898
; %bb.1878:
	s_cmp_lt_i32 s14, 8
	s_cbranch_scc1 .LBB23_1888
; %bb.1879:
	s_cmp_lt_i32 s14, 9
	s_cbranch_scc1 .LBB23_1885
; %bb.1880:
	s_cmp_gt_i32 s14, 9
	s_cbranch_scc0 .LBB23_1882
; %bb.1881:
	v_cndmask_b32_e64 v1, 0, 1, s[4:5]
	v_cvt_f64_u32_e32 v[7:8], v1
	s_waitcnt vmcnt(0)
	v_mov_b32_e32 v9, 0
	v_mov_b32_e32 v10, v9
	s_mov_b64 s[0:1], 0
	global_store_dwordx4 v[5:6], v[7:10], off
.LBB23_1882:
	s_andn2_b64 vcc, exec, s[0:1]
	s_cbranch_vccnz .LBB23_1884
; %bb.1883:
	v_cndmask_b32_e64 v7, 0, 1.0, s[4:5]
	v_mov_b32_e32 v8, 0
	global_store_dwordx2 v[5:6], v[7:8], off
.LBB23_1884:
	s_mov_b64 s[0:1], 0
.LBB23_1885:
	s_andn2_b64 vcc, exec, s[0:1]
	s_cbranch_vccnz .LBB23_1887
; %bb.1886:
	v_cndmask_b32_e64 v1, 0, 1.0, s[4:5]
	v_cvt_f16_f32_e32 v1, v1
	global_store_dword v[5:6], v1, off
.LBB23_1887:
	s_mov_b64 s[0:1], 0
.LBB23_1888:
	s_andn2_b64 vcc, exec, s[0:1]
	s_cbranch_vccnz .LBB23_1897
; %bb.1889:
	s_cmp_lt_i32 s14, 6
	s_mov_b64 s[0:1], -1
	s_cbranch_scc1 .LBB23_1895
; %bb.1890:
	s_cmp_gt_i32 s14, 6
	s_cbranch_scc0 .LBB23_1892
; %bb.1891:
	v_cndmask_b32_e64 v1, 0, 1, s[4:5]
	v_cvt_f64_u32_e32 v[7:8], v1
	s_mov_b64 s[0:1], 0
	global_store_dwordx2 v[5:6], v[7:8], off
.LBB23_1892:
	s_andn2_b64 vcc, exec, s[0:1]
	s_cbranch_vccnz .LBB23_1894
; %bb.1893:
	v_cndmask_b32_e64 v1, 0, 1.0, s[4:5]
	global_store_dword v[5:6], v1, off
.LBB23_1894:
	s_mov_b64 s[0:1], 0
.LBB23_1895:
	s_andn2_b64 vcc, exec, s[0:1]
	s_cbranch_vccnz .LBB23_1897
; %bb.1896:
	v_cndmask_b32_e64 v1, 0, 1.0, s[4:5]
	v_cvt_f16_f32_e32 v1, v1
	global_store_short v[5:6], v1, off
.LBB23_1897:
	s_mov_b64 s[0:1], 0
.LBB23_1898:
	s_andn2_b64 vcc, exec, s[0:1]
	s_cbranch_vccnz .LBB23_1914
; %bb.1899:
	s_cmp_lt_i32 s14, 2
	s_mov_b64 s[0:1], -1
	s_cbranch_scc1 .LBB23_1909
; %bb.1900:
	s_cmp_lt_i32 s14, 3
	s_cbranch_scc1 .LBB23_1906
; %bb.1901:
	s_cmp_gt_i32 s14, 3
	s_cbranch_scc0 .LBB23_1903
; %bb.1902:
	s_mov_b32 s0, 0
	v_cndmask_b32_e64 v7, 0, 1, s[4:5]
	v_mov_b32_e32 v8, s0
	global_store_dwordx2 v[5:6], v[7:8], off
	s_mov_b64 s[0:1], 0
.LBB23_1903:
	s_andn2_b64 vcc, exec, s[0:1]
	s_cbranch_vccnz .LBB23_1905
; %bb.1904:
	v_cndmask_b32_e64 v1, 0, 1, s[4:5]
	global_store_dword v[5:6], v1, off
.LBB23_1905:
	s_mov_b64 s[0:1], 0
.LBB23_1906:
	s_andn2_b64 vcc, exec, s[0:1]
	s_cbranch_vccnz .LBB23_1908
; %bb.1907:
	v_cndmask_b32_e64 v1, 0, 1, s[4:5]
	global_store_short v[5:6], v1, off
.LBB23_1908:
	s_mov_b64 s[0:1], 0
.LBB23_1909:
	s_andn2_b64 vcc, exec, s[0:1]
	s_cbranch_vccnz .LBB23_1914
; %bb.1910:
	s_mov_b64 s[0:1], -1
	s_cmp_gt_i32 s14, 0
	v_cndmask_b32_e64 v1, 0, 1, s[4:5]
	s_cbranch_scc0 .LBB23_1912
; %bb.1911:
	global_store_byte v[5:6], v1, off
	s_mov_b64 s[0:1], 0
.LBB23_1912:
	s_andn2_b64 vcc, exec, s[0:1]
	s_cbranch_vccnz .LBB23_1914
; %bb.1913:
	global_store_byte v[5:6], v1, off
.LBB23_1914:
	s_mov_b64 s[16:17], -1
.LBB23_1915:
	s_andn2_b64 vcc, exec, s[16:17]
	s_cbranch_vccnz .LBB23_2230
; %bb.1916:
	v_mov_b32_e32 v1, s9
	s_and_b32 s20, 0xffff, s22
	s_waitcnt vmcnt(0)
	v_add_co_u32_e32 v3, vcc, s8, v4
	s_cmp_lt_i32 s20, 11
	v_addc_co_u32_e32 v4, vcc, 0, v1, vcc
	s_cbranch_scc1 .LBB23_1994
; %bb.1917:
	s_mov_b64 s[16:17], -1
	s_mov_b64 s[4:5], 0
	s_cmp_gt_i32 s20, 25
	s_mov_b64 s[14:15], 0
	s_mov_b64 s[0:1], 0
	s_cbranch_scc0 .LBB23_1950
; %bb.1918:
	s_cmp_gt_i32 s20, 28
	s_cbranch_scc0 .LBB23_1933
; %bb.1919:
	s_cmp_gt_i32 s20, 43
	;; [unrolled: 3-line block ×3, first 2 shown]
	s_cbranch_scc0 .LBB23_1923
; %bb.1921:
	s_mov_b64 s[0:1], -1
	s_mov_b64 s[16:17], 0
	s_cmp_eq_u32 s20, 46
	s_cbranch_scc0 .LBB23_1923
; %bb.1922:
	v_cndmask_b32_e64 v1, 0, 1.0, s[6:7]
	v_bfe_u32 v5, v1, 16, 1
	s_movk_i32 s0, 0x7fff
	v_add3_u32 v1, v1, v5, s0
	v_lshrrev_b32_e32 v1, 16, v1
	global_store_dword v[3:4], v1, off
	s_mov_b64 s[0:1], 0
	s_mov_b64 s[14:15], -1
.LBB23_1923:
	s_and_b64 vcc, exec, s[16:17]
	s_cbranch_vccz .LBB23_1928
; %bb.1924:
	s_cmp_eq_u32 s20, 44
	s_mov_b64 s[0:1], -1
	s_cbranch_scc0 .LBB23_1928
; %bb.1925:
	v_cndmask_b32_e64 v5, 0, 1.0, s[6:7]
	v_lshrrev_b32_e32 v1, 23, v5
	s_movk_i32 s0, 0xff
	v_cmp_ne_u32_e32 vcc, s0, v1
	v_mov_b32_e32 v6, 0xff
	s_and_saveexec_b64 s[14:15], vcc
; %bb.1926:
	s_mov_b32 s0, 0x3fffff
	v_and_b32_e32 v6, 0x400000, v5
	v_and_or_b32 v5, v5, s0, v1
	v_cmp_ne_u32_e32 vcc, 0, v6
	v_cmp_ne_u32_e64 s[0:1], 0, v5
	s_and_b64 s[0:1], vcc, s[0:1]
	v_cndmask_b32_e64 v5, 0, 1, s[0:1]
	v_add_u32_e32 v6, v1, v5
; %bb.1927:
	s_or_b64 exec, exec, s[14:15]
	s_mov_b64 s[0:1], 0
	s_mov_b64 s[14:15], -1
	global_store_byte v[3:4], v6, off
.LBB23_1928:
	s_mov_b64 s[16:17], 0
.LBB23_1929:
	s_and_b64 vcc, exec, s[16:17]
	s_cbranch_vccz .LBB23_1932
; %bb.1930:
	s_cmp_eq_u32 s20, 29
	s_mov_b64 s[0:1], -1
	s_cbranch_scc0 .LBB23_1932
; %bb.1931:
	s_mov_b32 s0, 0
	v_cndmask_b32_e64 v5, 0, 1, s[6:7]
	v_mov_b32_e32 v6, s0
	global_store_dwordx2 v[3:4], v[5:6], off
	s_mov_b64 s[0:1], 0
	s_mov_b64 s[14:15], -1
.LBB23_1932:
	s_mov_b64 s[16:17], 0
.LBB23_1933:
	s_and_b64 vcc, exec, s[16:17]
	s_cbranch_vccz .LBB23_1949
; %bb.1934:
	s_cmp_lt_i32 s20, 27
	s_mov_b64 s[14:15], -1
	s_cbranch_scc1 .LBB23_1940
; %bb.1935:
	s_cmp_gt_i32 s20, 27
	s_cbranch_scc0 .LBB23_1937
; %bb.1936:
	v_cndmask_b32_e64 v1, 0, 1, s[6:7]
	s_mov_b64 s[14:15], 0
	global_store_dword v[3:4], v1, off
.LBB23_1937:
	s_andn2_b64 vcc, exec, s[14:15]
	s_cbranch_vccnz .LBB23_1939
; %bb.1938:
	v_cndmask_b32_e64 v1, 0, 1, s[6:7]
	global_store_short v[3:4], v1, off
.LBB23_1939:
	s_mov_b64 s[14:15], 0
.LBB23_1940:
	s_andn2_b64 vcc, exec, s[14:15]
	s_cbranch_vccnz .LBB23_1948
; %bb.1941:
	v_cndmask_b32_e64 v5, 0, 1.0, s[6:7]
	s_mov_b32 s14, 0x43800000
	v_cmp_gt_u32_e32 vcc, s14, v5
	v_mov_b32_e32 v6, 0x80
	s_and_saveexec_b64 s[14:15], vcc
	s_cbranch_execz .LBB23_1947
; %bb.1942:
	s_mov_b32 s16, 0x3bffffff
	v_cmp_lt_u32_e32 vcc, s16, v5
	s_mov_b64 s[16:17], 0
                                        ; implicit-def: $vgpr1
	s_and_saveexec_b64 s[18:19], vcc
	s_xor_b64 s[18:19], exec, s[18:19]
	s_cbranch_execz .LBB23_2238
; %bb.1943:
	v_bfe_u32 v1, v5, 20, 1
	s_mov_b32 s21, 0x487ffff
	v_add3_u32 v1, v5, v1, s21
	s_mov_b64 s[16:17], exec
	v_lshrrev_b32_e32 v1, 20, v1
                                        ; implicit-def: $vgpr5
	s_andn2_saveexec_b64 s[18:19], s[18:19]
	s_cbranch_execnz .LBB23_2239
.LBB23_1944:
	s_or_b64 exec, exec, s[18:19]
	v_mov_b32_e32 v6, 0
	s_and_saveexec_b64 s[18:19], s[16:17]
.LBB23_1945:
	v_mov_b32_e32 v6, v1
.LBB23_1946:
	s_or_b64 exec, exec, s[18:19]
.LBB23_1947:
	s_or_b64 exec, exec, s[14:15]
	global_store_byte v[3:4], v6, off
.LBB23_1948:
	s_mov_b64 s[14:15], -1
.LBB23_1949:
	s_mov_b64 s[16:17], 0
.LBB23_1950:
	s_and_b64 vcc, exec, s[16:17]
	s_cbranch_vccz .LBB23_1990
; %bb.1951:
	s_cmp_gt_i32 s20, 22
	s_mov_b64 s[4:5], -1
	s_cbranch_scc0 .LBB23_1983
; %bb.1952:
	s_cmp_lt_i32 s20, 24
	s_cbranch_scc1 .LBB23_1972
; %bb.1953:
	s_cmp_gt_i32 s20, 24
	s_cbranch_scc0 .LBB23_1961
; %bb.1954:
	v_cndmask_b32_e64 v5, 0, 1.0, s[6:7]
	s_mov_b32 s4, 0x47800000
	v_cmp_gt_u32_e32 vcc, s4, v5
	v_mov_b32_e32 v6, 0x80
	s_and_saveexec_b64 s[4:5], vcc
	s_cbranch_execz .LBB23_1960
; %bb.1955:
	s_mov_b32 s14, 0x37ffffff
	v_cmp_lt_u32_e32 vcc, s14, v5
	s_mov_b64 s[14:15], 0
                                        ; implicit-def: $vgpr1
	s_and_saveexec_b64 s[16:17], vcc
	s_xor_b64 s[16:17], exec, s[16:17]
	s_cbranch_execz .LBB23_2241
; %bb.1956:
	v_bfe_u32 v1, v5, 21, 1
	s_mov_b32 s18, 0x88fffff
	v_add3_u32 v1, v5, v1, s18
	s_mov_b64 s[14:15], exec
	v_lshrrev_b32_e32 v1, 21, v1
                                        ; implicit-def: $vgpr5
	s_andn2_saveexec_b64 s[16:17], s[16:17]
	s_cbranch_execnz .LBB23_2242
.LBB23_1957:
	s_or_b64 exec, exec, s[16:17]
	v_mov_b32_e32 v6, 0
	s_and_saveexec_b64 s[16:17], s[14:15]
.LBB23_1958:
	v_mov_b32_e32 v6, v1
.LBB23_1959:
	s_or_b64 exec, exec, s[16:17]
.LBB23_1960:
	s_or_b64 exec, exec, s[4:5]
	s_mov_b64 s[4:5], 0
	global_store_byte v[3:4], v6, off
.LBB23_1961:
	s_and_b64 vcc, exec, s[4:5]
	s_cbranch_vccz .LBB23_1971
; %bb.1962:
	v_cndmask_b32_e64 v1, 0, 1.0, s[6:7]
	s_mov_b32 s4, 0x43f00000
	v_cmp_gt_u32_e32 vcc, s4, v1
                                        ; implicit-def: $vgpr5
	s_and_saveexec_b64 s[4:5], vcc
	s_xor_b64 s[4:5], exec, s[4:5]
	s_cbranch_execz .LBB23_1968
; %bb.1963:
	s_mov_b32 s14, 0x3c7fffff
	v_cmp_lt_u32_e32 vcc, s14, v1
                                        ; implicit-def: $vgpr5
	s_and_saveexec_b64 s[14:15], vcc
	s_xor_b64 s[14:15], exec, s[14:15]
; %bb.1964:
	v_bfe_u32 v5, v1, 20, 1
	s_mov_b32 s16, 0x407ffff
	v_add3_u32 v1, v1, v5, s16
	v_lshrrev_b32_e32 v5, 20, v1
	v_and_b32_e32 v1, 0xff00000, v1
	s_mov_b32 s16, 0x7f00000
	v_mov_b32_e32 v6, 0x7e
	v_cmp_ne_u32_e32 vcc, s16, v1
	v_cndmask_b32_e32 v5, v6, v5, vcc
                                        ; implicit-def: $vgpr1
; %bb.1965:
	s_andn2_saveexec_b64 s[14:15], s[14:15]
; %bb.1966:
	v_add_f32_e32 v5, 0x46800000, v1
; %bb.1967:
	s_or_b64 exec, exec, s[14:15]
                                        ; implicit-def: $vgpr1
.LBB23_1968:
	s_andn2_saveexec_b64 s[4:5], s[4:5]
; %bb.1969:
	s_mov_b32 s14, 0x7f800000
	v_mov_b32_e32 v5, 0x7e
	v_mov_b32_e32 v6, 0x7f
	v_cmp_lt_u32_e32 vcc, s14, v1
	v_cndmask_b32_e32 v5, v5, v6, vcc
; %bb.1970:
	s_or_b64 exec, exec, s[4:5]
	global_store_byte v[3:4], v5, off
.LBB23_1971:
	s_mov_b64 s[4:5], 0
.LBB23_1972:
	s_andn2_b64 vcc, exec, s[4:5]
	s_cbranch_vccnz .LBB23_1982
; %bb.1973:
	v_cndmask_b32_e64 v1, 0, 1.0, s[6:7]
	s_mov_b32 s4, 0x47800000
	v_cmp_gt_u32_e32 vcc, s4, v1
                                        ; implicit-def: $vgpr5
	s_and_saveexec_b64 s[4:5], vcc
	s_xor_b64 s[4:5], exec, s[4:5]
	s_cbranch_execz .LBB23_1979
; %bb.1974:
	s_mov_b32 s14, 0x387fffff
	v_cmp_lt_u32_e32 vcc, s14, v1
                                        ; implicit-def: $vgpr5
	s_and_saveexec_b64 s[14:15], vcc
	s_xor_b64 s[14:15], exec, s[14:15]
; %bb.1975:
	v_bfe_u32 v5, v1, 21, 1
	s_mov_b32 s16, 0x80fffff
	v_add3_u32 v1, v1, v5, s16
	v_lshrrev_b32_e32 v5, 21, v1
                                        ; implicit-def: $vgpr1
; %bb.1976:
	s_andn2_saveexec_b64 s[14:15], s[14:15]
; %bb.1977:
	v_add_f32_e32 v5, 0x43000000, v1
; %bb.1978:
	s_or_b64 exec, exec, s[14:15]
                                        ; implicit-def: $vgpr1
.LBB23_1979:
	s_andn2_saveexec_b64 s[4:5], s[4:5]
; %bb.1980:
	s_mov_b32 s14, 0x7f800000
	v_mov_b32_e32 v5, 0x7c
	v_mov_b32_e32 v6, 0x7f
	v_cmp_lt_u32_e32 vcc, s14, v1
	v_cndmask_b32_e32 v5, v5, v6, vcc
; %bb.1981:
	s_or_b64 exec, exec, s[4:5]
	global_store_byte v[3:4], v5, off
.LBB23_1982:
	s_mov_b64 s[4:5], 0
	s_mov_b64 s[14:15], -1
.LBB23_1983:
	s_andn2_b64 vcc, exec, s[4:5]
	s_mov_b64 s[4:5], 0
	s_cbranch_vccnz .LBB23_1990
; %bb.1984:
	s_cmp_gt_i32 s20, 14
	s_mov_b64 s[16:17], -1
	s_cbranch_scc0 .LBB23_1988
; %bb.1985:
	s_cmp_eq_u32 s20, 15
	s_mov_b64 s[0:1], -1
	s_cbranch_scc0 .LBB23_1987
; %bb.1986:
	v_cndmask_b32_e64 v1, 0, 1.0, s[6:7]
	v_bfe_u32 v5, v1, 16, 1
	s_movk_i32 s0, 0x7fff
	v_add3_u32 v1, v1, v5, s0
	global_store_short_d16_hi v[3:4], v1, off
	s_mov_b64 s[0:1], 0
	s_mov_b64 s[14:15], -1
.LBB23_1987:
	s_mov_b64 s[16:17], 0
.LBB23_1988:
	s_and_b64 vcc, exec, s[16:17]
	s_cbranch_vccz .LBB23_1990
; %bb.1989:
	s_cmp_lg_u32 s20, 11
	s_mov_b64 s[4:5], -1
	s_cselect_b64 s[0:1], -1, 0
.LBB23_1990:
	s_and_b64 vcc, exec, s[0:1]
	s_cbranch_vccnz .LBB23_2240
; %bb.1991:
	s_andn2_b64 vcc, exec, s[4:5]
	s_cbranch_vccnz .LBB23_1993
.LBB23_1992:
	v_cndmask_b32_e64 v1, 0, 1, s[6:7]
	s_mov_b64 s[14:15], -1
	global_store_byte v[3:4], v1, off
.LBB23_1993:
	s_mov_b64 s[0:1], 0
	s_branch .LBB23_1995
.LBB23_1994:
	s_mov_b64 s[0:1], -1
	s_mov_b64 s[14:15], 0
.LBB23_1995:
	s_and_b64 vcc, exec, s[0:1]
	s_cbranch_vccz .LBB23_2034
; %bb.1996:
	s_cmp_lt_i32 s20, 5
	s_mov_b64 s[0:1], -1
	s_cbranch_scc1 .LBB23_2017
; %bb.1997:
	s_cmp_lt_i32 s20, 8
	s_cbranch_scc1 .LBB23_2007
; %bb.1998:
	s_cmp_lt_i32 s20, 9
	s_cbranch_scc1 .LBB23_2004
; %bb.1999:
	s_cmp_gt_i32 s20, 9
	s_cbranch_scc0 .LBB23_2001
; %bb.2000:
	v_cndmask_b32_e64 v1, 0, 1, s[6:7]
	v_cvt_f64_u32_e32 v[5:6], v1
	v_mov_b32_e32 v7, 0
	v_mov_b32_e32 v8, v7
	s_mov_b64 s[0:1], 0
	global_store_dwordx4 v[3:4], v[5:8], off
.LBB23_2001:
	s_andn2_b64 vcc, exec, s[0:1]
	s_cbranch_vccnz .LBB23_2003
; %bb.2002:
	v_cndmask_b32_e64 v5, 0, 1.0, s[6:7]
	v_mov_b32_e32 v6, 0
	global_store_dwordx2 v[3:4], v[5:6], off
.LBB23_2003:
	s_mov_b64 s[0:1], 0
.LBB23_2004:
	s_andn2_b64 vcc, exec, s[0:1]
	s_cbranch_vccnz .LBB23_2006
; %bb.2005:
	v_cndmask_b32_e64 v1, 0, 1.0, s[6:7]
	v_cvt_f16_f32_e32 v1, v1
	global_store_dword v[3:4], v1, off
.LBB23_2006:
	s_mov_b64 s[0:1], 0
.LBB23_2007:
	s_andn2_b64 vcc, exec, s[0:1]
	s_cbranch_vccnz .LBB23_2016
; %bb.2008:
	s_cmp_lt_i32 s20, 6
	s_mov_b64 s[0:1], -1
	s_cbranch_scc1 .LBB23_2014
; %bb.2009:
	s_cmp_gt_i32 s20, 6
	s_cbranch_scc0 .LBB23_2011
; %bb.2010:
	v_cndmask_b32_e64 v1, 0, 1, s[6:7]
	v_cvt_f64_u32_e32 v[5:6], v1
	s_mov_b64 s[0:1], 0
	global_store_dwordx2 v[3:4], v[5:6], off
.LBB23_2011:
	s_andn2_b64 vcc, exec, s[0:1]
	s_cbranch_vccnz .LBB23_2013
; %bb.2012:
	v_cndmask_b32_e64 v1, 0, 1.0, s[6:7]
	global_store_dword v[3:4], v1, off
.LBB23_2013:
	s_mov_b64 s[0:1], 0
.LBB23_2014:
	s_andn2_b64 vcc, exec, s[0:1]
	s_cbranch_vccnz .LBB23_2016
; %bb.2015:
	v_cndmask_b32_e64 v1, 0, 1.0, s[6:7]
	v_cvt_f16_f32_e32 v1, v1
	global_store_short v[3:4], v1, off
.LBB23_2016:
	s_mov_b64 s[0:1], 0
.LBB23_2017:
	s_andn2_b64 vcc, exec, s[0:1]
	s_cbranch_vccnz .LBB23_2033
; %bb.2018:
	s_cmp_lt_i32 s20, 2
	s_mov_b64 s[0:1], -1
	s_cbranch_scc1 .LBB23_2028
; %bb.2019:
	s_cmp_lt_i32 s20, 3
	s_cbranch_scc1 .LBB23_2025
; %bb.2020:
	s_cmp_gt_i32 s20, 3
	s_cbranch_scc0 .LBB23_2022
; %bb.2021:
	s_mov_b32 s0, 0
	v_cndmask_b32_e64 v5, 0, 1, s[6:7]
	v_mov_b32_e32 v6, s0
	global_store_dwordx2 v[3:4], v[5:6], off
	s_mov_b64 s[0:1], 0
.LBB23_2022:
	s_andn2_b64 vcc, exec, s[0:1]
	s_cbranch_vccnz .LBB23_2024
; %bb.2023:
	v_cndmask_b32_e64 v1, 0, 1, s[6:7]
	global_store_dword v[3:4], v1, off
.LBB23_2024:
	s_mov_b64 s[0:1], 0
.LBB23_2025:
	s_andn2_b64 vcc, exec, s[0:1]
	s_cbranch_vccnz .LBB23_2027
; %bb.2026:
	v_cndmask_b32_e64 v1, 0, 1, s[6:7]
	global_store_short v[3:4], v1, off
.LBB23_2027:
	s_mov_b64 s[0:1], 0
.LBB23_2028:
	s_andn2_b64 vcc, exec, s[0:1]
	s_cbranch_vccnz .LBB23_2033
; %bb.2029:
	s_mov_b64 s[0:1], -1
	s_cmp_gt_i32 s20, 0
	v_cndmask_b32_e64 v1, 0, 1, s[6:7]
	s_cbranch_scc0 .LBB23_2031
; %bb.2030:
	global_store_byte v[3:4], v1, off
	s_mov_b64 s[0:1], 0
.LBB23_2031:
	s_andn2_b64 vcc, exec, s[0:1]
	s_cbranch_vccnz .LBB23_2033
; %bb.2032:
	global_store_byte v[3:4], v1, off
.LBB23_2033:
	s_mov_b64 s[14:15], -1
.LBB23_2034:
	s_andn2_b64 vcc, exec, s[14:15]
	s_cbranch_vccnz .LBB23_2230
; %bb.2035:
	v_mov_b32_e32 v3, s9
	v_add_co_u32_e32 v1, vcc, s8, v2
	s_cmp_lt_i32 s20, 11
	v_addc_co_u32_e32 v2, vcc, 0, v3, vcc
	s_cbranch_scc1 .LBB23_2113
; %bb.2036:
	s_mov_b64 s[14:15], -1
	s_mov_b64 s[4:5], 0
	s_cmp_gt_i32 s20, 25
	s_mov_b64 s[6:7], 0
	s_mov_b64 s[0:1], 0
	s_cbranch_scc0 .LBB23_2069
; %bb.2037:
	s_cmp_gt_i32 s20, 28
	s_cbranch_scc0 .LBB23_2052
; %bb.2038:
	s_cmp_gt_i32 s20, 43
	;; [unrolled: 3-line block ×3, first 2 shown]
	s_cbranch_scc0 .LBB23_2042
; %bb.2040:
	s_mov_b64 s[0:1], -1
	s_mov_b64 s[14:15], 0
	s_cmp_eq_u32 s20, 46
	s_cbranch_scc0 .LBB23_2042
; %bb.2041:
	v_cndmask_b32_e64 v3, 0, 1.0, s[12:13]
	v_bfe_u32 v4, v3, 16, 1
	s_movk_i32 s0, 0x7fff
	v_add3_u32 v3, v3, v4, s0
	v_lshrrev_b32_e32 v3, 16, v3
	global_store_dword v[1:2], v3, off
	s_mov_b64 s[0:1], 0
	s_mov_b64 s[6:7], -1
.LBB23_2042:
	s_and_b64 vcc, exec, s[14:15]
	s_cbranch_vccz .LBB23_2047
; %bb.2043:
	s_cmp_eq_u32 s20, 44
	s_mov_b64 s[0:1], -1
	s_cbranch_scc0 .LBB23_2047
; %bb.2044:
	v_cndmask_b32_e64 v4, 0, 1.0, s[12:13]
	v_lshrrev_b32_e32 v3, 23, v4
	s_movk_i32 s0, 0xff
	v_cmp_ne_u32_e32 vcc, s0, v3
	v_mov_b32_e32 v5, 0xff
	s_and_saveexec_b64 s[6:7], vcc
; %bb.2045:
	s_mov_b32 s0, 0x3fffff
	v_and_b32_e32 v5, 0x400000, v4
	v_and_or_b32 v4, v4, s0, v3
	v_cmp_ne_u32_e32 vcc, 0, v5
	v_cmp_ne_u32_e64 s[0:1], 0, v4
	s_and_b64 s[0:1], vcc, s[0:1]
	v_cndmask_b32_e64 v4, 0, 1, s[0:1]
	v_add_u32_e32 v5, v3, v4
; %bb.2046:
	s_or_b64 exec, exec, s[6:7]
	s_mov_b64 s[0:1], 0
	s_mov_b64 s[6:7], -1
	global_store_byte v[1:2], v5, off
.LBB23_2047:
	s_mov_b64 s[14:15], 0
.LBB23_2048:
	s_and_b64 vcc, exec, s[14:15]
	s_cbranch_vccz .LBB23_2051
; %bb.2049:
	s_cmp_eq_u32 s20, 29
	s_mov_b64 s[0:1], -1
	s_cbranch_scc0 .LBB23_2051
; %bb.2050:
	s_mov_b32 s0, 0
	v_cndmask_b32_e64 v3, 0, 1, s[12:13]
	v_mov_b32_e32 v4, s0
	global_store_dwordx2 v[1:2], v[3:4], off
	s_mov_b64 s[0:1], 0
	s_mov_b64 s[6:7], -1
.LBB23_2051:
	s_mov_b64 s[14:15], 0
.LBB23_2052:
	s_and_b64 vcc, exec, s[14:15]
	s_cbranch_vccz .LBB23_2068
; %bb.2053:
	s_cmp_lt_i32 s20, 27
	s_mov_b64 s[6:7], -1
	s_cbranch_scc1 .LBB23_2059
; %bb.2054:
	s_cmp_gt_i32 s20, 27
	s_cbranch_scc0 .LBB23_2056
; %bb.2055:
	v_cndmask_b32_e64 v3, 0, 1, s[12:13]
	s_mov_b64 s[6:7], 0
	global_store_dword v[1:2], v3, off
.LBB23_2056:
	s_andn2_b64 vcc, exec, s[6:7]
	s_cbranch_vccnz .LBB23_2058
; %bb.2057:
	v_cndmask_b32_e64 v3, 0, 1, s[12:13]
	global_store_short v[1:2], v3, off
.LBB23_2058:
	s_mov_b64 s[6:7], 0
.LBB23_2059:
	s_andn2_b64 vcc, exec, s[6:7]
	s_cbranch_vccnz .LBB23_2067
; %bb.2060:
	v_cndmask_b32_e64 v4, 0, 1.0, s[12:13]
	s_mov_b32 s6, 0x43800000
	v_cmp_gt_u32_e32 vcc, s6, v4
	v_mov_b32_e32 v5, 0x80
	s_and_saveexec_b64 s[6:7], vcc
	s_cbranch_execz .LBB23_2066
; %bb.2061:
	s_mov_b32 s14, 0x3bffffff
	v_cmp_lt_u32_e32 vcc, s14, v4
	s_mov_b64 s[14:15], 0
                                        ; implicit-def: $vgpr3
	s_and_saveexec_b64 s[16:17], vcc
	s_xor_b64 s[16:17], exec, s[16:17]
	s_cbranch_execz .LBB23_2243
; %bb.2062:
	v_bfe_u32 v3, v4, 20, 1
	s_mov_b32 s18, 0x487ffff
	v_add3_u32 v3, v4, v3, s18
	s_mov_b64 s[14:15], exec
	v_lshrrev_b32_e32 v3, 20, v3
                                        ; implicit-def: $vgpr4
	s_andn2_saveexec_b64 s[16:17], s[16:17]
	s_cbranch_execnz .LBB23_2244
.LBB23_2063:
	s_or_b64 exec, exec, s[16:17]
	v_mov_b32_e32 v5, 0
	s_and_saveexec_b64 s[16:17], s[14:15]
.LBB23_2064:
	v_mov_b32_e32 v5, v3
.LBB23_2065:
	s_or_b64 exec, exec, s[16:17]
.LBB23_2066:
	s_or_b64 exec, exec, s[6:7]
	global_store_byte v[1:2], v5, off
.LBB23_2067:
	s_mov_b64 s[6:7], -1
.LBB23_2068:
	s_mov_b64 s[14:15], 0
.LBB23_2069:
	s_and_b64 vcc, exec, s[14:15]
	s_cbranch_vccz .LBB23_2109
; %bb.2070:
	s_cmp_gt_i32 s20, 22
	s_mov_b64 s[4:5], -1
	s_cbranch_scc0 .LBB23_2102
; %bb.2071:
	s_cmp_lt_i32 s20, 24
	s_cbranch_scc1 .LBB23_2091
; %bb.2072:
	s_cmp_gt_i32 s20, 24
	s_cbranch_scc0 .LBB23_2080
; %bb.2073:
	v_cndmask_b32_e64 v4, 0, 1.0, s[12:13]
	s_mov_b32 s4, 0x47800000
	v_cmp_gt_u32_e32 vcc, s4, v4
	v_mov_b32_e32 v5, 0x80
	s_and_saveexec_b64 s[4:5], vcc
	s_cbranch_execz .LBB23_2079
; %bb.2074:
	s_mov_b32 s6, 0x37ffffff
	v_cmp_lt_u32_e32 vcc, s6, v4
	s_mov_b64 s[6:7], 0
                                        ; implicit-def: $vgpr3
	s_and_saveexec_b64 s[14:15], vcc
	s_xor_b64 s[14:15], exec, s[14:15]
	s_cbranch_execz .LBB23_2246
; %bb.2075:
	v_bfe_u32 v3, v4, 21, 1
	s_mov_b32 s16, 0x88fffff
	v_add3_u32 v3, v4, v3, s16
	s_mov_b64 s[6:7], exec
	v_lshrrev_b32_e32 v3, 21, v3
                                        ; implicit-def: $vgpr4
	s_andn2_saveexec_b64 s[14:15], s[14:15]
	s_cbranch_execnz .LBB23_2247
.LBB23_2076:
	s_or_b64 exec, exec, s[14:15]
	v_mov_b32_e32 v5, 0
	s_and_saveexec_b64 s[14:15], s[6:7]
.LBB23_2077:
	v_mov_b32_e32 v5, v3
.LBB23_2078:
	s_or_b64 exec, exec, s[14:15]
.LBB23_2079:
	s_or_b64 exec, exec, s[4:5]
	s_mov_b64 s[4:5], 0
	global_store_byte v[1:2], v5, off
.LBB23_2080:
	s_and_b64 vcc, exec, s[4:5]
	s_cbranch_vccz .LBB23_2090
; %bb.2081:
	v_cndmask_b32_e64 v3, 0, 1.0, s[12:13]
	s_mov_b32 s4, 0x43f00000
	v_cmp_gt_u32_e32 vcc, s4, v3
                                        ; implicit-def: $vgpr4
	s_and_saveexec_b64 s[4:5], vcc
	s_xor_b64 s[4:5], exec, s[4:5]
	s_cbranch_execz .LBB23_2087
; %bb.2082:
	s_mov_b32 s6, 0x3c7fffff
	v_cmp_lt_u32_e32 vcc, s6, v3
                                        ; implicit-def: $vgpr4
	s_and_saveexec_b64 s[6:7], vcc
	s_xor_b64 s[6:7], exec, s[6:7]
; %bb.2083:
	v_bfe_u32 v4, v3, 20, 1
	s_mov_b32 s14, 0x407ffff
	v_add3_u32 v3, v3, v4, s14
	v_lshrrev_b32_e32 v4, 20, v3
	v_and_b32_e32 v3, 0xff00000, v3
	s_mov_b32 s14, 0x7f00000
	v_mov_b32_e32 v5, 0x7e
	v_cmp_ne_u32_e32 vcc, s14, v3
	v_cndmask_b32_e32 v4, v5, v4, vcc
                                        ; implicit-def: $vgpr3
; %bb.2084:
	s_andn2_saveexec_b64 s[6:7], s[6:7]
; %bb.2085:
	v_add_f32_e32 v4, 0x46800000, v3
; %bb.2086:
	s_or_b64 exec, exec, s[6:7]
                                        ; implicit-def: $vgpr3
.LBB23_2087:
	s_andn2_saveexec_b64 s[4:5], s[4:5]
; %bb.2088:
	s_mov_b32 s6, 0x7f800000
	v_mov_b32_e32 v4, 0x7e
	v_mov_b32_e32 v5, 0x7f
	v_cmp_lt_u32_e32 vcc, s6, v3
	v_cndmask_b32_e32 v4, v4, v5, vcc
; %bb.2089:
	s_or_b64 exec, exec, s[4:5]
	global_store_byte v[1:2], v4, off
.LBB23_2090:
	s_mov_b64 s[4:5], 0
.LBB23_2091:
	s_andn2_b64 vcc, exec, s[4:5]
	s_cbranch_vccnz .LBB23_2101
; %bb.2092:
	v_cndmask_b32_e64 v3, 0, 1.0, s[12:13]
	s_mov_b32 s4, 0x47800000
	v_cmp_gt_u32_e32 vcc, s4, v3
                                        ; implicit-def: $vgpr4
	s_and_saveexec_b64 s[4:5], vcc
	s_xor_b64 s[4:5], exec, s[4:5]
	s_cbranch_execz .LBB23_2098
; %bb.2093:
	s_mov_b32 s6, 0x387fffff
	v_cmp_lt_u32_e32 vcc, s6, v3
                                        ; implicit-def: $vgpr4
	s_and_saveexec_b64 s[6:7], vcc
	s_xor_b64 s[6:7], exec, s[6:7]
; %bb.2094:
	v_bfe_u32 v4, v3, 21, 1
	s_mov_b32 s14, 0x80fffff
	v_add3_u32 v3, v3, v4, s14
	v_lshrrev_b32_e32 v4, 21, v3
                                        ; implicit-def: $vgpr3
; %bb.2095:
	s_andn2_saveexec_b64 s[6:7], s[6:7]
; %bb.2096:
	v_add_f32_e32 v4, 0x43000000, v3
; %bb.2097:
	s_or_b64 exec, exec, s[6:7]
                                        ; implicit-def: $vgpr3
.LBB23_2098:
	s_andn2_saveexec_b64 s[4:5], s[4:5]
; %bb.2099:
	s_mov_b32 s6, 0x7f800000
	v_mov_b32_e32 v4, 0x7c
	v_mov_b32_e32 v5, 0x7f
	v_cmp_lt_u32_e32 vcc, s6, v3
	v_cndmask_b32_e32 v4, v4, v5, vcc
; %bb.2100:
	s_or_b64 exec, exec, s[4:5]
	global_store_byte v[1:2], v4, off
.LBB23_2101:
	s_mov_b64 s[4:5], 0
	s_mov_b64 s[6:7], -1
.LBB23_2102:
	s_andn2_b64 vcc, exec, s[4:5]
	s_mov_b64 s[4:5], 0
	s_cbranch_vccnz .LBB23_2109
; %bb.2103:
	s_cmp_gt_i32 s20, 14
	s_mov_b64 s[14:15], -1
	s_cbranch_scc0 .LBB23_2107
; %bb.2104:
	s_cmp_eq_u32 s20, 15
	s_mov_b64 s[0:1], -1
	s_cbranch_scc0 .LBB23_2106
; %bb.2105:
	v_cndmask_b32_e64 v3, 0, 1.0, s[12:13]
	v_bfe_u32 v4, v3, 16, 1
	s_movk_i32 s0, 0x7fff
	v_add3_u32 v3, v3, v4, s0
	global_store_short_d16_hi v[1:2], v3, off
	s_mov_b64 s[0:1], 0
	s_mov_b64 s[6:7], -1
.LBB23_2106:
	s_mov_b64 s[14:15], 0
.LBB23_2107:
	s_and_b64 vcc, exec, s[14:15]
	s_cbranch_vccz .LBB23_2109
; %bb.2108:
	s_cmp_lg_u32 s20, 11
	s_mov_b64 s[4:5], -1
	s_cselect_b64 s[0:1], -1, 0
.LBB23_2109:
	s_and_b64 vcc, exec, s[0:1]
	s_cbranch_vccnz .LBB23_2245
; %bb.2110:
	s_andn2_b64 vcc, exec, s[4:5]
	s_cbranch_vccnz .LBB23_2112
.LBB23_2111:
	v_cndmask_b32_e64 v3, 0, 1, s[12:13]
	s_mov_b64 s[6:7], -1
	global_store_byte v[1:2], v3, off
.LBB23_2112:
	s_mov_b64 s[0:1], 0
	s_branch .LBB23_2114
.LBB23_2113:
	s_mov_b64 s[0:1], -1
	s_mov_b64 s[6:7], 0
.LBB23_2114:
	s_and_b64 vcc, exec, s[0:1]
	s_cbranch_vccz .LBB23_2153
; %bb.2115:
	s_cmp_lt_i32 s20, 5
	s_mov_b64 s[0:1], -1
	s_cbranch_scc1 .LBB23_2136
; %bb.2116:
	s_cmp_lt_i32 s20, 8
	s_cbranch_scc1 .LBB23_2126
; %bb.2117:
	s_cmp_lt_i32 s20, 9
	s_cbranch_scc1 .LBB23_2123
; %bb.2118:
	s_cmp_gt_i32 s20, 9
	s_cbranch_scc0 .LBB23_2120
; %bb.2119:
	v_cndmask_b32_e64 v3, 0, 1, s[12:13]
	v_cvt_f64_u32_e32 v[3:4], v3
	v_mov_b32_e32 v5, 0
	v_mov_b32_e32 v6, v5
	s_mov_b64 s[0:1], 0
	global_store_dwordx4 v[1:2], v[3:6], off
.LBB23_2120:
	s_andn2_b64 vcc, exec, s[0:1]
	s_cbranch_vccnz .LBB23_2122
; %bb.2121:
	v_cndmask_b32_e64 v3, 0, 1.0, s[12:13]
	v_mov_b32_e32 v4, 0
	global_store_dwordx2 v[1:2], v[3:4], off
.LBB23_2122:
	s_mov_b64 s[0:1], 0
.LBB23_2123:
	s_andn2_b64 vcc, exec, s[0:1]
	s_cbranch_vccnz .LBB23_2125
; %bb.2124:
	v_cndmask_b32_e64 v3, 0, 1.0, s[12:13]
	v_cvt_f16_f32_e32 v3, v3
	global_store_dword v[1:2], v3, off
.LBB23_2125:
	s_mov_b64 s[0:1], 0
.LBB23_2126:
	s_andn2_b64 vcc, exec, s[0:1]
	s_cbranch_vccnz .LBB23_2135
; %bb.2127:
	s_cmp_lt_i32 s20, 6
	s_mov_b64 s[0:1], -1
	s_cbranch_scc1 .LBB23_2133
; %bb.2128:
	s_cmp_gt_i32 s20, 6
	s_cbranch_scc0 .LBB23_2130
; %bb.2129:
	v_cndmask_b32_e64 v3, 0, 1, s[12:13]
	v_cvt_f64_u32_e32 v[3:4], v3
	s_mov_b64 s[0:1], 0
	global_store_dwordx2 v[1:2], v[3:4], off
.LBB23_2130:
	s_andn2_b64 vcc, exec, s[0:1]
	s_cbranch_vccnz .LBB23_2132
; %bb.2131:
	v_cndmask_b32_e64 v3, 0, 1.0, s[12:13]
	global_store_dword v[1:2], v3, off
.LBB23_2132:
	s_mov_b64 s[0:1], 0
.LBB23_2133:
	s_andn2_b64 vcc, exec, s[0:1]
	s_cbranch_vccnz .LBB23_2135
; %bb.2134:
	v_cndmask_b32_e64 v3, 0, 1.0, s[12:13]
	v_cvt_f16_f32_e32 v3, v3
	global_store_short v[1:2], v3, off
.LBB23_2135:
	s_mov_b64 s[0:1], 0
.LBB23_2136:
	s_andn2_b64 vcc, exec, s[0:1]
	s_cbranch_vccnz .LBB23_2152
; %bb.2137:
	s_cmp_lt_i32 s20, 2
	s_mov_b64 s[0:1], -1
	s_cbranch_scc1 .LBB23_2147
; %bb.2138:
	s_cmp_lt_i32 s20, 3
	s_cbranch_scc1 .LBB23_2144
; %bb.2139:
	s_cmp_gt_i32 s20, 3
	s_cbranch_scc0 .LBB23_2141
; %bb.2140:
	s_mov_b32 s0, 0
	v_cndmask_b32_e64 v3, 0, 1, s[12:13]
	v_mov_b32_e32 v4, s0
	global_store_dwordx2 v[1:2], v[3:4], off
	s_mov_b64 s[0:1], 0
.LBB23_2141:
	s_andn2_b64 vcc, exec, s[0:1]
	s_cbranch_vccnz .LBB23_2143
; %bb.2142:
	v_cndmask_b32_e64 v3, 0, 1, s[12:13]
	global_store_dword v[1:2], v3, off
.LBB23_2143:
	s_mov_b64 s[0:1], 0
.LBB23_2144:
	s_andn2_b64 vcc, exec, s[0:1]
	s_cbranch_vccnz .LBB23_2146
; %bb.2145:
	v_cndmask_b32_e64 v3, 0, 1, s[12:13]
	global_store_short v[1:2], v3, off
.LBB23_2146:
	s_mov_b64 s[0:1], 0
.LBB23_2147:
	s_andn2_b64 vcc, exec, s[0:1]
	s_cbranch_vccnz .LBB23_2152
; %bb.2148:
	s_cmp_gt_i32 s20, 0
	s_mov_b64 s[0:1], -1
	s_cbranch_scc0 .LBB23_2150
; %bb.2149:
	v_cndmask_b32_e64 v3, 0, 1, s[12:13]
	global_store_byte v[1:2], v3, off
	s_mov_b64 s[0:1], 0
.LBB23_2150:
	s_andn2_b64 vcc, exec, s[0:1]
	s_cbranch_vccnz .LBB23_2152
; %bb.2151:
	v_cndmask_b32_e64 v3, 0, 1, s[12:13]
	global_store_byte v[1:2], v3, off
.LBB23_2152:
	s_mov_b64 s[6:7], -1
.LBB23_2153:
	s_andn2_b64 vcc, exec, s[6:7]
	s_cbranch_vccnz .LBB23_2230
; %bb.2154:
	v_mov_b32_e32 v1, s9
	v_add_co_u32_e32 v0, vcc, s8, v0
	s_cmp_lt_i32 s20, 11
	v_addc_co_u32_e32 v1, vcc, 0, v1, vcc
	s_cbranch_scc1 .LBB23_2231
; %bb.2155:
	s_mov_b64 s[6:7], -1
	s_mov_b64 s[4:5], 0
	s_cmp_gt_i32 s20, 25
	s_mov_b64 s[0:1], 0
	s_cbranch_scc0 .LBB23_2188
; %bb.2156:
	s_cmp_gt_i32 s20, 28
	s_cbranch_scc0 .LBB23_2172
; %bb.2157:
	s_cmp_gt_i32 s20, 43
	;; [unrolled: 3-line block ×3, first 2 shown]
	s_cbranch_scc0 .LBB23_2162
; %bb.2159:
	s_cmp_eq_u32 s20, 46
	s_mov_b64 s[0:1], -1
	s_cbranch_scc0 .LBB23_2161
; %bb.2160:
	v_cndmask_b32_e64 v2, 0, 1.0, s[10:11]
	v_bfe_u32 v3, v2, 16, 1
	s_movk_i32 s0, 0x7fff
	v_add3_u32 v2, v2, v3, s0
	v_lshrrev_b32_e32 v2, 16, v2
	global_store_dword v[0:1], v2, off
	s_mov_b64 s[0:1], 0
.LBB23_2161:
	s_mov_b64 s[6:7], 0
.LBB23_2162:
	s_and_b64 vcc, exec, s[6:7]
	s_cbranch_vccz .LBB23_2167
; %bb.2163:
	s_cmp_eq_u32 s20, 44
	s_mov_b64 s[0:1], -1
	s_cbranch_scc0 .LBB23_2167
; %bb.2164:
	v_cndmask_b32_e64 v3, 0, 1.0, s[10:11]
	v_lshrrev_b32_e32 v2, 23, v3
	s_movk_i32 s0, 0xff
	v_cmp_ne_u32_e32 vcc, s0, v2
	v_mov_b32_e32 v4, 0xff
	s_and_saveexec_b64 s[6:7], vcc
; %bb.2165:
	s_mov_b32 s0, 0x3fffff
	v_and_b32_e32 v4, 0x400000, v3
	v_and_or_b32 v3, v3, s0, v2
	v_cmp_ne_u32_e32 vcc, 0, v4
	v_cmp_ne_u32_e64 s[0:1], 0, v3
	s_and_b64 s[0:1], vcc, s[0:1]
	v_cndmask_b32_e64 v3, 0, 1, s[0:1]
	v_add_u32_e32 v4, v2, v3
; %bb.2166:
	s_or_b64 exec, exec, s[6:7]
	s_mov_b64 s[0:1], 0
	global_store_byte v[0:1], v4, off
.LBB23_2167:
	s_mov_b64 s[6:7], 0
.LBB23_2168:
	s_and_b64 vcc, exec, s[6:7]
	s_cbranch_vccz .LBB23_2171
; %bb.2169:
	s_cmp_eq_u32 s20, 29
	s_mov_b64 s[0:1], -1
	s_cbranch_scc0 .LBB23_2171
; %bb.2170:
	s_mov_b32 s0, 0
	v_cndmask_b32_e64 v2, 0, 1, s[10:11]
	v_mov_b32_e32 v3, s0
	global_store_dwordx2 v[0:1], v[2:3], off
	s_mov_b64 s[0:1], 0
.LBB23_2171:
	s_mov_b64 s[6:7], 0
.LBB23_2172:
	s_and_b64 vcc, exec, s[6:7]
	s_cbranch_vccz .LBB23_2187
; %bb.2173:
	s_cmp_lt_i32 s20, 27
	s_mov_b64 s[6:7], -1
	s_cbranch_scc1 .LBB23_2179
; %bb.2174:
	s_cmp_gt_i32 s20, 27
	s_cbranch_scc0 .LBB23_2176
; %bb.2175:
	v_cndmask_b32_e64 v2, 0, 1, s[10:11]
	global_store_dword v[0:1], v2, off
	s_mov_b64 s[6:7], 0
.LBB23_2176:
	s_andn2_b64 vcc, exec, s[6:7]
	s_cbranch_vccnz .LBB23_2178
; %bb.2177:
	v_cndmask_b32_e64 v2, 0, 1, s[10:11]
	global_store_short v[0:1], v2, off
.LBB23_2178:
	s_mov_b64 s[6:7], 0
.LBB23_2179:
	s_andn2_b64 vcc, exec, s[6:7]
	s_cbranch_vccnz .LBB23_2187
; %bb.2180:
	v_cndmask_b32_e64 v3, 0, 1.0, s[10:11]
	s_mov_b32 s6, 0x43800000
	v_cmp_gt_u32_e32 vcc, s6, v3
	v_mov_b32_e32 v4, 0x80
	s_and_saveexec_b64 s[6:7], vcc
	s_cbranch_execz .LBB23_2186
; %bb.2181:
	s_mov_b32 s8, 0x3bffffff
	v_cmp_lt_u32_e32 vcc, s8, v3
	s_mov_b64 s[8:9], 0
                                        ; implicit-def: $vgpr2
	s_and_saveexec_b64 s[12:13], vcc
	s_xor_b64 s[12:13], exec, s[12:13]
	s_cbranch_execz .LBB23_2248
; %bb.2182:
	v_bfe_u32 v2, v3, 20, 1
	s_mov_b32 s14, 0x487ffff
	v_add3_u32 v2, v3, v2, s14
	s_mov_b64 s[8:9], exec
	v_lshrrev_b32_e32 v2, 20, v2
                                        ; implicit-def: $vgpr3
	s_andn2_saveexec_b64 s[12:13], s[12:13]
	s_cbranch_execnz .LBB23_2249
.LBB23_2183:
	s_or_b64 exec, exec, s[12:13]
	v_mov_b32_e32 v4, 0
	s_and_saveexec_b64 s[12:13], s[8:9]
.LBB23_2184:
	v_mov_b32_e32 v4, v2
.LBB23_2185:
	s_or_b64 exec, exec, s[12:13]
.LBB23_2186:
	s_or_b64 exec, exec, s[6:7]
	global_store_byte v[0:1], v4, off
.LBB23_2187:
	s_mov_b64 s[6:7], 0
.LBB23_2188:
	s_and_b64 vcc, exec, s[6:7]
	s_cbranch_vccz .LBB23_2228
; %bb.2189:
	s_cmp_gt_i32 s20, 22
	s_mov_b64 s[4:5], -1
	s_cbranch_scc0 .LBB23_2221
; %bb.2190:
	s_cmp_lt_i32 s20, 24
	s_cbranch_scc1 .LBB23_2210
; %bb.2191:
	s_cmp_gt_i32 s20, 24
	s_cbranch_scc0 .LBB23_2199
; %bb.2192:
	v_cndmask_b32_e64 v3, 0, 1.0, s[10:11]
	s_mov_b32 s4, 0x47800000
	v_cmp_gt_u32_e32 vcc, s4, v3
	v_mov_b32_e32 v4, 0x80
	s_and_saveexec_b64 s[4:5], vcc
	s_cbranch_execz .LBB23_2198
; %bb.2193:
	s_mov_b32 s6, 0x37ffffff
	v_cmp_lt_u32_e32 vcc, s6, v3
	s_mov_b64 s[6:7], 0
                                        ; implicit-def: $vgpr2
	s_and_saveexec_b64 s[8:9], vcc
	s_xor_b64 s[8:9], exec, s[8:9]
	s_cbranch_execz .LBB23_2251
; %bb.2194:
	v_bfe_u32 v2, v3, 21, 1
	s_mov_b32 s12, 0x88fffff
	v_add3_u32 v2, v3, v2, s12
	s_mov_b64 s[6:7], exec
	v_lshrrev_b32_e32 v2, 21, v2
                                        ; implicit-def: $vgpr3
	s_andn2_saveexec_b64 s[8:9], s[8:9]
	s_cbranch_execnz .LBB23_2252
.LBB23_2195:
	s_or_b64 exec, exec, s[8:9]
	v_mov_b32_e32 v4, 0
	s_and_saveexec_b64 s[8:9], s[6:7]
.LBB23_2196:
	v_mov_b32_e32 v4, v2
.LBB23_2197:
	s_or_b64 exec, exec, s[8:9]
.LBB23_2198:
	s_or_b64 exec, exec, s[4:5]
	s_mov_b64 s[4:5], 0
	global_store_byte v[0:1], v4, off
.LBB23_2199:
	s_and_b64 vcc, exec, s[4:5]
	s_cbranch_vccz .LBB23_2209
; %bb.2200:
	v_cndmask_b32_e64 v2, 0, 1.0, s[10:11]
	s_mov_b32 s4, 0x43f00000
	v_cmp_gt_u32_e32 vcc, s4, v2
                                        ; implicit-def: $vgpr3
	s_and_saveexec_b64 s[4:5], vcc
	s_xor_b64 s[4:5], exec, s[4:5]
	s_cbranch_execz .LBB23_2206
; %bb.2201:
	s_mov_b32 s6, 0x3c7fffff
	v_cmp_lt_u32_e32 vcc, s6, v2
                                        ; implicit-def: $vgpr3
	s_and_saveexec_b64 s[6:7], vcc
	s_xor_b64 s[6:7], exec, s[6:7]
; %bb.2202:
	v_bfe_u32 v3, v2, 20, 1
	s_mov_b32 s8, 0x407ffff
	v_add3_u32 v2, v2, v3, s8
	v_lshrrev_b32_e32 v3, 20, v2
	v_and_b32_e32 v2, 0xff00000, v2
	s_mov_b32 s8, 0x7f00000
	v_mov_b32_e32 v4, 0x7e
	v_cmp_ne_u32_e32 vcc, s8, v2
	v_cndmask_b32_e32 v3, v4, v3, vcc
                                        ; implicit-def: $vgpr2
; %bb.2203:
	s_andn2_saveexec_b64 s[6:7], s[6:7]
; %bb.2204:
	v_add_f32_e32 v3, 0x46800000, v2
; %bb.2205:
	s_or_b64 exec, exec, s[6:7]
                                        ; implicit-def: $vgpr2
.LBB23_2206:
	s_andn2_saveexec_b64 s[4:5], s[4:5]
; %bb.2207:
	s_mov_b32 s6, 0x7f800000
	v_mov_b32_e32 v3, 0x7e
	v_mov_b32_e32 v4, 0x7f
	v_cmp_lt_u32_e32 vcc, s6, v2
	v_cndmask_b32_e32 v3, v3, v4, vcc
; %bb.2208:
	s_or_b64 exec, exec, s[4:5]
	global_store_byte v[0:1], v3, off
.LBB23_2209:
	s_mov_b64 s[4:5], 0
.LBB23_2210:
	s_andn2_b64 vcc, exec, s[4:5]
	s_cbranch_vccnz .LBB23_2220
; %bb.2211:
	v_cndmask_b32_e64 v2, 0, 1.0, s[10:11]
	s_mov_b32 s4, 0x47800000
	v_cmp_gt_u32_e32 vcc, s4, v2
                                        ; implicit-def: $vgpr3
	s_and_saveexec_b64 s[4:5], vcc
	s_xor_b64 s[4:5], exec, s[4:5]
	s_cbranch_execz .LBB23_2217
; %bb.2212:
	s_mov_b32 s6, 0x387fffff
	v_cmp_lt_u32_e32 vcc, s6, v2
                                        ; implicit-def: $vgpr3
	s_and_saveexec_b64 s[6:7], vcc
	s_xor_b64 s[6:7], exec, s[6:7]
; %bb.2213:
	v_bfe_u32 v3, v2, 21, 1
	s_mov_b32 s8, 0x80fffff
	v_add3_u32 v2, v2, v3, s8
	v_lshrrev_b32_e32 v3, 21, v2
                                        ; implicit-def: $vgpr2
; %bb.2214:
	s_andn2_saveexec_b64 s[6:7], s[6:7]
; %bb.2215:
	v_add_f32_e32 v3, 0x43000000, v2
; %bb.2216:
	s_or_b64 exec, exec, s[6:7]
                                        ; implicit-def: $vgpr2
.LBB23_2217:
	s_andn2_saveexec_b64 s[4:5], s[4:5]
; %bb.2218:
	s_mov_b32 s6, 0x7f800000
	v_mov_b32_e32 v3, 0x7c
	v_mov_b32_e32 v4, 0x7f
	v_cmp_lt_u32_e32 vcc, s6, v2
	v_cndmask_b32_e32 v3, v3, v4, vcc
; %bb.2219:
	s_or_b64 exec, exec, s[4:5]
	global_store_byte v[0:1], v3, off
.LBB23_2220:
	s_mov_b64 s[4:5], 0
.LBB23_2221:
	s_andn2_b64 vcc, exec, s[4:5]
	s_mov_b64 s[4:5], 0
	s_cbranch_vccnz .LBB23_2228
; %bb.2222:
	s_cmp_gt_i32 s20, 14
	s_mov_b64 s[6:7], -1
	s_cbranch_scc0 .LBB23_2226
; %bb.2223:
	s_cmp_eq_u32 s20, 15
	s_mov_b64 s[0:1], -1
	s_cbranch_scc0 .LBB23_2225
; %bb.2224:
	v_cndmask_b32_e64 v2, 0, 1.0, s[10:11]
	v_bfe_u32 v3, v2, 16, 1
	s_movk_i32 s0, 0x7fff
	v_add3_u32 v2, v2, v3, s0
	global_store_short_d16_hi v[0:1], v2, off
	s_mov_b64 s[0:1], 0
.LBB23_2225:
	s_mov_b64 s[6:7], 0
.LBB23_2226:
	s_and_b64 vcc, exec, s[6:7]
	s_cbranch_vccz .LBB23_2228
; %bb.2227:
	s_cmp_lg_u32 s20, 11
	s_mov_b64 s[4:5], -1
	s_cselect_b64 s[0:1], -1, 0
.LBB23_2228:
	s_and_b64 vcc, exec, s[0:1]
	s_cbranch_vccnz .LBB23_2250
.LBB23_2229:
	s_mov_b64 s[0:1], 0
	s_branch .LBB23_1740
.LBB23_2230:
	s_mov_b64 s[0:1], 0
	s_branch .LBB23_1739
.LBB23_2231:
	s_mov_b64 s[4:5], 0
	s_mov_b64 s[0:1], -1
	s_branch .LBB23_1740
.LBB23_2232:
	s_trap 2
	s_or_b64 s[2:3], s[2:3], exec
	s_cbranch_execz .LBB23_1682
	s_branch .LBB23_1683
.LBB23_2233:
	s_andn2_saveexec_b64 s[20:21], s[20:21]
	s_cbranch_execz .LBB23_1823
.LBB23_2234:
	v_add_f32_e32 v1, 0x46000000, v3
	v_and_b32_e32 v1, 0xff, v1
	v_cmp_ne_u32_e32 vcc, 0, v1
	s_andn2_b64 s[18:19], s[18:19], exec
	s_and_b64 s[24:25], vcc, exec
	s_or_b64 s[18:19], s[18:19], s[24:25]
	s_or_b64 exec, exec, s[20:21]
	v_mov_b32_e32 v7, 0
	s_and_saveexec_b64 s[20:21], s[18:19]
	s_cbranch_execnz .LBB23_1824
	s_branch .LBB23_1825
.LBB23_2235:
	s_trap 2
	s_or_b64 s[2:3], s[2:3], exec
	s_cbranch_execz .LBB23_1871
	s_branch .LBB23_1872
.LBB23_2236:
	s_andn2_saveexec_b64 s[18:19], s[18:19]
	s_cbranch_execz .LBB23_1836
.LBB23_2237:
	v_add_f32_e32 v1, 0x42800000, v3
	v_and_b32_e32 v1, 0xff, v1
	v_cmp_ne_u32_e32 vcc, 0, v1
	s_andn2_b64 s[16:17], s[16:17], exec
	s_and_b64 s[20:21], vcc, exec
	s_or_b64 s[16:17], s[16:17], s[20:21]
	s_or_b64 exec, exec, s[18:19]
	v_mov_b32_e32 v7, 0
	s_and_saveexec_b64 s[18:19], s[16:17]
	s_cbranch_execnz .LBB23_1837
	s_branch .LBB23_1838
.LBB23_2238:
	s_andn2_saveexec_b64 s[18:19], s[18:19]
	s_cbranch_execz .LBB23_1944
.LBB23_2239:
	v_add_f32_e32 v1, 0x46000000, v5
	v_and_b32_e32 v1, 0xff, v1
	v_cmp_ne_u32_e32 vcc, 0, v1
	s_andn2_b64 s[16:17], s[16:17], exec
	s_and_b64 s[24:25], vcc, exec
	s_or_b64 s[16:17], s[16:17], s[24:25]
	s_or_b64 exec, exec, s[18:19]
	v_mov_b32_e32 v6, 0
	s_and_saveexec_b64 s[18:19], s[16:17]
	s_cbranch_execnz .LBB23_1945
	s_branch .LBB23_1946
.LBB23_2240:
	s_trap 2
	s_or_b64 s[2:3], s[2:3], exec
	s_cbranch_execz .LBB23_1992
	s_branch .LBB23_1993
.LBB23_2241:
	s_andn2_saveexec_b64 s[16:17], s[16:17]
	s_cbranch_execz .LBB23_1957
.LBB23_2242:
	v_add_f32_e32 v1, 0x42800000, v5
	v_and_b32_e32 v1, 0xff, v1
	v_cmp_ne_u32_e32 vcc, 0, v1
	s_andn2_b64 s[14:15], s[14:15], exec
	s_and_b64 s[18:19], vcc, exec
	s_or_b64 s[14:15], s[14:15], s[18:19]
	s_or_b64 exec, exec, s[16:17]
	v_mov_b32_e32 v6, 0
	s_and_saveexec_b64 s[16:17], s[14:15]
	s_cbranch_execnz .LBB23_1958
	s_branch .LBB23_1959
.LBB23_2243:
	s_andn2_saveexec_b64 s[16:17], s[16:17]
	s_cbranch_execz .LBB23_2063
.LBB23_2244:
	v_add_f32_e32 v3, 0x46000000, v4
	v_and_b32_e32 v3, 0xff, v3
	v_cmp_ne_u32_e32 vcc, 0, v3
	s_andn2_b64 s[14:15], s[14:15], exec
	s_and_b64 s[18:19], vcc, exec
	s_or_b64 s[14:15], s[14:15], s[18:19]
	s_or_b64 exec, exec, s[16:17]
	v_mov_b32_e32 v5, 0
	s_and_saveexec_b64 s[16:17], s[14:15]
	s_cbranch_execnz .LBB23_2064
	s_branch .LBB23_2065
.LBB23_2245:
	s_trap 2
	s_or_b64 s[2:3], s[2:3], exec
	s_cbranch_execz .LBB23_2111
	s_branch .LBB23_2112
.LBB23_2246:
	s_andn2_saveexec_b64 s[14:15], s[14:15]
	s_cbranch_execz .LBB23_2076
.LBB23_2247:
	v_add_f32_e32 v3, 0x42800000, v4
	v_and_b32_e32 v3, 0xff, v3
	v_cmp_ne_u32_e32 vcc, 0, v3
	s_andn2_b64 s[6:7], s[6:7], exec
	s_and_b64 s[16:17], vcc, exec
	s_or_b64 s[6:7], s[6:7], s[16:17]
	s_or_b64 exec, exec, s[14:15]
	v_mov_b32_e32 v5, 0
	s_and_saveexec_b64 s[14:15], s[6:7]
	s_cbranch_execnz .LBB23_2077
	s_branch .LBB23_2078
.LBB23_2248:
	s_andn2_saveexec_b64 s[12:13], s[12:13]
	s_cbranch_execz .LBB23_2183
.LBB23_2249:
	v_add_f32_e32 v2, 0x46000000, v3
	v_and_b32_e32 v2, 0xff, v2
	v_cmp_ne_u32_e32 vcc, 0, v2
	s_andn2_b64 s[8:9], s[8:9], exec
	s_and_b64 s[14:15], vcc, exec
	s_or_b64 s[8:9], s[8:9], s[14:15]
	s_or_b64 exec, exec, s[12:13]
	v_mov_b32_e32 v4, 0
	s_and_saveexec_b64 s[12:13], s[8:9]
	s_cbranch_execnz .LBB23_2184
	s_branch .LBB23_2185
.LBB23_2250:
	s_mov_b64 s[4:5], 0
	s_or_b64 s[2:3], s[2:3], exec
	s_trap 2
	s_branch .LBB23_2229
.LBB23_2251:
	s_andn2_saveexec_b64 s[8:9], s[8:9]
	s_cbranch_execz .LBB23_2195
.LBB23_2252:
	v_add_f32_e32 v2, 0x42800000, v3
	v_and_b32_e32 v2, 0xff, v2
	v_cmp_ne_u32_e32 vcc, 0, v2
	s_andn2_b64 s[6:7], s[6:7], exec
	s_and_b64 s[12:13], vcc, exec
	s_or_b64 s[6:7], s[6:7], s[12:13]
	s_or_b64 exec, exec, s[8:9]
	v_mov_b32_e32 v4, 0
	s_and_saveexec_b64 s[8:9], s[6:7]
	s_cbranch_execnz .LBB23_2196
	s_branch .LBB23_2197
	.section	.rodata,"a",@progbits
	.p2align	6, 0x0
	.amdhsa_kernel _ZN2at6native32elementwise_kernel_manual_unrollILi128ELi4EZNS0_15gpu_kernel_implIZNS0_21compare_scalar_kernelIaEEvRNS_18TensorIteratorBaseENS0_12_GLOBAL__N_16OpTypeET_EUlaE_EEvS5_RKS8_EUlibE0_EEviT1_
		.amdhsa_group_segment_fixed_size 0
		.amdhsa_private_segment_fixed_size 0
		.amdhsa_kernarg_size 368
		.amdhsa_user_sgpr_count 6
		.amdhsa_user_sgpr_private_segment_buffer 1
		.amdhsa_user_sgpr_dispatch_ptr 0
		.amdhsa_user_sgpr_queue_ptr 0
		.amdhsa_user_sgpr_kernarg_segment_ptr 1
		.amdhsa_user_sgpr_dispatch_id 0
		.amdhsa_user_sgpr_flat_scratch_init 0
		.amdhsa_user_sgpr_private_segment_size 0
		.amdhsa_uses_dynamic_stack 0
		.amdhsa_system_sgpr_private_segment_wavefront_offset 0
		.amdhsa_system_sgpr_workgroup_id_x 1
		.amdhsa_system_sgpr_workgroup_id_y 0
		.amdhsa_system_sgpr_workgroup_id_z 0
		.amdhsa_system_sgpr_workgroup_info 0
		.amdhsa_system_vgpr_workitem_id 0
		.amdhsa_next_free_vgpr 18
		.amdhsa_next_free_sgpr 80
		.amdhsa_reserve_vcc 1
		.amdhsa_reserve_flat_scratch 0
		.amdhsa_float_round_mode_32 0
		.amdhsa_float_round_mode_16_64 0
		.amdhsa_float_denorm_mode_32 3
		.amdhsa_float_denorm_mode_16_64 3
		.amdhsa_dx10_clamp 1
		.amdhsa_ieee_mode 1
		.amdhsa_fp16_overflow 0
		.amdhsa_exception_fp_ieee_invalid_op 0
		.amdhsa_exception_fp_denorm_src 0
		.amdhsa_exception_fp_ieee_div_zero 0
		.amdhsa_exception_fp_ieee_overflow 0
		.amdhsa_exception_fp_ieee_underflow 0
		.amdhsa_exception_fp_ieee_inexact 0
		.amdhsa_exception_int_div_zero 0
	.end_amdhsa_kernel
	.section	.text._ZN2at6native32elementwise_kernel_manual_unrollILi128ELi4EZNS0_15gpu_kernel_implIZNS0_21compare_scalar_kernelIaEEvRNS_18TensorIteratorBaseENS0_12_GLOBAL__N_16OpTypeET_EUlaE_EEvS5_RKS8_EUlibE0_EEviT1_,"axG",@progbits,_ZN2at6native32elementwise_kernel_manual_unrollILi128ELi4EZNS0_15gpu_kernel_implIZNS0_21compare_scalar_kernelIaEEvRNS_18TensorIteratorBaseENS0_12_GLOBAL__N_16OpTypeET_EUlaE_EEvS5_RKS8_EUlibE0_EEviT1_,comdat
.Lfunc_end23:
	.size	_ZN2at6native32elementwise_kernel_manual_unrollILi128ELi4EZNS0_15gpu_kernel_implIZNS0_21compare_scalar_kernelIaEEvRNS_18TensorIteratorBaseENS0_12_GLOBAL__N_16OpTypeET_EUlaE_EEvS5_RKS8_EUlibE0_EEviT1_, .Lfunc_end23-_ZN2at6native32elementwise_kernel_manual_unrollILi128ELi4EZNS0_15gpu_kernel_implIZNS0_21compare_scalar_kernelIaEEvRNS_18TensorIteratorBaseENS0_12_GLOBAL__N_16OpTypeET_EUlaE_EEvS5_RKS8_EUlibE0_EEviT1_
                                        ; -- End function
	.set _ZN2at6native32elementwise_kernel_manual_unrollILi128ELi4EZNS0_15gpu_kernel_implIZNS0_21compare_scalar_kernelIaEEvRNS_18TensorIteratorBaseENS0_12_GLOBAL__N_16OpTypeET_EUlaE_EEvS5_RKS8_EUlibE0_EEviT1_.num_vgpr, 18
	.set _ZN2at6native32elementwise_kernel_manual_unrollILi128ELi4EZNS0_15gpu_kernel_implIZNS0_21compare_scalar_kernelIaEEvRNS_18TensorIteratorBaseENS0_12_GLOBAL__N_16OpTypeET_EUlaE_EEvS5_RKS8_EUlibE0_EEviT1_.num_agpr, 0
	.set _ZN2at6native32elementwise_kernel_manual_unrollILi128ELi4EZNS0_15gpu_kernel_implIZNS0_21compare_scalar_kernelIaEEvRNS_18TensorIteratorBaseENS0_12_GLOBAL__N_16OpTypeET_EUlaE_EEvS5_RKS8_EUlibE0_EEviT1_.numbered_sgpr, 80
	.set _ZN2at6native32elementwise_kernel_manual_unrollILi128ELi4EZNS0_15gpu_kernel_implIZNS0_21compare_scalar_kernelIaEEvRNS_18TensorIteratorBaseENS0_12_GLOBAL__N_16OpTypeET_EUlaE_EEvS5_RKS8_EUlibE0_EEviT1_.num_named_barrier, 0
	.set _ZN2at6native32elementwise_kernel_manual_unrollILi128ELi4EZNS0_15gpu_kernel_implIZNS0_21compare_scalar_kernelIaEEvRNS_18TensorIteratorBaseENS0_12_GLOBAL__N_16OpTypeET_EUlaE_EEvS5_RKS8_EUlibE0_EEviT1_.private_seg_size, 0
	.set _ZN2at6native32elementwise_kernel_manual_unrollILi128ELi4EZNS0_15gpu_kernel_implIZNS0_21compare_scalar_kernelIaEEvRNS_18TensorIteratorBaseENS0_12_GLOBAL__N_16OpTypeET_EUlaE_EEvS5_RKS8_EUlibE0_EEviT1_.uses_vcc, 1
	.set _ZN2at6native32elementwise_kernel_manual_unrollILi128ELi4EZNS0_15gpu_kernel_implIZNS0_21compare_scalar_kernelIaEEvRNS_18TensorIteratorBaseENS0_12_GLOBAL__N_16OpTypeET_EUlaE_EEvS5_RKS8_EUlibE0_EEviT1_.uses_flat_scratch, 0
	.set _ZN2at6native32elementwise_kernel_manual_unrollILi128ELi4EZNS0_15gpu_kernel_implIZNS0_21compare_scalar_kernelIaEEvRNS_18TensorIteratorBaseENS0_12_GLOBAL__N_16OpTypeET_EUlaE_EEvS5_RKS8_EUlibE0_EEviT1_.has_dyn_sized_stack, 0
	.set _ZN2at6native32elementwise_kernel_manual_unrollILi128ELi4EZNS0_15gpu_kernel_implIZNS0_21compare_scalar_kernelIaEEvRNS_18TensorIteratorBaseENS0_12_GLOBAL__N_16OpTypeET_EUlaE_EEvS5_RKS8_EUlibE0_EEviT1_.has_recursion, 0
	.set _ZN2at6native32elementwise_kernel_manual_unrollILi128ELi4EZNS0_15gpu_kernel_implIZNS0_21compare_scalar_kernelIaEEvRNS_18TensorIteratorBaseENS0_12_GLOBAL__N_16OpTypeET_EUlaE_EEvS5_RKS8_EUlibE0_EEviT1_.has_indirect_call, 0
	.section	.AMDGPU.csdata,"",@progbits
; Kernel info:
; codeLenInByte = 36460
; TotalNumSgprs: 84
; NumVgprs: 18
; ScratchSize: 0
; MemoryBound: 1
; FloatMode: 240
; IeeeMode: 1
; LDSByteSize: 0 bytes/workgroup (compile time only)
; SGPRBlocks: 10
; VGPRBlocks: 4
; NumSGPRsForWavesPerEU: 84
; NumVGPRsForWavesPerEU: 18
; Occupancy: 9
; WaveLimiterHint : 1
; COMPUTE_PGM_RSRC2:SCRATCH_EN: 0
; COMPUTE_PGM_RSRC2:USER_SGPR: 6
; COMPUTE_PGM_RSRC2:TRAP_HANDLER: 0
; COMPUTE_PGM_RSRC2:TGID_X_EN: 1
; COMPUTE_PGM_RSRC2:TGID_Y_EN: 0
; COMPUTE_PGM_RSRC2:TGID_Z_EN: 0
; COMPUTE_PGM_RSRC2:TIDIG_COMP_CNT: 0
	.section	.text._ZN2at6native29vectorized_elementwise_kernelILi16ENS0_12_GLOBAL__N_114CompareFunctorIaEESt5arrayIPcLm3EEEEviT0_T1_,"axG",@progbits,_ZN2at6native29vectorized_elementwise_kernelILi16ENS0_12_GLOBAL__N_114CompareFunctorIaEESt5arrayIPcLm3EEEEviT0_T1_,comdat
	.globl	_ZN2at6native29vectorized_elementwise_kernelILi16ENS0_12_GLOBAL__N_114CompareFunctorIaEESt5arrayIPcLm3EEEEviT0_T1_ ; -- Begin function _ZN2at6native29vectorized_elementwise_kernelILi16ENS0_12_GLOBAL__N_114CompareFunctorIaEESt5arrayIPcLm3EEEEviT0_T1_
	.p2align	8
	.type	_ZN2at6native29vectorized_elementwise_kernelILi16ENS0_12_GLOBAL__N_114CompareFunctorIaEESt5arrayIPcLm3EEEEviT0_T1_,@function
_ZN2at6native29vectorized_elementwise_kernelILi16ENS0_12_GLOBAL__N_114CompareFunctorIaEESt5arrayIPcLm3EEEEviT0_T1_: ; @_ZN2at6native29vectorized_elementwise_kernelILi16ENS0_12_GLOBAL__N_114CompareFunctorIaEESt5arrayIPcLm3EEEEviT0_T1_
; %bb.0:
	s_load_dwordx2 s[2:3], s[4:5], 0x0
	s_load_dwordx4 s[8:11], s[4:5], 0x8
	s_load_dwordx2 s[12:13], s[4:5], 0x18
	s_lshl_b32 s33, s6, 12
	s_mov_b64 s[0:1], -1
	s_waitcnt lgkmcnt(0)
	s_sub_i32 s2, s2, s33
	s_cmpk_gt_i32 s2, 0xfff
	s_cbranch_scc0 .LBB24_211
; %bb.1:
	s_ashr_i32 s48, s33, 31
	s_add_u32 s0, s10, s33
	s_addc_u32 s1, s11, s48
	v_lshlrev_b32_e32 v9, 4, v0
	s_add_u32 s4, s12, s33
	s_addc_u32 s5, s13, s48
	global_load_dwordx4 v[1:4], v9, s[0:1]
	global_load_dwordx4 v[5:8], v9, s[4:5]
	s_cmp_lt_i32 s3, 1
	s_mov_b64 s[4:5], 0
	s_cbranch_scc1 .LBB24_5
; %bb.2:
	s_cmp_gt_i32 s3, 1
	s_cbranch_scc0 .LBB24_6
; %bb.3:
	s_cmp_eq_u32 s3, 2
	s_cbranch_scc0 .LBB24_7
; %bb.4:
	s_waitcnt vmcnt(0)
	v_cmp_le_i16_sdwa s[0:1], sext(v1), sext(v5) src0_sel:BYTE_0 src1_sel:BYTE_0
	s_mov_b64 s[6:7], 0
	s_branch .LBB24_8
.LBB24_5:
                                        ; implicit-def: $sgpr0_sgpr1
	s_mov_b64 s[6:7], 0
	s_cbranch_execnz .LBB24_11
	s_branch .LBB24_12
.LBB24_6:
	s_mov_b64 s[6:7], 0
                                        ; implicit-def: $sgpr0_sgpr1
	s_cbranch_execnz .LBB24_9
	s_branch .LBB24_10
.LBB24_7:
	s_mov_b64 s[6:7], -1
                                        ; implicit-def: $sgpr0_sgpr1
.LBB24_8:
	s_branch .LBB24_10
.LBB24_9:
	s_waitcnt vmcnt(0)
	v_cmp_gt_i16_sdwa s[14:15], sext(v1), sext(v5) src0_sel:BYTE_0 src1_sel:BYTE_0
	s_andn2_b64 s[0:1], s[0:1], exec
	s_and_b64 s[14:15], s[14:15], exec
	s_or_b64 s[0:1], s[0:1], s[14:15]
.LBB24_10:
	s_branch .LBB24_12
.LBB24_11:
	s_cmp_lg_u32 s3, 0
	s_mov_b64 s[4:5], -1
	s_cselect_b64 s[6:7], -1, 0
.LBB24_12:
	s_andn2_b64 vcc, exec, s[6:7]
	s_cbranch_vccz .LBB24_19
; %bb.13:
	s_andn2_b64 vcc, exec, s[4:5]
	s_cbranch_vccnz .LBB24_15
.LBB24_14:
	s_waitcnt vmcnt(0)
	v_cmp_ge_i16_sdwa s[4:5], sext(v1), sext(v5) src0_sel:BYTE_0 src1_sel:BYTE_0
	s_andn2_b64 s[0:1], s[0:1], exec
	s_and_b64 s[4:5], s[4:5], exec
	s_or_b64 s[0:1], s[0:1], s[4:5]
.LBB24_15:
	s_waitcnt vmcnt(1)
	v_lshrrev_b32_e32 v10, 24, v4
	v_lshrrev_b32_e32 v11, 16, v4
	;; [unrolled: 1-line block ×12, first 2 shown]
	s_waitcnt vmcnt(0)
	v_lshrrev_b32_e32 v1, 24, v8
	v_lshrrev_b32_e32 v12, 16, v8
	;; [unrolled: 1-line block ×12, first 2 shown]
	s_cmp_lt_i32 s3, 1
	s_mov_b64 s[6:7], 0
	s_cbranch_scc1 .LBB24_20
; %bb.16:
	s_cmp_gt_i32 s3, 1
	s_cbranch_scc0 .LBB24_21
; %bb.17:
	s_cmp_eq_u32 s3, 2
	s_cbranch_scc0 .LBB24_251
; %bb.18:
	v_cmp_le_i16_sdwa s[4:5], sext(v31), sext(v5) src0_sel:BYTE_0 src1_sel:BYTE_0
	s_mov_b64 s[14:15], 0
	s_branch .LBB24_23
.LBB24_19:
	s_waitcnt vmcnt(0)
	v_cmp_lt_i16_sdwa s[6:7], sext(v1), sext(v5) src0_sel:BYTE_0 src1_sel:BYTE_0
	s_andn2_b64 s[0:1], s[0:1], exec
	s_and_b64 s[6:7], s[6:7], exec
	s_or_b64 s[0:1], s[0:1], s[6:7]
	s_cbranch_execz .LBB24_14
	s_branch .LBB24_15
.LBB24_20:
                                        ; implicit-def: $sgpr4_sgpr5
	s_mov_b64 s[14:15], 0
	s_cbranch_execnz .LBB24_24
	s_branch .LBB24_25
.LBB24_21:
	s_mov_b64 s[14:15], 0
                                        ; implicit-def: $sgpr4_sgpr5
	s_cbranch_execz .LBB24_23
; %bb.22:
	v_cmp_gt_i16_sdwa s[16:17], sext(v31), sext(v5) src0_sel:BYTE_0 src1_sel:BYTE_0
	s_andn2_b64 s[4:5], s[4:5], exec
	s_and_b64 s[16:17], s[16:17], exec
	s_or_b64 s[4:5], s[4:5], s[16:17]
.LBB24_23:
	s_branch .LBB24_25
.LBB24_24:
	s_cmp_lg_u32 s3, 0
	s_mov_b64 s[6:7], -1
	s_cselect_b64 s[14:15], -1, 0
.LBB24_25:
	s_andn2_b64 vcc, exec, s[14:15]
	s_cbranch_vccz .LBB24_31
; %bb.26:
	s_andn2_b64 vcc, exec, s[6:7]
	s_cbranch_vccz .LBB24_32
.LBB24_27:
	s_cmp_lt_i32 s3, 1
	s_mov_b64 s[14:15], 0
	s_cbranch_scc1 .LBB24_33
.LBB24_28:
	s_cmp_gt_i32 s3, 1
	s_cbranch_scc0 .LBB24_34
; %bb.29:
	s_cmp_eq_u32 s3, 2
	s_cbranch_scc0 .LBB24_252
; %bb.30:
	v_cmp_le_i16_sdwa s[6:7], sext(v29), sext(v30) src0_sel:BYTE_0 src1_sel:BYTE_0
	s_mov_b64 s[16:17], 0
	s_branch .LBB24_36
.LBB24_31:
	v_cmp_lt_i16_sdwa s[14:15], sext(v31), sext(v5) src0_sel:BYTE_0 src1_sel:BYTE_0
	s_andn2_b64 s[4:5], s[4:5], exec
	s_and_b64 s[14:15], s[14:15], exec
	s_or_b64 s[4:5], s[4:5], s[14:15]
	s_cbranch_execnz .LBB24_27
.LBB24_32:
	v_cmp_ge_i16_sdwa s[6:7], sext(v31), sext(v5) src0_sel:BYTE_0 src1_sel:BYTE_0
	s_andn2_b64 s[4:5], s[4:5], exec
	s_and_b64 s[6:7], s[6:7], exec
	s_or_b64 s[4:5], s[4:5], s[6:7]
	s_cmp_lt_i32 s3, 1
	s_mov_b64 s[14:15], 0
	s_cbranch_scc0 .LBB24_28
.LBB24_33:
                                        ; implicit-def: $sgpr6_sgpr7
	s_mov_b64 s[16:17], 0
	s_cbranch_execnz .LBB24_37
	s_branch .LBB24_38
.LBB24_34:
	s_mov_b64 s[16:17], 0
                                        ; implicit-def: $sgpr6_sgpr7
	s_cbranch_execz .LBB24_36
; %bb.35:
	v_cmp_gt_i16_sdwa s[18:19], sext(v29), sext(v30) src0_sel:BYTE_0 src1_sel:BYTE_0
	s_andn2_b64 s[6:7], s[6:7], exec
	s_and_b64 s[18:19], s[18:19], exec
	s_or_b64 s[6:7], s[6:7], s[18:19]
.LBB24_36:
	s_branch .LBB24_38
.LBB24_37:
	s_cmp_lg_u32 s3, 0
	s_mov_b64 s[14:15], -1
	s_cselect_b64 s[16:17], -1, 0
.LBB24_38:
	s_andn2_b64 vcc, exec, s[16:17]
	s_cbranch_vccz .LBB24_44
; %bb.39:
	s_andn2_b64 vcc, exec, s[14:15]
	s_cbranch_vccz .LBB24_45
.LBB24_40:
	s_cmp_lt_i32 s3, 1
	s_mov_b64 s[16:17], 0
	s_cbranch_scc1 .LBB24_46
.LBB24_41:
	s_cmp_gt_i32 s3, 1
	s_cbranch_scc0 .LBB24_47
; %bb.42:
	s_cmp_eq_u32 s3, 2
	s_cbranch_scc0 .LBB24_253
; %bb.43:
	v_cmp_le_i16_sdwa s[14:15], sext(v27), sext(v28) src0_sel:BYTE_0 src1_sel:BYTE_0
	s_mov_b64 s[18:19], 0
	s_branch .LBB24_49
.LBB24_44:
	v_cmp_lt_i16_sdwa s[16:17], sext(v29), sext(v30) src0_sel:BYTE_0 src1_sel:BYTE_0
	s_andn2_b64 s[6:7], s[6:7], exec
	s_and_b64 s[16:17], s[16:17], exec
	s_or_b64 s[6:7], s[6:7], s[16:17]
	s_cbranch_execnz .LBB24_40
.LBB24_45:
	v_cmp_ge_i16_sdwa s[14:15], sext(v29), sext(v30) src0_sel:BYTE_0 src1_sel:BYTE_0
	s_andn2_b64 s[6:7], s[6:7], exec
	s_and_b64 s[14:15], s[14:15], exec
	s_or_b64 s[6:7], s[6:7], s[14:15]
	s_cmp_lt_i32 s3, 1
	s_mov_b64 s[16:17], 0
	s_cbranch_scc0 .LBB24_41
.LBB24_46:
                                        ; implicit-def: $sgpr14_sgpr15
	s_mov_b64 s[18:19], 0
	s_cbranch_execnz .LBB24_50
	s_branch .LBB24_51
.LBB24_47:
	s_mov_b64 s[18:19], 0
                                        ; implicit-def: $sgpr14_sgpr15
	s_cbranch_execz .LBB24_49
; %bb.48:
	v_cmp_gt_i16_sdwa s[20:21], sext(v27), sext(v28) src0_sel:BYTE_0 src1_sel:BYTE_0
	s_andn2_b64 s[14:15], s[14:15], exec
	s_and_b64 s[20:21], s[20:21], exec
	s_or_b64 s[14:15], s[14:15], s[20:21]
.LBB24_49:
	s_branch .LBB24_51
.LBB24_50:
	s_cmp_lg_u32 s3, 0
	s_mov_b64 s[16:17], -1
	s_cselect_b64 s[18:19], -1, 0
.LBB24_51:
	s_andn2_b64 vcc, exec, s[18:19]
	s_cbranch_vccz .LBB24_57
; %bb.52:
	s_andn2_b64 vcc, exec, s[16:17]
	s_cbranch_vccz .LBB24_58
.LBB24_53:
	s_cmp_lt_i32 s3, 1
	s_mov_b64 s[18:19], 0
	s_cbranch_scc1 .LBB24_59
.LBB24_54:
	s_cmp_gt_i32 s3, 1
	s_cbranch_scc0 .LBB24_60
; %bb.55:
	s_cmp_eq_u32 s3, 2
	s_cbranch_scc0 .LBB24_254
; %bb.56:
	v_cmp_le_i16_sdwa s[16:17], sext(v2), sext(v6) src0_sel:BYTE_0 src1_sel:BYTE_0
	s_mov_b64 s[20:21], 0
	s_branch .LBB24_62
.LBB24_57:
	v_cmp_lt_i16_sdwa s[18:19], sext(v27), sext(v28) src0_sel:BYTE_0 src1_sel:BYTE_0
	s_andn2_b64 s[14:15], s[14:15], exec
	s_and_b64 s[18:19], s[18:19], exec
	s_or_b64 s[14:15], s[14:15], s[18:19]
	s_cbranch_execnz .LBB24_53
.LBB24_58:
	v_cmp_ge_i16_sdwa s[16:17], sext(v27), sext(v28) src0_sel:BYTE_0 src1_sel:BYTE_0
	s_andn2_b64 s[14:15], s[14:15], exec
	s_and_b64 s[16:17], s[16:17], exec
	s_or_b64 s[14:15], s[14:15], s[16:17]
	s_cmp_lt_i32 s3, 1
	s_mov_b64 s[18:19], 0
	s_cbranch_scc0 .LBB24_54
.LBB24_59:
                                        ; implicit-def: $sgpr16_sgpr17
	s_mov_b64 s[20:21], 0
	s_cbranch_execnz .LBB24_63
	s_branch .LBB24_64
.LBB24_60:
	s_mov_b64 s[20:21], 0
                                        ; implicit-def: $sgpr16_sgpr17
	s_cbranch_execz .LBB24_62
; %bb.61:
	v_cmp_gt_i16_sdwa s[22:23], sext(v2), sext(v6) src0_sel:BYTE_0 src1_sel:BYTE_0
	s_andn2_b64 s[16:17], s[16:17], exec
	s_and_b64 s[22:23], s[22:23], exec
	s_or_b64 s[16:17], s[16:17], s[22:23]
.LBB24_62:
	s_branch .LBB24_64
.LBB24_63:
	s_cmp_lg_u32 s3, 0
	s_mov_b64 s[18:19], -1
	s_cselect_b64 s[20:21], -1, 0
.LBB24_64:
	s_andn2_b64 vcc, exec, s[20:21]
	s_cbranch_vccz .LBB24_70
; %bb.65:
	s_andn2_b64 vcc, exec, s[18:19]
	s_cbranch_vccz .LBB24_71
.LBB24_66:
	s_cmp_lt_i32 s3, 1
	s_mov_b64 s[20:21], 0
	s_cbranch_scc1 .LBB24_72
.LBB24_67:
	s_cmp_gt_i32 s3, 1
	s_cbranch_scc0 .LBB24_73
; %bb.68:
	s_cmp_eq_u32 s3, 2
	s_cbranch_scc0 .LBB24_255
; %bb.69:
	v_cmp_le_i16_sdwa s[18:19], sext(v25), sext(v26) src0_sel:BYTE_0 src1_sel:BYTE_0
	s_mov_b64 s[22:23], 0
	s_branch .LBB24_75
.LBB24_70:
	v_cmp_lt_i16_sdwa s[20:21], sext(v2), sext(v6) src0_sel:BYTE_0 src1_sel:BYTE_0
	s_andn2_b64 s[16:17], s[16:17], exec
	s_and_b64 s[20:21], s[20:21], exec
	s_or_b64 s[16:17], s[16:17], s[20:21]
	s_cbranch_execnz .LBB24_66
.LBB24_71:
	v_cmp_ge_i16_sdwa s[18:19], sext(v2), sext(v6) src0_sel:BYTE_0 src1_sel:BYTE_0
	s_andn2_b64 s[16:17], s[16:17], exec
	s_and_b64 s[18:19], s[18:19], exec
	s_or_b64 s[16:17], s[16:17], s[18:19]
	s_cmp_lt_i32 s3, 1
	s_mov_b64 s[20:21], 0
	s_cbranch_scc0 .LBB24_67
.LBB24_72:
                                        ; implicit-def: $sgpr18_sgpr19
	s_mov_b64 s[22:23], 0
	s_cbranch_execnz .LBB24_76
	s_branch .LBB24_77
.LBB24_73:
	s_mov_b64 s[22:23], 0
                                        ; implicit-def: $sgpr18_sgpr19
	s_cbranch_execz .LBB24_75
; %bb.74:
	v_cmp_gt_i16_sdwa s[24:25], sext(v25), sext(v26) src0_sel:BYTE_0 src1_sel:BYTE_0
	s_andn2_b64 s[18:19], s[18:19], exec
	s_and_b64 s[24:25], s[24:25], exec
	s_or_b64 s[18:19], s[18:19], s[24:25]
.LBB24_75:
	s_branch .LBB24_77
.LBB24_76:
	s_cmp_lg_u32 s3, 0
	s_mov_b64 s[20:21], -1
	s_cselect_b64 s[22:23], -1, 0
.LBB24_77:
	s_andn2_b64 vcc, exec, s[22:23]
	s_cbranch_vccz .LBB24_83
; %bb.78:
	s_andn2_b64 vcc, exec, s[20:21]
	s_cbranch_vccz .LBB24_84
.LBB24_79:
	s_cmp_lt_i32 s3, 1
	s_mov_b64 s[22:23], 0
	s_cbranch_scc1 .LBB24_85
.LBB24_80:
	s_cmp_gt_i32 s3, 1
	s_cbranch_scc0 .LBB24_86
; %bb.81:
	s_cmp_eq_u32 s3, 2
	s_cbranch_scc0 .LBB24_256
; %bb.82:
	v_cmp_le_i16_sdwa s[20:21], sext(v23), sext(v24) src0_sel:BYTE_0 src1_sel:BYTE_0
	s_mov_b64 s[24:25], 0
	s_branch .LBB24_88
.LBB24_83:
	v_cmp_lt_i16_sdwa s[22:23], sext(v25), sext(v26) src0_sel:BYTE_0 src1_sel:BYTE_0
	s_andn2_b64 s[18:19], s[18:19], exec
	s_and_b64 s[22:23], s[22:23], exec
	s_or_b64 s[18:19], s[18:19], s[22:23]
	s_cbranch_execnz .LBB24_79
.LBB24_84:
	v_cmp_ge_i16_sdwa s[20:21], sext(v25), sext(v26) src0_sel:BYTE_0 src1_sel:BYTE_0
	s_andn2_b64 s[18:19], s[18:19], exec
	s_and_b64 s[20:21], s[20:21], exec
	s_or_b64 s[18:19], s[18:19], s[20:21]
	s_cmp_lt_i32 s3, 1
	s_mov_b64 s[22:23], 0
	s_cbranch_scc0 .LBB24_80
.LBB24_85:
                                        ; implicit-def: $sgpr20_sgpr21
	s_mov_b64 s[24:25], 0
	s_cbranch_execnz .LBB24_89
	s_branch .LBB24_90
.LBB24_86:
	s_mov_b64 s[24:25], 0
                                        ; implicit-def: $sgpr20_sgpr21
	s_cbranch_execz .LBB24_88
; %bb.87:
	v_cmp_gt_i16_sdwa s[26:27], sext(v23), sext(v24) src0_sel:BYTE_0 src1_sel:BYTE_0
	s_andn2_b64 s[20:21], s[20:21], exec
	s_and_b64 s[26:27], s[26:27], exec
	s_or_b64 s[20:21], s[20:21], s[26:27]
.LBB24_88:
	s_branch .LBB24_90
.LBB24_89:
	s_cmp_lg_u32 s3, 0
	s_mov_b64 s[22:23], -1
	s_cselect_b64 s[24:25], -1, 0
.LBB24_90:
	s_andn2_b64 vcc, exec, s[24:25]
	s_cbranch_vccz .LBB24_96
; %bb.91:
	s_andn2_b64 vcc, exec, s[22:23]
	s_cbranch_vccz .LBB24_97
.LBB24_92:
	s_cmp_lt_i32 s3, 1
	s_mov_b64 s[24:25], 0
	s_cbranch_scc1 .LBB24_98
.LBB24_93:
	s_cmp_gt_i32 s3, 1
	s_cbranch_scc0 .LBB24_99
; %bb.94:
	s_cmp_eq_u32 s3, 2
	s_cbranch_scc0 .LBB24_257
; %bb.95:
	v_cmp_le_i16_sdwa s[22:23], sext(v21), sext(v22) src0_sel:BYTE_0 src1_sel:BYTE_0
	s_mov_b64 s[26:27], 0
	s_branch .LBB24_101
.LBB24_96:
	v_cmp_lt_i16_sdwa s[24:25], sext(v23), sext(v24) src0_sel:BYTE_0 src1_sel:BYTE_0
	s_andn2_b64 s[20:21], s[20:21], exec
	s_and_b64 s[24:25], s[24:25], exec
	s_or_b64 s[20:21], s[20:21], s[24:25]
	s_cbranch_execnz .LBB24_92
.LBB24_97:
	v_cmp_ge_i16_sdwa s[22:23], sext(v23), sext(v24) src0_sel:BYTE_0 src1_sel:BYTE_0
	s_andn2_b64 s[20:21], s[20:21], exec
	s_and_b64 s[22:23], s[22:23], exec
	s_or_b64 s[20:21], s[20:21], s[22:23]
	s_cmp_lt_i32 s3, 1
	s_mov_b64 s[24:25], 0
	s_cbranch_scc0 .LBB24_93
.LBB24_98:
                                        ; implicit-def: $sgpr22_sgpr23
	s_mov_b64 s[26:27], 0
	s_cbranch_execnz .LBB24_102
	s_branch .LBB24_103
.LBB24_99:
	s_mov_b64 s[26:27], 0
                                        ; implicit-def: $sgpr22_sgpr23
	s_cbranch_execz .LBB24_101
; %bb.100:
	v_cmp_gt_i16_sdwa s[28:29], sext(v21), sext(v22) src0_sel:BYTE_0 src1_sel:BYTE_0
	s_andn2_b64 s[22:23], s[22:23], exec
	s_and_b64 s[28:29], s[28:29], exec
	s_or_b64 s[22:23], s[22:23], s[28:29]
.LBB24_101:
	s_branch .LBB24_103
.LBB24_102:
	s_cmp_lg_u32 s3, 0
	s_mov_b64 s[24:25], -1
	s_cselect_b64 s[26:27], -1, 0
.LBB24_103:
	s_andn2_b64 vcc, exec, s[26:27]
	s_cbranch_vccz .LBB24_109
; %bb.104:
	s_andn2_b64 vcc, exec, s[24:25]
	s_cbranch_vccz .LBB24_110
.LBB24_105:
	s_cmp_lt_i32 s3, 1
	s_mov_b64 s[26:27], 0
	s_cbranch_scc1 .LBB24_111
.LBB24_106:
	s_cmp_gt_i32 s3, 1
	s_cbranch_scc0 .LBB24_112
; %bb.107:
	s_cmp_eq_u32 s3, 2
	s_cbranch_scc0 .LBB24_258
; %bb.108:
	v_cmp_le_i16_sdwa s[24:25], sext(v3), sext(v7) src0_sel:BYTE_0 src1_sel:BYTE_0
	s_mov_b64 s[28:29], 0
	s_branch .LBB24_114
.LBB24_109:
	v_cmp_lt_i16_sdwa s[26:27], sext(v21), sext(v22) src0_sel:BYTE_0 src1_sel:BYTE_0
	s_andn2_b64 s[22:23], s[22:23], exec
	s_and_b64 s[26:27], s[26:27], exec
	s_or_b64 s[22:23], s[22:23], s[26:27]
	s_cbranch_execnz .LBB24_105
.LBB24_110:
	v_cmp_ge_i16_sdwa s[24:25], sext(v21), sext(v22) src0_sel:BYTE_0 src1_sel:BYTE_0
	s_andn2_b64 s[22:23], s[22:23], exec
	s_and_b64 s[24:25], s[24:25], exec
	s_or_b64 s[22:23], s[22:23], s[24:25]
	s_cmp_lt_i32 s3, 1
	s_mov_b64 s[26:27], 0
	s_cbranch_scc0 .LBB24_106
.LBB24_111:
                                        ; implicit-def: $sgpr24_sgpr25
	s_mov_b64 s[28:29], 0
	s_cbranch_execnz .LBB24_115
	s_branch .LBB24_116
.LBB24_112:
	s_mov_b64 s[28:29], 0
                                        ; implicit-def: $sgpr24_sgpr25
	s_cbranch_execz .LBB24_114
; %bb.113:
	v_cmp_gt_i16_sdwa s[30:31], sext(v3), sext(v7) src0_sel:BYTE_0 src1_sel:BYTE_0
	s_andn2_b64 s[24:25], s[24:25], exec
	s_and_b64 s[30:31], s[30:31], exec
	s_or_b64 s[24:25], s[24:25], s[30:31]
.LBB24_114:
	s_branch .LBB24_116
.LBB24_115:
	s_cmp_lg_u32 s3, 0
	s_mov_b64 s[26:27], -1
	s_cselect_b64 s[28:29], -1, 0
.LBB24_116:
	s_andn2_b64 vcc, exec, s[28:29]
	s_cbranch_vccz .LBB24_122
; %bb.117:
	s_andn2_b64 vcc, exec, s[26:27]
	s_cbranch_vccz .LBB24_123
.LBB24_118:
	s_cmp_lt_i32 s3, 1
	s_mov_b64 s[28:29], 0
	s_cbranch_scc1 .LBB24_124
.LBB24_119:
	s_cmp_gt_i32 s3, 1
	s_cbranch_scc0 .LBB24_125
; %bb.120:
	s_cmp_eq_u32 s3, 2
	s_cbranch_scc0 .LBB24_259
; %bb.121:
	v_cmp_le_i16_sdwa s[26:27], sext(v19), sext(v20) src0_sel:BYTE_0 src1_sel:BYTE_0
	s_mov_b64 s[30:31], 0
	s_branch .LBB24_127
.LBB24_122:
	v_cmp_lt_i16_sdwa s[28:29], sext(v3), sext(v7) src0_sel:BYTE_0 src1_sel:BYTE_0
	s_andn2_b64 s[24:25], s[24:25], exec
	s_and_b64 s[28:29], s[28:29], exec
	s_or_b64 s[24:25], s[24:25], s[28:29]
	s_cbranch_execnz .LBB24_118
.LBB24_123:
	v_cmp_ge_i16_sdwa s[26:27], sext(v3), sext(v7) src0_sel:BYTE_0 src1_sel:BYTE_0
	s_andn2_b64 s[24:25], s[24:25], exec
	s_and_b64 s[26:27], s[26:27], exec
	s_or_b64 s[24:25], s[24:25], s[26:27]
	s_cmp_lt_i32 s3, 1
	s_mov_b64 s[28:29], 0
	s_cbranch_scc0 .LBB24_119
.LBB24_124:
                                        ; implicit-def: $sgpr26_sgpr27
	s_mov_b64 s[30:31], 0
	s_cbranch_execnz .LBB24_128
	s_branch .LBB24_129
.LBB24_125:
	s_mov_b64 s[30:31], 0
                                        ; implicit-def: $sgpr26_sgpr27
	s_cbranch_execz .LBB24_127
; %bb.126:
	v_cmp_gt_i16_sdwa s[34:35], sext(v19), sext(v20) src0_sel:BYTE_0 src1_sel:BYTE_0
	s_andn2_b64 s[26:27], s[26:27], exec
	s_and_b64 s[34:35], s[34:35], exec
	s_or_b64 s[26:27], s[26:27], s[34:35]
.LBB24_127:
	s_branch .LBB24_129
.LBB24_128:
	s_cmp_lg_u32 s3, 0
	s_mov_b64 s[28:29], -1
	s_cselect_b64 s[30:31], -1, 0
.LBB24_129:
	s_andn2_b64 vcc, exec, s[30:31]
	s_cbranch_vccz .LBB24_135
; %bb.130:
	s_andn2_b64 vcc, exec, s[28:29]
	s_cbranch_vccz .LBB24_136
.LBB24_131:
	s_cmp_lt_i32 s3, 1
	s_mov_b64 s[30:31], 0
	s_cbranch_scc1 .LBB24_137
.LBB24_132:
	s_cmp_gt_i32 s3, 1
	s_cbranch_scc0 .LBB24_138
; %bb.133:
	s_cmp_eq_u32 s3, 2
	s_cbranch_scc0 .LBB24_260
; %bb.134:
	v_cmp_le_i16_sdwa s[28:29], sext(v17), sext(v18) src0_sel:BYTE_0 src1_sel:BYTE_0
	s_mov_b64 s[34:35], 0
	s_branch .LBB24_140
.LBB24_135:
	v_cmp_lt_i16_sdwa s[30:31], sext(v19), sext(v20) src0_sel:BYTE_0 src1_sel:BYTE_0
	s_andn2_b64 s[26:27], s[26:27], exec
	s_and_b64 s[30:31], s[30:31], exec
	s_or_b64 s[26:27], s[26:27], s[30:31]
	s_cbranch_execnz .LBB24_131
.LBB24_136:
	v_cmp_ge_i16_sdwa s[28:29], sext(v19), sext(v20) src0_sel:BYTE_0 src1_sel:BYTE_0
	s_andn2_b64 s[26:27], s[26:27], exec
	s_and_b64 s[28:29], s[28:29], exec
	s_or_b64 s[26:27], s[26:27], s[28:29]
	s_cmp_lt_i32 s3, 1
	s_mov_b64 s[30:31], 0
	s_cbranch_scc0 .LBB24_132
.LBB24_137:
                                        ; implicit-def: $sgpr28_sgpr29
	s_mov_b64 s[34:35], 0
	s_cbranch_execnz .LBB24_141
	s_branch .LBB24_142
.LBB24_138:
	s_mov_b64 s[34:35], 0
                                        ; implicit-def: $sgpr28_sgpr29
	s_cbranch_execz .LBB24_140
; %bb.139:
	v_cmp_gt_i16_sdwa s[36:37], sext(v17), sext(v18) src0_sel:BYTE_0 src1_sel:BYTE_0
	s_andn2_b64 s[28:29], s[28:29], exec
	s_and_b64 s[36:37], s[36:37], exec
	s_or_b64 s[28:29], s[28:29], s[36:37]
.LBB24_140:
	s_branch .LBB24_142
.LBB24_141:
	s_cmp_lg_u32 s3, 0
	s_mov_b64 s[30:31], -1
	s_cselect_b64 s[34:35], -1, 0
.LBB24_142:
	s_andn2_b64 vcc, exec, s[34:35]
	s_cbranch_vccz .LBB24_148
; %bb.143:
	s_andn2_b64 vcc, exec, s[30:31]
	s_cbranch_vccz .LBB24_149
.LBB24_144:
	s_cmp_lt_i32 s3, 1
	s_mov_b64 s[34:35], 0
	s_cbranch_scc1 .LBB24_150
.LBB24_145:
	s_cmp_gt_i32 s3, 1
	s_cbranch_scc0 .LBB24_151
; %bb.146:
	s_cmp_eq_u32 s3, 2
	s_cbranch_scc0 .LBB24_261
; %bb.147:
	v_cmp_le_i16_sdwa s[30:31], sext(v15), sext(v16) src0_sel:BYTE_0 src1_sel:BYTE_0
	s_mov_b64 s[36:37], 0
	s_branch .LBB24_153
.LBB24_148:
	v_cmp_lt_i16_sdwa s[34:35], sext(v17), sext(v18) src0_sel:BYTE_0 src1_sel:BYTE_0
	s_andn2_b64 s[28:29], s[28:29], exec
	s_and_b64 s[34:35], s[34:35], exec
	s_or_b64 s[28:29], s[28:29], s[34:35]
	s_cbranch_execnz .LBB24_144
.LBB24_149:
	v_cmp_ge_i16_sdwa s[30:31], sext(v17), sext(v18) src0_sel:BYTE_0 src1_sel:BYTE_0
	s_andn2_b64 s[28:29], s[28:29], exec
	s_and_b64 s[30:31], s[30:31], exec
	s_or_b64 s[28:29], s[28:29], s[30:31]
	s_cmp_lt_i32 s3, 1
	s_mov_b64 s[34:35], 0
	s_cbranch_scc0 .LBB24_145
.LBB24_150:
                                        ; implicit-def: $sgpr30_sgpr31
	s_mov_b64 s[36:37], 0
	s_cbranch_execnz .LBB24_154
	s_branch .LBB24_155
.LBB24_151:
	s_mov_b64 s[36:37], 0
                                        ; implicit-def: $sgpr30_sgpr31
	s_cbranch_execz .LBB24_153
; %bb.152:
	v_cmp_gt_i16_sdwa s[38:39], sext(v15), sext(v16) src0_sel:BYTE_0 src1_sel:BYTE_0
	s_andn2_b64 s[30:31], s[30:31], exec
	s_and_b64 s[38:39], s[38:39], exec
	s_or_b64 s[30:31], s[30:31], s[38:39]
.LBB24_153:
	s_branch .LBB24_155
.LBB24_154:
	s_cmp_lg_u32 s3, 0
	s_mov_b64 s[34:35], -1
	s_cselect_b64 s[36:37], -1, 0
.LBB24_155:
	s_andn2_b64 vcc, exec, s[36:37]
	s_cbranch_vccz .LBB24_161
; %bb.156:
	s_andn2_b64 vcc, exec, s[34:35]
	s_cbranch_vccz .LBB24_162
.LBB24_157:
	s_cmp_lt_i32 s3, 1
	s_mov_b64 s[36:37], 0
	s_cbranch_scc1 .LBB24_163
.LBB24_158:
	s_cmp_gt_i32 s3, 1
	s_cbranch_scc0 .LBB24_164
; %bb.159:
	s_cmp_eq_u32 s3, 2
	s_cbranch_scc0 .LBB24_262
; %bb.160:
	v_cmp_le_i16_sdwa s[34:35], sext(v4), sext(v8) src0_sel:BYTE_0 src1_sel:BYTE_0
	s_mov_b64 s[38:39], 0
	s_branch .LBB24_166
.LBB24_161:
	v_cmp_lt_i16_sdwa s[36:37], sext(v15), sext(v16) src0_sel:BYTE_0 src1_sel:BYTE_0
	s_andn2_b64 s[30:31], s[30:31], exec
	s_and_b64 s[36:37], s[36:37], exec
	s_or_b64 s[30:31], s[30:31], s[36:37]
	s_cbranch_execnz .LBB24_157
.LBB24_162:
	v_cmp_ge_i16_sdwa s[34:35], sext(v15), sext(v16) src0_sel:BYTE_0 src1_sel:BYTE_0
	s_andn2_b64 s[30:31], s[30:31], exec
	s_and_b64 s[34:35], s[34:35], exec
	s_or_b64 s[30:31], s[30:31], s[34:35]
	s_cmp_lt_i32 s3, 1
	s_mov_b64 s[36:37], 0
	s_cbranch_scc0 .LBB24_158
.LBB24_163:
                                        ; implicit-def: $sgpr34_sgpr35
	s_mov_b64 s[38:39], 0
	s_cbranch_execnz .LBB24_167
	s_branch .LBB24_168
.LBB24_164:
	s_mov_b64 s[38:39], 0
                                        ; implicit-def: $sgpr34_sgpr35
	s_cbranch_execz .LBB24_166
; %bb.165:
	v_cmp_gt_i16_sdwa s[40:41], sext(v4), sext(v8) src0_sel:BYTE_0 src1_sel:BYTE_0
	s_andn2_b64 s[34:35], s[34:35], exec
	s_and_b64 s[40:41], s[40:41], exec
	s_or_b64 s[34:35], s[34:35], s[40:41]
.LBB24_166:
	s_branch .LBB24_168
.LBB24_167:
	s_cmp_lg_u32 s3, 0
	s_mov_b64 s[36:37], -1
	s_cselect_b64 s[38:39], -1, 0
.LBB24_168:
	s_andn2_b64 vcc, exec, s[38:39]
	s_cbranch_vccz .LBB24_174
; %bb.169:
	s_andn2_b64 vcc, exec, s[36:37]
	s_cbranch_vccz .LBB24_175
.LBB24_170:
	s_cmp_lt_i32 s3, 1
	s_mov_b64 s[38:39], 0
	s_cbranch_scc1 .LBB24_176
.LBB24_171:
	s_cmp_gt_i32 s3, 1
	s_cbranch_scc0 .LBB24_177
; %bb.172:
	s_cmp_eq_u32 s3, 2
	s_cbranch_scc0 .LBB24_263
; %bb.173:
	v_cmp_le_i16_sdwa s[36:37], sext(v13), sext(v14) src0_sel:BYTE_0 src1_sel:BYTE_0
	s_mov_b64 s[40:41], 0
	s_branch .LBB24_179
.LBB24_174:
	v_cmp_lt_i16_sdwa s[38:39], sext(v4), sext(v8) src0_sel:BYTE_0 src1_sel:BYTE_0
	s_andn2_b64 s[34:35], s[34:35], exec
	s_and_b64 s[38:39], s[38:39], exec
	s_or_b64 s[34:35], s[34:35], s[38:39]
	s_cbranch_execnz .LBB24_170
.LBB24_175:
	v_cmp_ge_i16_sdwa s[36:37], sext(v4), sext(v8) src0_sel:BYTE_0 src1_sel:BYTE_0
	s_andn2_b64 s[34:35], s[34:35], exec
	s_and_b64 s[36:37], s[36:37], exec
	s_or_b64 s[34:35], s[34:35], s[36:37]
	s_cmp_lt_i32 s3, 1
	s_mov_b64 s[38:39], 0
	s_cbranch_scc0 .LBB24_171
.LBB24_176:
                                        ; implicit-def: $sgpr36_sgpr37
	s_mov_b64 s[40:41], 0
	s_cbranch_execnz .LBB24_180
	s_branch .LBB24_181
.LBB24_177:
	s_mov_b64 s[40:41], 0
                                        ; implicit-def: $sgpr36_sgpr37
	s_cbranch_execz .LBB24_179
; %bb.178:
	v_cmp_gt_i16_sdwa s[42:43], sext(v13), sext(v14) src0_sel:BYTE_0 src1_sel:BYTE_0
	s_andn2_b64 s[36:37], s[36:37], exec
	s_and_b64 s[42:43], s[42:43], exec
	s_or_b64 s[36:37], s[36:37], s[42:43]
.LBB24_179:
	s_branch .LBB24_181
.LBB24_180:
	s_cmp_lg_u32 s3, 0
	s_mov_b64 s[38:39], -1
	s_cselect_b64 s[40:41], -1, 0
.LBB24_181:
	s_andn2_b64 vcc, exec, s[40:41]
	s_cbranch_vccz .LBB24_187
; %bb.182:
	s_andn2_b64 vcc, exec, s[38:39]
	s_cbranch_vccz .LBB24_188
.LBB24_183:
	s_cmp_lt_i32 s3, 1
	s_mov_b64 s[40:41], 0
	s_cbranch_scc1 .LBB24_189
.LBB24_184:
	s_cmp_gt_i32 s3, 1
	s_cbranch_scc0 .LBB24_190
; %bb.185:
	s_cmp_eq_u32 s3, 2
	s_cbranch_scc0 .LBB24_264
; %bb.186:
	v_cmp_le_i16_sdwa s[38:39], sext(v11), sext(v12) src0_sel:BYTE_0 src1_sel:BYTE_0
	s_mov_b64 s[42:43], 0
	s_branch .LBB24_192
.LBB24_187:
	v_cmp_lt_i16_sdwa s[40:41], sext(v13), sext(v14) src0_sel:BYTE_0 src1_sel:BYTE_0
	s_andn2_b64 s[36:37], s[36:37], exec
	s_and_b64 s[40:41], s[40:41], exec
	s_or_b64 s[36:37], s[36:37], s[40:41]
	s_cbranch_execnz .LBB24_183
.LBB24_188:
	v_cmp_ge_i16_sdwa s[38:39], sext(v13), sext(v14) src0_sel:BYTE_0 src1_sel:BYTE_0
	s_andn2_b64 s[36:37], s[36:37], exec
	s_and_b64 s[38:39], s[38:39], exec
	s_or_b64 s[36:37], s[36:37], s[38:39]
	s_cmp_lt_i32 s3, 1
	s_mov_b64 s[40:41], 0
	s_cbranch_scc0 .LBB24_184
.LBB24_189:
                                        ; implicit-def: $sgpr38_sgpr39
	s_mov_b64 s[42:43], 0
	s_cbranch_execnz .LBB24_193
	s_branch .LBB24_194
.LBB24_190:
	s_mov_b64 s[42:43], 0
                                        ; implicit-def: $sgpr38_sgpr39
	s_cbranch_execz .LBB24_192
; %bb.191:
	v_cmp_gt_i16_sdwa s[44:45], sext(v11), sext(v12) src0_sel:BYTE_0 src1_sel:BYTE_0
	s_andn2_b64 s[38:39], s[38:39], exec
	s_and_b64 s[44:45], s[44:45], exec
	s_or_b64 s[38:39], s[38:39], s[44:45]
.LBB24_192:
	s_branch .LBB24_194
.LBB24_193:
	s_cmp_lg_u32 s3, 0
	s_mov_b64 s[40:41], -1
	s_cselect_b64 s[42:43], -1, 0
.LBB24_194:
	s_andn2_b64 vcc, exec, s[42:43]
	s_cbranch_vccz .LBB24_200
; %bb.195:
	s_andn2_b64 vcc, exec, s[40:41]
	s_cbranch_vccz .LBB24_201
.LBB24_196:
	s_cmp_lt_i32 s3, 1
	s_mov_b64 s[42:43], 0
	s_cbranch_scc1 .LBB24_202
.LBB24_197:
	s_cmp_gt_i32 s3, 1
	s_cbranch_scc0 .LBB24_203
; %bb.198:
	s_cmp_eq_u32 s3, 2
	s_cbranch_scc0 .LBB24_265
; %bb.199:
	v_cmp_le_i16_sdwa s[40:41], sext(v10), sext(v1) src0_sel:BYTE_0 src1_sel:BYTE_0
	s_mov_b64 s[44:45], 0
	s_branch .LBB24_205
.LBB24_200:
	v_cmp_lt_i16_sdwa s[42:43], sext(v11), sext(v12) src0_sel:BYTE_0 src1_sel:BYTE_0
	s_andn2_b64 s[38:39], s[38:39], exec
	s_and_b64 s[42:43], s[42:43], exec
	s_or_b64 s[38:39], s[38:39], s[42:43]
	s_cbranch_execnz .LBB24_196
.LBB24_201:
	v_cmp_ge_i16_sdwa s[40:41], sext(v11), sext(v12) src0_sel:BYTE_0 src1_sel:BYTE_0
	s_andn2_b64 s[38:39], s[38:39], exec
	s_and_b64 s[40:41], s[40:41], exec
	s_or_b64 s[38:39], s[38:39], s[40:41]
	s_cmp_lt_i32 s3, 1
	s_mov_b64 s[42:43], 0
	s_cbranch_scc0 .LBB24_197
.LBB24_202:
                                        ; implicit-def: $sgpr40_sgpr41
	s_mov_b64 s[44:45], 0
	s_cbranch_execnz .LBB24_206
	s_branch .LBB24_207
.LBB24_203:
	s_mov_b64 s[44:45], 0
                                        ; implicit-def: $sgpr40_sgpr41
	s_cbranch_execz .LBB24_205
; %bb.204:
	v_cmp_gt_i16_sdwa s[46:47], sext(v10), sext(v1) src0_sel:BYTE_0 src1_sel:BYTE_0
	s_andn2_b64 s[40:41], s[40:41], exec
	s_and_b64 s[46:47], s[46:47], exec
	s_or_b64 s[40:41], s[40:41], s[46:47]
.LBB24_205:
	s_branch .LBB24_207
.LBB24_206:
	s_cmp_lg_u32 s3, 0
	s_mov_b64 s[42:43], -1
	s_cselect_b64 s[44:45], -1, 0
.LBB24_207:
	s_andn2_b64 vcc, exec, s[44:45]
	s_cbranch_vccz .LBB24_249
; %bb.208:
	s_andn2_b64 vcc, exec, s[42:43]
	s_cbranch_vccnz .LBB24_210
.LBB24_209:
	v_cmp_ge_i16_sdwa s[42:43], sext(v10), sext(v1) src0_sel:BYTE_0 src1_sel:BYTE_0
	s_andn2_b64 s[40:41], s[40:41], exec
	s_and_b64 s[42:43], s[42:43], exec
	s_or_b64 s[40:41], s[40:41], s[42:43]
.LBB24_210:
	v_cndmask_b32_e64 v1, 0, 1, s[4:5]
	v_lshlrev_b16_e32 v1, 8, v1
	v_cndmask_b32_e64 v2, 0, 1, s[0:1]
	v_or_b32_e32 v1, v2, v1
	v_cndmask_b32_e64 v2, 0, 1, s[14:15]
	v_lshlrev_b16_e32 v2, 8, v2
	v_cndmask_b32_e64 v3, 0, 1, s[6:7]
	v_or_b32_sdwa v2, v3, v2 dst_sel:WORD_1 dst_unused:UNUSED_PAD src0_sel:DWORD src1_sel:DWORD
	v_or_b32_sdwa v1, v1, v2 dst_sel:DWORD dst_unused:UNUSED_PAD src0_sel:WORD_0 src1_sel:DWORD
	v_cndmask_b32_e64 v2, 0, 1, s[18:19]
	v_lshlrev_b16_e32 v2, 8, v2
	v_cndmask_b32_e64 v3, 0, 1, s[16:17]
	v_or_b32_e32 v2, v3, v2
	v_cndmask_b32_e64 v3, 0, 1, s[22:23]
	v_lshlrev_b16_e32 v3, 8, v3
	v_cndmask_b32_e64 v4, 0, 1, s[20:21]
	v_or_b32_sdwa v3, v4, v3 dst_sel:WORD_1 dst_unused:UNUSED_PAD src0_sel:DWORD src1_sel:DWORD
	v_or_b32_sdwa v2, v2, v3 dst_sel:DWORD dst_unused:UNUSED_PAD src0_sel:WORD_0 src1_sel:DWORD
	;; [unrolled: 9-line block ×3, first 2 shown]
	v_cndmask_b32_e64 v4, 0, 1, s[36:37]
	v_lshlrev_b16_e32 v4, 8, v4
	v_cndmask_b32_e64 v5, 0, 1, s[34:35]
	v_or_b32_e32 v4, v5, v4
	v_cndmask_b32_e64 v5, 0, 1, s[40:41]
	v_lshlrev_b16_e32 v5, 8, v5
	v_cndmask_b32_e64 v6, 0, 1, s[38:39]
	s_add_u32 s42, s8, s33
	v_or_b32_sdwa v5, v6, v5 dst_sel:WORD_1 dst_unused:UNUSED_PAD src0_sel:DWORD src1_sel:DWORD
	s_addc_u32 s43, s9, s48
	v_or_b32_sdwa v4, v4, v5 dst_sel:DWORD dst_unused:UNUSED_PAD src0_sel:WORD_0 src1_sel:DWORD
	global_store_dwordx4 v9, v[1:4], s[42:43]
	s_mov_b64 s[0:1], 0
.LBB24_211:
	s_and_b64 vcc, exec, s[0:1]
	s_cbranch_vccz .LBB24_519
; %bb.212:
	v_cmp_gt_i32_e64 s[0:1], s2, v0
	v_mov_b32_e32 v6, 0
	v_or_b32_e32 v5, s33, v0
	v_mov_b32_e32 v8, 0
	v_mov_b32_e32 v7, 0
	;; [unrolled: 1-line block ×32, first 2 shown]
	s_and_saveexec_b64 s[4:5], s[0:1]
	s_cbranch_execz .LBB24_244
; %bb.213:
	global_load_ubyte v37, v5, s[10:11]
	global_load_ubyte v38, v5, s[12:13]
	v_or_b32_e32 v1, 0x100, v0
	v_cmp_gt_u32_e32 vcc, s2, v1
	v_mov_b32_e32 v36, 0
	v_mov_b32_e32 v35, 0
	;; [unrolled: 1-line block ×30, first 2 shown]
	s_and_saveexec_b64 s[6:7], vcc
	s_cbranch_execz .LBB24_243
; %bb.214:
	v_add_u32_e32 v3, s33, v0
	global_load_ubyte v35, v3, s[10:11] offset:256
	global_load_ubyte v36, v3, s[12:13] offset:256
	v_or_b32_e32 v1, 0x200, v0
	v_mov_b32_e32 v33, 0
	v_cmp_gt_u32_e32 vcc, s2, v1
	v_mov_b32_e32 v34, 0
	v_mov_b32_e32 v31, 0
	;; [unrolled: 1-line block ×27, first 2 shown]
	s_and_saveexec_b64 s[14:15], vcc
	s_cbranch_execz .LBB24_242
; %bb.215:
	v_mov_b32_e32 v2, s11
	v_add_co_u32_e32 v1, vcc, s10, v3
	v_addc_co_u32_e32 v2, vcc, 0, v2, vcc
	v_mov_b32_e32 v4, s13
	v_add_co_u32_e32 v3, vcc, s12, v3
	v_addc_co_u32_e32 v4, vcc, 0, v4, vcc
	global_load_ubyte v34, v[1:2], off offset:512
	global_load_ubyte v33, v[3:4], off offset:512
	v_or_b32_e32 v7, 0x300, v0
	v_cmp_gt_u32_e32 vcc, s2, v7
	v_mov_b32_e32 v31, 0
	v_mov_b32_e32 v32, 0
	;; [unrolled: 1-line block ×26, first 2 shown]
	s_and_saveexec_b64 s[10:11], vcc
	s_cbranch_execz .LBB24_241
; %bb.216:
	global_load_ubyte v32, v[1:2], off offset:768
	global_load_ubyte v31, v[3:4], off offset:768
	v_or_b32_e32 v7, 0x400, v0
	v_cmp_gt_u32_e32 vcc, s2, v7
	v_mov_b32_e32 v29, 0
	v_mov_b32_e32 v30, 0
	;; [unrolled: 1-line block ×24, first 2 shown]
	s_and_saveexec_b64 s[12:13], vcc
	s_cbranch_execz .LBB24_240
; %bb.217:
	global_load_ubyte v30, v[1:2], off offset:1024
	global_load_ubyte v29, v[3:4], off offset:1024
	v_or_b32_e32 v7, 0x500, v0
	v_cmp_gt_u32_e32 vcc, s2, v7
	v_mov_b32_e32 v27, 0
	v_mov_b32_e32 v28, 0
	v_mov_b32_e32 v25, 0
	v_mov_b32_e32 v26, 0
	v_mov_b32_e32 v23, 0
	v_mov_b32_e32 v24, 0
	v_mov_b32_e32 v21, 0
	v_mov_b32_e32 v22, 0
	v_mov_b32_e32 v19, 0
	v_mov_b32_e32 v20, 0
	v_mov_b32_e32 v17, 0
	v_mov_b32_e32 v18, 0
	v_mov_b32_e32 v15, 0
	v_mov_b32_e32 v16, 0
	v_mov_b32_e32 v13, 0
	v_mov_b32_e32 v14, 0
	v_mov_b32_e32 v11, 0
	v_mov_b32_e32 v12, 0
	v_mov_b32_e32 v9, 0
	v_mov_b32_e32 v10, 0
	v_mov_b32_e32 v7, 0
	v_mov_b32_e32 v8, 0
	s_and_saveexec_b64 s[16:17], vcc
	s_cbranch_execz .LBB24_239
; %bb.218:
	global_load_ubyte v28, v[1:2], off offset:1280
	global_load_ubyte v27, v[3:4], off offset:1280
	v_or_b32_e32 v7, 0x600, v0
	v_cmp_gt_u32_e32 vcc, s2, v7
	v_mov_b32_e32 v25, 0
	v_mov_b32_e32 v26, 0
	;; [unrolled: 1-line block ×20, first 2 shown]
	s_and_saveexec_b64 s[18:19], vcc
	s_cbranch_execz .LBB24_238
; %bb.219:
	global_load_ubyte v26, v[1:2], off offset:1536
	global_load_ubyte v25, v[3:4], off offset:1536
	v_or_b32_e32 v7, 0x700, v0
	v_cmp_gt_u32_e32 vcc, s2, v7
	v_mov_b32_e32 v23, 0
	v_mov_b32_e32 v24, 0
	;; [unrolled: 1-line block ×18, first 2 shown]
	s_and_saveexec_b64 s[20:21], vcc
	s_cbranch_execz .LBB24_237
; %bb.220:
	global_load_ubyte v24, v[1:2], off offset:1792
	global_load_ubyte v23, v[3:4], off offset:1792
	v_or_b32_e32 v7, 0x800, v0
	v_cmp_gt_u32_e32 vcc, s2, v7
	v_mov_b32_e32 v21, 0
	v_mov_b32_e32 v22, 0
	;; [unrolled: 1-line block ×16, first 2 shown]
	s_and_saveexec_b64 s[22:23], vcc
	s_cbranch_execz .LBB24_236
; %bb.221:
	global_load_ubyte v22, v[1:2], off offset:2048
	global_load_ubyte v21, v[3:4], off offset:2048
	v_or_b32_e32 v7, 0x900, v0
	v_cmp_gt_u32_e32 vcc, s2, v7
	v_mov_b32_e32 v19, 0
	v_mov_b32_e32 v20, 0
	;; [unrolled: 1-line block ×14, first 2 shown]
	s_and_saveexec_b64 s[24:25], vcc
	s_cbranch_execz .LBB24_235
; %bb.222:
	global_load_ubyte v20, v[1:2], off offset:2304
	global_load_ubyte v19, v[3:4], off offset:2304
	v_or_b32_e32 v7, 0xa00, v0
	v_cmp_gt_u32_e32 vcc, s2, v7
	v_mov_b32_e32 v17, 0
	v_mov_b32_e32 v18, 0
	v_mov_b32_e32 v15, 0
	v_mov_b32_e32 v16, 0
	v_mov_b32_e32 v13, 0
	v_mov_b32_e32 v14, 0
	v_mov_b32_e32 v11, 0
	v_mov_b32_e32 v12, 0
	v_mov_b32_e32 v9, 0
	v_mov_b32_e32 v10, 0
	v_mov_b32_e32 v7, 0
	v_mov_b32_e32 v8, 0
	s_and_saveexec_b64 s[26:27], vcc
	s_cbranch_execz .LBB24_234
; %bb.223:
	global_load_ubyte v18, v[1:2], off offset:2560
	global_load_ubyte v17, v[3:4], off offset:2560
	v_or_b32_e32 v7, 0xb00, v0
	v_cmp_gt_u32_e32 vcc, s2, v7
	v_mov_b32_e32 v15, 0
	v_mov_b32_e32 v16, 0
	;; [unrolled: 1-line block ×10, first 2 shown]
	s_and_saveexec_b64 s[28:29], vcc
	s_cbranch_execz .LBB24_233
; %bb.224:
	global_load_ubyte v16, v[1:2], off offset:2816
	global_load_ubyte v15, v[3:4], off offset:2816
	v_or_b32_e32 v7, 0xc00, v0
	v_cmp_gt_u32_e32 vcc, s2, v7
	v_mov_b32_e32 v13, 0
	v_mov_b32_e32 v14, 0
	;; [unrolled: 1-line block ×8, first 2 shown]
	s_and_saveexec_b64 s[30:31], vcc
	s_cbranch_execz .LBB24_232
; %bb.225:
	global_load_ubyte v14, v[1:2], off offset:3072
	global_load_ubyte v13, v[3:4], off offset:3072
	v_or_b32_e32 v7, 0xd00, v0
	v_cmp_gt_u32_e32 vcc, s2, v7
	v_mov_b32_e32 v11, 0
	v_mov_b32_e32 v12, 0
	;; [unrolled: 1-line block ×6, first 2 shown]
	s_and_saveexec_b64 s[34:35], vcc
	s_cbranch_execz .LBB24_231
; %bb.226:
	global_load_ubyte v12, v[1:2], off offset:3328
	global_load_ubyte v11, v[3:4], off offset:3328
	v_or_b32_e32 v7, 0xe00, v0
	v_cmp_gt_u32_e32 vcc, s2, v7
	v_mov_b32_e32 v9, 0
	v_mov_b32_e32 v10, 0
	;; [unrolled: 1-line block ×4, first 2 shown]
	s_and_saveexec_b64 s[36:37], vcc
	s_cbranch_execz .LBB24_230
; %bb.227:
	global_load_ubyte v10, v[1:2], off offset:3584
	global_load_ubyte v9, v[3:4], off offset:3584
	v_or_b32_e32 v7, 0xf00, v0
	v_cmp_gt_u32_e32 vcc, s2, v7
	v_mov_b32_e32 v7, 0
	v_mov_b32_e32 v8, 0
	s_and_saveexec_b64 s[38:39], vcc
	s_cbranch_execz .LBB24_229
; %bb.228:
	global_load_ubyte v8, v[1:2], off offset:3840
	global_load_ubyte v7, v[3:4], off offset:3840
.LBB24_229:
	s_or_b64 exec, exec, s[38:39]
.LBB24_230:
	s_or_b64 exec, exec, s[36:37]
.LBB24_231:
	s_or_b64 exec, exec, s[34:35]
.LBB24_232:
	s_or_b64 exec, exec, s[30:31]
.LBB24_233:
	s_or_b64 exec, exec, s[28:29]
.LBB24_234:
	s_or_b64 exec, exec, s[26:27]
.LBB24_235:
	s_or_b64 exec, exec, s[24:25]
.LBB24_236:
	s_or_b64 exec, exec, s[22:23]
.LBB24_237:
	s_or_b64 exec, exec, s[20:21]
.LBB24_238:
	s_or_b64 exec, exec, s[18:19]
.LBB24_239:
	s_or_b64 exec, exec, s[16:17]
.LBB24_240:
	s_or_b64 exec, exec, s[12:13]
.LBB24_241:
	s_or_b64 exec, exec, s[10:11]
.LBB24_242:
	s_or_b64 exec, exec, s[14:15]
.LBB24_243:
	s_or_b64 exec, exec, s[6:7]
.LBB24_244:
	s_or_b64 exec, exec, s[4:5]
	v_mov_b32_e32 v3, v6
	v_mov_b32_e32 v2, v6
	;; [unrolled: 1-line block ×3, first 2 shown]
	s_and_saveexec_b64 s[4:5], s[0:1]
	s_cbranch_execz .LBB24_276
; %bb.245:
	s_cmp_lt_i32 s3, 1
	s_mov_b64 s[6:7], 0
	s_cbranch_scc1 .LBB24_250
; %bb.246:
	s_cmp_gt_i32 s3, 1
	s_cbranch_scc0 .LBB24_266
; %bb.247:
	s_cmp_eq_u32 s3, 2
	s_cbranch_scc0 .LBB24_267
; %bb.248:
	s_waitcnt vmcnt(0)
	v_cmp_le_i16_sdwa s[10:11], sext(v37), sext(v38) src0_sel:BYTE_0 src1_sel:BYTE_0
	s_mov_b64 s[12:13], 0
	s_branch .LBB24_268
.LBB24_249:
	v_cmp_lt_i16_sdwa s[44:45], sext(v10), sext(v1) src0_sel:BYTE_0 src1_sel:BYTE_0
	s_andn2_b64 s[40:41], s[40:41], exec
	s_and_b64 s[44:45], s[44:45], exec
	s_or_b64 s[40:41], s[40:41], s[44:45]
	s_cbranch_execz .LBB24_209
	s_branch .LBB24_210
.LBB24_250:
                                        ; implicit-def: $sgpr10_sgpr11
	s_mov_b64 s[12:13], 0
	s_cbranch_execnz .LBB24_271
	s_branch .LBB24_272
.LBB24_251:
	s_mov_b64 s[14:15], -1
                                        ; implicit-def: $sgpr4_sgpr5
	s_branch .LBB24_23
.LBB24_252:
	s_mov_b64 s[16:17], -1
                                        ; implicit-def: $sgpr6_sgpr7
	s_branch .LBB24_36
.LBB24_253:
	s_mov_b64 s[18:19], -1
                                        ; implicit-def: $sgpr14_sgpr15
	s_branch .LBB24_49
.LBB24_254:
	s_mov_b64 s[20:21], -1
                                        ; implicit-def: $sgpr16_sgpr17
	s_branch .LBB24_62
.LBB24_255:
	s_mov_b64 s[22:23], -1
                                        ; implicit-def: $sgpr18_sgpr19
	s_branch .LBB24_75
.LBB24_256:
	s_mov_b64 s[24:25], -1
                                        ; implicit-def: $sgpr20_sgpr21
	s_branch .LBB24_88
.LBB24_257:
	s_mov_b64 s[26:27], -1
                                        ; implicit-def: $sgpr22_sgpr23
	s_branch .LBB24_101
.LBB24_258:
	s_mov_b64 s[28:29], -1
                                        ; implicit-def: $sgpr24_sgpr25
	s_branch .LBB24_114
.LBB24_259:
	s_mov_b64 s[30:31], -1
                                        ; implicit-def: $sgpr26_sgpr27
	s_branch .LBB24_127
.LBB24_260:
	s_mov_b64 s[34:35], -1
                                        ; implicit-def: $sgpr28_sgpr29
	s_branch .LBB24_140
.LBB24_261:
	s_mov_b64 s[36:37], -1
                                        ; implicit-def: $sgpr30_sgpr31
	s_branch .LBB24_153
.LBB24_262:
	s_mov_b64 s[38:39], -1
                                        ; implicit-def: $sgpr34_sgpr35
	s_branch .LBB24_166
.LBB24_263:
	s_mov_b64 s[40:41], -1
                                        ; implicit-def: $sgpr36_sgpr37
	s_branch .LBB24_179
.LBB24_264:
	s_mov_b64 s[42:43], -1
                                        ; implicit-def: $sgpr38_sgpr39
	s_branch .LBB24_192
.LBB24_265:
	s_mov_b64 s[44:45], -1
                                        ; implicit-def: $sgpr40_sgpr41
	s_branch .LBB24_205
.LBB24_266:
	s_mov_b64 s[12:13], 0
                                        ; implicit-def: $sgpr10_sgpr11
	s_cbranch_execnz .LBB24_269
	s_branch .LBB24_270
.LBB24_267:
	s_mov_b64 s[12:13], -1
                                        ; implicit-def: $sgpr10_sgpr11
.LBB24_268:
	s_branch .LBB24_270
.LBB24_269:
	s_waitcnt vmcnt(0)
	v_cmp_gt_i16_sdwa s[14:15], sext(v37), sext(v38) src0_sel:BYTE_0 src1_sel:BYTE_0
	s_andn2_b64 s[10:11], s[10:11], exec
	s_and_b64 s[14:15], s[14:15], exec
	s_or_b64 s[10:11], s[10:11], s[14:15]
.LBB24_270:
	s_branch .LBB24_272
.LBB24_271:
	s_cmp_lg_u32 s3, 0
	s_mov_b64 s[6:7], -1
	s_cselect_b64 s[12:13], -1, 0
.LBB24_272:
	s_andn2_b64 vcc, exec, s[12:13]
	s_cbranch_vccz .LBB24_281
; %bb.273:
	s_andn2_b64 vcc, exec, s[6:7]
	s_cbranch_vccnz .LBB24_275
.LBB24_274:
	s_waitcnt vmcnt(0)
	v_cmp_ge_i16_sdwa s[6:7], sext(v37), sext(v38) src0_sel:BYTE_0 src1_sel:BYTE_0
	s_andn2_b64 s[10:11], s[10:11], exec
	s_and_b64 s[6:7], s[6:7], exec
	s_or_b64 s[10:11], s[10:11], s[6:7]
.LBB24_275:
	v_cndmask_b32_e64 v1, 0, 1, s[10:11]
	v_mov_b32_e32 v3, 0
	v_and_b32_e32 v6, 0xffff, v1
	v_mov_b32_e32 v2, v3
	v_mov_b32_e32 v1, v3
.LBB24_276:
	s_or_b64 exec, exec, s[4:5]
	v_or_b32_e32 v4, 0x100, v0
	v_cmp_gt_i32_e32 vcc, s2, v4
	s_and_saveexec_b64 s[4:5], vcc
	s_cbranch_execz .LBB24_291
; %bb.277:
	s_cmp_lt_i32 s3, 1
	s_mov_b64 s[6:7], 0
	s_cbranch_scc1 .LBB24_282
; %bb.278:
	s_cmp_gt_i32 s3, 1
	s_cbranch_scc0 .LBB24_283
; %bb.279:
	s_cmp_eq_u32 s3, 2
	s_cbranch_scc0 .LBB24_535
; %bb.280:
	s_waitcnt vmcnt(0)
	v_cmp_le_i16_sdwa s[10:11], sext(v35), sext(v36) src0_sel:BYTE_0 src1_sel:BYTE_0
	s_mov_b64 s[12:13], 0
	s_branch .LBB24_285
.LBB24_281:
	s_waitcnt vmcnt(0)
	v_cmp_lt_i16_sdwa s[12:13], sext(v37), sext(v38) src0_sel:BYTE_0 src1_sel:BYTE_0
	s_andn2_b64 s[10:11], s[10:11], exec
	s_and_b64 s[12:13], s[12:13], exec
	s_or_b64 s[10:11], s[10:11], s[12:13]
	s_cbranch_execz .LBB24_274
	s_branch .LBB24_275
.LBB24_282:
                                        ; implicit-def: $sgpr10_sgpr11
	s_mov_b64 s[12:13], 0
	s_cbranch_execnz .LBB24_286
	s_branch .LBB24_287
.LBB24_283:
	s_mov_b64 s[12:13], 0
                                        ; implicit-def: $sgpr10_sgpr11
	s_cbranch_execz .LBB24_285
; %bb.284:
	s_waitcnt vmcnt(0)
	v_cmp_gt_i16_sdwa s[14:15], sext(v35), sext(v36) src0_sel:BYTE_0 src1_sel:BYTE_0
	s_andn2_b64 s[10:11], s[10:11], exec
	s_and_b64 s[14:15], s[14:15], exec
	s_or_b64 s[10:11], s[10:11], s[14:15]
.LBB24_285:
	s_branch .LBB24_287
.LBB24_286:
	s_cmp_lg_u32 s3, 0
	s_mov_b64 s[6:7], -1
	s_cselect_b64 s[12:13], -1, 0
.LBB24_287:
	s_andn2_b64 vcc, exec, s[12:13]
	s_cbranch_vccz .LBB24_296
; %bb.288:
	s_andn2_b64 vcc, exec, s[6:7]
	s_cbranch_vccnz .LBB24_290
.LBB24_289:
	s_waitcnt vmcnt(0)
	v_cmp_ge_i16_sdwa s[6:7], sext(v35), sext(v36) src0_sel:BYTE_0 src1_sel:BYTE_0
	s_andn2_b64 s[10:11], s[10:11], exec
	s_and_b64 s[6:7], s[6:7], exec
	s_or_b64 s[10:11], s[10:11], s[6:7]
.LBB24_290:
	s_waitcnt vmcnt(1)
	v_cndmask_b32_e64 v35, 0, 1, s[10:11]
	v_lshlrev_b16_e32 v35, 8, v35
	v_or_b32_sdwa v35, v6, v35 dst_sel:DWORD dst_unused:UNUSED_PAD src0_sel:BYTE_0 src1_sel:DWORD
	v_and_b32_e32 v35, 0xffff, v35
	s_mov_b32 s6, 0xffff0000
	v_and_or_b32 v6, v6, s6, v35
.LBB24_291:
	s_or_b64 exec, exec, s[4:5]
	s_waitcnt vmcnt(1)
	v_or_b32_e32 v35, 0x200, v0
	v_cmp_gt_i32_e32 vcc, s2, v35
	s_and_saveexec_b64 s[4:5], vcc
	s_cbranch_execz .LBB24_306
; %bb.292:
	s_cmp_lt_i32 s3, 1
	s_mov_b64 s[6:7], 0
	s_cbranch_scc1 .LBB24_297
; %bb.293:
	s_cmp_gt_i32 s3, 1
	s_cbranch_scc0 .LBB24_298
; %bb.294:
	s_cmp_eq_u32 s3, 2
	s_cbranch_scc0 .LBB24_536
; %bb.295:
	s_waitcnt vmcnt(0)
	v_cmp_le_i16_sdwa s[10:11], sext(v34), sext(v33) src0_sel:BYTE_0 src1_sel:BYTE_0
	s_mov_b64 s[12:13], 0
	s_branch .LBB24_300
.LBB24_296:
	s_waitcnt vmcnt(0)
	v_cmp_lt_i16_sdwa s[12:13], sext(v35), sext(v36) src0_sel:BYTE_0 src1_sel:BYTE_0
	s_andn2_b64 s[10:11], s[10:11], exec
	s_and_b64 s[12:13], s[12:13], exec
	s_or_b64 s[10:11], s[10:11], s[12:13]
	s_cbranch_execz .LBB24_289
	s_branch .LBB24_290
.LBB24_297:
                                        ; implicit-def: $sgpr10_sgpr11
	s_mov_b64 s[12:13], 0
	s_cbranch_execnz .LBB24_301
	s_branch .LBB24_302
.LBB24_298:
	s_mov_b64 s[12:13], 0
                                        ; implicit-def: $sgpr10_sgpr11
	s_cbranch_execz .LBB24_300
; %bb.299:
	s_waitcnt vmcnt(0)
	v_cmp_gt_i16_sdwa s[14:15], sext(v34), sext(v33) src0_sel:BYTE_0 src1_sel:BYTE_0
	s_andn2_b64 s[10:11], s[10:11], exec
	s_and_b64 s[14:15], s[14:15], exec
	s_or_b64 s[10:11], s[10:11], s[14:15]
.LBB24_300:
	s_branch .LBB24_302
.LBB24_301:
	s_cmp_lg_u32 s3, 0
	s_mov_b64 s[6:7], -1
	s_cselect_b64 s[12:13], -1, 0
.LBB24_302:
	s_andn2_b64 vcc, exec, s[12:13]
	s_cbranch_vccz .LBB24_311
; %bb.303:
	s_andn2_b64 vcc, exec, s[6:7]
	s_cbranch_vccnz .LBB24_305
.LBB24_304:
	s_waitcnt vmcnt(0)
	v_cmp_ge_i16_sdwa s[6:7], sext(v34), sext(v33) src0_sel:BYTE_0 src1_sel:BYTE_0
	s_andn2_b64 s[10:11], s[10:11], exec
	s_and_b64 s[6:7], s[6:7], exec
	s_or_b64 s[10:11], s[10:11], s[6:7]
.LBB24_305:
	s_movk_i32 s6, 0xff00
	s_waitcnt vmcnt(0)
	v_and_b32_sdwa v33, v6, s6 dst_sel:DWORD dst_unused:UNUSED_PAD src0_sel:WORD_1 src1_sel:DWORD
	v_cndmask_b32_e64 v34, 0, 1, s[10:11]
	v_or_b32_sdwa v33, v34, v33 dst_sel:WORD_1 dst_unused:UNUSED_PAD src0_sel:DWORD src1_sel:DWORD
	s_mov_b32 s6, 0xffff
	v_and_or_b32 v6, v6, s6, v33
.LBB24_306:
	s_or_b64 exec, exec, s[4:5]
	s_waitcnt vmcnt(0)
	v_or_b32_e32 v33, 0x300, v0
	v_cmp_gt_i32_e32 vcc, s2, v33
	s_and_saveexec_b64 s[4:5], vcc
	s_cbranch_execz .LBB24_321
; %bb.307:
	s_cmp_lt_i32 s3, 1
	s_mov_b64 s[6:7], 0
	s_cbranch_scc1 .LBB24_312
; %bb.308:
	s_cmp_gt_i32 s3, 1
	s_cbranch_scc0 .LBB24_313
; %bb.309:
	s_cmp_eq_u32 s3, 2
	s_cbranch_scc0 .LBB24_537
; %bb.310:
	v_cmp_le_i16_sdwa s[10:11], sext(v32), sext(v31) src0_sel:BYTE_0 src1_sel:BYTE_0
	s_mov_b64 s[12:13], 0
	s_branch .LBB24_315
.LBB24_311:
	s_waitcnt vmcnt(0)
	v_cmp_lt_i16_sdwa s[12:13], sext(v34), sext(v33) src0_sel:BYTE_0 src1_sel:BYTE_0
	s_andn2_b64 s[10:11], s[10:11], exec
	s_and_b64 s[12:13], s[12:13], exec
	s_or_b64 s[10:11], s[10:11], s[12:13]
	s_cbranch_execz .LBB24_304
	s_branch .LBB24_305
.LBB24_312:
                                        ; implicit-def: $sgpr10_sgpr11
	s_mov_b64 s[12:13], 0
	s_cbranch_execnz .LBB24_316
	s_branch .LBB24_317
.LBB24_313:
	s_mov_b64 s[12:13], 0
                                        ; implicit-def: $sgpr10_sgpr11
	s_cbranch_execz .LBB24_315
; %bb.314:
	v_cmp_gt_i16_sdwa s[14:15], sext(v32), sext(v31) src0_sel:BYTE_0 src1_sel:BYTE_0
	s_andn2_b64 s[10:11], s[10:11], exec
	s_and_b64 s[14:15], s[14:15], exec
	s_or_b64 s[10:11], s[10:11], s[14:15]
.LBB24_315:
	s_branch .LBB24_317
.LBB24_316:
	s_cmp_lg_u32 s3, 0
	s_mov_b64 s[6:7], -1
	s_cselect_b64 s[12:13], -1, 0
.LBB24_317:
	s_andn2_b64 vcc, exec, s[12:13]
	s_cbranch_vccz .LBB24_326
; %bb.318:
	s_andn2_b64 vcc, exec, s[6:7]
	s_cbranch_vccnz .LBB24_320
.LBB24_319:
	v_cmp_ge_i16_sdwa s[6:7], sext(v32), sext(v31) src0_sel:BYTE_0 src1_sel:BYTE_0
	s_andn2_b64 s[10:11], s[10:11], exec
	s_and_b64 s[6:7], s[6:7], exec
	s_or_b64 s[10:11], s[10:11], s[6:7]
.LBB24_320:
	s_movk_i32 s6, 0xff
	v_cndmask_b32_e64 v32, 0, 1, s[10:11]
	v_and_b32_sdwa v31, v6, s6 dst_sel:DWORD dst_unused:UNUSED_PAD src0_sel:WORD_1 src1_sel:DWORD
	v_lshlrev_b16_e32 v32, 8, v32
	v_or_b32_sdwa v31, v31, v32 dst_sel:WORD_1 dst_unused:UNUSED_PAD src0_sel:DWORD src1_sel:DWORD
	s_mov_b32 s6, 0xffff
	v_and_or_b32 v6, v6, s6, v31
.LBB24_321:
	s_or_b64 exec, exec, s[4:5]
	v_or_b32_e32 v31, 0x400, v0
	v_cmp_gt_i32_e32 vcc, s2, v31
	s_and_saveexec_b64 s[4:5], vcc
	s_cbranch_execz .LBB24_336
; %bb.322:
	s_cmp_lt_i32 s3, 1
	s_mov_b64 s[6:7], 0
	s_cbranch_scc1 .LBB24_327
; %bb.323:
	s_cmp_gt_i32 s3, 1
	s_cbranch_scc0 .LBB24_328
; %bb.324:
	s_cmp_eq_u32 s3, 2
	s_cbranch_scc0 .LBB24_538
; %bb.325:
	v_cmp_le_i16_sdwa s[10:11], sext(v30), sext(v29) src0_sel:BYTE_0 src1_sel:BYTE_0
	s_mov_b64 s[12:13], 0
	s_branch .LBB24_330
.LBB24_326:
	v_cmp_lt_i16_sdwa s[12:13], sext(v32), sext(v31) src0_sel:BYTE_0 src1_sel:BYTE_0
	s_andn2_b64 s[10:11], s[10:11], exec
	s_and_b64 s[12:13], s[12:13], exec
	s_or_b64 s[10:11], s[10:11], s[12:13]
	s_cbranch_execz .LBB24_319
	s_branch .LBB24_320
.LBB24_327:
                                        ; implicit-def: $sgpr10_sgpr11
	s_mov_b64 s[12:13], 0
	s_cbranch_execnz .LBB24_331
	s_branch .LBB24_332
.LBB24_328:
	s_mov_b64 s[12:13], 0
                                        ; implicit-def: $sgpr10_sgpr11
	s_cbranch_execz .LBB24_330
; %bb.329:
	v_cmp_gt_i16_sdwa s[14:15], sext(v30), sext(v29) src0_sel:BYTE_0 src1_sel:BYTE_0
	s_andn2_b64 s[10:11], s[10:11], exec
	s_and_b64 s[14:15], s[14:15], exec
	s_or_b64 s[10:11], s[10:11], s[14:15]
.LBB24_330:
	s_branch .LBB24_332
.LBB24_331:
	s_cmp_lg_u32 s3, 0
	s_mov_b64 s[6:7], -1
	s_cselect_b64 s[12:13], -1, 0
.LBB24_332:
	s_andn2_b64 vcc, exec, s[12:13]
	s_cbranch_vccz .LBB24_341
; %bb.333:
	s_andn2_b64 vcc, exec, s[6:7]
	s_cbranch_vccnz .LBB24_335
.LBB24_334:
	v_cmp_ge_i16_sdwa s[6:7], sext(v30), sext(v29) src0_sel:BYTE_0 src1_sel:BYTE_0
	s_andn2_b64 s[10:11], s[10:11], exec
	s_and_b64 s[6:7], s[6:7], exec
	s_or_b64 s[10:11], s[10:11], s[6:7]
.LBB24_335:
	v_and_b32_e32 v29, 0xffffff00, v3
	v_cndmask_b32_e64 v30, 0, 1, s[10:11]
	v_or_b32_e32 v29, v30, v29
	v_and_b32_e32 v29, 0xffff, v29
	s_mov_b32 s6, 0xffff0000
	v_and_or_b32 v3, v3, s6, v29
.LBB24_336:
	s_or_b64 exec, exec, s[4:5]
	v_or_b32_e32 v29, 0x500, v0
	v_cmp_gt_i32_e32 vcc, s2, v29
	s_and_saveexec_b64 s[4:5], vcc
	s_cbranch_execz .LBB24_351
; %bb.337:
	s_cmp_lt_i32 s3, 1
	s_mov_b64 s[6:7], 0
	s_cbranch_scc1 .LBB24_342
; %bb.338:
	s_cmp_gt_i32 s3, 1
	s_cbranch_scc0 .LBB24_343
; %bb.339:
	s_cmp_eq_u32 s3, 2
	s_cbranch_scc0 .LBB24_539
; %bb.340:
	v_cmp_le_i16_sdwa s[10:11], sext(v28), sext(v27) src0_sel:BYTE_0 src1_sel:BYTE_0
	s_mov_b64 s[12:13], 0
	s_branch .LBB24_345
.LBB24_341:
	v_cmp_lt_i16_sdwa s[12:13], sext(v30), sext(v29) src0_sel:BYTE_0 src1_sel:BYTE_0
	s_andn2_b64 s[10:11], s[10:11], exec
	s_and_b64 s[12:13], s[12:13], exec
	s_or_b64 s[10:11], s[10:11], s[12:13]
	s_cbranch_execz .LBB24_334
	s_branch .LBB24_335
.LBB24_342:
                                        ; implicit-def: $sgpr10_sgpr11
	s_mov_b64 s[12:13], 0
	s_cbranch_execnz .LBB24_346
	s_branch .LBB24_347
.LBB24_343:
	s_mov_b64 s[12:13], 0
                                        ; implicit-def: $sgpr10_sgpr11
	s_cbranch_execz .LBB24_345
; %bb.344:
	v_cmp_gt_i16_sdwa s[14:15], sext(v28), sext(v27) src0_sel:BYTE_0 src1_sel:BYTE_0
	s_andn2_b64 s[10:11], s[10:11], exec
	s_and_b64 s[14:15], s[14:15], exec
	s_or_b64 s[10:11], s[10:11], s[14:15]
.LBB24_345:
	s_branch .LBB24_347
.LBB24_346:
	s_cmp_lg_u32 s3, 0
	s_mov_b64 s[6:7], -1
	s_cselect_b64 s[12:13], -1, 0
.LBB24_347:
	s_andn2_b64 vcc, exec, s[12:13]
	s_cbranch_vccz .LBB24_356
; %bb.348:
	s_andn2_b64 vcc, exec, s[6:7]
	s_cbranch_vccnz .LBB24_350
.LBB24_349:
	v_cmp_ge_i16_sdwa s[6:7], sext(v28), sext(v27) src0_sel:BYTE_0 src1_sel:BYTE_0
	s_andn2_b64 s[10:11], s[10:11], exec
	s_and_b64 s[6:7], s[6:7], exec
	s_or_b64 s[10:11], s[10:11], s[6:7]
.LBB24_350:
	v_cndmask_b32_e64 v27, 0, 1, s[10:11]
	v_lshlrev_b16_e32 v27, 8, v27
	v_or_b32_sdwa v27, v3, v27 dst_sel:DWORD dst_unused:UNUSED_PAD src0_sel:BYTE_0 src1_sel:DWORD
	v_and_b32_e32 v27, 0xffff, v27
	s_mov_b32 s6, 0xffff0000
	v_and_or_b32 v3, v3, s6, v27
.LBB24_351:
	s_or_b64 exec, exec, s[4:5]
	v_or_b32_e32 v27, 0x600, v0
	v_cmp_gt_i32_e32 vcc, s2, v27
	s_and_saveexec_b64 s[4:5], vcc
	s_cbranch_execz .LBB24_366
; %bb.352:
	s_cmp_lt_i32 s3, 1
	s_mov_b64 s[6:7], 0
	s_cbranch_scc1 .LBB24_357
; %bb.353:
	s_cmp_gt_i32 s3, 1
	s_cbranch_scc0 .LBB24_358
; %bb.354:
	s_cmp_eq_u32 s3, 2
	s_cbranch_scc0 .LBB24_540
; %bb.355:
	v_cmp_le_i16_sdwa s[10:11], sext(v26), sext(v25) src0_sel:BYTE_0 src1_sel:BYTE_0
	s_mov_b64 s[12:13], 0
	s_branch .LBB24_360
.LBB24_356:
	v_cmp_lt_i16_sdwa s[12:13], sext(v28), sext(v27) src0_sel:BYTE_0 src1_sel:BYTE_0
	s_andn2_b64 s[10:11], s[10:11], exec
	s_and_b64 s[12:13], s[12:13], exec
	s_or_b64 s[10:11], s[10:11], s[12:13]
	s_cbranch_execz .LBB24_349
	s_branch .LBB24_350
.LBB24_357:
                                        ; implicit-def: $sgpr10_sgpr11
	s_mov_b64 s[12:13], 0
	s_cbranch_execnz .LBB24_361
	s_branch .LBB24_362
.LBB24_358:
	s_mov_b64 s[12:13], 0
                                        ; implicit-def: $sgpr10_sgpr11
	s_cbranch_execz .LBB24_360
; %bb.359:
	v_cmp_gt_i16_sdwa s[14:15], sext(v26), sext(v25) src0_sel:BYTE_0 src1_sel:BYTE_0
	s_andn2_b64 s[10:11], s[10:11], exec
	s_and_b64 s[14:15], s[14:15], exec
	s_or_b64 s[10:11], s[10:11], s[14:15]
.LBB24_360:
	s_branch .LBB24_362
.LBB24_361:
	s_cmp_lg_u32 s3, 0
	s_mov_b64 s[6:7], -1
	s_cselect_b64 s[12:13], -1, 0
.LBB24_362:
	s_andn2_b64 vcc, exec, s[12:13]
	s_cbranch_vccz .LBB24_371
; %bb.363:
	s_andn2_b64 vcc, exec, s[6:7]
	s_cbranch_vccnz .LBB24_365
.LBB24_364:
	v_cmp_ge_i16_sdwa s[6:7], sext(v26), sext(v25) src0_sel:BYTE_0 src1_sel:BYTE_0
	s_andn2_b64 s[10:11], s[10:11], exec
	s_and_b64 s[6:7], s[6:7], exec
	s_or_b64 s[10:11], s[10:11], s[6:7]
.LBB24_365:
	s_movk_i32 s6, 0xff00
	v_and_b32_sdwa v25, v3, s6 dst_sel:DWORD dst_unused:UNUSED_PAD src0_sel:WORD_1 src1_sel:DWORD
	v_cndmask_b32_e64 v26, 0, 1, s[10:11]
	v_or_b32_sdwa v25, v26, v25 dst_sel:WORD_1 dst_unused:UNUSED_PAD src0_sel:DWORD src1_sel:DWORD
	s_mov_b32 s6, 0xffff
	v_and_or_b32 v3, v3, s6, v25
.LBB24_366:
	s_or_b64 exec, exec, s[4:5]
	v_or_b32_e32 v25, 0x700, v0
	v_cmp_gt_i32_e32 vcc, s2, v25
	s_and_saveexec_b64 s[4:5], vcc
	s_cbranch_execz .LBB24_381
; %bb.367:
	s_cmp_lt_i32 s3, 1
	s_mov_b64 s[6:7], 0
	s_cbranch_scc1 .LBB24_372
; %bb.368:
	s_cmp_gt_i32 s3, 1
	s_cbranch_scc0 .LBB24_373
; %bb.369:
	s_cmp_eq_u32 s3, 2
	s_cbranch_scc0 .LBB24_541
; %bb.370:
	v_cmp_le_i16_sdwa s[10:11], sext(v24), sext(v23) src0_sel:BYTE_0 src1_sel:BYTE_0
	s_mov_b64 s[12:13], 0
	s_branch .LBB24_375
.LBB24_371:
	v_cmp_lt_i16_sdwa s[12:13], sext(v26), sext(v25) src0_sel:BYTE_0 src1_sel:BYTE_0
	s_andn2_b64 s[10:11], s[10:11], exec
	s_and_b64 s[12:13], s[12:13], exec
	s_or_b64 s[10:11], s[10:11], s[12:13]
	s_cbranch_execz .LBB24_364
	s_branch .LBB24_365
.LBB24_372:
                                        ; implicit-def: $sgpr10_sgpr11
	s_mov_b64 s[12:13], 0
	s_cbranch_execnz .LBB24_376
	s_branch .LBB24_377
.LBB24_373:
	s_mov_b64 s[12:13], 0
                                        ; implicit-def: $sgpr10_sgpr11
	s_cbranch_execz .LBB24_375
; %bb.374:
	v_cmp_gt_i16_sdwa s[14:15], sext(v24), sext(v23) src0_sel:BYTE_0 src1_sel:BYTE_0
	s_andn2_b64 s[10:11], s[10:11], exec
	s_and_b64 s[14:15], s[14:15], exec
	s_or_b64 s[10:11], s[10:11], s[14:15]
.LBB24_375:
	s_branch .LBB24_377
.LBB24_376:
	s_cmp_lg_u32 s3, 0
	s_mov_b64 s[6:7], -1
	s_cselect_b64 s[12:13], -1, 0
.LBB24_377:
	s_andn2_b64 vcc, exec, s[12:13]
	s_cbranch_vccz .LBB24_386
; %bb.378:
	s_andn2_b64 vcc, exec, s[6:7]
	s_cbranch_vccnz .LBB24_380
.LBB24_379:
	v_cmp_ge_i16_sdwa s[6:7], sext(v24), sext(v23) src0_sel:BYTE_0 src1_sel:BYTE_0
	s_andn2_b64 s[10:11], s[10:11], exec
	s_and_b64 s[6:7], s[6:7], exec
	s_or_b64 s[10:11], s[10:11], s[6:7]
.LBB24_380:
	s_movk_i32 s6, 0xff
	v_cndmask_b32_e64 v24, 0, 1, s[10:11]
	v_and_b32_sdwa v23, v3, s6 dst_sel:DWORD dst_unused:UNUSED_PAD src0_sel:WORD_1 src1_sel:DWORD
	v_lshlrev_b16_e32 v24, 8, v24
	v_or_b32_sdwa v23, v23, v24 dst_sel:WORD_1 dst_unused:UNUSED_PAD src0_sel:DWORD src1_sel:DWORD
	s_mov_b32 s6, 0xffff
	v_and_or_b32 v3, v3, s6, v23
.LBB24_381:
	s_or_b64 exec, exec, s[4:5]
	v_or_b32_e32 v23, 0x800, v0
	v_cmp_gt_i32_e32 vcc, s2, v23
	s_and_saveexec_b64 s[4:5], vcc
	s_cbranch_execz .LBB24_396
; %bb.382:
	s_cmp_lt_i32 s3, 1
	s_mov_b64 s[6:7], 0
	s_cbranch_scc1 .LBB24_387
; %bb.383:
	s_cmp_gt_i32 s3, 1
	s_cbranch_scc0 .LBB24_388
; %bb.384:
	s_cmp_eq_u32 s3, 2
	s_cbranch_scc0 .LBB24_542
; %bb.385:
	v_cmp_le_i16_sdwa s[10:11], sext(v22), sext(v21) src0_sel:BYTE_0 src1_sel:BYTE_0
	s_mov_b64 s[12:13], 0
	s_branch .LBB24_390
.LBB24_386:
	v_cmp_lt_i16_sdwa s[12:13], sext(v24), sext(v23) src0_sel:BYTE_0 src1_sel:BYTE_0
	s_andn2_b64 s[10:11], s[10:11], exec
	s_and_b64 s[12:13], s[12:13], exec
	s_or_b64 s[10:11], s[10:11], s[12:13]
	s_cbranch_execz .LBB24_379
	s_branch .LBB24_380
.LBB24_387:
                                        ; implicit-def: $sgpr10_sgpr11
	s_mov_b64 s[12:13], 0
	s_cbranch_execnz .LBB24_391
	s_branch .LBB24_392
.LBB24_388:
	s_mov_b64 s[12:13], 0
                                        ; implicit-def: $sgpr10_sgpr11
	s_cbranch_execz .LBB24_390
; %bb.389:
	v_cmp_gt_i16_sdwa s[14:15], sext(v22), sext(v21) src0_sel:BYTE_0 src1_sel:BYTE_0
	s_andn2_b64 s[10:11], s[10:11], exec
	s_and_b64 s[14:15], s[14:15], exec
	s_or_b64 s[10:11], s[10:11], s[14:15]
.LBB24_390:
	s_branch .LBB24_392
.LBB24_391:
	s_cmp_lg_u32 s3, 0
	s_mov_b64 s[6:7], -1
	s_cselect_b64 s[12:13], -1, 0
.LBB24_392:
	s_andn2_b64 vcc, exec, s[12:13]
	s_cbranch_vccz .LBB24_401
; %bb.393:
	s_andn2_b64 vcc, exec, s[6:7]
	s_cbranch_vccnz .LBB24_395
.LBB24_394:
	v_cmp_ge_i16_sdwa s[6:7], sext(v22), sext(v21) src0_sel:BYTE_0 src1_sel:BYTE_0
	s_andn2_b64 s[10:11], s[10:11], exec
	s_and_b64 s[6:7], s[6:7], exec
	s_or_b64 s[10:11], s[10:11], s[6:7]
.LBB24_395:
	v_and_b32_e32 v21, 0xffffff00, v2
	v_cndmask_b32_e64 v22, 0, 1, s[10:11]
	v_or_b32_e32 v21, v22, v21
	v_and_b32_e32 v21, 0xffff, v21
	s_mov_b32 s6, 0xffff0000
	v_and_or_b32 v2, v2, s6, v21
.LBB24_396:
	s_or_b64 exec, exec, s[4:5]
	v_or_b32_e32 v21, 0x900, v0
	v_cmp_gt_i32_e32 vcc, s2, v21
	s_and_saveexec_b64 s[4:5], vcc
	s_cbranch_execz .LBB24_411
; %bb.397:
	s_cmp_lt_i32 s3, 1
	s_mov_b64 s[6:7], 0
	s_cbranch_scc1 .LBB24_402
; %bb.398:
	s_cmp_gt_i32 s3, 1
	s_cbranch_scc0 .LBB24_403
; %bb.399:
	s_cmp_eq_u32 s3, 2
	s_cbranch_scc0 .LBB24_543
; %bb.400:
	v_cmp_le_i16_sdwa s[10:11], sext(v20), sext(v19) src0_sel:BYTE_0 src1_sel:BYTE_0
	s_mov_b64 s[12:13], 0
	s_branch .LBB24_405
.LBB24_401:
	v_cmp_lt_i16_sdwa s[12:13], sext(v22), sext(v21) src0_sel:BYTE_0 src1_sel:BYTE_0
	s_andn2_b64 s[10:11], s[10:11], exec
	s_and_b64 s[12:13], s[12:13], exec
	s_or_b64 s[10:11], s[10:11], s[12:13]
	s_cbranch_execz .LBB24_394
	s_branch .LBB24_395
.LBB24_402:
                                        ; implicit-def: $sgpr10_sgpr11
	s_mov_b64 s[12:13], 0
	s_cbranch_execnz .LBB24_406
	s_branch .LBB24_407
.LBB24_403:
	s_mov_b64 s[12:13], 0
                                        ; implicit-def: $sgpr10_sgpr11
	s_cbranch_execz .LBB24_405
; %bb.404:
	v_cmp_gt_i16_sdwa s[14:15], sext(v20), sext(v19) src0_sel:BYTE_0 src1_sel:BYTE_0
	s_andn2_b64 s[10:11], s[10:11], exec
	s_and_b64 s[14:15], s[14:15], exec
	s_or_b64 s[10:11], s[10:11], s[14:15]
.LBB24_405:
	s_branch .LBB24_407
.LBB24_406:
	s_cmp_lg_u32 s3, 0
	s_mov_b64 s[6:7], -1
	s_cselect_b64 s[12:13], -1, 0
.LBB24_407:
	s_andn2_b64 vcc, exec, s[12:13]
	s_cbranch_vccz .LBB24_416
; %bb.408:
	s_andn2_b64 vcc, exec, s[6:7]
	s_cbranch_vccnz .LBB24_410
.LBB24_409:
	v_cmp_ge_i16_sdwa s[6:7], sext(v20), sext(v19) src0_sel:BYTE_0 src1_sel:BYTE_0
	s_andn2_b64 s[10:11], s[10:11], exec
	s_and_b64 s[6:7], s[6:7], exec
	s_or_b64 s[10:11], s[10:11], s[6:7]
.LBB24_410:
	v_cndmask_b32_e64 v19, 0, 1, s[10:11]
	v_lshlrev_b16_e32 v19, 8, v19
	v_or_b32_sdwa v19, v2, v19 dst_sel:DWORD dst_unused:UNUSED_PAD src0_sel:BYTE_0 src1_sel:DWORD
	v_and_b32_e32 v19, 0xffff, v19
	s_mov_b32 s6, 0xffff0000
	v_and_or_b32 v2, v2, s6, v19
.LBB24_411:
	s_or_b64 exec, exec, s[4:5]
	v_or_b32_e32 v19, 0xa00, v0
	v_cmp_gt_i32_e32 vcc, s2, v19
	s_and_saveexec_b64 s[4:5], vcc
	s_cbranch_execz .LBB24_426
; %bb.412:
	s_cmp_lt_i32 s3, 1
	s_mov_b64 s[6:7], 0
	s_cbranch_scc1 .LBB24_417
; %bb.413:
	s_cmp_gt_i32 s3, 1
	s_cbranch_scc0 .LBB24_418
; %bb.414:
	s_cmp_eq_u32 s3, 2
	s_cbranch_scc0 .LBB24_544
; %bb.415:
	v_cmp_le_i16_sdwa s[10:11], sext(v18), sext(v17) src0_sel:BYTE_0 src1_sel:BYTE_0
	s_mov_b64 s[12:13], 0
	s_branch .LBB24_420
.LBB24_416:
	v_cmp_lt_i16_sdwa s[12:13], sext(v20), sext(v19) src0_sel:BYTE_0 src1_sel:BYTE_0
	s_andn2_b64 s[10:11], s[10:11], exec
	s_and_b64 s[12:13], s[12:13], exec
	s_or_b64 s[10:11], s[10:11], s[12:13]
	s_cbranch_execz .LBB24_409
	s_branch .LBB24_410
.LBB24_417:
                                        ; implicit-def: $sgpr10_sgpr11
	s_mov_b64 s[12:13], 0
	s_cbranch_execnz .LBB24_421
	s_branch .LBB24_422
.LBB24_418:
	s_mov_b64 s[12:13], 0
                                        ; implicit-def: $sgpr10_sgpr11
	s_cbranch_execz .LBB24_420
; %bb.419:
	v_cmp_gt_i16_sdwa s[14:15], sext(v18), sext(v17) src0_sel:BYTE_0 src1_sel:BYTE_0
	s_andn2_b64 s[10:11], s[10:11], exec
	s_and_b64 s[14:15], s[14:15], exec
	s_or_b64 s[10:11], s[10:11], s[14:15]
.LBB24_420:
	s_branch .LBB24_422
.LBB24_421:
	s_cmp_lg_u32 s3, 0
	s_mov_b64 s[6:7], -1
	s_cselect_b64 s[12:13], -1, 0
.LBB24_422:
	s_andn2_b64 vcc, exec, s[12:13]
	s_cbranch_vccz .LBB24_431
; %bb.423:
	s_andn2_b64 vcc, exec, s[6:7]
	s_cbranch_vccnz .LBB24_425
.LBB24_424:
	v_cmp_ge_i16_sdwa s[6:7], sext(v18), sext(v17) src0_sel:BYTE_0 src1_sel:BYTE_0
	s_andn2_b64 s[10:11], s[10:11], exec
	s_and_b64 s[6:7], s[6:7], exec
	s_or_b64 s[10:11], s[10:11], s[6:7]
.LBB24_425:
	s_movk_i32 s6, 0xff00
	v_and_b32_sdwa v17, v2, s6 dst_sel:DWORD dst_unused:UNUSED_PAD src0_sel:WORD_1 src1_sel:DWORD
	v_cndmask_b32_e64 v18, 0, 1, s[10:11]
	v_or_b32_sdwa v17, v18, v17 dst_sel:WORD_1 dst_unused:UNUSED_PAD src0_sel:DWORD src1_sel:DWORD
	s_mov_b32 s6, 0xffff
	v_and_or_b32 v2, v2, s6, v17
.LBB24_426:
	s_or_b64 exec, exec, s[4:5]
	v_or_b32_e32 v17, 0xb00, v0
	v_cmp_gt_i32_e32 vcc, s2, v17
	s_and_saveexec_b64 s[4:5], vcc
	s_cbranch_execz .LBB24_441
; %bb.427:
	s_cmp_lt_i32 s3, 1
	s_mov_b64 s[6:7], 0
	s_cbranch_scc1 .LBB24_432
; %bb.428:
	s_cmp_gt_i32 s3, 1
	s_cbranch_scc0 .LBB24_433
; %bb.429:
	s_cmp_eq_u32 s3, 2
	s_cbranch_scc0 .LBB24_545
; %bb.430:
	v_cmp_le_i16_sdwa s[10:11], sext(v16), sext(v15) src0_sel:BYTE_0 src1_sel:BYTE_0
	s_mov_b64 s[12:13], 0
	s_branch .LBB24_435
.LBB24_431:
	v_cmp_lt_i16_sdwa s[12:13], sext(v18), sext(v17) src0_sel:BYTE_0 src1_sel:BYTE_0
	s_andn2_b64 s[10:11], s[10:11], exec
	s_and_b64 s[12:13], s[12:13], exec
	s_or_b64 s[10:11], s[10:11], s[12:13]
	s_cbranch_execz .LBB24_424
	s_branch .LBB24_425
.LBB24_432:
                                        ; implicit-def: $sgpr10_sgpr11
	s_mov_b64 s[12:13], 0
	s_cbranch_execnz .LBB24_436
	s_branch .LBB24_437
.LBB24_433:
	s_mov_b64 s[12:13], 0
                                        ; implicit-def: $sgpr10_sgpr11
	s_cbranch_execz .LBB24_435
; %bb.434:
	v_cmp_gt_i16_sdwa s[14:15], sext(v16), sext(v15) src0_sel:BYTE_0 src1_sel:BYTE_0
	s_andn2_b64 s[10:11], s[10:11], exec
	s_and_b64 s[14:15], s[14:15], exec
	s_or_b64 s[10:11], s[10:11], s[14:15]
.LBB24_435:
	s_branch .LBB24_437
.LBB24_436:
	s_cmp_lg_u32 s3, 0
	s_mov_b64 s[6:7], -1
	s_cselect_b64 s[12:13], -1, 0
.LBB24_437:
	s_andn2_b64 vcc, exec, s[12:13]
	s_cbranch_vccz .LBB24_446
; %bb.438:
	s_andn2_b64 vcc, exec, s[6:7]
	s_cbranch_vccnz .LBB24_440
.LBB24_439:
	v_cmp_ge_i16_sdwa s[6:7], sext(v16), sext(v15) src0_sel:BYTE_0 src1_sel:BYTE_0
	s_andn2_b64 s[10:11], s[10:11], exec
	s_and_b64 s[6:7], s[6:7], exec
	s_or_b64 s[10:11], s[10:11], s[6:7]
.LBB24_440:
	s_movk_i32 s6, 0xff
	v_cndmask_b32_e64 v16, 0, 1, s[10:11]
	v_and_b32_sdwa v15, v2, s6 dst_sel:DWORD dst_unused:UNUSED_PAD src0_sel:WORD_1 src1_sel:DWORD
	v_lshlrev_b16_e32 v16, 8, v16
	v_or_b32_sdwa v15, v15, v16 dst_sel:WORD_1 dst_unused:UNUSED_PAD src0_sel:DWORD src1_sel:DWORD
	s_mov_b32 s6, 0xffff
	v_and_or_b32 v2, v2, s6, v15
.LBB24_441:
	s_or_b64 exec, exec, s[4:5]
	v_or_b32_e32 v15, 0xc00, v0
	v_cmp_gt_i32_e32 vcc, s2, v15
	s_and_saveexec_b64 s[4:5], vcc
	s_cbranch_execz .LBB24_456
; %bb.442:
	s_cmp_lt_i32 s3, 1
	s_mov_b64 s[6:7], 0
	s_cbranch_scc1 .LBB24_447
; %bb.443:
	s_cmp_gt_i32 s3, 1
	s_cbranch_scc0 .LBB24_448
; %bb.444:
	s_cmp_eq_u32 s3, 2
	s_cbranch_scc0 .LBB24_546
; %bb.445:
	v_cmp_le_i16_sdwa s[10:11], sext(v14), sext(v13) src0_sel:BYTE_0 src1_sel:BYTE_0
	s_mov_b64 s[12:13], 0
	s_branch .LBB24_450
.LBB24_446:
	v_cmp_lt_i16_sdwa s[12:13], sext(v16), sext(v15) src0_sel:BYTE_0 src1_sel:BYTE_0
	s_andn2_b64 s[10:11], s[10:11], exec
	s_and_b64 s[12:13], s[12:13], exec
	s_or_b64 s[10:11], s[10:11], s[12:13]
	s_cbranch_execz .LBB24_439
	s_branch .LBB24_440
.LBB24_447:
                                        ; implicit-def: $sgpr10_sgpr11
	s_mov_b64 s[12:13], 0
	s_cbranch_execnz .LBB24_451
	s_branch .LBB24_452
.LBB24_448:
	s_mov_b64 s[12:13], 0
                                        ; implicit-def: $sgpr10_sgpr11
	s_cbranch_execz .LBB24_450
; %bb.449:
	v_cmp_gt_i16_sdwa s[14:15], sext(v14), sext(v13) src0_sel:BYTE_0 src1_sel:BYTE_0
	s_andn2_b64 s[10:11], s[10:11], exec
	s_and_b64 s[14:15], s[14:15], exec
	s_or_b64 s[10:11], s[10:11], s[14:15]
.LBB24_450:
	s_branch .LBB24_452
.LBB24_451:
	s_cmp_lg_u32 s3, 0
	s_mov_b64 s[6:7], -1
	s_cselect_b64 s[12:13], -1, 0
.LBB24_452:
	s_andn2_b64 vcc, exec, s[12:13]
	s_cbranch_vccz .LBB24_461
; %bb.453:
	s_andn2_b64 vcc, exec, s[6:7]
	s_cbranch_vccnz .LBB24_455
.LBB24_454:
	v_cmp_ge_i16_sdwa s[6:7], sext(v14), sext(v13) src0_sel:BYTE_0 src1_sel:BYTE_0
	s_andn2_b64 s[10:11], s[10:11], exec
	s_and_b64 s[6:7], s[6:7], exec
	s_or_b64 s[10:11], s[10:11], s[6:7]
.LBB24_455:
	v_and_b32_e32 v13, 0xffffff00, v1
	v_cndmask_b32_e64 v14, 0, 1, s[10:11]
	v_or_b32_e32 v13, v14, v13
	v_and_b32_e32 v13, 0xffff, v13
	s_mov_b32 s6, 0xffff0000
	v_and_or_b32 v1, v1, s6, v13
.LBB24_456:
	s_or_b64 exec, exec, s[4:5]
	v_or_b32_e32 v13, 0xd00, v0
	v_cmp_gt_i32_e32 vcc, s2, v13
	s_and_saveexec_b64 s[4:5], vcc
	s_cbranch_execz .LBB24_471
; %bb.457:
	s_cmp_lt_i32 s3, 1
	s_mov_b64 s[6:7], 0
	s_cbranch_scc1 .LBB24_462
; %bb.458:
	s_cmp_gt_i32 s3, 1
	s_cbranch_scc0 .LBB24_463
; %bb.459:
	s_cmp_eq_u32 s3, 2
	s_cbranch_scc0 .LBB24_547
; %bb.460:
	v_cmp_le_i16_sdwa s[10:11], sext(v12), sext(v11) src0_sel:BYTE_0 src1_sel:BYTE_0
	s_mov_b64 s[12:13], 0
	s_branch .LBB24_465
.LBB24_461:
	v_cmp_lt_i16_sdwa s[12:13], sext(v14), sext(v13) src0_sel:BYTE_0 src1_sel:BYTE_0
	s_andn2_b64 s[10:11], s[10:11], exec
	s_and_b64 s[12:13], s[12:13], exec
	s_or_b64 s[10:11], s[10:11], s[12:13]
	s_cbranch_execz .LBB24_454
	s_branch .LBB24_455
.LBB24_462:
                                        ; implicit-def: $sgpr10_sgpr11
	s_mov_b64 s[12:13], 0
	s_cbranch_execnz .LBB24_466
	s_branch .LBB24_467
.LBB24_463:
	s_mov_b64 s[12:13], 0
                                        ; implicit-def: $sgpr10_sgpr11
	s_cbranch_execz .LBB24_465
; %bb.464:
	v_cmp_gt_i16_sdwa s[14:15], sext(v12), sext(v11) src0_sel:BYTE_0 src1_sel:BYTE_0
	s_andn2_b64 s[10:11], s[10:11], exec
	s_and_b64 s[14:15], s[14:15], exec
	s_or_b64 s[10:11], s[10:11], s[14:15]
.LBB24_465:
	s_branch .LBB24_467
.LBB24_466:
	s_cmp_lg_u32 s3, 0
	s_mov_b64 s[6:7], -1
	s_cselect_b64 s[12:13], -1, 0
.LBB24_467:
	s_andn2_b64 vcc, exec, s[12:13]
	s_cbranch_vccz .LBB24_476
; %bb.468:
	s_andn2_b64 vcc, exec, s[6:7]
	s_cbranch_vccnz .LBB24_470
.LBB24_469:
	v_cmp_ge_i16_sdwa s[6:7], sext(v12), sext(v11) src0_sel:BYTE_0 src1_sel:BYTE_0
	s_andn2_b64 s[10:11], s[10:11], exec
	s_and_b64 s[6:7], s[6:7], exec
	s_or_b64 s[10:11], s[10:11], s[6:7]
.LBB24_470:
	v_cndmask_b32_e64 v11, 0, 1, s[10:11]
	v_lshlrev_b16_e32 v11, 8, v11
	v_or_b32_sdwa v11, v1, v11 dst_sel:DWORD dst_unused:UNUSED_PAD src0_sel:BYTE_0 src1_sel:DWORD
	v_and_b32_e32 v11, 0xffff, v11
	s_mov_b32 s6, 0xffff0000
	v_and_or_b32 v1, v1, s6, v11
.LBB24_471:
	s_or_b64 exec, exec, s[4:5]
	v_or_b32_e32 v11, 0xe00, v0
	v_cmp_gt_i32_e32 vcc, s2, v11
	s_and_saveexec_b64 s[4:5], vcc
	s_cbranch_execz .LBB24_486
; %bb.472:
	s_cmp_lt_i32 s3, 1
	s_mov_b64 s[6:7], 0
	s_cbranch_scc1 .LBB24_477
; %bb.473:
	s_cmp_gt_i32 s3, 1
	s_cbranch_scc0 .LBB24_478
; %bb.474:
	s_cmp_eq_u32 s3, 2
	s_cbranch_scc0 .LBB24_548
; %bb.475:
	v_cmp_le_i16_sdwa s[10:11], sext(v10), sext(v9) src0_sel:BYTE_0 src1_sel:BYTE_0
	s_mov_b64 s[12:13], 0
	s_branch .LBB24_480
.LBB24_476:
	v_cmp_lt_i16_sdwa s[12:13], sext(v12), sext(v11) src0_sel:BYTE_0 src1_sel:BYTE_0
	s_andn2_b64 s[10:11], s[10:11], exec
	s_and_b64 s[12:13], s[12:13], exec
	s_or_b64 s[10:11], s[10:11], s[12:13]
	s_cbranch_execz .LBB24_469
	s_branch .LBB24_470
.LBB24_477:
                                        ; implicit-def: $sgpr10_sgpr11
	s_mov_b64 s[12:13], 0
	s_cbranch_execnz .LBB24_481
	s_branch .LBB24_482
.LBB24_478:
	s_mov_b64 s[12:13], 0
                                        ; implicit-def: $sgpr10_sgpr11
	s_cbranch_execz .LBB24_480
; %bb.479:
	v_cmp_gt_i16_sdwa s[14:15], sext(v10), sext(v9) src0_sel:BYTE_0 src1_sel:BYTE_0
	s_andn2_b64 s[10:11], s[10:11], exec
	s_and_b64 s[14:15], s[14:15], exec
	s_or_b64 s[10:11], s[10:11], s[14:15]
.LBB24_480:
	s_branch .LBB24_482
.LBB24_481:
	s_cmp_lg_u32 s3, 0
	s_mov_b64 s[6:7], -1
	s_cselect_b64 s[12:13], -1, 0
.LBB24_482:
	s_andn2_b64 vcc, exec, s[12:13]
	s_cbranch_vccz .LBB24_491
; %bb.483:
	s_andn2_b64 vcc, exec, s[6:7]
	s_cbranch_vccnz .LBB24_485
.LBB24_484:
	v_cmp_ge_i16_sdwa s[6:7], sext(v10), sext(v9) src0_sel:BYTE_0 src1_sel:BYTE_0
	s_andn2_b64 s[10:11], s[10:11], exec
	s_and_b64 s[6:7], s[6:7], exec
	s_or_b64 s[10:11], s[10:11], s[6:7]
.LBB24_485:
	s_movk_i32 s6, 0xff00
	v_and_b32_sdwa v9, v1, s6 dst_sel:DWORD dst_unused:UNUSED_PAD src0_sel:WORD_1 src1_sel:DWORD
	v_cndmask_b32_e64 v10, 0, 1, s[10:11]
	v_or_b32_sdwa v9, v10, v9 dst_sel:WORD_1 dst_unused:UNUSED_PAD src0_sel:DWORD src1_sel:DWORD
	s_mov_b32 s6, 0xffff
	v_and_or_b32 v1, v1, s6, v9
.LBB24_486:
	s_or_b64 exec, exec, s[4:5]
	v_or_b32_e32 v9, 0xf00, v0
	v_cmp_gt_i32_e32 vcc, s2, v9
	s_and_saveexec_b64 s[4:5], vcc
	s_cbranch_execz .LBB24_501
; %bb.487:
	s_cmp_lt_i32 s3, 1
	s_mov_b64 s[6:7], 0
	s_cbranch_scc1 .LBB24_492
; %bb.488:
	s_cmp_gt_i32 s3, 1
	s_cbranch_scc0 .LBB24_493
; %bb.489:
	s_cmp_eq_u32 s3, 2
	s_cbranch_scc0 .LBB24_549
; %bb.490:
	v_cmp_le_i16_sdwa s[10:11], sext(v8), sext(v7) src0_sel:BYTE_0 src1_sel:BYTE_0
	s_mov_b64 s[12:13], 0
	s_branch .LBB24_495
.LBB24_491:
	v_cmp_lt_i16_sdwa s[12:13], sext(v10), sext(v9) src0_sel:BYTE_0 src1_sel:BYTE_0
	s_andn2_b64 s[10:11], s[10:11], exec
	s_and_b64 s[12:13], s[12:13], exec
	s_or_b64 s[10:11], s[10:11], s[12:13]
	s_cbranch_execz .LBB24_484
	s_branch .LBB24_485
.LBB24_492:
                                        ; implicit-def: $sgpr10_sgpr11
	s_mov_b64 s[12:13], 0
	s_cbranch_execnz .LBB24_496
	s_branch .LBB24_497
.LBB24_493:
	s_mov_b64 s[12:13], 0
                                        ; implicit-def: $sgpr10_sgpr11
	s_cbranch_execz .LBB24_495
; %bb.494:
	v_cmp_gt_i16_sdwa s[14:15], sext(v8), sext(v7) src0_sel:BYTE_0 src1_sel:BYTE_0
	s_andn2_b64 s[10:11], s[10:11], exec
	s_and_b64 s[14:15], s[14:15], exec
	s_or_b64 s[10:11], s[10:11], s[14:15]
.LBB24_495:
	s_branch .LBB24_497
.LBB24_496:
	s_cmp_lg_u32 s3, 0
	s_mov_b64 s[6:7], -1
	s_cselect_b64 s[12:13], -1, 0
.LBB24_497:
	s_andn2_b64 vcc, exec, s[12:13]
	s_cbranch_vccz .LBB24_534
; %bb.498:
	s_andn2_b64 vcc, exec, s[6:7]
	s_cbranch_vccnz .LBB24_500
.LBB24_499:
	v_cmp_ge_i16_sdwa s[6:7], sext(v8), sext(v7) src0_sel:BYTE_0 src1_sel:BYTE_0
	s_andn2_b64 s[10:11], s[10:11], exec
	s_and_b64 s[6:7], s[6:7], exec
	s_or_b64 s[10:11], s[10:11], s[6:7]
.LBB24_500:
	s_movk_i32 s3, 0xff
	v_cndmask_b32_e64 v8, 0, 1, s[10:11]
	v_and_b32_sdwa v7, v1, s3 dst_sel:DWORD dst_unused:UNUSED_PAD src0_sel:WORD_1 src1_sel:DWORD
	v_lshlrev_b16_e32 v8, 8, v8
	v_or_b32_sdwa v7, v7, v8 dst_sel:WORD_1 dst_unused:UNUSED_PAD src0_sel:DWORD src1_sel:DWORD
	s_mov_b32 s3, 0xffff
	v_and_or_b32 v1, v1, s3, v7
.LBB24_501:
	s_or_b64 exec, exec, s[4:5]
	s_and_saveexec_b64 s[4:5], s[0:1]
	s_xor_b64 s[0:1], exec, s[4:5]
	s_cbranch_execz .LBB24_503
; %bb.502:
	v_mov_b32_e32 v0, v4
	global_store_byte v5, v6, s[8:9]
.LBB24_503:
	s_or_b64 exec, exec, s[0:1]
	v_cmp_gt_i32_e32 vcc, s2, v0
	s_and_saveexec_b64 s[0:1], vcc
	s_cbranch_execnz .LBB24_520
; %bb.504:
	s_or_b64 exec, exec, s[0:1]
	v_cmp_gt_i32_e32 vcc, s2, v0
	s_and_saveexec_b64 s[0:1], vcc
	s_cbranch_execnz .LBB24_521
.LBB24_505:
	s_or_b64 exec, exec, s[0:1]
	v_cmp_gt_i32_e32 vcc, s2, v0
	s_and_saveexec_b64 s[0:1], vcc
	s_cbranch_execnz .LBB24_522
.LBB24_506:
	s_or_b64 exec, exec, s[0:1]
	v_cmp_gt_i32_e32 vcc, s2, v0
	s_and_saveexec_b64 s[0:1], vcc
	s_cbranch_execnz .LBB24_523
.LBB24_507:
	s_or_b64 exec, exec, s[0:1]
	v_cmp_gt_i32_e32 vcc, s2, v0
	s_and_saveexec_b64 s[0:1], vcc
	s_cbranch_execnz .LBB24_524
.LBB24_508:
	s_or_b64 exec, exec, s[0:1]
	v_cmp_gt_i32_e32 vcc, s2, v0
	s_and_saveexec_b64 s[0:1], vcc
	s_cbranch_execnz .LBB24_525
.LBB24_509:
	s_or_b64 exec, exec, s[0:1]
	v_cmp_gt_i32_e32 vcc, s2, v0
	s_and_saveexec_b64 s[0:1], vcc
	s_cbranch_execnz .LBB24_526
.LBB24_510:
	s_or_b64 exec, exec, s[0:1]
	v_cmp_gt_i32_e32 vcc, s2, v0
	s_and_saveexec_b64 s[0:1], vcc
	s_cbranch_execnz .LBB24_527
.LBB24_511:
	s_or_b64 exec, exec, s[0:1]
	v_cmp_gt_i32_e32 vcc, s2, v0
	s_and_saveexec_b64 s[0:1], vcc
	s_cbranch_execnz .LBB24_528
.LBB24_512:
	s_or_b64 exec, exec, s[0:1]
	v_cmp_gt_i32_e32 vcc, s2, v0
	s_and_saveexec_b64 s[0:1], vcc
	s_cbranch_execnz .LBB24_529
.LBB24_513:
	s_or_b64 exec, exec, s[0:1]
	v_cmp_gt_i32_e32 vcc, s2, v0
	s_and_saveexec_b64 s[0:1], vcc
	s_cbranch_execnz .LBB24_530
.LBB24_514:
	s_or_b64 exec, exec, s[0:1]
	v_cmp_gt_i32_e32 vcc, s2, v0
	s_and_saveexec_b64 s[0:1], vcc
	s_cbranch_execnz .LBB24_531
.LBB24_515:
	s_or_b64 exec, exec, s[0:1]
	v_cmp_gt_i32_e32 vcc, s2, v0
	s_and_saveexec_b64 s[0:1], vcc
	s_cbranch_execnz .LBB24_532
.LBB24_516:
	s_or_b64 exec, exec, s[0:1]
	v_cmp_gt_i32_e32 vcc, s2, v0
	s_and_saveexec_b64 s[0:1], vcc
	s_cbranch_execnz .LBB24_533
.LBB24_517:
	s_or_b64 exec, exec, s[0:1]
	v_cmp_gt_i32_e32 vcc, s2, v0
	s_and_saveexec_b64 s[0:1], vcc
	s_cbranch_execz .LBB24_519
.LBB24_518:
	v_lshrrev_b32_e32 v1, 24, v1
	v_add_u32_e32 v0, s33, v0
	global_store_byte v0, v1, s[8:9]
.LBB24_519:
	s_endpgm
.LBB24_520:
	v_lshrrev_b32_e32 v4, 8, v6
	v_add_u32_e32 v5, s33, v0
	v_add_u32_e32 v0, 0x100, v0
	global_store_byte v5, v4, s[8:9]
	s_or_b64 exec, exec, s[0:1]
	v_cmp_gt_i32_e32 vcc, s2, v0
	s_and_saveexec_b64 s[0:1], vcc
	s_cbranch_execz .LBB24_505
.LBB24_521:
	v_add_u32_e32 v4, s33, v0
	v_add_u32_e32 v0, 0x100, v0
	global_store_byte_d16_hi v4, v6, s[8:9]
	s_or_b64 exec, exec, s[0:1]
	v_cmp_gt_i32_e32 vcc, s2, v0
	s_and_saveexec_b64 s[0:1], vcc
	s_cbranch_execz .LBB24_506
.LBB24_522:
	v_lshrrev_b32_e32 v4, 24, v6
	v_add_u32_e32 v5, s33, v0
	v_add_u32_e32 v0, 0x100, v0
	global_store_byte v5, v4, s[8:9]
	s_or_b64 exec, exec, s[0:1]
	v_cmp_gt_i32_e32 vcc, s2, v0
	s_and_saveexec_b64 s[0:1], vcc
	s_cbranch_execz .LBB24_507
.LBB24_523:
	v_add_u32_e32 v4, s33, v0
	v_add_u32_e32 v0, 0x100, v0
	global_store_byte v4, v3, s[8:9]
	s_or_b64 exec, exec, s[0:1]
	v_cmp_gt_i32_e32 vcc, s2, v0
	s_and_saveexec_b64 s[0:1], vcc
	s_cbranch_execz .LBB24_508
.LBB24_524:
	v_lshrrev_b32_e32 v4, 8, v3
	v_add_u32_e32 v5, s33, v0
	v_add_u32_e32 v0, 0x100, v0
	global_store_byte v5, v4, s[8:9]
	s_or_b64 exec, exec, s[0:1]
	v_cmp_gt_i32_e32 vcc, s2, v0
	s_and_saveexec_b64 s[0:1], vcc
	s_cbranch_execz .LBB24_509
.LBB24_525:
	v_add_u32_e32 v4, s33, v0
	v_add_u32_e32 v0, 0x100, v0
	global_store_byte_d16_hi v4, v3, s[8:9]
	s_or_b64 exec, exec, s[0:1]
	v_cmp_gt_i32_e32 vcc, s2, v0
	s_and_saveexec_b64 s[0:1], vcc
	s_cbranch_execz .LBB24_510
.LBB24_526:
	v_lshrrev_b32_e32 v3, 24, v3
	v_add_u32_e32 v4, s33, v0
	v_add_u32_e32 v0, 0x100, v0
	global_store_byte v4, v3, s[8:9]
	s_or_b64 exec, exec, s[0:1]
	v_cmp_gt_i32_e32 vcc, s2, v0
	s_and_saveexec_b64 s[0:1], vcc
	s_cbranch_execz .LBB24_511
.LBB24_527:
	v_add_u32_e32 v3, s33, v0
	v_add_u32_e32 v0, 0x100, v0
	global_store_byte v3, v2, s[8:9]
	s_or_b64 exec, exec, s[0:1]
	v_cmp_gt_i32_e32 vcc, s2, v0
	s_and_saveexec_b64 s[0:1], vcc
	s_cbranch_execz .LBB24_512
.LBB24_528:
	v_lshrrev_b32_e32 v3, 8, v2
	v_add_u32_e32 v4, s33, v0
	v_add_u32_e32 v0, 0x100, v0
	global_store_byte v4, v3, s[8:9]
	s_or_b64 exec, exec, s[0:1]
	v_cmp_gt_i32_e32 vcc, s2, v0
	s_and_saveexec_b64 s[0:1], vcc
	s_cbranch_execz .LBB24_513
.LBB24_529:
	v_add_u32_e32 v3, s33, v0
	v_add_u32_e32 v0, 0x100, v0
	global_store_byte_d16_hi v3, v2, s[8:9]
	s_or_b64 exec, exec, s[0:1]
	v_cmp_gt_i32_e32 vcc, s2, v0
	s_and_saveexec_b64 s[0:1], vcc
	s_cbranch_execz .LBB24_514
.LBB24_530:
	v_lshrrev_b32_e32 v2, 24, v2
	v_add_u32_e32 v3, s33, v0
	v_add_u32_e32 v0, 0x100, v0
	global_store_byte v3, v2, s[8:9]
	s_or_b64 exec, exec, s[0:1]
	v_cmp_gt_i32_e32 vcc, s2, v0
	s_and_saveexec_b64 s[0:1], vcc
	s_cbranch_execz .LBB24_515
.LBB24_531:
	v_add_u32_e32 v2, s33, v0
	v_add_u32_e32 v0, 0x100, v0
	global_store_byte v2, v1, s[8:9]
	s_or_b64 exec, exec, s[0:1]
	v_cmp_gt_i32_e32 vcc, s2, v0
	s_and_saveexec_b64 s[0:1], vcc
	s_cbranch_execz .LBB24_516
.LBB24_532:
	v_lshrrev_b32_e32 v2, 8, v1
	v_add_u32_e32 v3, s33, v0
	v_add_u32_e32 v0, 0x100, v0
	global_store_byte v3, v2, s[8:9]
	s_or_b64 exec, exec, s[0:1]
	v_cmp_gt_i32_e32 vcc, s2, v0
	s_and_saveexec_b64 s[0:1], vcc
	s_cbranch_execz .LBB24_517
.LBB24_533:
	v_add_u32_e32 v2, s33, v0
	v_add_u32_e32 v0, 0x100, v0
	global_store_byte_d16_hi v2, v1, s[8:9]
	s_or_b64 exec, exec, s[0:1]
	v_cmp_gt_i32_e32 vcc, s2, v0
	s_and_saveexec_b64 s[0:1], vcc
	s_cbranch_execnz .LBB24_518
	s_branch .LBB24_519
.LBB24_534:
	v_cmp_lt_i16_sdwa s[12:13], sext(v8), sext(v7) src0_sel:BYTE_0 src1_sel:BYTE_0
	s_andn2_b64 s[10:11], s[10:11], exec
	s_and_b64 s[12:13], s[12:13], exec
	s_or_b64 s[10:11], s[10:11], s[12:13]
	s_cbranch_execz .LBB24_499
	s_branch .LBB24_500
.LBB24_535:
	s_mov_b64 s[12:13], -1
                                        ; implicit-def: $sgpr10_sgpr11
	s_branch .LBB24_285
.LBB24_536:
	s_mov_b64 s[12:13], -1
                                        ; implicit-def: $sgpr10_sgpr11
	s_branch .LBB24_300
.LBB24_537:
	s_mov_b64 s[12:13], -1
                                        ; implicit-def: $sgpr10_sgpr11
	s_branch .LBB24_315
.LBB24_538:
	s_mov_b64 s[12:13], -1
                                        ; implicit-def: $sgpr10_sgpr11
	s_branch .LBB24_330
.LBB24_539:
	s_mov_b64 s[12:13], -1
                                        ; implicit-def: $sgpr10_sgpr11
	s_branch .LBB24_345
.LBB24_540:
	s_mov_b64 s[12:13], -1
                                        ; implicit-def: $sgpr10_sgpr11
	s_branch .LBB24_360
.LBB24_541:
	s_mov_b64 s[12:13], -1
                                        ; implicit-def: $sgpr10_sgpr11
	s_branch .LBB24_375
.LBB24_542:
	s_mov_b64 s[12:13], -1
                                        ; implicit-def: $sgpr10_sgpr11
	s_branch .LBB24_390
.LBB24_543:
	s_mov_b64 s[12:13], -1
                                        ; implicit-def: $sgpr10_sgpr11
	s_branch .LBB24_405
.LBB24_544:
	s_mov_b64 s[12:13], -1
                                        ; implicit-def: $sgpr10_sgpr11
	s_branch .LBB24_420
.LBB24_545:
	s_mov_b64 s[12:13], -1
                                        ; implicit-def: $sgpr10_sgpr11
	s_branch .LBB24_435
.LBB24_546:
	s_mov_b64 s[12:13], -1
                                        ; implicit-def: $sgpr10_sgpr11
	s_branch .LBB24_450
.LBB24_547:
	s_mov_b64 s[12:13], -1
                                        ; implicit-def: $sgpr10_sgpr11
	s_branch .LBB24_465
.LBB24_548:
	s_mov_b64 s[12:13], -1
                                        ; implicit-def: $sgpr10_sgpr11
	s_branch .LBB24_480
.LBB24_549:
	s_mov_b64 s[12:13], -1
                                        ; implicit-def: $sgpr10_sgpr11
	s_branch .LBB24_495
	.section	.rodata,"a",@progbits
	.p2align	6, 0x0
	.amdhsa_kernel _ZN2at6native29vectorized_elementwise_kernelILi16ENS0_12_GLOBAL__N_114CompareFunctorIaEESt5arrayIPcLm3EEEEviT0_T1_
		.amdhsa_group_segment_fixed_size 0
		.amdhsa_private_segment_fixed_size 0
		.amdhsa_kernarg_size 32
		.amdhsa_user_sgpr_count 6
		.amdhsa_user_sgpr_private_segment_buffer 1
		.amdhsa_user_sgpr_dispatch_ptr 0
		.amdhsa_user_sgpr_queue_ptr 0
		.amdhsa_user_sgpr_kernarg_segment_ptr 1
		.amdhsa_user_sgpr_dispatch_id 0
		.amdhsa_user_sgpr_flat_scratch_init 0
		.amdhsa_user_sgpr_private_segment_size 0
		.amdhsa_uses_dynamic_stack 0
		.amdhsa_system_sgpr_private_segment_wavefront_offset 0
		.amdhsa_system_sgpr_workgroup_id_x 1
		.amdhsa_system_sgpr_workgroup_id_y 0
		.amdhsa_system_sgpr_workgroup_id_z 0
		.amdhsa_system_sgpr_workgroup_info 0
		.amdhsa_system_vgpr_workitem_id 0
		.amdhsa_next_free_vgpr 39
		.amdhsa_next_free_sgpr 49
		.amdhsa_reserve_vcc 1
		.amdhsa_reserve_flat_scratch 0
		.amdhsa_float_round_mode_32 0
		.amdhsa_float_round_mode_16_64 0
		.amdhsa_float_denorm_mode_32 3
		.amdhsa_float_denorm_mode_16_64 3
		.amdhsa_dx10_clamp 1
		.amdhsa_ieee_mode 1
		.amdhsa_fp16_overflow 0
		.amdhsa_exception_fp_ieee_invalid_op 0
		.amdhsa_exception_fp_denorm_src 0
		.amdhsa_exception_fp_ieee_div_zero 0
		.amdhsa_exception_fp_ieee_overflow 0
		.amdhsa_exception_fp_ieee_underflow 0
		.amdhsa_exception_fp_ieee_inexact 0
		.amdhsa_exception_int_div_zero 0
	.end_amdhsa_kernel
	.section	.text._ZN2at6native29vectorized_elementwise_kernelILi16ENS0_12_GLOBAL__N_114CompareFunctorIaEESt5arrayIPcLm3EEEEviT0_T1_,"axG",@progbits,_ZN2at6native29vectorized_elementwise_kernelILi16ENS0_12_GLOBAL__N_114CompareFunctorIaEESt5arrayIPcLm3EEEEviT0_T1_,comdat
.Lfunc_end24:
	.size	_ZN2at6native29vectorized_elementwise_kernelILi16ENS0_12_GLOBAL__N_114CompareFunctorIaEESt5arrayIPcLm3EEEEviT0_T1_, .Lfunc_end24-_ZN2at6native29vectorized_elementwise_kernelILi16ENS0_12_GLOBAL__N_114CompareFunctorIaEESt5arrayIPcLm3EEEEviT0_T1_
                                        ; -- End function
	.set _ZN2at6native29vectorized_elementwise_kernelILi16ENS0_12_GLOBAL__N_114CompareFunctorIaEESt5arrayIPcLm3EEEEviT0_T1_.num_vgpr, 39
	.set _ZN2at6native29vectorized_elementwise_kernelILi16ENS0_12_GLOBAL__N_114CompareFunctorIaEESt5arrayIPcLm3EEEEviT0_T1_.num_agpr, 0
	.set _ZN2at6native29vectorized_elementwise_kernelILi16ENS0_12_GLOBAL__N_114CompareFunctorIaEESt5arrayIPcLm3EEEEviT0_T1_.numbered_sgpr, 49
	.set _ZN2at6native29vectorized_elementwise_kernelILi16ENS0_12_GLOBAL__N_114CompareFunctorIaEESt5arrayIPcLm3EEEEviT0_T1_.num_named_barrier, 0
	.set _ZN2at6native29vectorized_elementwise_kernelILi16ENS0_12_GLOBAL__N_114CompareFunctorIaEESt5arrayIPcLm3EEEEviT0_T1_.private_seg_size, 0
	.set _ZN2at6native29vectorized_elementwise_kernelILi16ENS0_12_GLOBAL__N_114CompareFunctorIaEESt5arrayIPcLm3EEEEviT0_T1_.uses_vcc, 1
	.set _ZN2at6native29vectorized_elementwise_kernelILi16ENS0_12_GLOBAL__N_114CompareFunctorIaEESt5arrayIPcLm3EEEEviT0_T1_.uses_flat_scratch, 0
	.set _ZN2at6native29vectorized_elementwise_kernelILi16ENS0_12_GLOBAL__N_114CompareFunctorIaEESt5arrayIPcLm3EEEEviT0_T1_.has_dyn_sized_stack, 0
	.set _ZN2at6native29vectorized_elementwise_kernelILi16ENS0_12_GLOBAL__N_114CompareFunctorIaEESt5arrayIPcLm3EEEEviT0_T1_.has_recursion, 0
	.set _ZN2at6native29vectorized_elementwise_kernelILi16ENS0_12_GLOBAL__N_114CompareFunctorIaEESt5arrayIPcLm3EEEEviT0_T1_.has_indirect_call, 0
	.section	.AMDGPU.csdata,"",@progbits
; Kernel info:
; codeLenInByte = 9832
; TotalNumSgprs: 53
; NumVgprs: 39
; ScratchSize: 0
; MemoryBound: 1
; FloatMode: 240
; IeeeMode: 1
; LDSByteSize: 0 bytes/workgroup (compile time only)
; SGPRBlocks: 6
; VGPRBlocks: 9
; NumSGPRsForWavesPerEU: 53
; NumVGPRsForWavesPerEU: 39
; Occupancy: 6
; WaveLimiterHint : 0
; COMPUTE_PGM_RSRC2:SCRATCH_EN: 0
; COMPUTE_PGM_RSRC2:USER_SGPR: 6
; COMPUTE_PGM_RSRC2:TRAP_HANDLER: 0
; COMPUTE_PGM_RSRC2:TGID_X_EN: 1
; COMPUTE_PGM_RSRC2:TGID_Y_EN: 0
; COMPUTE_PGM_RSRC2:TGID_Z_EN: 0
; COMPUTE_PGM_RSRC2:TIDIG_COMP_CNT: 0
	.section	.text._ZN2at6native29vectorized_elementwise_kernelILi8ENS0_12_GLOBAL__N_114CompareFunctorIaEESt5arrayIPcLm3EEEEviT0_T1_,"axG",@progbits,_ZN2at6native29vectorized_elementwise_kernelILi8ENS0_12_GLOBAL__N_114CompareFunctorIaEESt5arrayIPcLm3EEEEviT0_T1_,comdat
	.globl	_ZN2at6native29vectorized_elementwise_kernelILi8ENS0_12_GLOBAL__N_114CompareFunctorIaEESt5arrayIPcLm3EEEEviT0_T1_ ; -- Begin function _ZN2at6native29vectorized_elementwise_kernelILi8ENS0_12_GLOBAL__N_114CompareFunctorIaEESt5arrayIPcLm3EEEEviT0_T1_
	.p2align	8
	.type	_ZN2at6native29vectorized_elementwise_kernelILi8ENS0_12_GLOBAL__N_114CompareFunctorIaEESt5arrayIPcLm3EEEEviT0_T1_,@function
_ZN2at6native29vectorized_elementwise_kernelILi8ENS0_12_GLOBAL__N_114CompareFunctorIaEESt5arrayIPcLm3EEEEviT0_T1_: ; @_ZN2at6native29vectorized_elementwise_kernelILi8ENS0_12_GLOBAL__N_114CompareFunctorIaEESt5arrayIPcLm3EEEEviT0_T1_
; %bb.0:
	s_load_dwordx2 s[2:3], s[4:5], 0x0
	s_load_dwordx4 s[8:11], s[4:5], 0x8
	s_load_dwordx2 s[12:13], s[4:5], 0x18
	s_lshl_b32 s33, s6, 12
	s_mov_b64 s[0:1], -1
	s_waitcnt lgkmcnt(0)
	s_sub_i32 s2, s2, s33
	s_cmpk_gt_i32 s2, 0xfff
	s_cbranch_scc0 .LBB25_211
; %bb.1:
	s_ashr_i32 s48, s33, 31
	s_add_u32 s0, s10, s33
	s_addc_u32 s1, s11, s48
	v_lshlrev_b32_e32 v9, 3, v0
	s_add_u32 s4, s12, s33
	s_addc_u32 s5, s13, s48
	global_load_dwordx2 v[5:6], v9, s[0:1]
	global_load_dwordx2 v[1:2], v9, s[0:1] offset:2048
	global_load_dwordx2 v[7:8], v9, s[4:5]
	global_load_dwordx2 v[3:4], v9, s[4:5] offset:2048
	s_cmp_lt_i32 s3, 1
	s_mov_b64 s[4:5], 0
	s_cbranch_scc1 .LBB25_5
; %bb.2:
	s_cmp_gt_i32 s3, 1
	s_cbranch_scc0 .LBB25_6
; %bb.3:
	s_cmp_eq_u32 s3, 2
	s_cbranch_scc0 .LBB25_7
; %bb.4:
	s_waitcnt vmcnt(1)
	v_cmp_le_i16_sdwa s[0:1], sext(v5), sext(v7) src0_sel:BYTE_0 src1_sel:BYTE_0
	s_mov_b64 s[6:7], 0
	s_branch .LBB25_8
.LBB25_5:
                                        ; implicit-def: $sgpr0_sgpr1
	s_mov_b64 s[6:7], 0
	s_cbranch_execnz .LBB25_11
	s_branch .LBB25_12
.LBB25_6:
	s_mov_b64 s[6:7], 0
                                        ; implicit-def: $sgpr0_sgpr1
	s_cbranch_execnz .LBB25_9
	s_branch .LBB25_10
.LBB25_7:
	s_mov_b64 s[6:7], -1
                                        ; implicit-def: $sgpr0_sgpr1
.LBB25_8:
	s_branch .LBB25_10
.LBB25_9:
	s_waitcnt vmcnt(1)
	v_cmp_gt_i16_sdwa s[14:15], sext(v5), sext(v7) src0_sel:BYTE_0 src1_sel:BYTE_0
	s_andn2_b64 s[0:1], s[0:1], exec
	s_and_b64 s[14:15], s[14:15], exec
	s_or_b64 s[0:1], s[0:1], s[14:15]
.LBB25_10:
	s_branch .LBB25_12
.LBB25_11:
	s_cmp_lg_u32 s3, 0
	s_mov_b64 s[4:5], -1
	s_cselect_b64 s[6:7], -1, 0
.LBB25_12:
	s_andn2_b64 vcc, exec, s[6:7]
	s_cbranch_vccz .LBB25_18
; %bb.13:
	s_andn2_b64 vcc, exec, s[4:5]
	s_cbranch_vccz .LBB25_19
.LBB25_14:
	s_cmp_lt_i32 s3, 1
	s_mov_b64 s[6:7], 0
	s_cbranch_scc1 .LBB25_20
.LBB25_15:
	s_cmp_gt_i32 s3, 1
	s_cbranch_scc0 .LBB25_21
; %bb.16:
	s_cmp_eq_u32 s3, 2
	s_cbranch_scc0 .LBB25_251
; %bb.17:
	s_waitcnt vmcnt(1)
	v_lshrrev_b32_e32 v9, 8, v7
	v_lshrrev_b32_e32 v10, 8, v5
	v_cmp_le_i16_sdwa s[4:5], sext(v10), sext(v9) src0_sel:BYTE_0 src1_sel:BYTE_0
	s_mov_b64 s[14:15], 0
	s_branch .LBB25_23
.LBB25_18:
	s_waitcnt vmcnt(1)
	v_cmp_lt_i16_sdwa s[6:7], sext(v5), sext(v7) src0_sel:BYTE_0 src1_sel:BYTE_0
	s_andn2_b64 s[0:1], s[0:1], exec
	s_and_b64 s[6:7], s[6:7], exec
	s_or_b64 s[0:1], s[0:1], s[6:7]
	s_cbranch_execnz .LBB25_14
.LBB25_19:
	s_waitcnt vmcnt(1)
	v_cmp_ge_i16_sdwa s[4:5], sext(v5), sext(v7) src0_sel:BYTE_0 src1_sel:BYTE_0
	s_andn2_b64 s[0:1], s[0:1], exec
	s_and_b64 s[4:5], s[4:5], exec
	s_or_b64 s[0:1], s[0:1], s[4:5]
	s_cmp_lt_i32 s3, 1
	s_mov_b64 s[6:7], 0
	s_cbranch_scc0 .LBB25_15
.LBB25_20:
                                        ; implicit-def: $sgpr4_sgpr5
	s_mov_b64 s[14:15], 0
	s_cbranch_execnz .LBB25_24
	s_branch .LBB25_25
.LBB25_21:
	s_mov_b64 s[14:15], 0
                                        ; implicit-def: $sgpr4_sgpr5
	s_cbranch_execz .LBB25_23
; %bb.22:
	s_waitcnt vmcnt(1)
	v_lshrrev_b32_e32 v9, 8, v7
	v_lshrrev_b32_e32 v10, 8, v5
	v_cmp_gt_i16_sdwa s[16:17], sext(v10), sext(v9) src0_sel:BYTE_0 src1_sel:BYTE_0
	s_andn2_b64 s[4:5], s[4:5], exec
	s_and_b64 s[16:17], s[16:17], exec
	s_or_b64 s[4:5], s[4:5], s[16:17]
.LBB25_23:
	s_branch .LBB25_25
.LBB25_24:
	s_cmp_lg_u32 s3, 0
	s_mov_b64 s[6:7], -1
	s_cselect_b64 s[14:15], -1, 0
.LBB25_25:
	s_andn2_b64 vcc, exec, s[14:15]
	s_waitcnt vmcnt(1)
	v_lshrrev_b32_e32 v9, 8, v7
	v_lshrrev_b32_e32 v10, 8, v5
	s_cbranch_vccz .LBB25_31
; %bb.26:
	s_andn2_b64 vcc, exec, s[6:7]
	s_cbranch_vccz .LBB25_32
.LBB25_27:
	s_cmp_lt_i32 s3, 1
	s_mov_b64 s[14:15], 0
	s_cbranch_scc1 .LBB25_33
.LBB25_28:
	s_cmp_gt_i32 s3, 1
	s_cbranch_scc0 .LBB25_34
; %bb.29:
	s_cmp_eq_u32 s3, 2
	s_cbranch_scc0 .LBB25_252
; %bb.30:
	v_lshrrev_b32_e32 v9, 16, v7
	v_lshrrev_b32_e32 v10, 16, v5
	v_cmp_le_i16_sdwa s[6:7], sext(v10), sext(v9) src0_sel:BYTE_0 src1_sel:BYTE_0
	s_mov_b64 s[16:17], 0
	s_branch .LBB25_36
.LBB25_31:
	v_cmp_lt_i16_sdwa s[14:15], sext(v10), sext(v9) src0_sel:BYTE_0 src1_sel:BYTE_0
	s_andn2_b64 s[4:5], s[4:5], exec
	s_and_b64 s[14:15], s[14:15], exec
	s_or_b64 s[4:5], s[4:5], s[14:15]
	s_cbranch_execnz .LBB25_27
.LBB25_32:
	v_cmp_ge_i16_sdwa s[6:7], sext(v10), sext(v9) src0_sel:BYTE_0 src1_sel:BYTE_0
	s_andn2_b64 s[4:5], s[4:5], exec
	s_and_b64 s[6:7], s[6:7], exec
	s_or_b64 s[4:5], s[4:5], s[6:7]
	s_cmp_lt_i32 s3, 1
	s_mov_b64 s[14:15], 0
	s_cbranch_scc0 .LBB25_28
.LBB25_33:
                                        ; implicit-def: $sgpr6_sgpr7
	s_mov_b64 s[16:17], 0
	s_cbranch_execnz .LBB25_37
	s_branch .LBB25_38
.LBB25_34:
	s_mov_b64 s[16:17], 0
                                        ; implicit-def: $sgpr6_sgpr7
	s_cbranch_execz .LBB25_36
; %bb.35:
	v_lshrrev_b32_e32 v9, 16, v7
	v_lshrrev_b32_e32 v10, 16, v5
	v_cmp_gt_i16_sdwa s[18:19], sext(v10), sext(v9) src0_sel:BYTE_0 src1_sel:BYTE_0
	s_andn2_b64 s[6:7], s[6:7], exec
	s_and_b64 s[18:19], s[18:19], exec
	s_or_b64 s[6:7], s[6:7], s[18:19]
.LBB25_36:
	s_branch .LBB25_38
.LBB25_37:
	s_cmp_lg_u32 s3, 0
	s_mov_b64 s[14:15], -1
	s_cselect_b64 s[16:17], -1, 0
.LBB25_38:
	s_andn2_b64 vcc, exec, s[16:17]
	v_lshrrev_b32_e32 v9, 16, v7
	v_lshrrev_b32_e32 v10, 16, v5
	s_cbranch_vccz .LBB25_44
; %bb.39:
	s_andn2_b64 vcc, exec, s[14:15]
	s_cbranch_vccz .LBB25_45
.LBB25_40:
	s_cmp_lt_i32 s3, 1
	s_mov_b64 s[16:17], 0
	s_cbranch_scc1 .LBB25_46
.LBB25_41:
	s_cmp_gt_i32 s3, 1
	s_cbranch_scc0 .LBB25_47
; %bb.42:
	s_cmp_eq_u32 s3, 2
	s_cbranch_scc0 .LBB25_253
; %bb.43:
	v_lshrrev_b32_e32 v9, 24, v7
	v_lshrrev_b32_e32 v10, 24, v5
	v_cmp_le_i16_sdwa s[14:15], sext(v10), sext(v9) src0_sel:BYTE_0 src1_sel:BYTE_0
	s_mov_b64 s[18:19], 0
	s_branch .LBB25_49
.LBB25_44:
	v_cmp_lt_i16_sdwa s[16:17], sext(v10), sext(v9) src0_sel:BYTE_0 src1_sel:BYTE_0
	s_andn2_b64 s[6:7], s[6:7], exec
	s_and_b64 s[16:17], s[16:17], exec
	s_or_b64 s[6:7], s[6:7], s[16:17]
	s_cbranch_execnz .LBB25_40
.LBB25_45:
	v_cmp_ge_i16_sdwa s[14:15], sext(v10), sext(v9) src0_sel:BYTE_0 src1_sel:BYTE_0
	s_andn2_b64 s[6:7], s[6:7], exec
	s_and_b64 s[14:15], s[14:15], exec
	s_or_b64 s[6:7], s[6:7], s[14:15]
	s_cmp_lt_i32 s3, 1
	s_mov_b64 s[16:17], 0
	s_cbranch_scc0 .LBB25_41
.LBB25_46:
                                        ; implicit-def: $sgpr14_sgpr15
	s_mov_b64 s[18:19], 0
	s_cbranch_execnz .LBB25_50
	s_branch .LBB25_51
.LBB25_47:
	s_mov_b64 s[18:19], 0
                                        ; implicit-def: $sgpr14_sgpr15
	s_cbranch_execz .LBB25_49
; %bb.48:
	v_lshrrev_b32_e32 v9, 24, v7
	v_lshrrev_b32_e32 v10, 24, v5
	v_cmp_gt_i16_sdwa s[20:21], sext(v10), sext(v9) src0_sel:BYTE_0 src1_sel:BYTE_0
	s_andn2_b64 s[14:15], s[14:15], exec
	s_and_b64 s[20:21], s[20:21], exec
	s_or_b64 s[14:15], s[14:15], s[20:21]
.LBB25_49:
	s_branch .LBB25_51
.LBB25_50:
	s_cmp_lg_u32 s3, 0
	s_mov_b64 s[16:17], -1
	s_cselect_b64 s[18:19], -1, 0
.LBB25_51:
	s_andn2_b64 vcc, exec, s[18:19]
	v_lshrrev_b32_e32 v7, 24, v7
	v_lshrrev_b32_e32 v5, 24, v5
	s_cbranch_vccz .LBB25_57
; %bb.52:
	s_andn2_b64 vcc, exec, s[16:17]
	s_cbranch_vccz .LBB25_58
.LBB25_53:
	s_cmp_lt_i32 s3, 1
	s_mov_b64 s[18:19], 0
	s_cbranch_scc1 .LBB25_59
.LBB25_54:
	s_cmp_gt_i32 s3, 1
	s_cbranch_scc0 .LBB25_60
; %bb.55:
	s_cmp_eq_u32 s3, 2
	s_cbranch_scc0 .LBB25_254
; %bb.56:
	v_cmp_le_i16_sdwa s[16:17], sext(v6), sext(v8) src0_sel:BYTE_0 src1_sel:BYTE_0
	s_mov_b64 s[20:21], 0
	s_branch .LBB25_62
.LBB25_57:
	v_cmp_lt_i16_sdwa s[18:19], sext(v5), sext(v7) src0_sel:BYTE_0 src1_sel:BYTE_0
	s_andn2_b64 s[14:15], s[14:15], exec
	s_and_b64 s[18:19], s[18:19], exec
	s_or_b64 s[14:15], s[14:15], s[18:19]
	s_cbranch_execnz .LBB25_53
.LBB25_58:
	v_cmp_ge_i16_sdwa s[16:17], sext(v5), sext(v7) src0_sel:BYTE_0 src1_sel:BYTE_0
	s_andn2_b64 s[14:15], s[14:15], exec
	s_and_b64 s[16:17], s[16:17], exec
	s_or_b64 s[14:15], s[14:15], s[16:17]
	s_cmp_lt_i32 s3, 1
	s_mov_b64 s[18:19], 0
	s_cbranch_scc0 .LBB25_54
.LBB25_59:
                                        ; implicit-def: $sgpr16_sgpr17
	s_mov_b64 s[20:21], 0
	s_cbranch_execnz .LBB25_63
	s_branch .LBB25_64
.LBB25_60:
	s_mov_b64 s[20:21], 0
                                        ; implicit-def: $sgpr16_sgpr17
	s_cbranch_execz .LBB25_62
; %bb.61:
	v_cmp_gt_i16_sdwa s[22:23], sext(v6), sext(v8) src0_sel:BYTE_0 src1_sel:BYTE_0
	s_andn2_b64 s[16:17], s[16:17], exec
	s_and_b64 s[22:23], s[22:23], exec
	s_or_b64 s[16:17], s[16:17], s[22:23]
.LBB25_62:
	s_branch .LBB25_64
.LBB25_63:
	s_cmp_lg_u32 s3, 0
	s_mov_b64 s[18:19], -1
	s_cselect_b64 s[20:21], -1, 0
.LBB25_64:
	s_andn2_b64 vcc, exec, s[20:21]
	s_cbranch_vccz .LBB25_70
; %bb.65:
	s_andn2_b64 vcc, exec, s[18:19]
	s_cbranch_vccz .LBB25_71
.LBB25_66:
	s_cmp_lt_i32 s3, 1
	s_mov_b64 s[20:21], 0
	s_cbranch_scc1 .LBB25_72
.LBB25_67:
	s_cmp_gt_i32 s3, 1
	s_cbranch_scc0 .LBB25_73
; %bb.68:
	s_cmp_eq_u32 s3, 2
	s_cbranch_scc0 .LBB25_255
; %bb.69:
	v_lshrrev_b32_e32 v5, 8, v8
	v_lshrrev_b32_e32 v7, 8, v6
	v_cmp_le_i16_sdwa s[18:19], sext(v7), sext(v5) src0_sel:BYTE_0 src1_sel:BYTE_0
	s_mov_b64 s[22:23], 0
	s_branch .LBB25_75
.LBB25_70:
	v_cmp_lt_i16_sdwa s[20:21], sext(v6), sext(v8) src0_sel:BYTE_0 src1_sel:BYTE_0
	s_andn2_b64 s[16:17], s[16:17], exec
	s_and_b64 s[20:21], s[20:21], exec
	s_or_b64 s[16:17], s[16:17], s[20:21]
	s_cbranch_execnz .LBB25_66
.LBB25_71:
	v_cmp_ge_i16_sdwa s[18:19], sext(v6), sext(v8) src0_sel:BYTE_0 src1_sel:BYTE_0
	s_andn2_b64 s[16:17], s[16:17], exec
	s_and_b64 s[18:19], s[18:19], exec
	s_or_b64 s[16:17], s[16:17], s[18:19]
	s_cmp_lt_i32 s3, 1
	s_mov_b64 s[20:21], 0
	s_cbranch_scc0 .LBB25_67
.LBB25_72:
                                        ; implicit-def: $sgpr18_sgpr19
	s_mov_b64 s[22:23], 0
	s_cbranch_execnz .LBB25_76
	s_branch .LBB25_77
.LBB25_73:
	s_mov_b64 s[22:23], 0
                                        ; implicit-def: $sgpr18_sgpr19
	s_cbranch_execz .LBB25_75
; %bb.74:
	v_lshrrev_b32_e32 v5, 8, v8
	v_lshrrev_b32_e32 v7, 8, v6
	v_cmp_gt_i16_sdwa s[24:25], sext(v7), sext(v5) src0_sel:BYTE_0 src1_sel:BYTE_0
	s_andn2_b64 s[18:19], s[18:19], exec
	s_and_b64 s[24:25], s[24:25], exec
	s_or_b64 s[18:19], s[18:19], s[24:25]
.LBB25_75:
	s_branch .LBB25_77
.LBB25_76:
	s_cmp_lg_u32 s3, 0
	s_mov_b64 s[20:21], -1
	s_cselect_b64 s[22:23], -1, 0
.LBB25_77:
	s_andn2_b64 vcc, exec, s[22:23]
	v_lshrrev_b32_e32 v5, 8, v8
	v_lshrrev_b32_e32 v7, 8, v6
	s_cbranch_vccz .LBB25_83
; %bb.78:
	s_andn2_b64 vcc, exec, s[20:21]
	s_cbranch_vccz .LBB25_84
.LBB25_79:
	s_cmp_lt_i32 s3, 1
	s_mov_b64 s[22:23], 0
	s_cbranch_scc1 .LBB25_85
.LBB25_80:
	s_cmp_gt_i32 s3, 1
	s_cbranch_scc0 .LBB25_86
; %bb.81:
	s_cmp_eq_u32 s3, 2
	s_cbranch_scc0 .LBB25_256
; %bb.82:
	v_lshrrev_b32_e32 v5, 16, v8
	v_lshrrev_b32_e32 v7, 16, v6
	v_cmp_le_i16_sdwa s[20:21], sext(v7), sext(v5) src0_sel:BYTE_0 src1_sel:BYTE_0
	s_mov_b64 s[24:25], 0
	s_branch .LBB25_88
.LBB25_83:
	v_cmp_lt_i16_sdwa s[22:23], sext(v7), sext(v5) src0_sel:BYTE_0 src1_sel:BYTE_0
	s_andn2_b64 s[18:19], s[18:19], exec
	s_and_b64 s[22:23], s[22:23], exec
	s_or_b64 s[18:19], s[18:19], s[22:23]
	s_cbranch_execnz .LBB25_79
.LBB25_84:
	v_cmp_ge_i16_sdwa s[20:21], sext(v7), sext(v5) src0_sel:BYTE_0 src1_sel:BYTE_0
	s_andn2_b64 s[18:19], s[18:19], exec
	s_and_b64 s[20:21], s[20:21], exec
	s_or_b64 s[18:19], s[18:19], s[20:21]
	s_cmp_lt_i32 s3, 1
	s_mov_b64 s[22:23], 0
	s_cbranch_scc0 .LBB25_80
.LBB25_85:
                                        ; implicit-def: $sgpr20_sgpr21
	s_mov_b64 s[24:25], 0
	s_cbranch_execnz .LBB25_89
	s_branch .LBB25_90
.LBB25_86:
	s_mov_b64 s[24:25], 0
                                        ; implicit-def: $sgpr20_sgpr21
	s_cbranch_execz .LBB25_88
; %bb.87:
	v_lshrrev_b32_e32 v5, 16, v8
	v_lshrrev_b32_e32 v7, 16, v6
	v_cmp_gt_i16_sdwa s[26:27], sext(v7), sext(v5) src0_sel:BYTE_0 src1_sel:BYTE_0
	s_andn2_b64 s[20:21], s[20:21], exec
	s_and_b64 s[26:27], s[26:27], exec
	s_or_b64 s[20:21], s[20:21], s[26:27]
.LBB25_88:
	s_branch .LBB25_90
.LBB25_89:
	s_cmp_lg_u32 s3, 0
	s_mov_b64 s[22:23], -1
	s_cselect_b64 s[24:25], -1, 0
.LBB25_90:
	s_andn2_b64 vcc, exec, s[24:25]
	v_lshrrev_b32_e32 v5, 16, v8
	v_lshrrev_b32_e32 v7, 16, v6
	s_cbranch_vccz .LBB25_96
; %bb.91:
	s_andn2_b64 vcc, exec, s[22:23]
	s_cbranch_vccz .LBB25_97
.LBB25_92:
	s_cmp_lt_i32 s3, 1
	s_mov_b64 s[24:25], 0
	s_cbranch_scc1 .LBB25_98
.LBB25_93:
	s_cmp_gt_i32 s3, 1
	s_cbranch_scc0 .LBB25_99
; %bb.94:
	s_cmp_eq_u32 s3, 2
	s_cbranch_scc0 .LBB25_257
; %bb.95:
	v_lshrrev_b32_e32 v5, 24, v8
	v_lshrrev_b32_e32 v7, 24, v6
	v_cmp_le_i16_sdwa s[22:23], sext(v7), sext(v5) src0_sel:BYTE_0 src1_sel:BYTE_0
	s_mov_b64 s[26:27], 0
	s_branch .LBB25_101
.LBB25_96:
	v_cmp_lt_i16_sdwa s[24:25], sext(v7), sext(v5) src0_sel:BYTE_0 src1_sel:BYTE_0
	s_andn2_b64 s[20:21], s[20:21], exec
	s_and_b64 s[24:25], s[24:25], exec
	s_or_b64 s[20:21], s[20:21], s[24:25]
	s_cbranch_execnz .LBB25_92
.LBB25_97:
	v_cmp_ge_i16_sdwa s[22:23], sext(v7), sext(v5) src0_sel:BYTE_0 src1_sel:BYTE_0
	s_andn2_b64 s[20:21], s[20:21], exec
	s_and_b64 s[22:23], s[22:23], exec
	s_or_b64 s[20:21], s[20:21], s[22:23]
	s_cmp_lt_i32 s3, 1
	s_mov_b64 s[24:25], 0
	s_cbranch_scc0 .LBB25_93
.LBB25_98:
                                        ; implicit-def: $sgpr22_sgpr23
	s_mov_b64 s[26:27], 0
	s_cbranch_execnz .LBB25_102
	s_branch .LBB25_103
.LBB25_99:
	s_mov_b64 s[26:27], 0
                                        ; implicit-def: $sgpr22_sgpr23
	s_cbranch_execz .LBB25_101
; %bb.100:
	v_lshrrev_b32_e32 v5, 24, v8
	v_lshrrev_b32_e32 v7, 24, v6
	v_cmp_gt_i16_sdwa s[28:29], sext(v7), sext(v5) src0_sel:BYTE_0 src1_sel:BYTE_0
	s_andn2_b64 s[22:23], s[22:23], exec
	s_and_b64 s[28:29], s[28:29], exec
	s_or_b64 s[22:23], s[22:23], s[28:29]
.LBB25_101:
	s_branch .LBB25_103
.LBB25_102:
	s_cmp_lg_u32 s3, 0
	s_mov_b64 s[24:25], -1
	s_cselect_b64 s[26:27], -1, 0
.LBB25_103:
	s_andn2_b64 vcc, exec, s[26:27]
	v_lshrrev_b32_e32 v5, 24, v8
	v_lshrrev_b32_e32 v6, 24, v6
	s_cbranch_vccz .LBB25_109
; %bb.104:
	s_andn2_b64 vcc, exec, s[24:25]
	s_cbranch_vccz .LBB25_110
.LBB25_105:
	s_cmp_lt_i32 s3, 1
	s_mov_b64 s[26:27], 0
	s_cbranch_scc1 .LBB25_111
.LBB25_106:
	s_cmp_gt_i32 s3, 1
	s_cbranch_scc0 .LBB25_112
; %bb.107:
	s_cmp_eq_u32 s3, 2
	s_cbranch_scc0 .LBB25_258
; %bb.108:
	s_waitcnt vmcnt(0)
	v_cmp_le_i16_sdwa s[24:25], sext(v1), sext(v3) src0_sel:BYTE_0 src1_sel:BYTE_0
	s_mov_b64 s[28:29], 0
	s_branch .LBB25_114
.LBB25_109:
	v_cmp_lt_i16_sdwa s[26:27], sext(v6), sext(v5) src0_sel:BYTE_0 src1_sel:BYTE_0
	s_andn2_b64 s[22:23], s[22:23], exec
	s_and_b64 s[26:27], s[26:27], exec
	s_or_b64 s[22:23], s[22:23], s[26:27]
	s_cbranch_execnz .LBB25_105
.LBB25_110:
	v_cmp_ge_i16_sdwa s[24:25], sext(v6), sext(v5) src0_sel:BYTE_0 src1_sel:BYTE_0
	s_andn2_b64 s[22:23], s[22:23], exec
	s_and_b64 s[24:25], s[24:25], exec
	s_or_b64 s[22:23], s[22:23], s[24:25]
	s_cmp_lt_i32 s3, 1
	s_mov_b64 s[26:27], 0
	s_cbranch_scc0 .LBB25_106
.LBB25_111:
                                        ; implicit-def: $sgpr24_sgpr25
	s_mov_b64 s[28:29], 0
	s_cbranch_execnz .LBB25_115
	s_branch .LBB25_116
.LBB25_112:
	s_mov_b64 s[28:29], 0
                                        ; implicit-def: $sgpr24_sgpr25
	s_cbranch_execz .LBB25_114
; %bb.113:
	s_waitcnt vmcnt(0)
	v_cmp_gt_i16_sdwa s[30:31], sext(v1), sext(v3) src0_sel:BYTE_0 src1_sel:BYTE_0
	s_andn2_b64 s[24:25], s[24:25], exec
	s_and_b64 s[30:31], s[30:31], exec
	s_or_b64 s[24:25], s[24:25], s[30:31]
.LBB25_114:
	s_branch .LBB25_116
.LBB25_115:
	s_cmp_lg_u32 s3, 0
	s_mov_b64 s[26:27], -1
	s_cselect_b64 s[28:29], -1, 0
.LBB25_116:
	s_andn2_b64 vcc, exec, s[28:29]
	s_cbranch_vccz .LBB25_122
; %bb.117:
	s_andn2_b64 vcc, exec, s[26:27]
	s_cbranch_vccz .LBB25_123
.LBB25_118:
	s_cmp_lt_i32 s3, 1
	s_mov_b64 s[28:29], 0
	s_cbranch_scc1 .LBB25_124
.LBB25_119:
	s_cmp_gt_i32 s3, 1
	s_cbranch_scc0 .LBB25_125
; %bb.120:
	s_cmp_eq_u32 s3, 2
	s_cbranch_scc0 .LBB25_259
; %bb.121:
	s_waitcnt vmcnt(0)
	v_lshrrev_b32_e32 v5, 8, v3
	v_lshrrev_b32_e32 v6, 8, v1
	v_cmp_le_i16_sdwa s[26:27], sext(v6), sext(v5) src0_sel:BYTE_0 src1_sel:BYTE_0
	s_mov_b64 s[30:31], 0
	s_branch .LBB25_127
.LBB25_122:
	s_waitcnt vmcnt(0)
	v_cmp_lt_i16_sdwa s[28:29], sext(v1), sext(v3) src0_sel:BYTE_0 src1_sel:BYTE_0
	s_andn2_b64 s[24:25], s[24:25], exec
	s_and_b64 s[28:29], s[28:29], exec
	s_or_b64 s[24:25], s[24:25], s[28:29]
	s_cbranch_execnz .LBB25_118
.LBB25_123:
	s_waitcnt vmcnt(0)
	v_cmp_ge_i16_sdwa s[26:27], sext(v1), sext(v3) src0_sel:BYTE_0 src1_sel:BYTE_0
	s_andn2_b64 s[24:25], s[24:25], exec
	s_and_b64 s[26:27], s[26:27], exec
	s_or_b64 s[24:25], s[24:25], s[26:27]
	s_cmp_lt_i32 s3, 1
	s_mov_b64 s[28:29], 0
	s_cbranch_scc0 .LBB25_119
.LBB25_124:
                                        ; implicit-def: $sgpr26_sgpr27
	s_mov_b64 s[30:31], 0
	s_cbranch_execnz .LBB25_128
	s_branch .LBB25_129
.LBB25_125:
	s_mov_b64 s[30:31], 0
                                        ; implicit-def: $sgpr26_sgpr27
	s_cbranch_execz .LBB25_127
; %bb.126:
	s_waitcnt vmcnt(0)
	v_lshrrev_b32_e32 v5, 8, v3
	v_lshrrev_b32_e32 v6, 8, v1
	v_cmp_gt_i16_sdwa s[34:35], sext(v6), sext(v5) src0_sel:BYTE_0 src1_sel:BYTE_0
	s_andn2_b64 s[26:27], s[26:27], exec
	s_and_b64 s[34:35], s[34:35], exec
	s_or_b64 s[26:27], s[26:27], s[34:35]
.LBB25_127:
	s_branch .LBB25_129
.LBB25_128:
	s_cmp_lg_u32 s3, 0
	s_mov_b64 s[28:29], -1
	s_cselect_b64 s[30:31], -1, 0
.LBB25_129:
	s_andn2_b64 vcc, exec, s[30:31]
	s_waitcnt vmcnt(0)
	v_lshrrev_b32_e32 v5, 8, v3
	v_lshrrev_b32_e32 v6, 8, v1
	s_cbranch_vccz .LBB25_135
; %bb.130:
	s_andn2_b64 vcc, exec, s[28:29]
	s_cbranch_vccz .LBB25_136
.LBB25_131:
	s_cmp_lt_i32 s3, 1
	s_mov_b64 s[30:31], 0
	s_cbranch_scc1 .LBB25_137
.LBB25_132:
	s_cmp_gt_i32 s3, 1
	s_cbranch_scc0 .LBB25_138
; %bb.133:
	s_cmp_eq_u32 s3, 2
	s_cbranch_scc0 .LBB25_260
; %bb.134:
	v_lshrrev_b32_e32 v5, 16, v3
	v_lshrrev_b32_e32 v6, 16, v1
	v_cmp_le_i16_sdwa s[28:29], sext(v6), sext(v5) src0_sel:BYTE_0 src1_sel:BYTE_0
	s_mov_b64 s[34:35], 0
	s_branch .LBB25_140
.LBB25_135:
	v_cmp_lt_i16_sdwa s[30:31], sext(v6), sext(v5) src0_sel:BYTE_0 src1_sel:BYTE_0
	s_andn2_b64 s[26:27], s[26:27], exec
	s_and_b64 s[30:31], s[30:31], exec
	s_or_b64 s[26:27], s[26:27], s[30:31]
	s_cbranch_execnz .LBB25_131
.LBB25_136:
	v_cmp_ge_i16_sdwa s[28:29], sext(v6), sext(v5) src0_sel:BYTE_0 src1_sel:BYTE_0
	s_andn2_b64 s[26:27], s[26:27], exec
	s_and_b64 s[28:29], s[28:29], exec
	s_or_b64 s[26:27], s[26:27], s[28:29]
	s_cmp_lt_i32 s3, 1
	s_mov_b64 s[30:31], 0
	s_cbranch_scc0 .LBB25_132
.LBB25_137:
                                        ; implicit-def: $sgpr28_sgpr29
	s_mov_b64 s[34:35], 0
	s_cbranch_execnz .LBB25_141
	s_branch .LBB25_142
.LBB25_138:
	s_mov_b64 s[34:35], 0
                                        ; implicit-def: $sgpr28_sgpr29
	s_cbranch_execz .LBB25_140
; %bb.139:
	v_lshrrev_b32_e32 v5, 16, v3
	v_lshrrev_b32_e32 v6, 16, v1
	v_cmp_gt_i16_sdwa s[36:37], sext(v6), sext(v5) src0_sel:BYTE_0 src1_sel:BYTE_0
	s_andn2_b64 s[28:29], s[28:29], exec
	s_and_b64 s[36:37], s[36:37], exec
	s_or_b64 s[28:29], s[28:29], s[36:37]
.LBB25_140:
	s_branch .LBB25_142
.LBB25_141:
	s_cmp_lg_u32 s3, 0
	s_mov_b64 s[30:31], -1
	s_cselect_b64 s[34:35], -1, 0
.LBB25_142:
	s_andn2_b64 vcc, exec, s[34:35]
	v_lshrrev_b32_e32 v5, 16, v3
	v_lshrrev_b32_e32 v6, 16, v1
	s_cbranch_vccz .LBB25_148
; %bb.143:
	s_andn2_b64 vcc, exec, s[30:31]
	s_cbranch_vccz .LBB25_149
.LBB25_144:
	s_cmp_lt_i32 s3, 1
	s_mov_b64 s[34:35], 0
	s_cbranch_scc1 .LBB25_150
.LBB25_145:
	s_cmp_gt_i32 s3, 1
	s_cbranch_scc0 .LBB25_151
; %bb.146:
	s_cmp_eq_u32 s3, 2
	s_cbranch_scc0 .LBB25_261
; %bb.147:
	v_lshrrev_b32_e32 v5, 24, v3
	v_lshrrev_b32_e32 v6, 24, v1
	v_cmp_le_i16_sdwa s[30:31], sext(v6), sext(v5) src0_sel:BYTE_0 src1_sel:BYTE_0
	s_mov_b64 s[36:37], 0
	s_branch .LBB25_153
.LBB25_148:
	v_cmp_lt_i16_sdwa s[34:35], sext(v6), sext(v5) src0_sel:BYTE_0 src1_sel:BYTE_0
	s_andn2_b64 s[28:29], s[28:29], exec
	s_and_b64 s[34:35], s[34:35], exec
	s_or_b64 s[28:29], s[28:29], s[34:35]
	s_cbranch_execnz .LBB25_144
.LBB25_149:
	v_cmp_ge_i16_sdwa s[30:31], sext(v6), sext(v5) src0_sel:BYTE_0 src1_sel:BYTE_0
	s_andn2_b64 s[28:29], s[28:29], exec
	s_and_b64 s[30:31], s[30:31], exec
	s_or_b64 s[28:29], s[28:29], s[30:31]
	s_cmp_lt_i32 s3, 1
	s_mov_b64 s[34:35], 0
	s_cbranch_scc0 .LBB25_145
.LBB25_150:
                                        ; implicit-def: $sgpr30_sgpr31
	s_mov_b64 s[36:37], 0
	s_cbranch_execnz .LBB25_154
	s_branch .LBB25_155
.LBB25_151:
	s_mov_b64 s[36:37], 0
                                        ; implicit-def: $sgpr30_sgpr31
	s_cbranch_execz .LBB25_153
; %bb.152:
	v_lshrrev_b32_e32 v5, 24, v3
	v_lshrrev_b32_e32 v6, 24, v1
	v_cmp_gt_i16_sdwa s[38:39], sext(v6), sext(v5) src0_sel:BYTE_0 src1_sel:BYTE_0
	s_andn2_b64 s[30:31], s[30:31], exec
	s_and_b64 s[38:39], s[38:39], exec
	s_or_b64 s[30:31], s[30:31], s[38:39]
.LBB25_153:
	s_branch .LBB25_155
.LBB25_154:
	s_cmp_lg_u32 s3, 0
	s_mov_b64 s[34:35], -1
	s_cselect_b64 s[36:37], -1, 0
.LBB25_155:
	s_andn2_b64 vcc, exec, s[36:37]
	v_lshrrev_b32_e32 v3, 24, v3
	v_lshrrev_b32_e32 v1, 24, v1
	s_cbranch_vccz .LBB25_161
; %bb.156:
	s_andn2_b64 vcc, exec, s[34:35]
	s_cbranch_vccz .LBB25_162
.LBB25_157:
	s_cmp_lt_i32 s3, 1
	s_mov_b64 s[36:37], 0
	s_cbranch_scc1 .LBB25_163
.LBB25_158:
	s_cmp_gt_i32 s3, 1
	s_cbranch_scc0 .LBB25_164
; %bb.159:
	s_cmp_eq_u32 s3, 2
	s_cbranch_scc0 .LBB25_262
; %bb.160:
	v_cmp_le_i16_sdwa s[34:35], sext(v2), sext(v4) src0_sel:BYTE_0 src1_sel:BYTE_0
	s_mov_b64 s[38:39], 0
	s_branch .LBB25_166
.LBB25_161:
	v_cmp_lt_i16_sdwa s[36:37], sext(v1), sext(v3) src0_sel:BYTE_0 src1_sel:BYTE_0
	s_andn2_b64 s[30:31], s[30:31], exec
	s_and_b64 s[36:37], s[36:37], exec
	s_or_b64 s[30:31], s[30:31], s[36:37]
	s_cbranch_execnz .LBB25_157
.LBB25_162:
	v_cmp_ge_i16_sdwa s[34:35], sext(v1), sext(v3) src0_sel:BYTE_0 src1_sel:BYTE_0
	s_andn2_b64 s[30:31], s[30:31], exec
	s_and_b64 s[34:35], s[34:35], exec
	s_or_b64 s[30:31], s[30:31], s[34:35]
	s_cmp_lt_i32 s3, 1
	s_mov_b64 s[36:37], 0
	s_cbranch_scc0 .LBB25_158
.LBB25_163:
                                        ; implicit-def: $sgpr34_sgpr35
	s_mov_b64 s[38:39], 0
	s_cbranch_execnz .LBB25_167
	s_branch .LBB25_168
.LBB25_164:
	s_mov_b64 s[38:39], 0
                                        ; implicit-def: $sgpr34_sgpr35
	s_cbranch_execz .LBB25_166
; %bb.165:
	v_cmp_gt_i16_sdwa s[40:41], sext(v2), sext(v4) src0_sel:BYTE_0 src1_sel:BYTE_0
	s_andn2_b64 s[34:35], s[34:35], exec
	s_and_b64 s[40:41], s[40:41], exec
	s_or_b64 s[34:35], s[34:35], s[40:41]
.LBB25_166:
	s_branch .LBB25_168
.LBB25_167:
	s_cmp_lg_u32 s3, 0
	s_mov_b64 s[36:37], -1
	s_cselect_b64 s[38:39], -1, 0
.LBB25_168:
	s_andn2_b64 vcc, exec, s[38:39]
	s_cbranch_vccz .LBB25_174
; %bb.169:
	s_andn2_b64 vcc, exec, s[36:37]
	s_cbranch_vccz .LBB25_175
.LBB25_170:
	s_cmp_lt_i32 s3, 1
	s_mov_b64 s[38:39], 0
	s_cbranch_scc1 .LBB25_176
.LBB25_171:
	s_cmp_gt_i32 s3, 1
	s_cbranch_scc0 .LBB25_177
; %bb.172:
	s_cmp_eq_u32 s3, 2
	s_cbranch_scc0 .LBB25_263
; %bb.173:
	v_lshrrev_b32_e32 v1, 8, v4
	v_lshrrev_b32_e32 v3, 8, v2
	v_cmp_le_i16_sdwa s[36:37], sext(v3), sext(v1) src0_sel:BYTE_0 src1_sel:BYTE_0
	s_mov_b64 s[40:41], 0
	s_branch .LBB25_179
.LBB25_174:
	v_cmp_lt_i16_sdwa s[38:39], sext(v2), sext(v4) src0_sel:BYTE_0 src1_sel:BYTE_0
	s_andn2_b64 s[34:35], s[34:35], exec
	s_and_b64 s[38:39], s[38:39], exec
	s_or_b64 s[34:35], s[34:35], s[38:39]
	s_cbranch_execnz .LBB25_170
.LBB25_175:
	v_cmp_ge_i16_sdwa s[36:37], sext(v2), sext(v4) src0_sel:BYTE_0 src1_sel:BYTE_0
	s_andn2_b64 s[34:35], s[34:35], exec
	s_and_b64 s[36:37], s[36:37], exec
	s_or_b64 s[34:35], s[34:35], s[36:37]
	s_cmp_lt_i32 s3, 1
	s_mov_b64 s[38:39], 0
	s_cbranch_scc0 .LBB25_171
.LBB25_176:
                                        ; implicit-def: $sgpr36_sgpr37
	s_mov_b64 s[40:41], 0
	s_cbranch_execnz .LBB25_180
	s_branch .LBB25_181
.LBB25_177:
	s_mov_b64 s[40:41], 0
                                        ; implicit-def: $sgpr36_sgpr37
	s_cbranch_execz .LBB25_179
; %bb.178:
	v_lshrrev_b32_e32 v1, 8, v4
	v_lshrrev_b32_e32 v3, 8, v2
	v_cmp_gt_i16_sdwa s[42:43], sext(v3), sext(v1) src0_sel:BYTE_0 src1_sel:BYTE_0
	s_andn2_b64 s[36:37], s[36:37], exec
	s_and_b64 s[42:43], s[42:43], exec
	s_or_b64 s[36:37], s[36:37], s[42:43]
.LBB25_179:
	s_branch .LBB25_181
.LBB25_180:
	s_cmp_lg_u32 s3, 0
	s_mov_b64 s[38:39], -1
	s_cselect_b64 s[40:41], -1, 0
.LBB25_181:
	s_andn2_b64 vcc, exec, s[40:41]
	v_lshrrev_b32_e32 v1, 8, v4
	v_lshrrev_b32_e32 v3, 8, v2
	s_cbranch_vccz .LBB25_187
; %bb.182:
	s_andn2_b64 vcc, exec, s[38:39]
	s_cbranch_vccz .LBB25_188
.LBB25_183:
	s_cmp_lt_i32 s3, 1
	s_mov_b64 s[40:41], 0
	s_cbranch_scc1 .LBB25_189
.LBB25_184:
	s_cmp_gt_i32 s3, 1
	s_cbranch_scc0 .LBB25_190
; %bb.185:
	s_cmp_eq_u32 s3, 2
	s_cbranch_scc0 .LBB25_264
; %bb.186:
	v_lshrrev_b32_e32 v1, 16, v4
	v_lshrrev_b32_e32 v3, 16, v2
	v_cmp_le_i16_sdwa s[38:39], sext(v3), sext(v1) src0_sel:BYTE_0 src1_sel:BYTE_0
	s_mov_b64 s[42:43], 0
	s_branch .LBB25_192
.LBB25_187:
	v_cmp_lt_i16_sdwa s[40:41], sext(v3), sext(v1) src0_sel:BYTE_0 src1_sel:BYTE_0
	s_andn2_b64 s[36:37], s[36:37], exec
	s_and_b64 s[40:41], s[40:41], exec
	s_or_b64 s[36:37], s[36:37], s[40:41]
	s_cbranch_execnz .LBB25_183
.LBB25_188:
	v_cmp_ge_i16_sdwa s[38:39], sext(v3), sext(v1) src0_sel:BYTE_0 src1_sel:BYTE_0
	s_andn2_b64 s[36:37], s[36:37], exec
	s_and_b64 s[38:39], s[38:39], exec
	s_or_b64 s[36:37], s[36:37], s[38:39]
	s_cmp_lt_i32 s3, 1
	s_mov_b64 s[40:41], 0
	s_cbranch_scc0 .LBB25_184
.LBB25_189:
                                        ; implicit-def: $sgpr38_sgpr39
	s_mov_b64 s[42:43], 0
	s_cbranch_execnz .LBB25_193
	s_branch .LBB25_194
.LBB25_190:
	s_mov_b64 s[42:43], 0
                                        ; implicit-def: $sgpr38_sgpr39
	s_cbranch_execz .LBB25_192
; %bb.191:
	v_lshrrev_b32_e32 v1, 16, v4
	v_lshrrev_b32_e32 v3, 16, v2
	v_cmp_gt_i16_sdwa s[44:45], sext(v3), sext(v1) src0_sel:BYTE_0 src1_sel:BYTE_0
	s_andn2_b64 s[38:39], s[38:39], exec
	s_and_b64 s[44:45], s[44:45], exec
	s_or_b64 s[38:39], s[38:39], s[44:45]
.LBB25_192:
	s_branch .LBB25_194
.LBB25_193:
	s_cmp_lg_u32 s3, 0
	s_mov_b64 s[40:41], -1
	s_cselect_b64 s[42:43], -1, 0
.LBB25_194:
	s_andn2_b64 vcc, exec, s[42:43]
	v_lshrrev_b32_e32 v1, 16, v4
	v_lshrrev_b32_e32 v3, 16, v2
	s_cbranch_vccz .LBB25_200
; %bb.195:
	s_andn2_b64 vcc, exec, s[40:41]
	s_cbranch_vccz .LBB25_201
.LBB25_196:
	s_cmp_lt_i32 s3, 1
	s_mov_b64 s[42:43], 0
	s_cbranch_scc1 .LBB25_202
.LBB25_197:
	s_cmp_gt_i32 s3, 1
	s_cbranch_scc0 .LBB25_203
; %bb.198:
	s_cmp_eq_u32 s3, 2
	s_cbranch_scc0 .LBB25_265
; %bb.199:
	v_lshrrev_b32_e32 v1, 24, v4
	v_lshrrev_b32_e32 v3, 24, v2
	v_cmp_le_i16_sdwa s[40:41], sext(v3), sext(v1) src0_sel:BYTE_0 src1_sel:BYTE_0
	s_mov_b64 s[44:45], 0
	s_branch .LBB25_205
.LBB25_200:
	v_cmp_lt_i16_sdwa s[42:43], sext(v3), sext(v1) src0_sel:BYTE_0 src1_sel:BYTE_0
	s_andn2_b64 s[38:39], s[38:39], exec
	s_and_b64 s[42:43], s[42:43], exec
	s_or_b64 s[38:39], s[38:39], s[42:43]
	s_cbranch_execnz .LBB25_196
.LBB25_201:
	v_cmp_ge_i16_sdwa s[40:41], sext(v3), sext(v1) src0_sel:BYTE_0 src1_sel:BYTE_0
	s_andn2_b64 s[38:39], s[38:39], exec
	s_and_b64 s[40:41], s[40:41], exec
	s_or_b64 s[38:39], s[38:39], s[40:41]
	s_cmp_lt_i32 s3, 1
	s_mov_b64 s[42:43], 0
	s_cbranch_scc0 .LBB25_197
.LBB25_202:
                                        ; implicit-def: $sgpr40_sgpr41
	s_mov_b64 s[44:45], 0
	s_cbranch_execnz .LBB25_206
	s_branch .LBB25_207
.LBB25_203:
	s_mov_b64 s[44:45], 0
                                        ; implicit-def: $sgpr40_sgpr41
	s_cbranch_execz .LBB25_205
; %bb.204:
	v_lshrrev_b32_e32 v1, 24, v4
	v_lshrrev_b32_e32 v3, 24, v2
	v_cmp_gt_i16_sdwa s[46:47], sext(v3), sext(v1) src0_sel:BYTE_0 src1_sel:BYTE_0
	s_andn2_b64 s[40:41], s[40:41], exec
	s_and_b64 s[46:47], s[46:47], exec
	s_or_b64 s[40:41], s[40:41], s[46:47]
.LBB25_205:
	s_branch .LBB25_207
.LBB25_206:
	s_cmp_lg_u32 s3, 0
	s_mov_b64 s[42:43], -1
	s_cselect_b64 s[44:45], -1, 0
.LBB25_207:
	s_andn2_b64 vcc, exec, s[44:45]
	v_lshrrev_b32_e32 v1, 24, v4
	v_lshrrev_b32_e32 v2, 24, v2
	s_cbranch_vccz .LBB25_249
; %bb.208:
	s_andn2_b64 vcc, exec, s[42:43]
	s_cbranch_vccnz .LBB25_210
.LBB25_209:
	v_cmp_ge_i16_sdwa s[42:43], sext(v2), sext(v1) src0_sel:BYTE_0 src1_sel:BYTE_0
	s_andn2_b64 s[40:41], s[40:41], exec
	s_and_b64 s[42:43], s[42:43], exec
	s_or_b64 s[40:41], s[40:41], s[42:43]
.LBB25_210:
	v_cndmask_b32_e64 v1, 0, 1, s[4:5]
	v_lshlrev_b16_e32 v1, 8, v1
	v_cndmask_b32_e64 v2, 0, 1, s[0:1]
	v_or_b32_e32 v1, v2, v1
	v_cndmask_b32_e64 v2, 0, 1, s[14:15]
	v_lshlrev_b16_e32 v2, 8, v2
	v_cndmask_b32_e64 v3, 0, 1, s[6:7]
	v_or_b32_sdwa v2, v3, v2 dst_sel:WORD_1 dst_unused:UNUSED_PAD src0_sel:DWORD src1_sel:DWORD
	v_or_b32_sdwa v1, v1, v2 dst_sel:DWORD dst_unused:UNUSED_PAD src0_sel:WORD_0 src1_sel:DWORD
	v_cndmask_b32_e64 v2, 0, 1, s[18:19]
	v_lshlrev_b16_e32 v2, 8, v2
	v_cndmask_b32_e64 v3, 0, 1, s[16:17]
	v_or_b32_e32 v2, v3, v2
	v_cndmask_b32_e64 v3, 0, 1, s[22:23]
	v_lshlrev_b16_e32 v3, 8, v3
	v_cndmask_b32_e64 v4, 0, 1, s[20:21]
	v_or_b32_sdwa v3, v4, v3 dst_sel:WORD_1 dst_unused:UNUSED_PAD src0_sel:DWORD src1_sel:DWORD
	v_or_b32_sdwa v2, v2, v3 dst_sel:DWORD dst_unused:UNUSED_PAD src0_sel:WORD_0 src1_sel:DWORD
	;; [unrolled: 9-line block ×3, first 2 shown]
	v_cndmask_b32_e64 v4, 0, 1, s[36:37]
	v_lshlrev_b16_e32 v4, 8, v4
	v_cndmask_b32_e64 v5, 0, 1, s[34:35]
	v_or_b32_e32 v4, v5, v4
	v_cndmask_b32_e64 v5, 0, 1, s[40:41]
	v_lshlrev_b16_e32 v5, 8, v5
	v_cndmask_b32_e64 v6, 0, 1, s[38:39]
	v_or_b32_sdwa v5, v6, v5 dst_sel:WORD_1 dst_unused:UNUSED_PAD src0_sel:DWORD src1_sel:DWORD
	s_add_u32 s0, s8, s33
	v_or_b32_sdwa v4, v4, v5 dst_sel:DWORD dst_unused:UNUSED_PAD src0_sel:WORD_0 src1_sel:DWORD
	s_addc_u32 s1, s9, s48
	v_lshlrev_b32_e32 v5, 3, v0
	global_store_dwordx2 v5, v[1:2], s[0:1]
	global_store_dwordx2 v5, v[3:4], s[0:1] offset:2048
	s_mov_b64 s[0:1], 0
.LBB25_211:
	s_and_b64 vcc, exec, s[0:1]
	s_cbranch_vccz .LBB25_533
; %bb.212:
	v_cmp_gt_i32_e64 s[0:1], s2, v0
	v_mov_b32_e32 v6, 0
	v_or_b32_e32 v5, s33, v0
	v_mov_b32_e32 v8, 0
	v_mov_b32_e32 v7, 0
	;; [unrolled: 1-line block ×32, first 2 shown]
	s_and_saveexec_b64 s[4:5], s[0:1]
	s_cbranch_execz .LBB25_244
; %bb.213:
	global_load_ubyte v37, v5, s[10:11]
	global_load_ubyte v38, v5, s[12:13]
	v_or_b32_e32 v1, 0x100, v0
	v_cmp_gt_u32_e32 vcc, s2, v1
	v_mov_b32_e32 v36, 0
	v_mov_b32_e32 v35, 0
	;; [unrolled: 1-line block ×30, first 2 shown]
	s_and_saveexec_b64 s[6:7], vcc
	s_cbranch_execz .LBB25_243
; %bb.214:
	v_add_u32_e32 v3, s33, v0
	global_load_ubyte v35, v3, s[10:11] offset:256
	global_load_ubyte v36, v3, s[12:13] offset:256
	v_or_b32_e32 v1, 0x200, v0
	v_mov_b32_e32 v33, 0
	v_cmp_gt_u32_e32 vcc, s2, v1
	v_mov_b32_e32 v34, 0
	v_mov_b32_e32 v31, 0
	;; [unrolled: 1-line block ×27, first 2 shown]
	s_and_saveexec_b64 s[14:15], vcc
	s_cbranch_execz .LBB25_242
; %bb.215:
	v_mov_b32_e32 v2, s11
	v_add_co_u32_e32 v1, vcc, s10, v3
	v_addc_co_u32_e32 v2, vcc, 0, v2, vcc
	v_mov_b32_e32 v4, s13
	v_add_co_u32_e32 v3, vcc, s12, v3
	v_addc_co_u32_e32 v4, vcc, 0, v4, vcc
	global_load_ubyte v34, v[1:2], off offset:512
	global_load_ubyte v33, v[3:4], off offset:512
	v_or_b32_e32 v7, 0x300, v0
	v_cmp_gt_u32_e32 vcc, s2, v7
	v_mov_b32_e32 v31, 0
	v_mov_b32_e32 v32, 0
	;; [unrolled: 1-line block ×26, first 2 shown]
	s_and_saveexec_b64 s[10:11], vcc
	s_cbranch_execz .LBB25_241
; %bb.216:
	global_load_ubyte v32, v[1:2], off offset:768
	global_load_ubyte v31, v[3:4], off offset:768
	v_or_b32_e32 v7, 0x400, v0
	v_cmp_gt_u32_e32 vcc, s2, v7
	v_mov_b32_e32 v29, 0
	v_mov_b32_e32 v30, 0
	;; [unrolled: 1-line block ×24, first 2 shown]
	s_and_saveexec_b64 s[12:13], vcc
	s_cbranch_execz .LBB25_240
; %bb.217:
	global_load_ubyte v30, v[1:2], off offset:1024
	global_load_ubyte v29, v[3:4], off offset:1024
	v_or_b32_e32 v7, 0x500, v0
	v_cmp_gt_u32_e32 vcc, s2, v7
	v_mov_b32_e32 v27, 0
	v_mov_b32_e32 v28, 0
	;; [unrolled: 1-line block ×22, first 2 shown]
	s_and_saveexec_b64 s[16:17], vcc
	s_cbranch_execz .LBB25_239
; %bb.218:
	global_load_ubyte v28, v[1:2], off offset:1280
	global_load_ubyte v27, v[3:4], off offset:1280
	v_or_b32_e32 v7, 0x600, v0
	v_cmp_gt_u32_e32 vcc, s2, v7
	v_mov_b32_e32 v25, 0
	v_mov_b32_e32 v26, 0
	;; [unrolled: 1-line block ×20, first 2 shown]
	s_and_saveexec_b64 s[18:19], vcc
	s_cbranch_execz .LBB25_238
; %bb.219:
	global_load_ubyte v26, v[1:2], off offset:1536
	global_load_ubyte v25, v[3:4], off offset:1536
	v_or_b32_e32 v7, 0x700, v0
	v_cmp_gt_u32_e32 vcc, s2, v7
	v_mov_b32_e32 v23, 0
	v_mov_b32_e32 v24, 0
	;; [unrolled: 1-line block ×18, first 2 shown]
	s_and_saveexec_b64 s[20:21], vcc
	s_cbranch_execz .LBB25_237
; %bb.220:
	global_load_ubyte v24, v[1:2], off offset:1792
	global_load_ubyte v23, v[3:4], off offset:1792
	v_or_b32_e32 v7, 0x800, v0
	v_cmp_gt_u32_e32 vcc, s2, v7
	v_mov_b32_e32 v21, 0
	v_mov_b32_e32 v22, 0
	;; [unrolled: 1-line block ×16, first 2 shown]
	s_and_saveexec_b64 s[22:23], vcc
	s_cbranch_execz .LBB25_236
; %bb.221:
	global_load_ubyte v22, v[1:2], off offset:2048
	global_load_ubyte v21, v[3:4], off offset:2048
	v_or_b32_e32 v7, 0x900, v0
	v_cmp_gt_u32_e32 vcc, s2, v7
	v_mov_b32_e32 v19, 0
	v_mov_b32_e32 v20, 0
	;; [unrolled: 1-line block ×14, first 2 shown]
	s_and_saveexec_b64 s[24:25], vcc
	s_cbranch_execz .LBB25_235
; %bb.222:
	global_load_ubyte v20, v[1:2], off offset:2304
	global_load_ubyte v19, v[3:4], off offset:2304
	v_or_b32_e32 v7, 0xa00, v0
	v_cmp_gt_u32_e32 vcc, s2, v7
	v_mov_b32_e32 v17, 0
	v_mov_b32_e32 v18, 0
	;; [unrolled: 1-line block ×12, first 2 shown]
	s_and_saveexec_b64 s[26:27], vcc
	s_cbranch_execz .LBB25_234
; %bb.223:
	global_load_ubyte v18, v[1:2], off offset:2560
	global_load_ubyte v17, v[3:4], off offset:2560
	v_or_b32_e32 v7, 0xb00, v0
	v_cmp_gt_u32_e32 vcc, s2, v7
	v_mov_b32_e32 v15, 0
	v_mov_b32_e32 v16, 0
	;; [unrolled: 1-line block ×10, first 2 shown]
	s_and_saveexec_b64 s[28:29], vcc
	s_cbranch_execz .LBB25_233
; %bb.224:
	global_load_ubyte v16, v[1:2], off offset:2816
	global_load_ubyte v15, v[3:4], off offset:2816
	v_or_b32_e32 v7, 0xc00, v0
	v_cmp_gt_u32_e32 vcc, s2, v7
	v_mov_b32_e32 v13, 0
	v_mov_b32_e32 v14, 0
	v_mov_b32_e32 v11, 0
	v_mov_b32_e32 v12, 0
	v_mov_b32_e32 v9, 0
	v_mov_b32_e32 v10, 0
	v_mov_b32_e32 v7, 0
	v_mov_b32_e32 v8, 0
	s_and_saveexec_b64 s[30:31], vcc
	s_cbranch_execz .LBB25_232
; %bb.225:
	global_load_ubyte v14, v[1:2], off offset:3072
	global_load_ubyte v13, v[3:4], off offset:3072
	v_or_b32_e32 v7, 0xd00, v0
	v_cmp_gt_u32_e32 vcc, s2, v7
	v_mov_b32_e32 v11, 0
	v_mov_b32_e32 v12, 0
	;; [unrolled: 1-line block ×6, first 2 shown]
	s_and_saveexec_b64 s[34:35], vcc
	s_cbranch_execz .LBB25_231
; %bb.226:
	global_load_ubyte v12, v[1:2], off offset:3328
	global_load_ubyte v11, v[3:4], off offset:3328
	v_or_b32_e32 v7, 0xe00, v0
	v_cmp_gt_u32_e32 vcc, s2, v7
	v_mov_b32_e32 v9, 0
	v_mov_b32_e32 v10, 0
	;; [unrolled: 1-line block ×4, first 2 shown]
	s_and_saveexec_b64 s[36:37], vcc
	s_cbranch_execz .LBB25_230
; %bb.227:
	global_load_ubyte v10, v[1:2], off offset:3584
	global_load_ubyte v9, v[3:4], off offset:3584
	v_or_b32_e32 v7, 0xf00, v0
	v_cmp_gt_u32_e32 vcc, s2, v7
	v_mov_b32_e32 v7, 0
	v_mov_b32_e32 v8, 0
	s_and_saveexec_b64 s[38:39], vcc
	s_cbranch_execz .LBB25_229
; %bb.228:
	global_load_ubyte v8, v[1:2], off offset:3840
	global_load_ubyte v7, v[3:4], off offset:3840
.LBB25_229:
	s_or_b64 exec, exec, s[38:39]
.LBB25_230:
	s_or_b64 exec, exec, s[36:37]
.LBB25_231:
	s_or_b64 exec, exec, s[34:35]
.LBB25_232:
	s_or_b64 exec, exec, s[30:31]
.LBB25_233:
	s_or_b64 exec, exec, s[28:29]
.LBB25_234:
	s_or_b64 exec, exec, s[26:27]
.LBB25_235:
	s_or_b64 exec, exec, s[24:25]
.LBB25_236:
	s_or_b64 exec, exec, s[22:23]
.LBB25_237:
	s_or_b64 exec, exec, s[20:21]
.LBB25_238:
	s_or_b64 exec, exec, s[18:19]
.LBB25_239:
	s_or_b64 exec, exec, s[16:17]
.LBB25_240:
	s_or_b64 exec, exec, s[12:13]
.LBB25_241:
	s_or_b64 exec, exec, s[10:11]
.LBB25_242:
	s_or_b64 exec, exec, s[14:15]
.LBB25_243:
	s_or_b64 exec, exec, s[6:7]
.LBB25_244:
	s_or_b64 exec, exec, s[4:5]
	v_mov_b32_e32 v3, v6
	v_mov_b32_e32 v2, v6
	v_mov_b32_e32 v1, v6
	s_and_saveexec_b64 s[4:5], s[0:1]
	s_cbranch_execz .LBB25_276
; %bb.245:
	s_cmp_lt_i32 s3, 1
	s_mov_b64 s[6:7], 0
	s_cbranch_scc1 .LBB25_250
; %bb.246:
	s_cmp_gt_i32 s3, 1
	s_cbranch_scc0 .LBB25_266
; %bb.247:
	s_cmp_eq_u32 s3, 2
	s_cbranch_scc0 .LBB25_267
; %bb.248:
	s_waitcnt vmcnt(0)
	v_cmp_le_i16_sdwa s[10:11], sext(v37), sext(v38) src0_sel:BYTE_0 src1_sel:BYTE_0
	s_mov_b64 s[12:13], 0
	s_branch .LBB25_268
.LBB25_249:
	v_cmp_lt_i16_sdwa s[44:45], sext(v2), sext(v1) src0_sel:BYTE_0 src1_sel:BYTE_0
	s_andn2_b64 s[40:41], s[40:41], exec
	s_and_b64 s[44:45], s[44:45], exec
	s_or_b64 s[40:41], s[40:41], s[44:45]
	s_cbranch_execz .LBB25_209
	s_branch .LBB25_210
.LBB25_250:
                                        ; implicit-def: $sgpr10_sgpr11
	s_mov_b64 s[12:13], 0
	s_cbranch_execnz .LBB25_271
	s_branch .LBB25_272
.LBB25_251:
	s_mov_b64 s[14:15], -1
                                        ; implicit-def: $sgpr4_sgpr5
	s_branch .LBB25_23
.LBB25_252:
	s_mov_b64 s[16:17], -1
                                        ; implicit-def: $sgpr6_sgpr7
	s_branch .LBB25_36
.LBB25_253:
	s_mov_b64 s[18:19], -1
                                        ; implicit-def: $sgpr14_sgpr15
	s_branch .LBB25_49
.LBB25_254:
	s_mov_b64 s[20:21], -1
                                        ; implicit-def: $sgpr16_sgpr17
	s_branch .LBB25_62
.LBB25_255:
	s_mov_b64 s[22:23], -1
                                        ; implicit-def: $sgpr18_sgpr19
	s_branch .LBB25_75
.LBB25_256:
	s_mov_b64 s[24:25], -1
                                        ; implicit-def: $sgpr20_sgpr21
	s_branch .LBB25_88
.LBB25_257:
	s_mov_b64 s[26:27], -1
                                        ; implicit-def: $sgpr22_sgpr23
	s_branch .LBB25_101
.LBB25_258:
	s_mov_b64 s[28:29], -1
                                        ; implicit-def: $sgpr24_sgpr25
	s_branch .LBB25_114
.LBB25_259:
	s_mov_b64 s[30:31], -1
                                        ; implicit-def: $sgpr26_sgpr27
	s_branch .LBB25_127
.LBB25_260:
	s_mov_b64 s[34:35], -1
                                        ; implicit-def: $sgpr28_sgpr29
	s_branch .LBB25_140
.LBB25_261:
	s_mov_b64 s[36:37], -1
                                        ; implicit-def: $sgpr30_sgpr31
	s_branch .LBB25_153
.LBB25_262:
	s_mov_b64 s[38:39], -1
                                        ; implicit-def: $sgpr34_sgpr35
	s_branch .LBB25_166
.LBB25_263:
	s_mov_b64 s[40:41], -1
                                        ; implicit-def: $sgpr36_sgpr37
	s_branch .LBB25_179
.LBB25_264:
	s_mov_b64 s[42:43], -1
                                        ; implicit-def: $sgpr38_sgpr39
	s_branch .LBB25_192
.LBB25_265:
	s_mov_b64 s[44:45], -1
                                        ; implicit-def: $sgpr40_sgpr41
	s_branch .LBB25_205
.LBB25_266:
	s_mov_b64 s[12:13], 0
                                        ; implicit-def: $sgpr10_sgpr11
	s_cbranch_execnz .LBB25_269
	s_branch .LBB25_270
.LBB25_267:
	s_mov_b64 s[12:13], -1
                                        ; implicit-def: $sgpr10_sgpr11
.LBB25_268:
	s_branch .LBB25_270
.LBB25_269:
	s_waitcnt vmcnt(0)
	v_cmp_gt_i16_sdwa s[14:15], sext(v37), sext(v38) src0_sel:BYTE_0 src1_sel:BYTE_0
	s_andn2_b64 s[10:11], s[10:11], exec
	s_and_b64 s[14:15], s[14:15], exec
	s_or_b64 s[10:11], s[10:11], s[14:15]
.LBB25_270:
	s_branch .LBB25_272
.LBB25_271:
	s_cmp_lg_u32 s3, 0
	s_mov_b64 s[6:7], -1
	s_cselect_b64 s[12:13], -1, 0
.LBB25_272:
	s_andn2_b64 vcc, exec, s[12:13]
	s_cbranch_vccz .LBB25_281
; %bb.273:
	s_andn2_b64 vcc, exec, s[6:7]
	s_cbranch_vccnz .LBB25_275
.LBB25_274:
	s_waitcnt vmcnt(0)
	v_cmp_ge_i16_sdwa s[6:7], sext(v37), sext(v38) src0_sel:BYTE_0 src1_sel:BYTE_0
	s_andn2_b64 s[10:11], s[10:11], exec
	s_and_b64 s[6:7], s[6:7], exec
	s_or_b64 s[10:11], s[10:11], s[6:7]
.LBB25_275:
	v_cndmask_b32_e64 v1, 0, 1, s[10:11]
	v_mov_b32_e32 v3, 0
	v_and_b32_e32 v6, 0xffff, v1
	v_mov_b32_e32 v2, v3
	v_mov_b32_e32 v1, v3
.LBB25_276:
	s_or_b64 exec, exec, s[4:5]
	v_or_b32_e32 v4, 0x100, v0
	v_cmp_gt_i32_e32 vcc, s2, v4
	s_and_saveexec_b64 s[4:5], vcc
	s_cbranch_execz .LBB25_291
; %bb.277:
	s_cmp_lt_i32 s3, 1
	s_mov_b64 s[6:7], 0
	s_cbranch_scc1 .LBB25_282
; %bb.278:
	s_cmp_gt_i32 s3, 1
	s_cbranch_scc0 .LBB25_283
; %bb.279:
	s_cmp_eq_u32 s3, 2
	s_cbranch_scc0 .LBB25_535
; %bb.280:
	s_waitcnt vmcnt(0)
	v_cmp_le_i16_sdwa s[10:11], sext(v35), sext(v36) src0_sel:BYTE_0 src1_sel:BYTE_0
	s_mov_b64 s[12:13], 0
	s_branch .LBB25_285
.LBB25_281:
	s_waitcnt vmcnt(0)
	v_cmp_lt_i16_sdwa s[12:13], sext(v37), sext(v38) src0_sel:BYTE_0 src1_sel:BYTE_0
	s_andn2_b64 s[10:11], s[10:11], exec
	s_and_b64 s[12:13], s[12:13], exec
	s_or_b64 s[10:11], s[10:11], s[12:13]
	s_cbranch_execz .LBB25_274
	s_branch .LBB25_275
.LBB25_282:
                                        ; implicit-def: $sgpr10_sgpr11
	s_mov_b64 s[12:13], 0
	s_cbranch_execnz .LBB25_286
	s_branch .LBB25_287
.LBB25_283:
	s_mov_b64 s[12:13], 0
                                        ; implicit-def: $sgpr10_sgpr11
	s_cbranch_execz .LBB25_285
; %bb.284:
	s_waitcnt vmcnt(0)
	v_cmp_gt_i16_sdwa s[14:15], sext(v35), sext(v36) src0_sel:BYTE_0 src1_sel:BYTE_0
	s_andn2_b64 s[10:11], s[10:11], exec
	s_and_b64 s[14:15], s[14:15], exec
	s_or_b64 s[10:11], s[10:11], s[14:15]
.LBB25_285:
	s_branch .LBB25_287
.LBB25_286:
	s_cmp_lg_u32 s3, 0
	s_mov_b64 s[6:7], -1
	s_cselect_b64 s[12:13], -1, 0
.LBB25_287:
	s_andn2_b64 vcc, exec, s[12:13]
	s_cbranch_vccz .LBB25_296
; %bb.288:
	s_andn2_b64 vcc, exec, s[6:7]
	s_cbranch_vccnz .LBB25_290
.LBB25_289:
	s_waitcnt vmcnt(0)
	v_cmp_ge_i16_sdwa s[6:7], sext(v35), sext(v36) src0_sel:BYTE_0 src1_sel:BYTE_0
	s_andn2_b64 s[10:11], s[10:11], exec
	s_and_b64 s[6:7], s[6:7], exec
	s_or_b64 s[10:11], s[10:11], s[6:7]
.LBB25_290:
	s_waitcnt vmcnt(1)
	v_cndmask_b32_e64 v35, 0, 1, s[10:11]
	v_lshlrev_b16_e32 v35, 8, v35
	v_or_b32_sdwa v35, v6, v35 dst_sel:DWORD dst_unused:UNUSED_PAD src0_sel:BYTE_0 src1_sel:DWORD
	v_and_b32_e32 v35, 0xffff, v35
	s_mov_b32 s6, 0xffff0000
	v_and_or_b32 v6, v6, s6, v35
.LBB25_291:
	s_or_b64 exec, exec, s[4:5]
	s_waitcnt vmcnt(1)
	v_or_b32_e32 v35, 0x200, v0
	v_cmp_gt_i32_e32 vcc, s2, v35
	s_and_saveexec_b64 s[4:5], vcc
	s_cbranch_execz .LBB25_306
; %bb.292:
	s_cmp_lt_i32 s3, 1
	s_mov_b64 s[6:7], 0
	s_cbranch_scc1 .LBB25_297
; %bb.293:
	s_cmp_gt_i32 s3, 1
	s_cbranch_scc0 .LBB25_298
; %bb.294:
	s_cmp_eq_u32 s3, 2
	s_cbranch_scc0 .LBB25_536
; %bb.295:
	s_waitcnt vmcnt(0)
	v_cmp_le_i16_sdwa s[10:11], sext(v34), sext(v33) src0_sel:BYTE_0 src1_sel:BYTE_0
	s_mov_b64 s[12:13], 0
	s_branch .LBB25_300
.LBB25_296:
	s_waitcnt vmcnt(0)
	v_cmp_lt_i16_sdwa s[12:13], sext(v35), sext(v36) src0_sel:BYTE_0 src1_sel:BYTE_0
	s_andn2_b64 s[10:11], s[10:11], exec
	s_and_b64 s[12:13], s[12:13], exec
	s_or_b64 s[10:11], s[10:11], s[12:13]
	s_cbranch_execz .LBB25_289
	s_branch .LBB25_290
.LBB25_297:
                                        ; implicit-def: $sgpr10_sgpr11
	s_mov_b64 s[12:13], 0
	s_cbranch_execnz .LBB25_301
	s_branch .LBB25_302
.LBB25_298:
	s_mov_b64 s[12:13], 0
                                        ; implicit-def: $sgpr10_sgpr11
	s_cbranch_execz .LBB25_300
; %bb.299:
	s_waitcnt vmcnt(0)
	v_cmp_gt_i16_sdwa s[14:15], sext(v34), sext(v33) src0_sel:BYTE_0 src1_sel:BYTE_0
	s_andn2_b64 s[10:11], s[10:11], exec
	s_and_b64 s[14:15], s[14:15], exec
	s_or_b64 s[10:11], s[10:11], s[14:15]
.LBB25_300:
	s_branch .LBB25_302
.LBB25_301:
	s_cmp_lg_u32 s3, 0
	s_mov_b64 s[6:7], -1
	s_cselect_b64 s[12:13], -1, 0
.LBB25_302:
	s_andn2_b64 vcc, exec, s[12:13]
	s_cbranch_vccz .LBB25_311
; %bb.303:
	s_andn2_b64 vcc, exec, s[6:7]
	s_cbranch_vccnz .LBB25_305
.LBB25_304:
	s_waitcnt vmcnt(0)
	v_cmp_ge_i16_sdwa s[6:7], sext(v34), sext(v33) src0_sel:BYTE_0 src1_sel:BYTE_0
	s_andn2_b64 s[10:11], s[10:11], exec
	s_and_b64 s[6:7], s[6:7], exec
	s_or_b64 s[10:11], s[10:11], s[6:7]
.LBB25_305:
	s_movk_i32 s6, 0xff00
	s_waitcnt vmcnt(0)
	v_and_b32_sdwa v33, v6, s6 dst_sel:DWORD dst_unused:UNUSED_PAD src0_sel:WORD_1 src1_sel:DWORD
	v_cndmask_b32_e64 v34, 0, 1, s[10:11]
	v_or_b32_sdwa v33, v34, v33 dst_sel:WORD_1 dst_unused:UNUSED_PAD src0_sel:DWORD src1_sel:DWORD
	s_mov_b32 s6, 0xffff
	v_and_or_b32 v6, v6, s6, v33
.LBB25_306:
	s_or_b64 exec, exec, s[4:5]
	s_waitcnt vmcnt(0)
	v_or_b32_e32 v33, 0x300, v0
	v_cmp_gt_i32_e32 vcc, s2, v33
	s_and_saveexec_b64 s[4:5], vcc
	s_cbranch_execz .LBB25_321
; %bb.307:
	s_cmp_lt_i32 s3, 1
	s_mov_b64 s[6:7], 0
	s_cbranch_scc1 .LBB25_312
; %bb.308:
	s_cmp_gt_i32 s3, 1
	s_cbranch_scc0 .LBB25_313
; %bb.309:
	s_cmp_eq_u32 s3, 2
	s_cbranch_scc0 .LBB25_537
; %bb.310:
	v_cmp_le_i16_sdwa s[10:11], sext(v32), sext(v31) src0_sel:BYTE_0 src1_sel:BYTE_0
	s_mov_b64 s[12:13], 0
	s_branch .LBB25_315
.LBB25_311:
	s_waitcnt vmcnt(0)
	v_cmp_lt_i16_sdwa s[12:13], sext(v34), sext(v33) src0_sel:BYTE_0 src1_sel:BYTE_0
	s_andn2_b64 s[10:11], s[10:11], exec
	s_and_b64 s[12:13], s[12:13], exec
	s_or_b64 s[10:11], s[10:11], s[12:13]
	s_cbranch_execz .LBB25_304
	s_branch .LBB25_305
.LBB25_312:
                                        ; implicit-def: $sgpr10_sgpr11
	s_mov_b64 s[12:13], 0
	s_cbranch_execnz .LBB25_316
	s_branch .LBB25_317
.LBB25_313:
	s_mov_b64 s[12:13], 0
                                        ; implicit-def: $sgpr10_sgpr11
	s_cbranch_execz .LBB25_315
; %bb.314:
	v_cmp_gt_i16_sdwa s[14:15], sext(v32), sext(v31) src0_sel:BYTE_0 src1_sel:BYTE_0
	s_andn2_b64 s[10:11], s[10:11], exec
	s_and_b64 s[14:15], s[14:15], exec
	s_or_b64 s[10:11], s[10:11], s[14:15]
.LBB25_315:
	s_branch .LBB25_317
.LBB25_316:
	s_cmp_lg_u32 s3, 0
	s_mov_b64 s[6:7], -1
	s_cselect_b64 s[12:13], -1, 0
.LBB25_317:
	s_andn2_b64 vcc, exec, s[12:13]
	s_cbranch_vccz .LBB25_326
; %bb.318:
	s_andn2_b64 vcc, exec, s[6:7]
	s_cbranch_vccnz .LBB25_320
.LBB25_319:
	v_cmp_ge_i16_sdwa s[6:7], sext(v32), sext(v31) src0_sel:BYTE_0 src1_sel:BYTE_0
	s_andn2_b64 s[10:11], s[10:11], exec
	s_and_b64 s[6:7], s[6:7], exec
	s_or_b64 s[10:11], s[10:11], s[6:7]
.LBB25_320:
	s_movk_i32 s6, 0xff
	v_cndmask_b32_e64 v32, 0, 1, s[10:11]
	v_and_b32_sdwa v31, v6, s6 dst_sel:DWORD dst_unused:UNUSED_PAD src0_sel:WORD_1 src1_sel:DWORD
	v_lshlrev_b16_e32 v32, 8, v32
	v_or_b32_sdwa v31, v31, v32 dst_sel:WORD_1 dst_unused:UNUSED_PAD src0_sel:DWORD src1_sel:DWORD
	s_mov_b32 s6, 0xffff
	v_and_or_b32 v6, v6, s6, v31
.LBB25_321:
	s_or_b64 exec, exec, s[4:5]
	v_or_b32_e32 v31, 0x400, v0
	v_cmp_gt_i32_e32 vcc, s2, v31
	s_and_saveexec_b64 s[4:5], vcc
	s_cbranch_execz .LBB25_336
; %bb.322:
	s_cmp_lt_i32 s3, 1
	s_mov_b64 s[6:7], 0
	s_cbranch_scc1 .LBB25_327
; %bb.323:
	s_cmp_gt_i32 s3, 1
	s_cbranch_scc0 .LBB25_328
; %bb.324:
	s_cmp_eq_u32 s3, 2
	s_cbranch_scc0 .LBB25_538
; %bb.325:
	v_cmp_le_i16_sdwa s[10:11], sext(v30), sext(v29) src0_sel:BYTE_0 src1_sel:BYTE_0
	s_mov_b64 s[12:13], 0
	s_branch .LBB25_330
.LBB25_326:
	v_cmp_lt_i16_sdwa s[12:13], sext(v32), sext(v31) src0_sel:BYTE_0 src1_sel:BYTE_0
	s_andn2_b64 s[10:11], s[10:11], exec
	s_and_b64 s[12:13], s[12:13], exec
	s_or_b64 s[10:11], s[10:11], s[12:13]
	s_cbranch_execz .LBB25_319
	s_branch .LBB25_320
.LBB25_327:
                                        ; implicit-def: $sgpr10_sgpr11
	s_mov_b64 s[12:13], 0
	s_cbranch_execnz .LBB25_331
	s_branch .LBB25_332
.LBB25_328:
	s_mov_b64 s[12:13], 0
                                        ; implicit-def: $sgpr10_sgpr11
	s_cbranch_execz .LBB25_330
; %bb.329:
	v_cmp_gt_i16_sdwa s[14:15], sext(v30), sext(v29) src0_sel:BYTE_0 src1_sel:BYTE_0
	s_andn2_b64 s[10:11], s[10:11], exec
	s_and_b64 s[14:15], s[14:15], exec
	s_or_b64 s[10:11], s[10:11], s[14:15]
.LBB25_330:
	s_branch .LBB25_332
.LBB25_331:
	s_cmp_lg_u32 s3, 0
	s_mov_b64 s[6:7], -1
	s_cselect_b64 s[12:13], -1, 0
.LBB25_332:
	s_andn2_b64 vcc, exec, s[12:13]
	s_cbranch_vccz .LBB25_341
; %bb.333:
	s_andn2_b64 vcc, exec, s[6:7]
	s_cbranch_vccnz .LBB25_335
.LBB25_334:
	v_cmp_ge_i16_sdwa s[6:7], sext(v30), sext(v29) src0_sel:BYTE_0 src1_sel:BYTE_0
	s_andn2_b64 s[10:11], s[10:11], exec
	s_and_b64 s[6:7], s[6:7], exec
	s_or_b64 s[10:11], s[10:11], s[6:7]
.LBB25_335:
	v_and_b32_e32 v29, 0xffffff00, v3
	v_cndmask_b32_e64 v30, 0, 1, s[10:11]
	v_or_b32_e32 v29, v30, v29
	v_and_b32_e32 v29, 0xffff, v29
	s_mov_b32 s6, 0xffff0000
	v_and_or_b32 v3, v3, s6, v29
.LBB25_336:
	s_or_b64 exec, exec, s[4:5]
	v_or_b32_e32 v29, 0x500, v0
	v_cmp_gt_i32_e32 vcc, s2, v29
	s_and_saveexec_b64 s[4:5], vcc
	s_cbranch_execz .LBB25_351
; %bb.337:
	s_cmp_lt_i32 s3, 1
	s_mov_b64 s[6:7], 0
	s_cbranch_scc1 .LBB25_342
; %bb.338:
	s_cmp_gt_i32 s3, 1
	s_cbranch_scc0 .LBB25_343
; %bb.339:
	s_cmp_eq_u32 s3, 2
	s_cbranch_scc0 .LBB25_539
; %bb.340:
	v_cmp_le_i16_sdwa s[10:11], sext(v28), sext(v27) src0_sel:BYTE_0 src1_sel:BYTE_0
	s_mov_b64 s[12:13], 0
	s_branch .LBB25_345
.LBB25_341:
	v_cmp_lt_i16_sdwa s[12:13], sext(v30), sext(v29) src0_sel:BYTE_0 src1_sel:BYTE_0
	s_andn2_b64 s[10:11], s[10:11], exec
	s_and_b64 s[12:13], s[12:13], exec
	s_or_b64 s[10:11], s[10:11], s[12:13]
	s_cbranch_execz .LBB25_334
	s_branch .LBB25_335
.LBB25_342:
                                        ; implicit-def: $sgpr10_sgpr11
	s_mov_b64 s[12:13], 0
	s_cbranch_execnz .LBB25_346
	s_branch .LBB25_347
.LBB25_343:
	s_mov_b64 s[12:13], 0
                                        ; implicit-def: $sgpr10_sgpr11
	s_cbranch_execz .LBB25_345
; %bb.344:
	v_cmp_gt_i16_sdwa s[14:15], sext(v28), sext(v27) src0_sel:BYTE_0 src1_sel:BYTE_0
	s_andn2_b64 s[10:11], s[10:11], exec
	s_and_b64 s[14:15], s[14:15], exec
	s_or_b64 s[10:11], s[10:11], s[14:15]
.LBB25_345:
	s_branch .LBB25_347
.LBB25_346:
	s_cmp_lg_u32 s3, 0
	s_mov_b64 s[6:7], -1
	s_cselect_b64 s[12:13], -1, 0
.LBB25_347:
	s_andn2_b64 vcc, exec, s[12:13]
	s_cbranch_vccz .LBB25_356
; %bb.348:
	s_andn2_b64 vcc, exec, s[6:7]
	s_cbranch_vccnz .LBB25_350
.LBB25_349:
	v_cmp_ge_i16_sdwa s[6:7], sext(v28), sext(v27) src0_sel:BYTE_0 src1_sel:BYTE_0
	s_andn2_b64 s[10:11], s[10:11], exec
	s_and_b64 s[6:7], s[6:7], exec
	s_or_b64 s[10:11], s[10:11], s[6:7]
.LBB25_350:
	v_cndmask_b32_e64 v27, 0, 1, s[10:11]
	v_lshlrev_b16_e32 v27, 8, v27
	v_or_b32_sdwa v27, v3, v27 dst_sel:DWORD dst_unused:UNUSED_PAD src0_sel:BYTE_0 src1_sel:DWORD
	v_and_b32_e32 v27, 0xffff, v27
	s_mov_b32 s6, 0xffff0000
	v_and_or_b32 v3, v3, s6, v27
.LBB25_351:
	s_or_b64 exec, exec, s[4:5]
	v_or_b32_e32 v27, 0x600, v0
	v_cmp_gt_i32_e32 vcc, s2, v27
	s_and_saveexec_b64 s[4:5], vcc
	s_cbranch_execz .LBB25_366
; %bb.352:
	s_cmp_lt_i32 s3, 1
	s_mov_b64 s[6:7], 0
	s_cbranch_scc1 .LBB25_357
; %bb.353:
	s_cmp_gt_i32 s3, 1
	s_cbranch_scc0 .LBB25_358
; %bb.354:
	s_cmp_eq_u32 s3, 2
	s_cbranch_scc0 .LBB25_540
; %bb.355:
	v_cmp_le_i16_sdwa s[10:11], sext(v26), sext(v25) src0_sel:BYTE_0 src1_sel:BYTE_0
	s_mov_b64 s[12:13], 0
	s_branch .LBB25_360
.LBB25_356:
	v_cmp_lt_i16_sdwa s[12:13], sext(v28), sext(v27) src0_sel:BYTE_0 src1_sel:BYTE_0
	s_andn2_b64 s[10:11], s[10:11], exec
	s_and_b64 s[12:13], s[12:13], exec
	s_or_b64 s[10:11], s[10:11], s[12:13]
	s_cbranch_execz .LBB25_349
	s_branch .LBB25_350
.LBB25_357:
                                        ; implicit-def: $sgpr10_sgpr11
	s_mov_b64 s[12:13], 0
	s_cbranch_execnz .LBB25_361
	s_branch .LBB25_362
.LBB25_358:
	s_mov_b64 s[12:13], 0
                                        ; implicit-def: $sgpr10_sgpr11
	s_cbranch_execz .LBB25_360
; %bb.359:
	v_cmp_gt_i16_sdwa s[14:15], sext(v26), sext(v25) src0_sel:BYTE_0 src1_sel:BYTE_0
	s_andn2_b64 s[10:11], s[10:11], exec
	s_and_b64 s[14:15], s[14:15], exec
	s_or_b64 s[10:11], s[10:11], s[14:15]
.LBB25_360:
	s_branch .LBB25_362
.LBB25_361:
	s_cmp_lg_u32 s3, 0
	s_mov_b64 s[6:7], -1
	s_cselect_b64 s[12:13], -1, 0
.LBB25_362:
	s_andn2_b64 vcc, exec, s[12:13]
	s_cbranch_vccz .LBB25_371
; %bb.363:
	s_andn2_b64 vcc, exec, s[6:7]
	s_cbranch_vccnz .LBB25_365
.LBB25_364:
	v_cmp_ge_i16_sdwa s[6:7], sext(v26), sext(v25) src0_sel:BYTE_0 src1_sel:BYTE_0
	s_andn2_b64 s[10:11], s[10:11], exec
	s_and_b64 s[6:7], s[6:7], exec
	s_or_b64 s[10:11], s[10:11], s[6:7]
.LBB25_365:
	s_movk_i32 s6, 0xff00
	v_and_b32_sdwa v25, v3, s6 dst_sel:DWORD dst_unused:UNUSED_PAD src0_sel:WORD_1 src1_sel:DWORD
	v_cndmask_b32_e64 v26, 0, 1, s[10:11]
	v_or_b32_sdwa v25, v26, v25 dst_sel:WORD_1 dst_unused:UNUSED_PAD src0_sel:DWORD src1_sel:DWORD
	s_mov_b32 s6, 0xffff
	v_and_or_b32 v3, v3, s6, v25
.LBB25_366:
	s_or_b64 exec, exec, s[4:5]
	v_or_b32_e32 v25, 0x700, v0
	v_cmp_gt_i32_e32 vcc, s2, v25
	s_and_saveexec_b64 s[4:5], vcc
	s_cbranch_execz .LBB25_381
; %bb.367:
	s_cmp_lt_i32 s3, 1
	s_mov_b64 s[6:7], 0
	s_cbranch_scc1 .LBB25_372
; %bb.368:
	s_cmp_gt_i32 s3, 1
	s_cbranch_scc0 .LBB25_373
; %bb.369:
	s_cmp_eq_u32 s3, 2
	s_cbranch_scc0 .LBB25_541
; %bb.370:
	v_cmp_le_i16_sdwa s[10:11], sext(v24), sext(v23) src0_sel:BYTE_0 src1_sel:BYTE_0
	s_mov_b64 s[12:13], 0
	s_branch .LBB25_375
.LBB25_371:
	v_cmp_lt_i16_sdwa s[12:13], sext(v26), sext(v25) src0_sel:BYTE_0 src1_sel:BYTE_0
	s_andn2_b64 s[10:11], s[10:11], exec
	s_and_b64 s[12:13], s[12:13], exec
	s_or_b64 s[10:11], s[10:11], s[12:13]
	s_cbranch_execz .LBB25_364
	s_branch .LBB25_365
.LBB25_372:
                                        ; implicit-def: $sgpr10_sgpr11
	s_mov_b64 s[12:13], 0
	s_cbranch_execnz .LBB25_376
	s_branch .LBB25_377
.LBB25_373:
	s_mov_b64 s[12:13], 0
                                        ; implicit-def: $sgpr10_sgpr11
	s_cbranch_execz .LBB25_375
; %bb.374:
	v_cmp_gt_i16_sdwa s[14:15], sext(v24), sext(v23) src0_sel:BYTE_0 src1_sel:BYTE_0
	s_andn2_b64 s[10:11], s[10:11], exec
	s_and_b64 s[14:15], s[14:15], exec
	s_or_b64 s[10:11], s[10:11], s[14:15]
.LBB25_375:
	s_branch .LBB25_377
.LBB25_376:
	s_cmp_lg_u32 s3, 0
	s_mov_b64 s[6:7], -1
	s_cselect_b64 s[12:13], -1, 0
.LBB25_377:
	s_andn2_b64 vcc, exec, s[12:13]
	s_cbranch_vccz .LBB25_386
; %bb.378:
	s_andn2_b64 vcc, exec, s[6:7]
	s_cbranch_vccnz .LBB25_380
.LBB25_379:
	v_cmp_ge_i16_sdwa s[6:7], sext(v24), sext(v23) src0_sel:BYTE_0 src1_sel:BYTE_0
	s_andn2_b64 s[10:11], s[10:11], exec
	s_and_b64 s[6:7], s[6:7], exec
	s_or_b64 s[10:11], s[10:11], s[6:7]
.LBB25_380:
	s_movk_i32 s6, 0xff
	v_cndmask_b32_e64 v24, 0, 1, s[10:11]
	v_and_b32_sdwa v23, v3, s6 dst_sel:DWORD dst_unused:UNUSED_PAD src0_sel:WORD_1 src1_sel:DWORD
	v_lshlrev_b16_e32 v24, 8, v24
	v_or_b32_sdwa v23, v23, v24 dst_sel:WORD_1 dst_unused:UNUSED_PAD src0_sel:DWORD src1_sel:DWORD
	s_mov_b32 s6, 0xffff
	v_and_or_b32 v3, v3, s6, v23
.LBB25_381:
	s_or_b64 exec, exec, s[4:5]
	v_or_b32_e32 v23, 0x800, v0
	v_cmp_gt_i32_e32 vcc, s2, v23
	s_and_saveexec_b64 s[4:5], vcc
	s_cbranch_execz .LBB25_396
; %bb.382:
	s_cmp_lt_i32 s3, 1
	s_mov_b64 s[6:7], 0
	s_cbranch_scc1 .LBB25_387
; %bb.383:
	s_cmp_gt_i32 s3, 1
	s_cbranch_scc0 .LBB25_388
; %bb.384:
	s_cmp_eq_u32 s3, 2
	s_cbranch_scc0 .LBB25_542
; %bb.385:
	v_cmp_le_i16_sdwa s[10:11], sext(v22), sext(v21) src0_sel:BYTE_0 src1_sel:BYTE_0
	s_mov_b64 s[12:13], 0
	s_branch .LBB25_390
.LBB25_386:
	v_cmp_lt_i16_sdwa s[12:13], sext(v24), sext(v23) src0_sel:BYTE_0 src1_sel:BYTE_0
	s_andn2_b64 s[10:11], s[10:11], exec
	s_and_b64 s[12:13], s[12:13], exec
	s_or_b64 s[10:11], s[10:11], s[12:13]
	s_cbranch_execz .LBB25_379
	s_branch .LBB25_380
.LBB25_387:
                                        ; implicit-def: $sgpr10_sgpr11
	s_mov_b64 s[12:13], 0
	s_cbranch_execnz .LBB25_391
	s_branch .LBB25_392
.LBB25_388:
	s_mov_b64 s[12:13], 0
                                        ; implicit-def: $sgpr10_sgpr11
	s_cbranch_execz .LBB25_390
; %bb.389:
	v_cmp_gt_i16_sdwa s[14:15], sext(v22), sext(v21) src0_sel:BYTE_0 src1_sel:BYTE_0
	s_andn2_b64 s[10:11], s[10:11], exec
	s_and_b64 s[14:15], s[14:15], exec
	s_or_b64 s[10:11], s[10:11], s[14:15]
.LBB25_390:
	s_branch .LBB25_392
.LBB25_391:
	s_cmp_lg_u32 s3, 0
	s_mov_b64 s[6:7], -1
	s_cselect_b64 s[12:13], -1, 0
.LBB25_392:
	s_andn2_b64 vcc, exec, s[12:13]
	s_cbranch_vccz .LBB25_401
; %bb.393:
	s_andn2_b64 vcc, exec, s[6:7]
	s_cbranch_vccnz .LBB25_395
.LBB25_394:
	v_cmp_ge_i16_sdwa s[6:7], sext(v22), sext(v21) src0_sel:BYTE_0 src1_sel:BYTE_0
	s_andn2_b64 s[10:11], s[10:11], exec
	s_and_b64 s[6:7], s[6:7], exec
	s_or_b64 s[10:11], s[10:11], s[6:7]
.LBB25_395:
	v_and_b32_e32 v21, 0xffffff00, v2
	v_cndmask_b32_e64 v22, 0, 1, s[10:11]
	v_or_b32_e32 v21, v22, v21
	v_and_b32_e32 v21, 0xffff, v21
	s_mov_b32 s6, 0xffff0000
	v_and_or_b32 v2, v2, s6, v21
.LBB25_396:
	s_or_b64 exec, exec, s[4:5]
	v_or_b32_e32 v21, 0x900, v0
	v_cmp_gt_i32_e32 vcc, s2, v21
	s_and_saveexec_b64 s[4:5], vcc
	s_cbranch_execz .LBB25_411
; %bb.397:
	s_cmp_lt_i32 s3, 1
	s_mov_b64 s[6:7], 0
	s_cbranch_scc1 .LBB25_402
; %bb.398:
	s_cmp_gt_i32 s3, 1
	s_cbranch_scc0 .LBB25_403
; %bb.399:
	s_cmp_eq_u32 s3, 2
	s_cbranch_scc0 .LBB25_543
; %bb.400:
	v_cmp_le_i16_sdwa s[10:11], sext(v20), sext(v19) src0_sel:BYTE_0 src1_sel:BYTE_0
	s_mov_b64 s[12:13], 0
	s_branch .LBB25_405
.LBB25_401:
	v_cmp_lt_i16_sdwa s[12:13], sext(v22), sext(v21) src0_sel:BYTE_0 src1_sel:BYTE_0
	s_andn2_b64 s[10:11], s[10:11], exec
	s_and_b64 s[12:13], s[12:13], exec
	s_or_b64 s[10:11], s[10:11], s[12:13]
	s_cbranch_execz .LBB25_394
	s_branch .LBB25_395
.LBB25_402:
                                        ; implicit-def: $sgpr10_sgpr11
	s_mov_b64 s[12:13], 0
	s_cbranch_execnz .LBB25_406
	s_branch .LBB25_407
.LBB25_403:
	s_mov_b64 s[12:13], 0
                                        ; implicit-def: $sgpr10_sgpr11
	s_cbranch_execz .LBB25_405
; %bb.404:
	v_cmp_gt_i16_sdwa s[14:15], sext(v20), sext(v19) src0_sel:BYTE_0 src1_sel:BYTE_0
	s_andn2_b64 s[10:11], s[10:11], exec
	s_and_b64 s[14:15], s[14:15], exec
	s_or_b64 s[10:11], s[10:11], s[14:15]
.LBB25_405:
	s_branch .LBB25_407
.LBB25_406:
	s_cmp_lg_u32 s3, 0
	s_mov_b64 s[6:7], -1
	s_cselect_b64 s[12:13], -1, 0
.LBB25_407:
	s_andn2_b64 vcc, exec, s[12:13]
	s_cbranch_vccz .LBB25_416
; %bb.408:
	s_andn2_b64 vcc, exec, s[6:7]
	s_cbranch_vccnz .LBB25_410
.LBB25_409:
	v_cmp_ge_i16_sdwa s[6:7], sext(v20), sext(v19) src0_sel:BYTE_0 src1_sel:BYTE_0
	s_andn2_b64 s[10:11], s[10:11], exec
	s_and_b64 s[6:7], s[6:7], exec
	s_or_b64 s[10:11], s[10:11], s[6:7]
.LBB25_410:
	v_cndmask_b32_e64 v19, 0, 1, s[10:11]
	v_lshlrev_b16_e32 v19, 8, v19
	v_or_b32_sdwa v19, v2, v19 dst_sel:DWORD dst_unused:UNUSED_PAD src0_sel:BYTE_0 src1_sel:DWORD
	v_and_b32_e32 v19, 0xffff, v19
	s_mov_b32 s6, 0xffff0000
	v_and_or_b32 v2, v2, s6, v19
.LBB25_411:
	s_or_b64 exec, exec, s[4:5]
	v_or_b32_e32 v19, 0xa00, v0
	v_cmp_gt_i32_e32 vcc, s2, v19
	s_and_saveexec_b64 s[4:5], vcc
	s_cbranch_execz .LBB25_426
; %bb.412:
	s_cmp_lt_i32 s3, 1
	s_mov_b64 s[6:7], 0
	s_cbranch_scc1 .LBB25_417
; %bb.413:
	s_cmp_gt_i32 s3, 1
	s_cbranch_scc0 .LBB25_418
; %bb.414:
	s_cmp_eq_u32 s3, 2
	s_cbranch_scc0 .LBB25_544
; %bb.415:
	v_cmp_le_i16_sdwa s[10:11], sext(v18), sext(v17) src0_sel:BYTE_0 src1_sel:BYTE_0
	s_mov_b64 s[12:13], 0
	s_branch .LBB25_420
.LBB25_416:
	v_cmp_lt_i16_sdwa s[12:13], sext(v20), sext(v19) src0_sel:BYTE_0 src1_sel:BYTE_0
	s_andn2_b64 s[10:11], s[10:11], exec
	s_and_b64 s[12:13], s[12:13], exec
	s_or_b64 s[10:11], s[10:11], s[12:13]
	s_cbranch_execz .LBB25_409
	s_branch .LBB25_410
.LBB25_417:
                                        ; implicit-def: $sgpr10_sgpr11
	s_mov_b64 s[12:13], 0
	s_cbranch_execnz .LBB25_421
	s_branch .LBB25_422
.LBB25_418:
	s_mov_b64 s[12:13], 0
                                        ; implicit-def: $sgpr10_sgpr11
	s_cbranch_execz .LBB25_420
; %bb.419:
	v_cmp_gt_i16_sdwa s[14:15], sext(v18), sext(v17) src0_sel:BYTE_0 src1_sel:BYTE_0
	s_andn2_b64 s[10:11], s[10:11], exec
	s_and_b64 s[14:15], s[14:15], exec
	s_or_b64 s[10:11], s[10:11], s[14:15]
.LBB25_420:
	s_branch .LBB25_422
.LBB25_421:
	s_cmp_lg_u32 s3, 0
	s_mov_b64 s[6:7], -1
	s_cselect_b64 s[12:13], -1, 0
.LBB25_422:
	s_andn2_b64 vcc, exec, s[12:13]
	s_cbranch_vccz .LBB25_431
; %bb.423:
	s_andn2_b64 vcc, exec, s[6:7]
	s_cbranch_vccnz .LBB25_425
.LBB25_424:
	v_cmp_ge_i16_sdwa s[6:7], sext(v18), sext(v17) src0_sel:BYTE_0 src1_sel:BYTE_0
	s_andn2_b64 s[10:11], s[10:11], exec
	s_and_b64 s[6:7], s[6:7], exec
	s_or_b64 s[10:11], s[10:11], s[6:7]
.LBB25_425:
	s_movk_i32 s6, 0xff00
	v_and_b32_sdwa v17, v2, s6 dst_sel:DWORD dst_unused:UNUSED_PAD src0_sel:WORD_1 src1_sel:DWORD
	v_cndmask_b32_e64 v18, 0, 1, s[10:11]
	v_or_b32_sdwa v17, v18, v17 dst_sel:WORD_1 dst_unused:UNUSED_PAD src0_sel:DWORD src1_sel:DWORD
	s_mov_b32 s6, 0xffff
	v_and_or_b32 v2, v2, s6, v17
.LBB25_426:
	s_or_b64 exec, exec, s[4:5]
	v_or_b32_e32 v17, 0xb00, v0
	v_cmp_gt_i32_e32 vcc, s2, v17
	s_and_saveexec_b64 s[4:5], vcc
	s_cbranch_execz .LBB25_441
; %bb.427:
	s_cmp_lt_i32 s3, 1
	s_mov_b64 s[6:7], 0
	s_cbranch_scc1 .LBB25_432
; %bb.428:
	s_cmp_gt_i32 s3, 1
	s_cbranch_scc0 .LBB25_433
; %bb.429:
	s_cmp_eq_u32 s3, 2
	s_cbranch_scc0 .LBB25_545
; %bb.430:
	v_cmp_le_i16_sdwa s[10:11], sext(v16), sext(v15) src0_sel:BYTE_0 src1_sel:BYTE_0
	s_mov_b64 s[12:13], 0
	s_branch .LBB25_435
.LBB25_431:
	v_cmp_lt_i16_sdwa s[12:13], sext(v18), sext(v17) src0_sel:BYTE_0 src1_sel:BYTE_0
	s_andn2_b64 s[10:11], s[10:11], exec
	s_and_b64 s[12:13], s[12:13], exec
	s_or_b64 s[10:11], s[10:11], s[12:13]
	s_cbranch_execz .LBB25_424
	s_branch .LBB25_425
.LBB25_432:
                                        ; implicit-def: $sgpr10_sgpr11
	s_mov_b64 s[12:13], 0
	s_cbranch_execnz .LBB25_436
	s_branch .LBB25_437
.LBB25_433:
	s_mov_b64 s[12:13], 0
                                        ; implicit-def: $sgpr10_sgpr11
	s_cbranch_execz .LBB25_435
; %bb.434:
	v_cmp_gt_i16_sdwa s[14:15], sext(v16), sext(v15) src0_sel:BYTE_0 src1_sel:BYTE_0
	s_andn2_b64 s[10:11], s[10:11], exec
	s_and_b64 s[14:15], s[14:15], exec
	s_or_b64 s[10:11], s[10:11], s[14:15]
.LBB25_435:
	s_branch .LBB25_437
.LBB25_436:
	s_cmp_lg_u32 s3, 0
	s_mov_b64 s[6:7], -1
	s_cselect_b64 s[12:13], -1, 0
.LBB25_437:
	s_andn2_b64 vcc, exec, s[12:13]
	s_cbranch_vccz .LBB25_446
; %bb.438:
	s_andn2_b64 vcc, exec, s[6:7]
	s_cbranch_vccnz .LBB25_440
.LBB25_439:
	v_cmp_ge_i16_sdwa s[6:7], sext(v16), sext(v15) src0_sel:BYTE_0 src1_sel:BYTE_0
	s_andn2_b64 s[10:11], s[10:11], exec
	s_and_b64 s[6:7], s[6:7], exec
	s_or_b64 s[10:11], s[10:11], s[6:7]
.LBB25_440:
	s_movk_i32 s6, 0xff
	v_cndmask_b32_e64 v16, 0, 1, s[10:11]
	v_and_b32_sdwa v15, v2, s6 dst_sel:DWORD dst_unused:UNUSED_PAD src0_sel:WORD_1 src1_sel:DWORD
	v_lshlrev_b16_e32 v16, 8, v16
	v_or_b32_sdwa v15, v15, v16 dst_sel:WORD_1 dst_unused:UNUSED_PAD src0_sel:DWORD src1_sel:DWORD
	s_mov_b32 s6, 0xffff
	v_and_or_b32 v2, v2, s6, v15
.LBB25_441:
	s_or_b64 exec, exec, s[4:5]
	v_or_b32_e32 v15, 0xc00, v0
	v_cmp_gt_i32_e32 vcc, s2, v15
	s_and_saveexec_b64 s[4:5], vcc
	s_cbranch_execz .LBB25_456
; %bb.442:
	s_cmp_lt_i32 s3, 1
	s_mov_b64 s[6:7], 0
	s_cbranch_scc1 .LBB25_447
; %bb.443:
	s_cmp_gt_i32 s3, 1
	s_cbranch_scc0 .LBB25_448
; %bb.444:
	s_cmp_eq_u32 s3, 2
	s_cbranch_scc0 .LBB25_546
; %bb.445:
	v_cmp_le_i16_sdwa s[10:11], sext(v14), sext(v13) src0_sel:BYTE_0 src1_sel:BYTE_0
	s_mov_b64 s[12:13], 0
	s_branch .LBB25_450
.LBB25_446:
	v_cmp_lt_i16_sdwa s[12:13], sext(v16), sext(v15) src0_sel:BYTE_0 src1_sel:BYTE_0
	s_andn2_b64 s[10:11], s[10:11], exec
	s_and_b64 s[12:13], s[12:13], exec
	s_or_b64 s[10:11], s[10:11], s[12:13]
	s_cbranch_execz .LBB25_439
	s_branch .LBB25_440
.LBB25_447:
                                        ; implicit-def: $sgpr10_sgpr11
	s_mov_b64 s[12:13], 0
	s_cbranch_execnz .LBB25_451
	s_branch .LBB25_452
.LBB25_448:
	s_mov_b64 s[12:13], 0
                                        ; implicit-def: $sgpr10_sgpr11
	s_cbranch_execz .LBB25_450
; %bb.449:
	v_cmp_gt_i16_sdwa s[14:15], sext(v14), sext(v13) src0_sel:BYTE_0 src1_sel:BYTE_0
	s_andn2_b64 s[10:11], s[10:11], exec
	s_and_b64 s[14:15], s[14:15], exec
	s_or_b64 s[10:11], s[10:11], s[14:15]
.LBB25_450:
	s_branch .LBB25_452
.LBB25_451:
	s_cmp_lg_u32 s3, 0
	s_mov_b64 s[6:7], -1
	s_cselect_b64 s[12:13], -1, 0
.LBB25_452:
	s_andn2_b64 vcc, exec, s[12:13]
	s_cbranch_vccz .LBB25_461
; %bb.453:
	s_andn2_b64 vcc, exec, s[6:7]
	s_cbranch_vccnz .LBB25_455
.LBB25_454:
	v_cmp_ge_i16_sdwa s[6:7], sext(v14), sext(v13) src0_sel:BYTE_0 src1_sel:BYTE_0
	s_andn2_b64 s[10:11], s[10:11], exec
	s_and_b64 s[6:7], s[6:7], exec
	s_or_b64 s[10:11], s[10:11], s[6:7]
.LBB25_455:
	v_and_b32_e32 v13, 0xffffff00, v1
	v_cndmask_b32_e64 v14, 0, 1, s[10:11]
	v_or_b32_e32 v13, v14, v13
	v_and_b32_e32 v13, 0xffff, v13
	s_mov_b32 s6, 0xffff0000
	v_and_or_b32 v1, v1, s6, v13
.LBB25_456:
	s_or_b64 exec, exec, s[4:5]
	v_or_b32_e32 v13, 0xd00, v0
	v_cmp_gt_i32_e32 vcc, s2, v13
	s_and_saveexec_b64 s[4:5], vcc
	s_cbranch_execz .LBB25_471
; %bb.457:
	s_cmp_lt_i32 s3, 1
	s_mov_b64 s[6:7], 0
	s_cbranch_scc1 .LBB25_462
; %bb.458:
	s_cmp_gt_i32 s3, 1
	s_cbranch_scc0 .LBB25_463
; %bb.459:
	s_cmp_eq_u32 s3, 2
	s_cbranch_scc0 .LBB25_547
; %bb.460:
	v_cmp_le_i16_sdwa s[10:11], sext(v12), sext(v11) src0_sel:BYTE_0 src1_sel:BYTE_0
	s_mov_b64 s[12:13], 0
	s_branch .LBB25_465
.LBB25_461:
	v_cmp_lt_i16_sdwa s[12:13], sext(v14), sext(v13) src0_sel:BYTE_0 src1_sel:BYTE_0
	s_andn2_b64 s[10:11], s[10:11], exec
	s_and_b64 s[12:13], s[12:13], exec
	s_or_b64 s[10:11], s[10:11], s[12:13]
	s_cbranch_execz .LBB25_454
	s_branch .LBB25_455
.LBB25_462:
                                        ; implicit-def: $sgpr10_sgpr11
	s_mov_b64 s[12:13], 0
	s_cbranch_execnz .LBB25_466
	s_branch .LBB25_467
.LBB25_463:
	s_mov_b64 s[12:13], 0
                                        ; implicit-def: $sgpr10_sgpr11
	s_cbranch_execz .LBB25_465
; %bb.464:
	v_cmp_gt_i16_sdwa s[14:15], sext(v12), sext(v11) src0_sel:BYTE_0 src1_sel:BYTE_0
	s_andn2_b64 s[10:11], s[10:11], exec
	s_and_b64 s[14:15], s[14:15], exec
	s_or_b64 s[10:11], s[10:11], s[14:15]
.LBB25_465:
	s_branch .LBB25_467
.LBB25_466:
	s_cmp_lg_u32 s3, 0
	s_mov_b64 s[6:7], -1
	s_cselect_b64 s[12:13], -1, 0
.LBB25_467:
	s_andn2_b64 vcc, exec, s[12:13]
	s_cbranch_vccz .LBB25_476
; %bb.468:
	s_andn2_b64 vcc, exec, s[6:7]
	s_cbranch_vccnz .LBB25_470
.LBB25_469:
	v_cmp_ge_i16_sdwa s[6:7], sext(v12), sext(v11) src0_sel:BYTE_0 src1_sel:BYTE_0
	s_andn2_b64 s[10:11], s[10:11], exec
	s_and_b64 s[6:7], s[6:7], exec
	s_or_b64 s[10:11], s[10:11], s[6:7]
.LBB25_470:
	v_cndmask_b32_e64 v11, 0, 1, s[10:11]
	v_lshlrev_b16_e32 v11, 8, v11
	v_or_b32_sdwa v11, v1, v11 dst_sel:DWORD dst_unused:UNUSED_PAD src0_sel:BYTE_0 src1_sel:DWORD
	v_and_b32_e32 v11, 0xffff, v11
	s_mov_b32 s6, 0xffff0000
	v_and_or_b32 v1, v1, s6, v11
.LBB25_471:
	s_or_b64 exec, exec, s[4:5]
	v_or_b32_e32 v11, 0xe00, v0
	v_cmp_gt_i32_e32 vcc, s2, v11
	s_and_saveexec_b64 s[4:5], vcc
	s_cbranch_execz .LBB25_486
; %bb.472:
	s_cmp_lt_i32 s3, 1
	s_mov_b64 s[6:7], 0
	s_cbranch_scc1 .LBB25_477
; %bb.473:
	s_cmp_gt_i32 s3, 1
	s_cbranch_scc0 .LBB25_478
; %bb.474:
	s_cmp_eq_u32 s3, 2
	s_cbranch_scc0 .LBB25_548
; %bb.475:
	v_cmp_le_i16_sdwa s[10:11], sext(v10), sext(v9) src0_sel:BYTE_0 src1_sel:BYTE_0
	s_mov_b64 s[12:13], 0
	s_branch .LBB25_480
.LBB25_476:
	v_cmp_lt_i16_sdwa s[12:13], sext(v12), sext(v11) src0_sel:BYTE_0 src1_sel:BYTE_0
	s_andn2_b64 s[10:11], s[10:11], exec
	s_and_b64 s[12:13], s[12:13], exec
	s_or_b64 s[10:11], s[10:11], s[12:13]
	s_cbranch_execz .LBB25_469
	s_branch .LBB25_470
.LBB25_477:
                                        ; implicit-def: $sgpr10_sgpr11
	s_mov_b64 s[12:13], 0
	s_cbranch_execnz .LBB25_481
	s_branch .LBB25_482
.LBB25_478:
	s_mov_b64 s[12:13], 0
                                        ; implicit-def: $sgpr10_sgpr11
	s_cbranch_execz .LBB25_480
; %bb.479:
	v_cmp_gt_i16_sdwa s[14:15], sext(v10), sext(v9) src0_sel:BYTE_0 src1_sel:BYTE_0
	s_andn2_b64 s[10:11], s[10:11], exec
	s_and_b64 s[14:15], s[14:15], exec
	s_or_b64 s[10:11], s[10:11], s[14:15]
.LBB25_480:
	s_branch .LBB25_482
.LBB25_481:
	s_cmp_lg_u32 s3, 0
	s_mov_b64 s[6:7], -1
	s_cselect_b64 s[12:13], -1, 0
.LBB25_482:
	s_andn2_b64 vcc, exec, s[12:13]
	s_cbranch_vccz .LBB25_491
; %bb.483:
	s_andn2_b64 vcc, exec, s[6:7]
	s_cbranch_vccnz .LBB25_485
.LBB25_484:
	v_cmp_ge_i16_sdwa s[6:7], sext(v10), sext(v9) src0_sel:BYTE_0 src1_sel:BYTE_0
	s_andn2_b64 s[10:11], s[10:11], exec
	s_and_b64 s[6:7], s[6:7], exec
	s_or_b64 s[10:11], s[10:11], s[6:7]
.LBB25_485:
	s_movk_i32 s6, 0xff00
	v_and_b32_sdwa v9, v1, s6 dst_sel:DWORD dst_unused:UNUSED_PAD src0_sel:WORD_1 src1_sel:DWORD
	v_cndmask_b32_e64 v10, 0, 1, s[10:11]
	v_or_b32_sdwa v9, v10, v9 dst_sel:WORD_1 dst_unused:UNUSED_PAD src0_sel:DWORD src1_sel:DWORD
	s_mov_b32 s6, 0xffff
	v_and_or_b32 v1, v1, s6, v9
.LBB25_486:
	s_or_b64 exec, exec, s[4:5]
	v_or_b32_e32 v9, 0xf00, v0
	v_cmp_gt_i32_e32 vcc, s2, v9
	s_and_saveexec_b64 s[4:5], vcc
	s_cbranch_execz .LBB25_501
; %bb.487:
	s_cmp_lt_i32 s3, 1
	s_mov_b64 s[6:7], 0
	s_cbranch_scc1 .LBB25_492
; %bb.488:
	s_cmp_gt_i32 s3, 1
	s_cbranch_scc0 .LBB25_493
; %bb.489:
	s_cmp_eq_u32 s3, 2
	s_cbranch_scc0 .LBB25_549
; %bb.490:
	v_cmp_le_i16_sdwa s[10:11], sext(v8), sext(v7) src0_sel:BYTE_0 src1_sel:BYTE_0
	s_mov_b64 s[12:13], 0
	s_branch .LBB25_495
.LBB25_491:
	v_cmp_lt_i16_sdwa s[12:13], sext(v10), sext(v9) src0_sel:BYTE_0 src1_sel:BYTE_0
	s_andn2_b64 s[10:11], s[10:11], exec
	s_and_b64 s[12:13], s[12:13], exec
	s_or_b64 s[10:11], s[10:11], s[12:13]
	s_cbranch_execz .LBB25_484
	s_branch .LBB25_485
.LBB25_492:
                                        ; implicit-def: $sgpr10_sgpr11
	s_mov_b64 s[12:13], 0
	s_cbranch_execnz .LBB25_496
	s_branch .LBB25_497
.LBB25_493:
	s_mov_b64 s[12:13], 0
                                        ; implicit-def: $sgpr10_sgpr11
	s_cbranch_execz .LBB25_495
; %bb.494:
	v_cmp_gt_i16_sdwa s[14:15], sext(v8), sext(v7) src0_sel:BYTE_0 src1_sel:BYTE_0
	s_andn2_b64 s[10:11], s[10:11], exec
	s_and_b64 s[14:15], s[14:15], exec
	s_or_b64 s[10:11], s[10:11], s[14:15]
.LBB25_495:
	s_branch .LBB25_497
.LBB25_496:
	s_cmp_lg_u32 s3, 0
	s_mov_b64 s[6:7], -1
	s_cselect_b64 s[12:13], -1, 0
.LBB25_497:
	s_andn2_b64 vcc, exec, s[12:13]
	s_cbranch_vccz .LBB25_534
; %bb.498:
	s_andn2_b64 vcc, exec, s[6:7]
	s_cbranch_vccnz .LBB25_500
.LBB25_499:
	v_cmp_ge_i16_sdwa s[6:7], sext(v8), sext(v7) src0_sel:BYTE_0 src1_sel:BYTE_0
	s_andn2_b64 s[10:11], s[10:11], exec
	s_and_b64 s[6:7], s[6:7], exec
	s_or_b64 s[10:11], s[10:11], s[6:7]
.LBB25_500:
	s_movk_i32 s3, 0xff
	v_cndmask_b32_e64 v8, 0, 1, s[10:11]
	v_and_b32_sdwa v7, v1, s3 dst_sel:DWORD dst_unused:UNUSED_PAD src0_sel:WORD_1 src1_sel:DWORD
	v_lshlrev_b16_e32 v8, 8, v8
	v_or_b32_sdwa v7, v7, v8 dst_sel:WORD_1 dst_unused:UNUSED_PAD src0_sel:DWORD src1_sel:DWORD
	s_mov_b32 s3, 0xffff
	v_and_or_b32 v1, v1, s3, v7
.LBB25_501:
	s_or_b64 exec, exec, s[4:5]
	s_and_saveexec_b64 s[4:5], s[0:1]
	s_xor_b64 s[0:1], exec, s[4:5]
	s_cbranch_execz .LBB25_503
; %bb.502:
	v_mov_b32_e32 v0, v4
	global_store_byte v5, v6, s[8:9]
.LBB25_503:
	s_or_b64 exec, exec, s[0:1]
	v_cmp_gt_i32_e32 vcc, s2, v0
	s_and_saveexec_b64 s[0:1], vcc
	s_cbranch_execnz .LBB25_519
; %bb.504:
	s_or_b64 exec, exec, s[0:1]
	v_cmp_gt_i32_e32 vcc, s2, v0
	s_and_saveexec_b64 s[0:1], vcc
	s_cbranch_execnz .LBB25_520
.LBB25_505:
	s_or_b64 exec, exec, s[0:1]
	v_cmp_gt_i32_e32 vcc, s2, v0
	s_and_saveexec_b64 s[0:1], vcc
	s_cbranch_execnz .LBB25_521
.LBB25_506:
	s_or_b64 exec, exec, s[0:1]
	v_cmp_gt_i32_e32 vcc, s2, v0
	s_and_saveexec_b64 s[0:1], vcc
	s_cbranch_execnz .LBB25_522
.LBB25_507:
	s_or_b64 exec, exec, s[0:1]
	v_cmp_gt_i32_e32 vcc, s2, v0
	s_and_saveexec_b64 s[0:1], vcc
	s_cbranch_execnz .LBB25_523
.LBB25_508:
	s_or_b64 exec, exec, s[0:1]
	v_cmp_gt_i32_e32 vcc, s2, v0
	s_and_saveexec_b64 s[0:1], vcc
	s_cbranch_execnz .LBB25_524
.LBB25_509:
	s_or_b64 exec, exec, s[0:1]
	v_cmp_gt_i32_e32 vcc, s2, v0
	s_and_saveexec_b64 s[0:1], vcc
	s_cbranch_execnz .LBB25_525
.LBB25_510:
	s_or_b64 exec, exec, s[0:1]
	v_cmp_gt_i32_e32 vcc, s2, v0
	s_and_saveexec_b64 s[0:1], vcc
	s_cbranch_execnz .LBB25_526
.LBB25_511:
	s_or_b64 exec, exec, s[0:1]
	v_cmp_gt_i32_e32 vcc, s2, v0
	s_and_saveexec_b64 s[0:1], vcc
	s_cbranch_execnz .LBB25_527
.LBB25_512:
	s_or_b64 exec, exec, s[0:1]
	v_cmp_gt_i32_e32 vcc, s2, v0
	s_and_saveexec_b64 s[0:1], vcc
	s_cbranch_execnz .LBB25_528
.LBB25_513:
	s_or_b64 exec, exec, s[0:1]
	v_cmp_gt_i32_e32 vcc, s2, v0
	s_and_saveexec_b64 s[0:1], vcc
	s_cbranch_execnz .LBB25_529
.LBB25_514:
	s_or_b64 exec, exec, s[0:1]
	v_cmp_gt_i32_e32 vcc, s2, v0
	s_and_saveexec_b64 s[0:1], vcc
	s_cbranch_execnz .LBB25_530
.LBB25_515:
	s_or_b64 exec, exec, s[0:1]
	v_cmp_gt_i32_e32 vcc, s2, v0
	s_and_saveexec_b64 s[0:1], vcc
	s_cbranch_execnz .LBB25_531
.LBB25_516:
	s_or_b64 exec, exec, s[0:1]
	v_cmp_gt_i32_e32 vcc, s2, v0
	s_and_saveexec_b64 s[0:1], vcc
	s_cbranch_execnz .LBB25_532
.LBB25_517:
	s_or_b64 exec, exec, s[0:1]
	v_cmp_gt_i32_e32 vcc, s2, v0
	s_and_saveexec_b64 s[0:1], vcc
	s_cbranch_execz .LBB25_533
.LBB25_518:
	v_lshrrev_b32_e32 v1, 24, v1
	v_add_u32_e32 v0, s33, v0
	global_store_byte v0, v1, s[8:9]
	s_endpgm
.LBB25_519:
	v_lshrrev_b32_e32 v4, 8, v6
	v_add_u32_e32 v5, s33, v0
	v_add_u32_e32 v0, 0x100, v0
	global_store_byte v5, v4, s[8:9]
	s_or_b64 exec, exec, s[0:1]
	v_cmp_gt_i32_e32 vcc, s2, v0
	s_and_saveexec_b64 s[0:1], vcc
	s_cbranch_execz .LBB25_505
.LBB25_520:
	v_add_u32_e32 v4, s33, v0
	v_add_u32_e32 v0, 0x100, v0
	global_store_byte_d16_hi v4, v6, s[8:9]
	s_or_b64 exec, exec, s[0:1]
	v_cmp_gt_i32_e32 vcc, s2, v0
	s_and_saveexec_b64 s[0:1], vcc
	s_cbranch_execz .LBB25_506
.LBB25_521:
	v_lshrrev_b32_e32 v4, 24, v6
	v_add_u32_e32 v5, s33, v0
	v_add_u32_e32 v0, 0x100, v0
	global_store_byte v5, v4, s[8:9]
	s_or_b64 exec, exec, s[0:1]
	v_cmp_gt_i32_e32 vcc, s2, v0
	s_and_saveexec_b64 s[0:1], vcc
	s_cbranch_execz .LBB25_507
.LBB25_522:
	v_add_u32_e32 v4, s33, v0
	v_add_u32_e32 v0, 0x100, v0
	global_store_byte v4, v3, s[8:9]
	s_or_b64 exec, exec, s[0:1]
	v_cmp_gt_i32_e32 vcc, s2, v0
	s_and_saveexec_b64 s[0:1], vcc
	s_cbranch_execz .LBB25_508
.LBB25_523:
	v_lshrrev_b32_e32 v4, 8, v3
	v_add_u32_e32 v5, s33, v0
	v_add_u32_e32 v0, 0x100, v0
	global_store_byte v5, v4, s[8:9]
	s_or_b64 exec, exec, s[0:1]
	v_cmp_gt_i32_e32 vcc, s2, v0
	s_and_saveexec_b64 s[0:1], vcc
	s_cbranch_execz .LBB25_509
.LBB25_524:
	v_add_u32_e32 v4, s33, v0
	v_add_u32_e32 v0, 0x100, v0
	global_store_byte_d16_hi v4, v3, s[8:9]
	s_or_b64 exec, exec, s[0:1]
	v_cmp_gt_i32_e32 vcc, s2, v0
	s_and_saveexec_b64 s[0:1], vcc
	s_cbranch_execz .LBB25_510
.LBB25_525:
	v_lshrrev_b32_e32 v3, 24, v3
	v_add_u32_e32 v4, s33, v0
	v_add_u32_e32 v0, 0x100, v0
	global_store_byte v4, v3, s[8:9]
	s_or_b64 exec, exec, s[0:1]
	v_cmp_gt_i32_e32 vcc, s2, v0
	s_and_saveexec_b64 s[0:1], vcc
	s_cbranch_execz .LBB25_511
.LBB25_526:
	v_add_u32_e32 v3, s33, v0
	v_add_u32_e32 v0, 0x100, v0
	global_store_byte v3, v2, s[8:9]
	s_or_b64 exec, exec, s[0:1]
	v_cmp_gt_i32_e32 vcc, s2, v0
	s_and_saveexec_b64 s[0:1], vcc
	s_cbranch_execz .LBB25_512
.LBB25_527:
	v_lshrrev_b32_e32 v3, 8, v2
	v_add_u32_e32 v4, s33, v0
	v_add_u32_e32 v0, 0x100, v0
	global_store_byte v4, v3, s[8:9]
	s_or_b64 exec, exec, s[0:1]
	v_cmp_gt_i32_e32 vcc, s2, v0
	s_and_saveexec_b64 s[0:1], vcc
	s_cbranch_execz .LBB25_513
.LBB25_528:
	v_add_u32_e32 v3, s33, v0
	v_add_u32_e32 v0, 0x100, v0
	global_store_byte_d16_hi v3, v2, s[8:9]
	s_or_b64 exec, exec, s[0:1]
	v_cmp_gt_i32_e32 vcc, s2, v0
	s_and_saveexec_b64 s[0:1], vcc
	s_cbranch_execz .LBB25_514
.LBB25_529:
	v_lshrrev_b32_e32 v2, 24, v2
	v_add_u32_e32 v3, s33, v0
	v_add_u32_e32 v0, 0x100, v0
	global_store_byte v3, v2, s[8:9]
	s_or_b64 exec, exec, s[0:1]
	v_cmp_gt_i32_e32 vcc, s2, v0
	s_and_saveexec_b64 s[0:1], vcc
	s_cbranch_execz .LBB25_515
.LBB25_530:
	v_add_u32_e32 v2, s33, v0
	v_add_u32_e32 v0, 0x100, v0
	global_store_byte v2, v1, s[8:9]
	s_or_b64 exec, exec, s[0:1]
	v_cmp_gt_i32_e32 vcc, s2, v0
	s_and_saveexec_b64 s[0:1], vcc
	s_cbranch_execz .LBB25_516
.LBB25_531:
	v_lshrrev_b32_e32 v2, 8, v1
	v_add_u32_e32 v3, s33, v0
	v_add_u32_e32 v0, 0x100, v0
	global_store_byte v3, v2, s[8:9]
	s_or_b64 exec, exec, s[0:1]
	v_cmp_gt_i32_e32 vcc, s2, v0
	s_and_saveexec_b64 s[0:1], vcc
	s_cbranch_execz .LBB25_517
.LBB25_532:
	v_add_u32_e32 v2, s33, v0
	v_add_u32_e32 v0, 0x100, v0
	global_store_byte_d16_hi v2, v1, s[8:9]
	s_or_b64 exec, exec, s[0:1]
	v_cmp_gt_i32_e32 vcc, s2, v0
	s_and_saveexec_b64 s[0:1], vcc
	s_cbranch_execnz .LBB25_518
.LBB25_533:
	s_endpgm
.LBB25_534:
	v_cmp_lt_i16_sdwa s[12:13], sext(v8), sext(v7) src0_sel:BYTE_0 src1_sel:BYTE_0
	s_andn2_b64 s[10:11], s[10:11], exec
	s_and_b64 s[12:13], s[12:13], exec
	s_or_b64 s[10:11], s[10:11], s[12:13]
	s_cbranch_execz .LBB25_499
	s_branch .LBB25_500
.LBB25_535:
	s_mov_b64 s[12:13], -1
                                        ; implicit-def: $sgpr10_sgpr11
	s_branch .LBB25_285
.LBB25_536:
	s_mov_b64 s[12:13], -1
                                        ; implicit-def: $sgpr10_sgpr11
	s_branch .LBB25_300
.LBB25_537:
	s_mov_b64 s[12:13], -1
                                        ; implicit-def: $sgpr10_sgpr11
	s_branch .LBB25_315
.LBB25_538:
	s_mov_b64 s[12:13], -1
                                        ; implicit-def: $sgpr10_sgpr11
	s_branch .LBB25_330
.LBB25_539:
	s_mov_b64 s[12:13], -1
                                        ; implicit-def: $sgpr10_sgpr11
	s_branch .LBB25_345
.LBB25_540:
	s_mov_b64 s[12:13], -1
                                        ; implicit-def: $sgpr10_sgpr11
	s_branch .LBB25_360
.LBB25_541:
	s_mov_b64 s[12:13], -1
                                        ; implicit-def: $sgpr10_sgpr11
	s_branch .LBB25_375
.LBB25_542:
	s_mov_b64 s[12:13], -1
                                        ; implicit-def: $sgpr10_sgpr11
	s_branch .LBB25_390
.LBB25_543:
	s_mov_b64 s[12:13], -1
                                        ; implicit-def: $sgpr10_sgpr11
	s_branch .LBB25_405
.LBB25_544:
	s_mov_b64 s[12:13], -1
                                        ; implicit-def: $sgpr10_sgpr11
	s_branch .LBB25_420
.LBB25_545:
	s_mov_b64 s[12:13], -1
                                        ; implicit-def: $sgpr10_sgpr11
	s_branch .LBB25_435
.LBB25_546:
	s_mov_b64 s[12:13], -1
                                        ; implicit-def: $sgpr10_sgpr11
	s_branch .LBB25_450
.LBB25_547:
	s_mov_b64 s[12:13], -1
                                        ; implicit-def: $sgpr10_sgpr11
	s_branch .LBB25_465
.LBB25_548:
	s_mov_b64 s[12:13], -1
                                        ; implicit-def: $sgpr10_sgpr11
	s_branch .LBB25_480
.LBB25_549:
	s_mov_b64 s[12:13], -1
                                        ; implicit-def: $sgpr10_sgpr11
	s_branch .LBB25_495
	.section	.rodata,"a",@progbits
	.p2align	6, 0x0
	.amdhsa_kernel _ZN2at6native29vectorized_elementwise_kernelILi8ENS0_12_GLOBAL__N_114CompareFunctorIaEESt5arrayIPcLm3EEEEviT0_T1_
		.amdhsa_group_segment_fixed_size 0
		.amdhsa_private_segment_fixed_size 0
		.amdhsa_kernarg_size 32
		.amdhsa_user_sgpr_count 6
		.amdhsa_user_sgpr_private_segment_buffer 1
		.amdhsa_user_sgpr_dispatch_ptr 0
		.amdhsa_user_sgpr_queue_ptr 0
		.amdhsa_user_sgpr_kernarg_segment_ptr 1
		.amdhsa_user_sgpr_dispatch_id 0
		.amdhsa_user_sgpr_flat_scratch_init 0
		.amdhsa_user_sgpr_private_segment_size 0
		.amdhsa_uses_dynamic_stack 0
		.amdhsa_system_sgpr_private_segment_wavefront_offset 0
		.amdhsa_system_sgpr_workgroup_id_x 1
		.amdhsa_system_sgpr_workgroup_id_y 0
		.amdhsa_system_sgpr_workgroup_id_z 0
		.amdhsa_system_sgpr_workgroup_info 0
		.amdhsa_system_vgpr_workitem_id 0
		.amdhsa_next_free_vgpr 39
		.amdhsa_next_free_sgpr 49
		.amdhsa_reserve_vcc 1
		.amdhsa_reserve_flat_scratch 0
		.amdhsa_float_round_mode_32 0
		.amdhsa_float_round_mode_16_64 0
		.amdhsa_float_denorm_mode_32 3
		.amdhsa_float_denorm_mode_16_64 3
		.amdhsa_dx10_clamp 1
		.amdhsa_ieee_mode 1
		.amdhsa_fp16_overflow 0
		.amdhsa_exception_fp_ieee_invalid_op 0
		.amdhsa_exception_fp_denorm_src 0
		.amdhsa_exception_fp_ieee_div_zero 0
		.amdhsa_exception_fp_ieee_overflow 0
		.amdhsa_exception_fp_ieee_underflow 0
		.amdhsa_exception_fp_ieee_inexact 0
		.amdhsa_exception_int_div_zero 0
	.end_amdhsa_kernel
	.section	.text._ZN2at6native29vectorized_elementwise_kernelILi8ENS0_12_GLOBAL__N_114CompareFunctorIaEESt5arrayIPcLm3EEEEviT0_T1_,"axG",@progbits,_ZN2at6native29vectorized_elementwise_kernelILi8ENS0_12_GLOBAL__N_114CompareFunctorIaEESt5arrayIPcLm3EEEEviT0_T1_,comdat
.Lfunc_end25:
	.size	_ZN2at6native29vectorized_elementwise_kernelILi8ENS0_12_GLOBAL__N_114CompareFunctorIaEESt5arrayIPcLm3EEEEviT0_T1_, .Lfunc_end25-_ZN2at6native29vectorized_elementwise_kernelILi8ENS0_12_GLOBAL__N_114CompareFunctorIaEESt5arrayIPcLm3EEEEviT0_T1_
                                        ; -- End function
	.set _ZN2at6native29vectorized_elementwise_kernelILi8ENS0_12_GLOBAL__N_114CompareFunctorIaEESt5arrayIPcLm3EEEEviT0_T1_.num_vgpr, 39
	.set _ZN2at6native29vectorized_elementwise_kernelILi8ENS0_12_GLOBAL__N_114CompareFunctorIaEESt5arrayIPcLm3EEEEviT0_T1_.num_agpr, 0
	.set _ZN2at6native29vectorized_elementwise_kernelILi8ENS0_12_GLOBAL__N_114CompareFunctorIaEESt5arrayIPcLm3EEEEviT0_T1_.numbered_sgpr, 49
	.set _ZN2at6native29vectorized_elementwise_kernelILi8ENS0_12_GLOBAL__N_114CompareFunctorIaEESt5arrayIPcLm3EEEEviT0_T1_.num_named_barrier, 0
	.set _ZN2at6native29vectorized_elementwise_kernelILi8ENS0_12_GLOBAL__N_114CompareFunctorIaEESt5arrayIPcLm3EEEEviT0_T1_.private_seg_size, 0
	.set _ZN2at6native29vectorized_elementwise_kernelILi8ENS0_12_GLOBAL__N_114CompareFunctorIaEESt5arrayIPcLm3EEEEviT0_T1_.uses_vcc, 1
	.set _ZN2at6native29vectorized_elementwise_kernelILi8ENS0_12_GLOBAL__N_114CompareFunctorIaEESt5arrayIPcLm3EEEEviT0_T1_.uses_flat_scratch, 0
	.set _ZN2at6native29vectorized_elementwise_kernelILi8ENS0_12_GLOBAL__N_114CompareFunctorIaEESt5arrayIPcLm3EEEEviT0_T1_.has_dyn_sized_stack, 0
	.set _ZN2at6native29vectorized_elementwise_kernelILi8ENS0_12_GLOBAL__N_114CompareFunctorIaEESt5arrayIPcLm3EEEEviT0_T1_.has_recursion, 0
	.set _ZN2at6native29vectorized_elementwise_kernelILi8ENS0_12_GLOBAL__N_114CompareFunctorIaEESt5arrayIPcLm3EEEEviT0_T1_.has_indirect_call, 0
	.section	.AMDGPU.csdata,"",@progbits
; Kernel info:
; codeLenInByte = 10092
; TotalNumSgprs: 53
; NumVgprs: 39
; ScratchSize: 0
; MemoryBound: 0
; FloatMode: 240
; IeeeMode: 1
; LDSByteSize: 0 bytes/workgroup (compile time only)
; SGPRBlocks: 6
; VGPRBlocks: 9
; NumSGPRsForWavesPerEU: 53
; NumVGPRsForWavesPerEU: 39
; Occupancy: 6
; WaveLimiterHint : 1
; COMPUTE_PGM_RSRC2:SCRATCH_EN: 0
; COMPUTE_PGM_RSRC2:USER_SGPR: 6
; COMPUTE_PGM_RSRC2:TRAP_HANDLER: 0
; COMPUTE_PGM_RSRC2:TGID_X_EN: 1
; COMPUTE_PGM_RSRC2:TGID_Y_EN: 0
; COMPUTE_PGM_RSRC2:TGID_Z_EN: 0
; COMPUTE_PGM_RSRC2:TIDIG_COMP_CNT: 0
	.section	.text._ZN2at6native29vectorized_elementwise_kernelILi4ENS0_12_GLOBAL__N_114CompareFunctorIaEESt5arrayIPcLm3EEEEviT0_T1_,"axG",@progbits,_ZN2at6native29vectorized_elementwise_kernelILi4ENS0_12_GLOBAL__N_114CompareFunctorIaEESt5arrayIPcLm3EEEEviT0_T1_,comdat
	.globl	_ZN2at6native29vectorized_elementwise_kernelILi4ENS0_12_GLOBAL__N_114CompareFunctorIaEESt5arrayIPcLm3EEEEviT0_T1_ ; -- Begin function _ZN2at6native29vectorized_elementwise_kernelILi4ENS0_12_GLOBAL__N_114CompareFunctorIaEESt5arrayIPcLm3EEEEviT0_T1_
	.p2align	8
	.type	_ZN2at6native29vectorized_elementwise_kernelILi4ENS0_12_GLOBAL__N_114CompareFunctorIaEESt5arrayIPcLm3EEEEviT0_T1_,@function
_ZN2at6native29vectorized_elementwise_kernelILi4ENS0_12_GLOBAL__N_114CompareFunctorIaEESt5arrayIPcLm3EEEEviT0_T1_: ; @_ZN2at6native29vectorized_elementwise_kernelILi4ENS0_12_GLOBAL__N_114CompareFunctorIaEESt5arrayIPcLm3EEEEviT0_T1_
; %bb.0:
	s_load_dwordx2 s[2:3], s[4:5], 0x0
	s_load_dwordx4 s[8:11], s[4:5], 0x8
	s_load_dwordx2 s[12:13], s[4:5], 0x18
	s_lshl_b32 s33, s6, 12
	s_mov_b64 s[0:1], -1
	s_waitcnt lgkmcnt(0)
	s_sub_i32 s2, s2, s33
	s_cmpk_gt_i32 s2, 0xfff
	s_cbranch_scc0 .LBB26_211
; %bb.1:
	s_ashr_i32 s48, s33, 31
	s_add_u32 s0, s10, s33
	s_addc_u32 s1, s11, s48
	v_lshlrev_b32_e32 v9, 2, v0
	s_add_u32 s4, s12, s33
	s_addc_u32 s5, s13, s48
	global_load_dword v7, v9, s[0:1]
	global_load_dword v5, v9, s[0:1] offset:1024
	global_load_dword v3, v9, s[0:1] offset:2048
	;; [unrolled: 1-line block ×3, first 2 shown]
	global_load_dword v8, v9, s[4:5]
	global_load_dword v6, v9, s[4:5] offset:1024
	global_load_dword v4, v9, s[4:5] offset:2048
	;; [unrolled: 1-line block ×3, first 2 shown]
	s_cmp_lt_i32 s3, 1
	s_mov_b64 s[4:5], 0
	s_cbranch_scc1 .LBB26_5
; %bb.2:
	s_cmp_gt_i32 s3, 1
	s_cbranch_scc0 .LBB26_6
; %bb.3:
	s_cmp_eq_u32 s3, 2
	s_cbranch_scc0 .LBB26_7
; %bb.4:
	s_waitcnt vmcnt(3)
	v_cmp_le_i16_sdwa s[0:1], sext(v7), sext(v8) src0_sel:BYTE_0 src1_sel:BYTE_0
	s_mov_b64 s[6:7], 0
	s_branch .LBB26_8
.LBB26_5:
                                        ; implicit-def: $sgpr0_sgpr1
	s_mov_b64 s[6:7], 0
	s_cbranch_execnz .LBB26_11
	s_branch .LBB26_12
.LBB26_6:
	s_mov_b64 s[6:7], 0
                                        ; implicit-def: $sgpr0_sgpr1
	s_cbranch_execnz .LBB26_9
	s_branch .LBB26_10
.LBB26_7:
	s_mov_b64 s[6:7], -1
                                        ; implicit-def: $sgpr0_sgpr1
.LBB26_8:
	s_branch .LBB26_10
.LBB26_9:
	s_waitcnt vmcnt(3)
	v_cmp_gt_i16_sdwa s[14:15], sext(v7), sext(v8) src0_sel:BYTE_0 src1_sel:BYTE_0
	s_andn2_b64 s[0:1], s[0:1], exec
	s_and_b64 s[14:15], s[14:15], exec
	s_or_b64 s[0:1], s[0:1], s[14:15]
.LBB26_10:
	s_branch .LBB26_12
.LBB26_11:
	s_cmp_lg_u32 s3, 0
	s_mov_b64 s[4:5], -1
	s_cselect_b64 s[6:7], -1, 0
.LBB26_12:
	s_andn2_b64 vcc, exec, s[6:7]
	s_cbranch_vccz .LBB26_18
; %bb.13:
	s_andn2_b64 vcc, exec, s[4:5]
	s_cbranch_vccz .LBB26_19
.LBB26_14:
	s_cmp_lt_i32 s3, 1
	s_mov_b64 s[6:7], 0
	s_cbranch_scc1 .LBB26_20
.LBB26_15:
	s_cmp_gt_i32 s3, 1
	s_cbranch_scc0 .LBB26_21
; %bb.16:
	s_cmp_eq_u32 s3, 2
	s_cbranch_scc0 .LBB26_251
; %bb.17:
	s_waitcnt vmcnt(3)
	v_lshrrev_b32_e32 v9, 8, v8
	v_lshrrev_b32_e32 v10, 8, v7
	v_cmp_le_i16_sdwa s[4:5], sext(v10), sext(v9) src0_sel:BYTE_0 src1_sel:BYTE_0
	s_mov_b64 s[14:15], 0
	s_branch .LBB26_23
.LBB26_18:
	s_waitcnt vmcnt(3)
	v_cmp_lt_i16_sdwa s[6:7], sext(v7), sext(v8) src0_sel:BYTE_0 src1_sel:BYTE_0
	s_andn2_b64 s[0:1], s[0:1], exec
	s_and_b64 s[6:7], s[6:7], exec
	s_or_b64 s[0:1], s[0:1], s[6:7]
	s_cbranch_execnz .LBB26_14
.LBB26_19:
	s_waitcnt vmcnt(3)
	v_cmp_ge_i16_sdwa s[4:5], sext(v7), sext(v8) src0_sel:BYTE_0 src1_sel:BYTE_0
	s_andn2_b64 s[0:1], s[0:1], exec
	s_and_b64 s[4:5], s[4:5], exec
	s_or_b64 s[0:1], s[0:1], s[4:5]
	s_cmp_lt_i32 s3, 1
	s_mov_b64 s[6:7], 0
	s_cbranch_scc0 .LBB26_15
.LBB26_20:
                                        ; implicit-def: $sgpr4_sgpr5
	s_mov_b64 s[14:15], 0
	s_cbranch_execnz .LBB26_24
	s_branch .LBB26_25
.LBB26_21:
	s_mov_b64 s[14:15], 0
                                        ; implicit-def: $sgpr4_sgpr5
	s_cbranch_execz .LBB26_23
; %bb.22:
	s_waitcnt vmcnt(3)
	v_lshrrev_b32_e32 v9, 8, v8
	v_lshrrev_b32_e32 v10, 8, v7
	v_cmp_gt_i16_sdwa s[16:17], sext(v10), sext(v9) src0_sel:BYTE_0 src1_sel:BYTE_0
	s_andn2_b64 s[4:5], s[4:5], exec
	s_and_b64 s[16:17], s[16:17], exec
	s_or_b64 s[4:5], s[4:5], s[16:17]
.LBB26_23:
	s_branch .LBB26_25
.LBB26_24:
	s_cmp_lg_u32 s3, 0
	s_mov_b64 s[6:7], -1
	s_cselect_b64 s[14:15], -1, 0
.LBB26_25:
	s_andn2_b64 vcc, exec, s[14:15]
	s_waitcnt vmcnt(3)
	v_lshrrev_b32_e32 v9, 8, v8
	v_lshrrev_b32_e32 v10, 8, v7
	s_cbranch_vccz .LBB26_31
; %bb.26:
	s_andn2_b64 vcc, exec, s[6:7]
	s_cbranch_vccz .LBB26_32
.LBB26_27:
	s_cmp_lt_i32 s3, 1
	s_mov_b64 s[14:15], 0
	s_cbranch_scc1 .LBB26_33
.LBB26_28:
	s_cmp_gt_i32 s3, 1
	s_cbranch_scc0 .LBB26_34
; %bb.29:
	s_cmp_eq_u32 s3, 2
	s_cbranch_scc0 .LBB26_252
; %bb.30:
	v_lshrrev_b32_e32 v9, 16, v8
	v_lshrrev_b32_e32 v10, 16, v7
	v_cmp_le_i16_sdwa s[6:7], sext(v10), sext(v9) src0_sel:BYTE_0 src1_sel:BYTE_0
	s_mov_b64 s[16:17], 0
	s_branch .LBB26_36
.LBB26_31:
	v_cmp_lt_i16_sdwa s[14:15], sext(v10), sext(v9) src0_sel:BYTE_0 src1_sel:BYTE_0
	s_andn2_b64 s[4:5], s[4:5], exec
	s_and_b64 s[14:15], s[14:15], exec
	s_or_b64 s[4:5], s[4:5], s[14:15]
	s_cbranch_execnz .LBB26_27
.LBB26_32:
	v_cmp_ge_i16_sdwa s[6:7], sext(v10), sext(v9) src0_sel:BYTE_0 src1_sel:BYTE_0
	s_andn2_b64 s[4:5], s[4:5], exec
	s_and_b64 s[6:7], s[6:7], exec
	s_or_b64 s[4:5], s[4:5], s[6:7]
	s_cmp_lt_i32 s3, 1
	s_mov_b64 s[14:15], 0
	s_cbranch_scc0 .LBB26_28
.LBB26_33:
                                        ; implicit-def: $sgpr6_sgpr7
	s_mov_b64 s[16:17], 0
	s_cbranch_execnz .LBB26_37
	s_branch .LBB26_38
.LBB26_34:
	s_mov_b64 s[16:17], 0
                                        ; implicit-def: $sgpr6_sgpr7
	s_cbranch_execz .LBB26_36
; %bb.35:
	v_lshrrev_b32_e32 v9, 16, v8
	v_lshrrev_b32_e32 v10, 16, v7
	v_cmp_gt_i16_sdwa s[18:19], sext(v10), sext(v9) src0_sel:BYTE_0 src1_sel:BYTE_0
	s_andn2_b64 s[6:7], s[6:7], exec
	s_and_b64 s[18:19], s[18:19], exec
	s_or_b64 s[6:7], s[6:7], s[18:19]
.LBB26_36:
	s_branch .LBB26_38
.LBB26_37:
	s_cmp_lg_u32 s3, 0
	s_mov_b64 s[14:15], -1
	s_cselect_b64 s[16:17], -1, 0
.LBB26_38:
	s_andn2_b64 vcc, exec, s[16:17]
	v_lshrrev_b32_e32 v9, 16, v8
	v_lshrrev_b32_e32 v10, 16, v7
	s_cbranch_vccz .LBB26_44
; %bb.39:
	s_andn2_b64 vcc, exec, s[14:15]
	s_cbranch_vccz .LBB26_45
.LBB26_40:
	s_cmp_lt_i32 s3, 1
	s_mov_b64 s[16:17], 0
	s_cbranch_scc1 .LBB26_46
.LBB26_41:
	s_cmp_gt_i32 s3, 1
	s_cbranch_scc0 .LBB26_47
; %bb.42:
	s_cmp_eq_u32 s3, 2
	s_cbranch_scc0 .LBB26_253
; %bb.43:
	v_lshrrev_b32_e32 v9, 24, v8
	v_lshrrev_b32_e32 v10, 24, v7
	v_cmp_le_i16_sdwa s[14:15], sext(v10), sext(v9) src0_sel:BYTE_0 src1_sel:BYTE_0
	s_mov_b64 s[18:19], 0
	s_branch .LBB26_49
.LBB26_44:
	v_cmp_lt_i16_sdwa s[16:17], sext(v10), sext(v9) src0_sel:BYTE_0 src1_sel:BYTE_0
	s_andn2_b64 s[6:7], s[6:7], exec
	s_and_b64 s[16:17], s[16:17], exec
	s_or_b64 s[6:7], s[6:7], s[16:17]
	s_cbranch_execnz .LBB26_40
.LBB26_45:
	v_cmp_ge_i16_sdwa s[14:15], sext(v10), sext(v9) src0_sel:BYTE_0 src1_sel:BYTE_0
	s_andn2_b64 s[6:7], s[6:7], exec
	s_and_b64 s[14:15], s[14:15], exec
	s_or_b64 s[6:7], s[6:7], s[14:15]
	s_cmp_lt_i32 s3, 1
	s_mov_b64 s[16:17], 0
	s_cbranch_scc0 .LBB26_41
.LBB26_46:
                                        ; implicit-def: $sgpr14_sgpr15
	s_mov_b64 s[18:19], 0
	s_cbranch_execnz .LBB26_50
	s_branch .LBB26_51
.LBB26_47:
	s_mov_b64 s[18:19], 0
                                        ; implicit-def: $sgpr14_sgpr15
	s_cbranch_execz .LBB26_49
; %bb.48:
	v_lshrrev_b32_e32 v9, 24, v8
	v_lshrrev_b32_e32 v10, 24, v7
	v_cmp_gt_i16_sdwa s[20:21], sext(v10), sext(v9) src0_sel:BYTE_0 src1_sel:BYTE_0
	s_andn2_b64 s[14:15], s[14:15], exec
	s_and_b64 s[20:21], s[20:21], exec
	s_or_b64 s[14:15], s[14:15], s[20:21]
.LBB26_49:
	s_branch .LBB26_51
.LBB26_50:
	s_cmp_lg_u32 s3, 0
	s_mov_b64 s[16:17], -1
	s_cselect_b64 s[18:19], -1, 0
.LBB26_51:
	s_andn2_b64 vcc, exec, s[18:19]
	v_lshrrev_b32_e32 v8, 24, v8
	v_lshrrev_b32_e32 v7, 24, v7
	s_cbranch_vccz .LBB26_57
; %bb.52:
	s_andn2_b64 vcc, exec, s[16:17]
	s_cbranch_vccz .LBB26_58
.LBB26_53:
	s_cmp_lt_i32 s3, 1
	s_mov_b64 s[18:19], 0
	s_cbranch_scc1 .LBB26_59
.LBB26_54:
	s_cmp_gt_i32 s3, 1
	s_cbranch_scc0 .LBB26_60
; %bb.55:
	s_cmp_eq_u32 s3, 2
	s_cbranch_scc0 .LBB26_254
; %bb.56:
	s_waitcnt vmcnt(2)
	v_cmp_le_i16_sdwa s[16:17], sext(v5), sext(v6) src0_sel:BYTE_0 src1_sel:BYTE_0
	s_mov_b64 s[20:21], 0
	s_branch .LBB26_62
.LBB26_57:
	v_cmp_lt_i16_sdwa s[18:19], sext(v7), sext(v8) src0_sel:BYTE_0 src1_sel:BYTE_0
	s_andn2_b64 s[14:15], s[14:15], exec
	s_and_b64 s[18:19], s[18:19], exec
	s_or_b64 s[14:15], s[14:15], s[18:19]
	s_cbranch_execnz .LBB26_53
.LBB26_58:
	v_cmp_ge_i16_sdwa s[16:17], sext(v7), sext(v8) src0_sel:BYTE_0 src1_sel:BYTE_0
	s_andn2_b64 s[14:15], s[14:15], exec
	s_and_b64 s[16:17], s[16:17], exec
	s_or_b64 s[14:15], s[14:15], s[16:17]
	s_cmp_lt_i32 s3, 1
	s_mov_b64 s[18:19], 0
	s_cbranch_scc0 .LBB26_54
.LBB26_59:
                                        ; implicit-def: $sgpr16_sgpr17
	s_mov_b64 s[20:21], 0
	s_cbranch_execnz .LBB26_63
	s_branch .LBB26_64
.LBB26_60:
	s_mov_b64 s[20:21], 0
                                        ; implicit-def: $sgpr16_sgpr17
	s_cbranch_execz .LBB26_62
; %bb.61:
	s_waitcnt vmcnt(2)
	v_cmp_gt_i16_sdwa s[22:23], sext(v5), sext(v6) src0_sel:BYTE_0 src1_sel:BYTE_0
	s_andn2_b64 s[16:17], s[16:17], exec
	s_and_b64 s[22:23], s[22:23], exec
	s_or_b64 s[16:17], s[16:17], s[22:23]
.LBB26_62:
	s_branch .LBB26_64
.LBB26_63:
	s_cmp_lg_u32 s3, 0
	s_mov_b64 s[18:19], -1
	s_cselect_b64 s[20:21], -1, 0
.LBB26_64:
	s_andn2_b64 vcc, exec, s[20:21]
	s_cbranch_vccz .LBB26_70
; %bb.65:
	s_andn2_b64 vcc, exec, s[18:19]
	s_cbranch_vccz .LBB26_71
.LBB26_66:
	s_cmp_lt_i32 s3, 1
	s_mov_b64 s[20:21], 0
	s_cbranch_scc1 .LBB26_72
.LBB26_67:
	s_cmp_gt_i32 s3, 1
	s_cbranch_scc0 .LBB26_73
; %bb.68:
	s_cmp_eq_u32 s3, 2
	s_cbranch_scc0 .LBB26_255
; %bb.69:
	s_waitcnt vmcnt(2)
	v_lshrrev_b32_e32 v7, 8, v6
	v_lshrrev_b32_e32 v8, 8, v5
	v_cmp_le_i16_sdwa s[18:19], sext(v8), sext(v7) src0_sel:BYTE_0 src1_sel:BYTE_0
	s_mov_b64 s[22:23], 0
	s_branch .LBB26_75
.LBB26_70:
	s_waitcnt vmcnt(2)
	v_cmp_lt_i16_sdwa s[20:21], sext(v5), sext(v6) src0_sel:BYTE_0 src1_sel:BYTE_0
	s_andn2_b64 s[16:17], s[16:17], exec
	s_and_b64 s[20:21], s[20:21], exec
	s_or_b64 s[16:17], s[16:17], s[20:21]
	s_cbranch_execnz .LBB26_66
.LBB26_71:
	s_waitcnt vmcnt(2)
	v_cmp_ge_i16_sdwa s[18:19], sext(v5), sext(v6) src0_sel:BYTE_0 src1_sel:BYTE_0
	s_andn2_b64 s[16:17], s[16:17], exec
	s_and_b64 s[18:19], s[18:19], exec
	s_or_b64 s[16:17], s[16:17], s[18:19]
	s_cmp_lt_i32 s3, 1
	s_mov_b64 s[20:21], 0
	s_cbranch_scc0 .LBB26_67
.LBB26_72:
                                        ; implicit-def: $sgpr18_sgpr19
	s_mov_b64 s[22:23], 0
	s_cbranch_execnz .LBB26_76
	s_branch .LBB26_77
.LBB26_73:
	s_mov_b64 s[22:23], 0
                                        ; implicit-def: $sgpr18_sgpr19
	s_cbranch_execz .LBB26_75
; %bb.74:
	s_waitcnt vmcnt(2)
	v_lshrrev_b32_e32 v7, 8, v6
	v_lshrrev_b32_e32 v8, 8, v5
	v_cmp_gt_i16_sdwa s[24:25], sext(v8), sext(v7) src0_sel:BYTE_0 src1_sel:BYTE_0
	s_andn2_b64 s[18:19], s[18:19], exec
	s_and_b64 s[24:25], s[24:25], exec
	s_or_b64 s[18:19], s[18:19], s[24:25]
.LBB26_75:
	s_branch .LBB26_77
.LBB26_76:
	s_cmp_lg_u32 s3, 0
	s_mov_b64 s[20:21], -1
	s_cselect_b64 s[22:23], -1, 0
.LBB26_77:
	s_andn2_b64 vcc, exec, s[22:23]
	s_waitcnt vmcnt(2)
	v_lshrrev_b32_e32 v7, 8, v6
	v_lshrrev_b32_e32 v8, 8, v5
	s_cbranch_vccz .LBB26_83
; %bb.78:
	s_andn2_b64 vcc, exec, s[20:21]
	s_cbranch_vccz .LBB26_84
.LBB26_79:
	s_cmp_lt_i32 s3, 1
	s_mov_b64 s[22:23], 0
	s_cbranch_scc1 .LBB26_85
.LBB26_80:
	s_cmp_gt_i32 s3, 1
	s_cbranch_scc0 .LBB26_86
; %bb.81:
	s_cmp_eq_u32 s3, 2
	s_cbranch_scc0 .LBB26_256
; %bb.82:
	v_lshrrev_b32_e32 v7, 16, v6
	v_lshrrev_b32_e32 v8, 16, v5
	v_cmp_le_i16_sdwa s[20:21], sext(v8), sext(v7) src0_sel:BYTE_0 src1_sel:BYTE_0
	s_mov_b64 s[24:25], 0
	s_branch .LBB26_88
.LBB26_83:
	v_cmp_lt_i16_sdwa s[22:23], sext(v8), sext(v7) src0_sel:BYTE_0 src1_sel:BYTE_0
	s_andn2_b64 s[18:19], s[18:19], exec
	s_and_b64 s[22:23], s[22:23], exec
	s_or_b64 s[18:19], s[18:19], s[22:23]
	s_cbranch_execnz .LBB26_79
.LBB26_84:
	v_cmp_ge_i16_sdwa s[20:21], sext(v8), sext(v7) src0_sel:BYTE_0 src1_sel:BYTE_0
	s_andn2_b64 s[18:19], s[18:19], exec
	s_and_b64 s[20:21], s[20:21], exec
	s_or_b64 s[18:19], s[18:19], s[20:21]
	s_cmp_lt_i32 s3, 1
	s_mov_b64 s[22:23], 0
	s_cbranch_scc0 .LBB26_80
.LBB26_85:
                                        ; implicit-def: $sgpr20_sgpr21
	s_mov_b64 s[24:25], 0
	s_cbranch_execnz .LBB26_89
	s_branch .LBB26_90
.LBB26_86:
	s_mov_b64 s[24:25], 0
                                        ; implicit-def: $sgpr20_sgpr21
	s_cbranch_execz .LBB26_88
; %bb.87:
	v_lshrrev_b32_e32 v7, 16, v6
	v_lshrrev_b32_e32 v8, 16, v5
	v_cmp_gt_i16_sdwa s[26:27], sext(v8), sext(v7) src0_sel:BYTE_0 src1_sel:BYTE_0
	s_andn2_b64 s[20:21], s[20:21], exec
	s_and_b64 s[26:27], s[26:27], exec
	s_or_b64 s[20:21], s[20:21], s[26:27]
.LBB26_88:
	s_branch .LBB26_90
.LBB26_89:
	s_cmp_lg_u32 s3, 0
	s_mov_b64 s[22:23], -1
	s_cselect_b64 s[24:25], -1, 0
.LBB26_90:
	s_andn2_b64 vcc, exec, s[24:25]
	v_lshrrev_b32_e32 v7, 16, v6
	v_lshrrev_b32_e32 v8, 16, v5
	s_cbranch_vccz .LBB26_96
; %bb.91:
	s_andn2_b64 vcc, exec, s[22:23]
	s_cbranch_vccz .LBB26_97
.LBB26_92:
	s_cmp_lt_i32 s3, 1
	s_mov_b64 s[24:25], 0
	s_cbranch_scc1 .LBB26_98
.LBB26_93:
	s_cmp_gt_i32 s3, 1
	s_cbranch_scc0 .LBB26_99
; %bb.94:
	s_cmp_eq_u32 s3, 2
	s_cbranch_scc0 .LBB26_257
; %bb.95:
	v_lshrrev_b32_e32 v7, 24, v6
	v_lshrrev_b32_e32 v8, 24, v5
	v_cmp_le_i16_sdwa s[22:23], sext(v8), sext(v7) src0_sel:BYTE_0 src1_sel:BYTE_0
	s_mov_b64 s[26:27], 0
	s_branch .LBB26_101
.LBB26_96:
	v_cmp_lt_i16_sdwa s[24:25], sext(v8), sext(v7) src0_sel:BYTE_0 src1_sel:BYTE_0
	s_andn2_b64 s[20:21], s[20:21], exec
	s_and_b64 s[24:25], s[24:25], exec
	s_or_b64 s[20:21], s[20:21], s[24:25]
	s_cbranch_execnz .LBB26_92
.LBB26_97:
	v_cmp_ge_i16_sdwa s[22:23], sext(v8), sext(v7) src0_sel:BYTE_0 src1_sel:BYTE_0
	s_andn2_b64 s[20:21], s[20:21], exec
	s_and_b64 s[22:23], s[22:23], exec
	s_or_b64 s[20:21], s[20:21], s[22:23]
	s_cmp_lt_i32 s3, 1
	s_mov_b64 s[24:25], 0
	s_cbranch_scc0 .LBB26_93
.LBB26_98:
                                        ; implicit-def: $sgpr22_sgpr23
	s_mov_b64 s[26:27], 0
	s_cbranch_execnz .LBB26_102
	s_branch .LBB26_103
.LBB26_99:
	s_mov_b64 s[26:27], 0
                                        ; implicit-def: $sgpr22_sgpr23
	s_cbranch_execz .LBB26_101
; %bb.100:
	v_lshrrev_b32_e32 v7, 24, v6
	v_lshrrev_b32_e32 v8, 24, v5
	v_cmp_gt_i16_sdwa s[28:29], sext(v8), sext(v7) src0_sel:BYTE_0 src1_sel:BYTE_0
	s_andn2_b64 s[22:23], s[22:23], exec
	s_and_b64 s[28:29], s[28:29], exec
	s_or_b64 s[22:23], s[22:23], s[28:29]
.LBB26_101:
	s_branch .LBB26_103
.LBB26_102:
	s_cmp_lg_u32 s3, 0
	s_mov_b64 s[24:25], -1
	s_cselect_b64 s[26:27], -1, 0
.LBB26_103:
	s_andn2_b64 vcc, exec, s[26:27]
	v_lshrrev_b32_e32 v6, 24, v6
	v_lshrrev_b32_e32 v5, 24, v5
	s_cbranch_vccz .LBB26_109
; %bb.104:
	s_andn2_b64 vcc, exec, s[24:25]
	s_cbranch_vccz .LBB26_110
.LBB26_105:
	s_cmp_lt_i32 s3, 1
	s_mov_b64 s[26:27], 0
	s_cbranch_scc1 .LBB26_111
.LBB26_106:
	s_cmp_gt_i32 s3, 1
	s_cbranch_scc0 .LBB26_112
; %bb.107:
	s_cmp_eq_u32 s3, 2
	s_cbranch_scc0 .LBB26_258
; %bb.108:
	s_waitcnt vmcnt(1)
	v_cmp_le_i16_sdwa s[24:25], sext(v3), sext(v4) src0_sel:BYTE_0 src1_sel:BYTE_0
	s_mov_b64 s[28:29], 0
	s_branch .LBB26_114
.LBB26_109:
	v_cmp_lt_i16_sdwa s[26:27], sext(v5), sext(v6) src0_sel:BYTE_0 src1_sel:BYTE_0
	s_andn2_b64 s[22:23], s[22:23], exec
	s_and_b64 s[26:27], s[26:27], exec
	s_or_b64 s[22:23], s[22:23], s[26:27]
	s_cbranch_execnz .LBB26_105
.LBB26_110:
	v_cmp_ge_i16_sdwa s[24:25], sext(v5), sext(v6) src0_sel:BYTE_0 src1_sel:BYTE_0
	s_andn2_b64 s[22:23], s[22:23], exec
	s_and_b64 s[24:25], s[24:25], exec
	s_or_b64 s[22:23], s[22:23], s[24:25]
	s_cmp_lt_i32 s3, 1
	s_mov_b64 s[26:27], 0
	s_cbranch_scc0 .LBB26_106
.LBB26_111:
                                        ; implicit-def: $sgpr24_sgpr25
	s_mov_b64 s[28:29], 0
	s_cbranch_execnz .LBB26_115
	s_branch .LBB26_116
.LBB26_112:
	s_mov_b64 s[28:29], 0
                                        ; implicit-def: $sgpr24_sgpr25
	s_cbranch_execz .LBB26_114
; %bb.113:
	s_waitcnt vmcnt(1)
	v_cmp_gt_i16_sdwa s[30:31], sext(v3), sext(v4) src0_sel:BYTE_0 src1_sel:BYTE_0
	s_andn2_b64 s[24:25], s[24:25], exec
	s_and_b64 s[30:31], s[30:31], exec
	s_or_b64 s[24:25], s[24:25], s[30:31]
.LBB26_114:
	s_branch .LBB26_116
.LBB26_115:
	s_cmp_lg_u32 s3, 0
	s_mov_b64 s[26:27], -1
	s_cselect_b64 s[28:29], -1, 0
.LBB26_116:
	s_andn2_b64 vcc, exec, s[28:29]
	s_cbranch_vccz .LBB26_122
; %bb.117:
	s_andn2_b64 vcc, exec, s[26:27]
	s_cbranch_vccz .LBB26_123
.LBB26_118:
	s_cmp_lt_i32 s3, 1
	s_mov_b64 s[28:29], 0
	s_cbranch_scc1 .LBB26_124
.LBB26_119:
	s_cmp_gt_i32 s3, 1
	s_cbranch_scc0 .LBB26_125
; %bb.120:
	s_cmp_eq_u32 s3, 2
	s_cbranch_scc0 .LBB26_259
; %bb.121:
	s_waitcnt vmcnt(1)
	v_lshrrev_b32_e32 v5, 8, v4
	v_lshrrev_b32_e32 v6, 8, v3
	v_cmp_le_i16_sdwa s[26:27], sext(v6), sext(v5) src0_sel:BYTE_0 src1_sel:BYTE_0
	s_mov_b64 s[30:31], 0
	s_branch .LBB26_127
.LBB26_122:
	s_waitcnt vmcnt(1)
	v_cmp_lt_i16_sdwa s[28:29], sext(v3), sext(v4) src0_sel:BYTE_0 src1_sel:BYTE_0
	s_andn2_b64 s[24:25], s[24:25], exec
	s_and_b64 s[28:29], s[28:29], exec
	s_or_b64 s[24:25], s[24:25], s[28:29]
	s_cbranch_execnz .LBB26_118
.LBB26_123:
	s_waitcnt vmcnt(1)
	v_cmp_ge_i16_sdwa s[26:27], sext(v3), sext(v4) src0_sel:BYTE_0 src1_sel:BYTE_0
	s_andn2_b64 s[24:25], s[24:25], exec
	s_and_b64 s[26:27], s[26:27], exec
	s_or_b64 s[24:25], s[24:25], s[26:27]
	s_cmp_lt_i32 s3, 1
	s_mov_b64 s[28:29], 0
	s_cbranch_scc0 .LBB26_119
.LBB26_124:
                                        ; implicit-def: $sgpr26_sgpr27
	s_mov_b64 s[30:31], 0
	s_cbranch_execnz .LBB26_128
	s_branch .LBB26_129
.LBB26_125:
	s_mov_b64 s[30:31], 0
                                        ; implicit-def: $sgpr26_sgpr27
	s_cbranch_execz .LBB26_127
; %bb.126:
	s_waitcnt vmcnt(1)
	v_lshrrev_b32_e32 v5, 8, v4
	v_lshrrev_b32_e32 v6, 8, v3
	v_cmp_gt_i16_sdwa s[34:35], sext(v6), sext(v5) src0_sel:BYTE_0 src1_sel:BYTE_0
	s_andn2_b64 s[26:27], s[26:27], exec
	s_and_b64 s[34:35], s[34:35], exec
	s_or_b64 s[26:27], s[26:27], s[34:35]
.LBB26_127:
	s_branch .LBB26_129
.LBB26_128:
	s_cmp_lg_u32 s3, 0
	s_mov_b64 s[28:29], -1
	s_cselect_b64 s[30:31], -1, 0
.LBB26_129:
	s_andn2_b64 vcc, exec, s[30:31]
	s_waitcnt vmcnt(1)
	v_lshrrev_b32_e32 v5, 8, v4
	v_lshrrev_b32_e32 v6, 8, v3
	s_cbranch_vccz .LBB26_135
; %bb.130:
	s_andn2_b64 vcc, exec, s[28:29]
	s_cbranch_vccz .LBB26_136
.LBB26_131:
	s_cmp_lt_i32 s3, 1
	s_mov_b64 s[30:31], 0
	s_cbranch_scc1 .LBB26_137
.LBB26_132:
	s_cmp_gt_i32 s3, 1
	s_cbranch_scc0 .LBB26_138
; %bb.133:
	s_cmp_eq_u32 s3, 2
	s_cbranch_scc0 .LBB26_260
; %bb.134:
	v_lshrrev_b32_e32 v5, 16, v4
	v_lshrrev_b32_e32 v6, 16, v3
	v_cmp_le_i16_sdwa s[28:29], sext(v6), sext(v5) src0_sel:BYTE_0 src1_sel:BYTE_0
	s_mov_b64 s[34:35], 0
	s_branch .LBB26_140
.LBB26_135:
	v_cmp_lt_i16_sdwa s[30:31], sext(v6), sext(v5) src0_sel:BYTE_0 src1_sel:BYTE_0
	s_andn2_b64 s[26:27], s[26:27], exec
	s_and_b64 s[30:31], s[30:31], exec
	s_or_b64 s[26:27], s[26:27], s[30:31]
	s_cbranch_execnz .LBB26_131
.LBB26_136:
	v_cmp_ge_i16_sdwa s[28:29], sext(v6), sext(v5) src0_sel:BYTE_0 src1_sel:BYTE_0
	s_andn2_b64 s[26:27], s[26:27], exec
	s_and_b64 s[28:29], s[28:29], exec
	s_or_b64 s[26:27], s[26:27], s[28:29]
	s_cmp_lt_i32 s3, 1
	s_mov_b64 s[30:31], 0
	s_cbranch_scc0 .LBB26_132
.LBB26_137:
                                        ; implicit-def: $sgpr28_sgpr29
	s_mov_b64 s[34:35], 0
	s_cbranch_execnz .LBB26_141
	s_branch .LBB26_142
.LBB26_138:
	s_mov_b64 s[34:35], 0
                                        ; implicit-def: $sgpr28_sgpr29
	s_cbranch_execz .LBB26_140
; %bb.139:
	v_lshrrev_b32_e32 v5, 16, v4
	v_lshrrev_b32_e32 v6, 16, v3
	v_cmp_gt_i16_sdwa s[36:37], sext(v6), sext(v5) src0_sel:BYTE_0 src1_sel:BYTE_0
	s_andn2_b64 s[28:29], s[28:29], exec
	s_and_b64 s[36:37], s[36:37], exec
	s_or_b64 s[28:29], s[28:29], s[36:37]
.LBB26_140:
	s_branch .LBB26_142
.LBB26_141:
	s_cmp_lg_u32 s3, 0
	s_mov_b64 s[30:31], -1
	s_cselect_b64 s[34:35], -1, 0
.LBB26_142:
	s_andn2_b64 vcc, exec, s[34:35]
	v_lshrrev_b32_e32 v5, 16, v4
	v_lshrrev_b32_e32 v6, 16, v3
	s_cbranch_vccz .LBB26_148
; %bb.143:
	s_andn2_b64 vcc, exec, s[30:31]
	s_cbranch_vccz .LBB26_149
.LBB26_144:
	s_cmp_lt_i32 s3, 1
	s_mov_b64 s[34:35], 0
	s_cbranch_scc1 .LBB26_150
.LBB26_145:
	s_cmp_gt_i32 s3, 1
	s_cbranch_scc0 .LBB26_151
; %bb.146:
	s_cmp_eq_u32 s3, 2
	s_cbranch_scc0 .LBB26_261
; %bb.147:
	v_lshrrev_b32_e32 v5, 24, v4
	v_lshrrev_b32_e32 v6, 24, v3
	v_cmp_le_i16_sdwa s[30:31], sext(v6), sext(v5) src0_sel:BYTE_0 src1_sel:BYTE_0
	s_mov_b64 s[36:37], 0
	s_branch .LBB26_153
.LBB26_148:
	v_cmp_lt_i16_sdwa s[34:35], sext(v6), sext(v5) src0_sel:BYTE_0 src1_sel:BYTE_0
	s_andn2_b64 s[28:29], s[28:29], exec
	s_and_b64 s[34:35], s[34:35], exec
	s_or_b64 s[28:29], s[28:29], s[34:35]
	s_cbranch_execnz .LBB26_144
.LBB26_149:
	v_cmp_ge_i16_sdwa s[30:31], sext(v6), sext(v5) src0_sel:BYTE_0 src1_sel:BYTE_0
	s_andn2_b64 s[28:29], s[28:29], exec
	s_and_b64 s[30:31], s[30:31], exec
	s_or_b64 s[28:29], s[28:29], s[30:31]
	s_cmp_lt_i32 s3, 1
	s_mov_b64 s[34:35], 0
	s_cbranch_scc0 .LBB26_145
.LBB26_150:
                                        ; implicit-def: $sgpr30_sgpr31
	s_mov_b64 s[36:37], 0
	s_cbranch_execnz .LBB26_154
	s_branch .LBB26_155
.LBB26_151:
	s_mov_b64 s[36:37], 0
                                        ; implicit-def: $sgpr30_sgpr31
	s_cbranch_execz .LBB26_153
; %bb.152:
	v_lshrrev_b32_e32 v5, 24, v4
	v_lshrrev_b32_e32 v6, 24, v3
	v_cmp_gt_i16_sdwa s[38:39], sext(v6), sext(v5) src0_sel:BYTE_0 src1_sel:BYTE_0
	s_andn2_b64 s[30:31], s[30:31], exec
	s_and_b64 s[38:39], s[38:39], exec
	s_or_b64 s[30:31], s[30:31], s[38:39]
.LBB26_153:
	s_branch .LBB26_155
.LBB26_154:
	s_cmp_lg_u32 s3, 0
	s_mov_b64 s[34:35], -1
	s_cselect_b64 s[36:37], -1, 0
.LBB26_155:
	s_andn2_b64 vcc, exec, s[36:37]
	v_lshrrev_b32_e32 v4, 24, v4
	v_lshrrev_b32_e32 v3, 24, v3
	s_cbranch_vccz .LBB26_161
; %bb.156:
	s_andn2_b64 vcc, exec, s[34:35]
	s_cbranch_vccz .LBB26_162
.LBB26_157:
	s_cmp_lt_i32 s3, 1
	s_mov_b64 s[36:37], 0
	s_cbranch_scc1 .LBB26_163
.LBB26_158:
	s_cmp_gt_i32 s3, 1
	s_cbranch_scc0 .LBB26_164
; %bb.159:
	s_cmp_eq_u32 s3, 2
	s_cbranch_scc0 .LBB26_262
; %bb.160:
	s_waitcnt vmcnt(0)
	v_cmp_le_i16_sdwa s[34:35], sext(v1), sext(v2) src0_sel:BYTE_0 src1_sel:BYTE_0
	s_mov_b64 s[38:39], 0
	s_branch .LBB26_166
.LBB26_161:
	v_cmp_lt_i16_sdwa s[36:37], sext(v3), sext(v4) src0_sel:BYTE_0 src1_sel:BYTE_0
	s_andn2_b64 s[30:31], s[30:31], exec
	s_and_b64 s[36:37], s[36:37], exec
	s_or_b64 s[30:31], s[30:31], s[36:37]
	s_cbranch_execnz .LBB26_157
.LBB26_162:
	v_cmp_ge_i16_sdwa s[34:35], sext(v3), sext(v4) src0_sel:BYTE_0 src1_sel:BYTE_0
	s_andn2_b64 s[30:31], s[30:31], exec
	s_and_b64 s[34:35], s[34:35], exec
	s_or_b64 s[30:31], s[30:31], s[34:35]
	s_cmp_lt_i32 s3, 1
	s_mov_b64 s[36:37], 0
	s_cbranch_scc0 .LBB26_158
.LBB26_163:
                                        ; implicit-def: $sgpr34_sgpr35
	s_mov_b64 s[38:39], 0
	s_cbranch_execnz .LBB26_167
	s_branch .LBB26_168
.LBB26_164:
	s_mov_b64 s[38:39], 0
                                        ; implicit-def: $sgpr34_sgpr35
	s_cbranch_execz .LBB26_166
; %bb.165:
	s_waitcnt vmcnt(0)
	v_cmp_gt_i16_sdwa s[40:41], sext(v1), sext(v2) src0_sel:BYTE_0 src1_sel:BYTE_0
	s_andn2_b64 s[34:35], s[34:35], exec
	s_and_b64 s[40:41], s[40:41], exec
	s_or_b64 s[34:35], s[34:35], s[40:41]
.LBB26_166:
	s_branch .LBB26_168
.LBB26_167:
	s_cmp_lg_u32 s3, 0
	s_mov_b64 s[36:37], -1
	s_cselect_b64 s[38:39], -1, 0
.LBB26_168:
	s_andn2_b64 vcc, exec, s[38:39]
	s_cbranch_vccz .LBB26_174
; %bb.169:
	s_andn2_b64 vcc, exec, s[36:37]
	s_cbranch_vccz .LBB26_175
.LBB26_170:
	s_cmp_lt_i32 s3, 1
	s_mov_b64 s[38:39], 0
	s_cbranch_scc1 .LBB26_176
.LBB26_171:
	s_cmp_gt_i32 s3, 1
	s_cbranch_scc0 .LBB26_177
; %bb.172:
	s_cmp_eq_u32 s3, 2
	s_cbranch_scc0 .LBB26_263
; %bb.173:
	s_waitcnt vmcnt(0)
	v_lshrrev_b32_e32 v3, 8, v2
	v_lshrrev_b32_e32 v4, 8, v1
	v_cmp_le_i16_sdwa s[36:37], sext(v4), sext(v3) src0_sel:BYTE_0 src1_sel:BYTE_0
	s_mov_b64 s[40:41], 0
	s_branch .LBB26_179
.LBB26_174:
	s_waitcnt vmcnt(0)
	v_cmp_lt_i16_sdwa s[38:39], sext(v1), sext(v2) src0_sel:BYTE_0 src1_sel:BYTE_0
	s_andn2_b64 s[34:35], s[34:35], exec
	s_and_b64 s[38:39], s[38:39], exec
	s_or_b64 s[34:35], s[34:35], s[38:39]
	s_cbranch_execnz .LBB26_170
.LBB26_175:
	s_waitcnt vmcnt(0)
	v_cmp_ge_i16_sdwa s[36:37], sext(v1), sext(v2) src0_sel:BYTE_0 src1_sel:BYTE_0
	s_andn2_b64 s[34:35], s[34:35], exec
	s_and_b64 s[36:37], s[36:37], exec
	s_or_b64 s[34:35], s[34:35], s[36:37]
	s_cmp_lt_i32 s3, 1
	s_mov_b64 s[38:39], 0
	s_cbranch_scc0 .LBB26_171
.LBB26_176:
                                        ; implicit-def: $sgpr36_sgpr37
	s_mov_b64 s[40:41], 0
	s_cbranch_execnz .LBB26_180
	s_branch .LBB26_181
.LBB26_177:
	s_mov_b64 s[40:41], 0
                                        ; implicit-def: $sgpr36_sgpr37
	s_cbranch_execz .LBB26_179
; %bb.178:
	s_waitcnt vmcnt(0)
	v_lshrrev_b32_e32 v3, 8, v2
	v_lshrrev_b32_e32 v4, 8, v1
	v_cmp_gt_i16_sdwa s[42:43], sext(v4), sext(v3) src0_sel:BYTE_0 src1_sel:BYTE_0
	s_andn2_b64 s[36:37], s[36:37], exec
	s_and_b64 s[42:43], s[42:43], exec
	s_or_b64 s[36:37], s[36:37], s[42:43]
.LBB26_179:
	s_branch .LBB26_181
.LBB26_180:
	s_cmp_lg_u32 s3, 0
	s_mov_b64 s[38:39], -1
	s_cselect_b64 s[40:41], -1, 0
.LBB26_181:
	s_andn2_b64 vcc, exec, s[40:41]
	s_waitcnt vmcnt(0)
	v_lshrrev_b32_e32 v3, 8, v2
	v_lshrrev_b32_e32 v4, 8, v1
	s_cbranch_vccz .LBB26_187
; %bb.182:
	s_andn2_b64 vcc, exec, s[38:39]
	s_cbranch_vccz .LBB26_188
.LBB26_183:
	s_cmp_lt_i32 s3, 1
	s_mov_b64 s[40:41], 0
	s_cbranch_scc1 .LBB26_189
.LBB26_184:
	s_cmp_gt_i32 s3, 1
	s_cbranch_scc0 .LBB26_190
; %bb.185:
	s_cmp_eq_u32 s3, 2
	s_cbranch_scc0 .LBB26_264
; %bb.186:
	v_lshrrev_b32_e32 v3, 16, v2
	v_lshrrev_b32_e32 v4, 16, v1
	v_cmp_le_i16_sdwa s[38:39], sext(v4), sext(v3) src0_sel:BYTE_0 src1_sel:BYTE_0
	s_mov_b64 s[42:43], 0
	s_branch .LBB26_192
.LBB26_187:
	v_cmp_lt_i16_sdwa s[40:41], sext(v4), sext(v3) src0_sel:BYTE_0 src1_sel:BYTE_0
	s_andn2_b64 s[36:37], s[36:37], exec
	s_and_b64 s[40:41], s[40:41], exec
	s_or_b64 s[36:37], s[36:37], s[40:41]
	s_cbranch_execnz .LBB26_183
.LBB26_188:
	v_cmp_ge_i16_sdwa s[38:39], sext(v4), sext(v3) src0_sel:BYTE_0 src1_sel:BYTE_0
	s_andn2_b64 s[36:37], s[36:37], exec
	s_and_b64 s[38:39], s[38:39], exec
	s_or_b64 s[36:37], s[36:37], s[38:39]
	s_cmp_lt_i32 s3, 1
	s_mov_b64 s[40:41], 0
	s_cbranch_scc0 .LBB26_184
.LBB26_189:
                                        ; implicit-def: $sgpr38_sgpr39
	s_mov_b64 s[42:43], 0
	s_cbranch_execnz .LBB26_193
	s_branch .LBB26_194
.LBB26_190:
	s_mov_b64 s[42:43], 0
                                        ; implicit-def: $sgpr38_sgpr39
	s_cbranch_execz .LBB26_192
; %bb.191:
	v_lshrrev_b32_e32 v3, 16, v2
	v_lshrrev_b32_e32 v4, 16, v1
	v_cmp_gt_i16_sdwa s[44:45], sext(v4), sext(v3) src0_sel:BYTE_0 src1_sel:BYTE_0
	s_andn2_b64 s[38:39], s[38:39], exec
	s_and_b64 s[44:45], s[44:45], exec
	s_or_b64 s[38:39], s[38:39], s[44:45]
.LBB26_192:
	s_branch .LBB26_194
.LBB26_193:
	s_cmp_lg_u32 s3, 0
	s_mov_b64 s[40:41], -1
	s_cselect_b64 s[42:43], -1, 0
.LBB26_194:
	s_andn2_b64 vcc, exec, s[42:43]
	v_lshrrev_b32_e32 v3, 16, v2
	v_lshrrev_b32_e32 v4, 16, v1
	s_cbranch_vccz .LBB26_200
; %bb.195:
	s_andn2_b64 vcc, exec, s[40:41]
	s_cbranch_vccz .LBB26_201
.LBB26_196:
	s_cmp_lt_i32 s3, 1
	s_mov_b64 s[42:43], 0
	s_cbranch_scc1 .LBB26_202
.LBB26_197:
	s_cmp_gt_i32 s3, 1
	s_cbranch_scc0 .LBB26_203
; %bb.198:
	s_cmp_eq_u32 s3, 2
	s_cbranch_scc0 .LBB26_265
; %bb.199:
	v_lshrrev_b32_e32 v3, 24, v2
	v_lshrrev_b32_e32 v4, 24, v1
	v_cmp_le_i16_sdwa s[40:41], sext(v4), sext(v3) src0_sel:BYTE_0 src1_sel:BYTE_0
	s_mov_b64 s[44:45], 0
	s_branch .LBB26_205
.LBB26_200:
	v_cmp_lt_i16_sdwa s[42:43], sext(v4), sext(v3) src0_sel:BYTE_0 src1_sel:BYTE_0
	s_andn2_b64 s[38:39], s[38:39], exec
	s_and_b64 s[42:43], s[42:43], exec
	s_or_b64 s[38:39], s[38:39], s[42:43]
	s_cbranch_execnz .LBB26_196
.LBB26_201:
	v_cmp_ge_i16_sdwa s[40:41], sext(v4), sext(v3) src0_sel:BYTE_0 src1_sel:BYTE_0
	s_andn2_b64 s[38:39], s[38:39], exec
	s_and_b64 s[40:41], s[40:41], exec
	s_or_b64 s[38:39], s[38:39], s[40:41]
	s_cmp_lt_i32 s3, 1
	s_mov_b64 s[42:43], 0
	s_cbranch_scc0 .LBB26_197
.LBB26_202:
                                        ; implicit-def: $sgpr40_sgpr41
	s_mov_b64 s[44:45], 0
	s_cbranch_execnz .LBB26_206
	s_branch .LBB26_207
.LBB26_203:
	s_mov_b64 s[44:45], 0
                                        ; implicit-def: $sgpr40_sgpr41
	s_cbranch_execz .LBB26_205
; %bb.204:
	v_lshrrev_b32_e32 v3, 24, v2
	v_lshrrev_b32_e32 v4, 24, v1
	v_cmp_gt_i16_sdwa s[46:47], sext(v4), sext(v3) src0_sel:BYTE_0 src1_sel:BYTE_0
	s_andn2_b64 s[40:41], s[40:41], exec
	s_and_b64 s[46:47], s[46:47], exec
	s_or_b64 s[40:41], s[40:41], s[46:47]
.LBB26_205:
	s_branch .LBB26_207
.LBB26_206:
	s_cmp_lg_u32 s3, 0
	s_mov_b64 s[42:43], -1
	s_cselect_b64 s[44:45], -1, 0
.LBB26_207:
	s_andn2_b64 vcc, exec, s[44:45]
	v_lshrrev_b32_e32 v2, 24, v2
	v_lshrrev_b32_e32 v1, 24, v1
	s_cbranch_vccz .LBB26_249
; %bb.208:
	s_andn2_b64 vcc, exec, s[42:43]
	s_cbranch_vccnz .LBB26_210
.LBB26_209:
	v_cmp_ge_i16_sdwa s[42:43], sext(v1), sext(v2) src0_sel:BYTE_0 src1_sel:BYTE_0
	s_andn2_b64 s[40:41], s[40:41], exec
	s_and_b64 s[42:43], s[42:43], exec
	s_or_b64 s[40:41], s[40:41], s[42:43]
.LBB26_210:
	v_cndmask_b32_e64 v1, 0, 1, s[4:5]
	v_lshlrev_b16_e32 v1, 8, v1
	v_cndmask_b32_e64 v2, 0, 1, s[0:1]
	v_or_b32_e32 v1, v2, v1
	v_cndmask_b32_e64 v2, 0, 1, s[14:15]
	v_lshlrev_b16_e32 v2, 8, v2
	v_cndmask_b32_e64 v3, 0, 1, s[6:7]
	v_or_b32_sdwa v2, v3, v2 dst_sel:WORD_1 dst_unused:UNUSED_PAD src0_sel:DWORD src1_sel:DWORD
	v_or_b32_sdwa v1, v1, v2 dst_sel:DWORD dst_unused:UNUSED_PAD src0_sel:WORD_0 src1_sel:DWORD
	v_cndmask_b32_e64 v2, 0, 1, s[18:19]
	v_lshlrev_b16_e32 v2, 8, v2
	v_cndmask_b32_e64 v3, 0, 1, s[16:17]
	v_or_b32_e32 v2, v3, v2
	v_cndmask_b32_e64 v3, 0, 1, s[22:23]
	v_lshlrev_b16_e32 v3, 8, v3
	v_cndmask_b32_e64 v4, 0, 1, s[20:21]
	v_or_b32_sdwa v3, v4, v3 dst_sel:WORD_1 dst_unused:UNUSED_PAD src0_sel:DWORD src1_sel:DWORD
	v_or_b32_sdwa v2, v2, v3 dst_sel:DWORD dst_unused:UNUSED_PAD src0_sel:WORD_0 src1_sel:DWORD
	;; [unrolled: 9-line block ×3, first 2 shown]
	v_cndmask_b32_e64 v4, 0, 1, s[36:37]
	v_lshlrev_b16_e32 v4, 8, v4
	v_cndmask_b32_e64 v5, 0, 1, s[34:35]
	v_or_b32_e32 v4, v5, v4
	v_cndmask_b32_e64 v5, 0, 1, s[40:41]
	v_lshlrev_b16_e32 v5, 8, v5
	v_cndmask_b32_e64 v6, 0, 1, s[38:39]
	v_or_b32_sdwa v5, v6, v5 dst_sel:WORD_1 dst_unused:UNUSED_PAD src0_sel:DWORD src1_sel:DWORD
	s_add_u32 s0, s8, s33
	v_or_b32_sdwa v4, v4, v5 dst_sel:DWORD dst_unused:UNUSED_PAD src0_sel:WORD_0 src1_sel:DWORD
	s_addc_u32 s1, s9, s48
	v_lshlrev_b32_e32 v5, 2, v0
	global_store_dword v5, v1, s[0:1]
	global_store_dword v5, v2, s[0:1] offset:1024
	global_store_dword v5, v3, s[0:1] offset:2048
	;; [unrolled: 1-line block ×3, first 2 shown]
	s_mov_b64 s[0:1], 0
.LBB26_211:
	s_and_b64 vcc, exec, s[0:1]
	s_cbranch_vccz .LBB26_533
; %bb.212:
	v_cmp_gt_i32_e64 s[0:1], s2, v0
	v_mov_b32_e32 v6, 0
	v_or_b32_e32 v5, s33, v0
	v_mov_b32_e32 v8, 0
	v_mov_b32_e32 v7, 0
	;; [unrolled: 1-line block ×32, first 2 shown]
	s_and_saveexec_b64 s[4:5], s[0:1]
	s_cbranch_execz .LBB26_244
; %bb.213:
	global_load_ubyte v37, v5, s[10:11]
	global_load_ubyte v38, v5, s[12:13]
	v_or_b32_e32 v1, 0x100, v0
	v_cmp_gt_u32_e32 vcc, s2, v1
	v_mov_b32_e32 v36, 0
	v_mov_b32_e32 v35, 0
	;; [unrolled: 1-line block ×30, first 2 shown]
	s_and_saveexec_b64 s[6:7], vcc
	s_cbranch_execz .LBB26_243
; %bb.214:
	v_add_u32_e32 v3, s33, v0
	global_load_ubyte v35, v3, s[10:11] offset:256
	global_load_ubyte v36, v3, s[12:13] offset:256
	v_or_b32_e32 v1, 0x200, v0
	v_mov_b32_e32 v33, 0
	v_cmp_gt_u32_e32 vcc, s2, v1
	v_mov_b32_e32 v34, 0
	v_mov_b32_e32 v31, 0
	;; [unrolled: 1-line block ×27, first 2 shown]
	s_and_saveexec_b64 s[14:15], vcc
	s_cbranch_execz .LBB26_242
; %bb.215:
	v_mov_b32_e32 v2, s11
	v_add_co_u32_e32 v1, vcc, s10, v3
	v_addc_co_u32_e32 v2, vcc, 0, v2, vcc
	v_mov_b32_e32 v4, s13
	v_add_co_u32_e32 v3, vcc, s12, v3
	v_addc_co_u32_e32 v4, vcc, 0, v4, vcc
	global_load_ubyte v34, v[1:2], off offset:512
	global_load_ubyte v33, v[3:4], off offset:512
	v_or_b32_e32 v7, 0x300, v0
	v_cmp_gt_u32_e32 vcc, s2, v7
	v_mov_b32_e32 v31, 0
	v_mov_b32_e32 v32, 0
	;; [unrolled: 1-line block ×26, first 2 shown]
	s_and_saveexec_b64 s[10:11], vcc
	s_cbranch_execz .LBB26_241
; %bb.216:
	global_load_ubyte v32, v[1:2], off offset:768
	global_load_ubyte v31, v[3:4], off offset:768
	v_or_b32_e32 v7, 0x400, v0
	v_cmp_gt_u32_e32 vcc, s2, v7
	v_mov_b32_e32 v29, 0
	v_mov_b32_e32 v30, 0
	;; [unrolled: 1-line block ×24, first 2 shown]
	s_and_saveexec_b64 s[12:13], vcc
	s_cbranch_execz .LBB26_240
; %bb.217:
	global_load_ubyte v30, v[1:2], off offset:1024
	global_load_ubyte v29, v[3:4], off offset:1024
	v_or_b32_e32 v7, 0x500, v0
	v_cmp_gt_u32_e32 vcc, s2, v7
	v_mov_b32_e32 v27, 0
	v_mov_b32_e32 v28, 0
	;; [unrolled: 1-line block ×22, first 2 shown]
	s_and_saveexec_b64 s[16:17], vcc
	s_cbranch_execz .LBB26_239
; %bb.218:
	global_load_ubyte v28, v[1:2], off offset:1280
	global_load_ubyte v27, v[3:4], off offset:1280
	v_or_b32_e32 v7, 0x600, v0
	v_cmp_gt_u32_e32 vcc, s2, v7
	v_mov_b32_e32 v25, 0
	v_mov_b32_e32 v26, 0
	;; [unrolled: 1-line block ×20, first 2 shown]
	s_and_saveexec_b64 s[18:19], vcc
	s_cbranch_execz .LBB26_238
; %bb.219:
	global_load_ubyte v26, v[1:2], off offset:1536
	global_load_ubyte v25, v[3:4], off offset:1536
	v_or_b32_e32 v7, 0x700, v0
	v_cmp_gt_u32_e32 vcc, s2, v7
	v_mov_b32_e32 v23, 0
	v_mov_b32_e32 v24, 0
	;; [unrolled: 1-line block ×18, first 2 shown]
	s_and_saveexec_b64 s[20:21], vcc
	s_cbranch_execz .LBB26_237
; %bb.220:
	global_load_ubyte v24, v[1:2], off offset:1792
	global_load_ubyte v23, v[3:4], off offset:1792
	v_or_b32_e32 v7, 0x800, v0
	v_cmp_gt_u32_e32 vcc, s2, v7
	v_mov_b32_e32 v21, 0
	v_mov_b32_e32 v22, 0
	;; [unrolled: 1-line block ×16, first 2 shown]
	s_and_saveexec_b64 s[22:23], vcc
	s_cbranch_execz .LBB26_236
; %bb.221:
	global_load_ubyte v22, v[1:2], off offset:2048
	global_load_ubyte v21, v[3:4], off offset:2048
	v_or_b32_e32 v7, 0x900, v0
	v_cmp_gt_u32_e32 vcc, s2, v7
	v_mov_b32_e32 v19, 0
	v_mov_b32_e32 v20, 0
	;; [unrolled: 1-line block ×14, first 2 shown]
	s_and_saveexec_b64 s[24:25], vcc
	s_cbranch_execz .LBB26_235
; %bb.222:
	global_load_ubyte v20, v[1:2], off offset:2304
	global_load_ubyte v19, v[3:4], off offset:2304
	v_or_b32_e32 v7, 0xa00, v0
	v_cmp_gt_u32_e32 vcc, s2, v7
	v_mov_b32_e32 v17, 0
	v_mov_b32_e32 v18, 0
	;; [unrolled: 1-line block ×12, first 2 shown]
	s_and_saveexec_b64 s[26:27], vcc
	s_cbranch_execz .LBB26_234
; %bb.223:
	global_load_ubyte v18, v[1:2], off offset:2560
	global_load_ubyte v17, v[3:4], off offset:2560
	v_or_b32_e32 v7, 0xb00, v0
	v_cmp_gt_u32_e32 vcc, s2, v7
	v_mov_b32_e32 v15, 0
	v_mov_b32_e32 v16, 0
	;; [unrolled: 1-line block ×10, first 2 shown]
	s_and_saveexec_b64 s[28:29], vcc
	s_cbranch_execz .LBB26_233
; %bb.224:
	global_load_ubyte v16, v[1:2], off offset:2816
	global_load_ubyte v15, v[3:4], off offset:2816
	v_or_b32_e32 v7, 0xc00, v0
	v_cmp_gt_u32_e32 vcc, s2, v7
	v_mov_b32_e32 v13, 0
	v_mov_b32_e32 v14, 0
	;; [unrolled: 1-line block ×8, first 2 shown]
	s_and_saveexec_b64 s[30:31], vcc
	s_cbranch_execz .LBB26_232
; %bb.225:
	global_load_ubyte v14, v[1:2], off offset:3072
	global_load_ubyte v13, v[3:4], off offset:3072
	v_or_b32_e32 v7, 0xd00, v0
	v_cmp_gt_u32_e32 vcc, s2, v7
	v_mov_b32_e32 v11, 0
	v_mov_b32_e32 v12, 0
	;; [unrolled: 1-line block ×6, first 2 shown]
	s_and_saveexec_b64 s[34:35], vcc
	s_cbranch_execz .LBB26_231
; %bb.226:
	global_load_ubyte v12, v[1:2], off offset:3328
	global_load_ubyte v11, v[3:4], off offset:3328
	v_or_b32_e32 v7, 0xe00, v0
	v_cmp_gt_u32_e32 vcc, s2, v7
	v_mov_b32_e32 v9, 0
	v_mov_b32_e32 v10, 0
	v_mov_b32_e32 v7, 0
	v_mov_b32_e32 v8, 0
	s_and_saveexec_b64 s[36:37], vcc
	s_cbranch_execz .LBB26_230
; %bb.227:
	global_load_ubyte v10, v[1:2], off offset:3584
	global_load_ubyte v9, v[3:4], off offset:3584
	v_or_b32_e32 v7, 0xf00, v0
	v_cmp_gt_u32_e32 vcc, s2, v7
	v_mov_b32_e32 v7, 0
	v_mov_b32_e32 v8, 0
	s_and_saveexec_b64 s[38:39], vcc
	s_cbranch_execz .LBB26_229
; %bb.228:
	global_load_ubyte v8, v[1:2], off offset:3840
	global_load_ubyte v7, v[3:4], off offset:3840
.LBB26_229:
	s_or_b64 exec, exec, s[38:39]
.LBB26_230:
	s_or_b64 exec, exec, s[36:37]
.LBB26_231:
	s_or_b64 exec, exec, s[34:35]
.LBB26_232:
	s_or_b64 exec, exec, s[30:31]
.LBB26_233:
	s_or_b64 exec, exec, s[28:29]
.LBB26_234:
	s_or_b64 exec, exec, s[26:27]
.LBB26_235:
	s_or_b64 exec, exec, s[24:25]
.LBB26_236:
	s_or_b64 exec, exec, s[22:23]
.LBB26_237:
	s_or_b64 exec, exec, s[20:21]
.LBB26_238:
	s_or_b64 exec, exec, s[18:19]
.LBB26_239:
	s_or_b64 exec, exec, s[16:17]
.LBB26_240:
	s_or_b64 exec, exec, s[12:13]
.LBB26_241:
	s_or_b64 exec, exec, s[10:11]
.LBB26_242:
	s_or_b64 exec, exec, s[14:15]
.LBB26_243:
	s_or_b64 exec, exec, s[6:7]
.LBB26_244:
	s_or_b64 exec, exec, s[4:5]
	v_mov_b32_e32 v3, v6
	v_mov_b32_e32 v2, v6
	;; [unrolled: 1-line block ×3, first 2 shown]
	s_and_saveexec_b64 s[4:5], s[0:1]
	s_cbranch_execz .LBB26_276
; %bb.245:
	s_cmp_lt_i32 s3, 1
	s_mov_b64 s[6:7], 0
	s_cbranch_scc1 .LBB26_250
; %bb.246:
	s_cmp_gt_i32 s3, 1
	s_cbranch_scc0 .LBB26_266
; %bb.247:
	s_cmp_eq_u32 s3, 2
	s_cbranch_scc0 .LBB26_267
; %bb.248:
	s_waitcnt vmcnt(0)
	v_cmp_le_i16_sdwa s[10:11], sext(v37), sext(v38) src0_sel:BYTE_0 src1_sel:BYTE_0
	s_mov_b64 s[12:13], 0
	s_branch .LBB26_268
.LBB26_249:
	v_cmp_lt_i16_sdwa s[44:45], sext(v1), sext(v2) src0_sel:BYTE_0 src1_sel:BYTE_0
	s_andn2_b64 s[40:41], s[40:41], exec
	s_and_b64 s[44:45], s[44:45], exec
	s_or_b64 s[40:41], s[40:41], s[44:45]
	s_cbranch_execz .LBB26_209
	s_branch .LBB26_210
.LBB26_250:
                                        ; implicit-def: $sgpr10_sgpr11
	s_mov_b64 s[12:13], 0
	s_cbranch_execnz .LBB26_271
	s_branch .LBB26_272
.LBB26_251:
	s_mov_b64 s[14:15], -1
                                        ; implicit-def: $sgpr4_sgpr5
	s_branch .LBB26_23
.LBB26_252:
	s_mov_b64 s[16:17], -1
                                        ; implicit-def: $sgpr6_sgpr7
	s_branch .LBB26_36
.LBB26_253:
	s_mov_b64 s[18:19], -1
                                        ; implicit-def: $sgpr14_sgpr15
	s_branch .LBB26_49
.LBB26_254:
	s_mov_b64 s[20:21], -1
                                        ; implicit-def: $sgpr16_sgpr17
	s_branch .LBB26_62
.LBB26_255:
	s_mov_b64 s[22:23], -1
                                        ; implicit-def: $sgpr18_sgpr19
	s_branch .LBB26_75
.LBB26_256:
	s_mov_b64 s[24:25], -1
                                        ; implicit-def: $sgpr20_sgpr21
	s_branch .LBB26_88
.LBB26_257:
	s_mov_b64 s[26:27], -1
                                        ; implicit-def: $sgpr22_sgpr23
	s_branch .LBB26_101
.LBB26_258:
	s_mov_b64 s[28:29], -1
                                        ; implicit-def: $sgpr24_sgpr25
	s_branch .LBB26_114
.LBB26_259:
	s_mov_b64 s[30:31], -1
                                        ; implicit-def: $sgpr26_sgpr27
	s_branch .LBB26_127
.LBB26_260:
	s_mov_b64 s[34:35], -1
                                        ; implicit-def: $sgpr28_sgpr29
	s_branch .LBB26_140
.LBB26_261:
	s_mov_b64 s[36:37], -1
                                        ; implicit-def: $sgpr30_sgpr31
	s_branch .LBB26_153
.LBB26_262:
	s_mov_b64 s[38:39], -1
                                        ; implicit-def: $sgpr34_sgpr35
	s_branch .LBB26_166
.LBB26_263:
	s_mov_b64 s[40:41], -1
                                        ; implicit-def: $sgpr36_sgpr37
	s_branch .LBB26_179
.LBB26_264:
	s_mov_b64 s[42:43], -1
                                        ; implicit-def: $sgpr38_sgpr39
	s_branch .LBB26_192
.LBB26_265:
	s_mov_b64 s[44:45], -1
                                        ; implicit-def: $sgpr40_sgpr41
	s_branch .LBB26_205
.LBB26_266:
	s_mov_b64 s[12:13], 0
                                        ; implicit-def: $sgpr10_sgpr11
	s_cbranch_execnz .LBB26_269
	s_branch .LBB26_270
.LBB26_267:
	s_mov_b64 s[12:13], -1
                                        ; implicit-def: $sgpr10_sgpr11
.LBB26_268:
	s_branch .LBB26_270
.LBB26_269:
	s_waitcnt vmcnt(0)
	v_cmp_gt_i16_sdwa s[14:15], sext(v37), sext(v38) src0_sel:BYTE_0 src1_sel:BYTE_0
	s_andn2_b64 s[10:11], s[10:11], exec
	s_and_b64 s[14:15], s[14:15], exec
	s_or_b64 s[10:11], s[10:11], s[14:15]
.LBB26_270:
	s_branch .LBB26_272
.LBB26_271:
	s_cmp_lg_u32 s3, 0
	s_mov_b64 s[6:7], -1
	s_cselect_b64 s[12:13], -1, 0
.LBB26_272:
	s_andn2_b64 vcc, exec, s[12:13]
	s_cbranch_vccz .LBB26_281
; %bb.273:
	s_andn2_b64 vcc, exec, s[6:7]
	s_cbranch_vccnz .LBB26_275
.LBB26_274:
	s_waitcnt vmcnt(0)
	v_cmp_ge_i16_sdwa s[6:7], sext(v37), sext(v38) src0_sel:BYTE_0 src1_sel:BYTE_0
	s_andn2_b64 s[10:11], s[10:11], exec
	s_and_b64 s[6:7], s[6:7], exec
	s_or_b64 s[10:11], s[10:11], s[6:7]
.LBB26_275:
	v_cndmask_b32_e64 v1, 0, 1, s[10:11]
	v_mov_b32_e32 v3, 0
	v_and_b32_e32 v6, 0xffff, v1
	v_mov_b32_e32 v2, v3
	v_mov_b32_e32 v1, v3
.LBB26_276:
	s_or_b64 exec, exec, s[4:5]
	v_or_b32_e32 v4, 0x100, v0
	v_cmp_gt_i32_e32 vcc, s2, v4
	s_and_saveexec_b64 s[4:5], vcc
	s_cbranch_execz .LBB26_291
; %bb.277:
	s_cmp_lt_i32 s3, 1
	s_mov_b64 s[6:7], 0
	s_cbranch_scc1 .LBB26_282
; %bb.278:
	s_cmp_gt_i32 s3, 1
	s_cbranch_scc0 .LBB26_283
; %bb.279:
	s_cmp_eq_u32 s3, 2
	s_cbranch_scc0 .LBB26_535
; %bb.280:
	s_waitcnt vmcnt(0)
	v_cmp_le_i16_sdwa s[10:11], sext(v35), sext(v36) src0_sel:BYTE_0 src1_sel:BYTE_0
	s_mov_b64 s[12:13], 0
	s_branch .LBB26_285
.LBB26_281:
	s_waitcnt vmcnt(0)
	v_cmp_lt_i16_sdwa s[12:13], sext(v37), sext(v38) src0_sel:BYTE_0 src1_sel:BYTE_0
	s_andn2_b64 s[10:11], s[10:11], exec
	s_and_b64 s[12:13], s[12:13], exec
	s_or_b64 s[10:11], s[10:11], s[12:13]
	s_cbranch_execz .LBB26_274
	s_branch .LBB26_275
.LBB26_282:
                                        ; implicit-def: $sgpr10_sgpr11
	s_mov_b64 s[12:13], 0
	s_cbranch_execnz .LBB26_286
	s_branch .LBB26_287
.LBB26_283:
	s_mov_b64 s[12:13], 0
                                        ; implicit-def: $sgpr10_sgpr11
	s_cbranch_execz .LBB26_285
; %bb.284:
	s_waitcnt vmcnt(0)
	v_cmp_gt_i16_sdwa s[14:15], sext(v35), sext(v36) src0_sel:BYTE_0 src1_sel:BYTE_0
	s_andn2_b64 s[10:11], s[10:11], exec
	s_and_b64 s[14:15], s[14:15], exec
	s_or_b64 s[10:11], s[10:11], s[14:15]
.LBB26_285:
	s_branch .LBB26_287
.LBB26_286:
	s_cmp_lg_u32 s3, 0
	s_mov_b64 s[6:7], -1
	s_cselect_b64 s[12:13], -1, 0
.LBB26_287:
	s_andn2_b64 vcc, exec, s[12:13]
	s_cbranch_vccz .LBB26_296
; %bb.288:
	s_andn2_b64 vcc, exec, s[6:7]
	s_cbranch_vccnz .LBB26_290
.LBB26_289:
	s_waitcnt vmcnt(0)
	v_cmp_ge_i16_sdwa s[6:7], sext(v35), sext(v36) src0_sel:BYTE_0 src1_sel:BYTE_0
	s_andn2_b64 s[10:11], s[10:11], exec
	s_and_b64 s[6:7], s[6:7], exec
	s_or_b64 s[10:11], s[10:11], s[6:7]
.LBB26_290:
	s_waitcnt vmcnt(1)
	v_cndmask_b32_e64 v35, 0, 1, s[10:11]
	v_lshlrev_b16_e32 v35, 8, v35
	v_or_b32_sdwa v35, v6, v35 dst_sel:DWORD dst_unused:UNUSED_PAD src0_sel:BYTE_0 src1_sel:DWORD
	v_and_b32_e32 v35, 0xffff, v35
	s_mov_b32 s6, 0xffff0000
	v_and_or_b32 v6, v6, s6, v35
.LBB26_291:
	s_or_b64 exec, exec, s[4:5]
	s_waitcnt vmcnt(1)
	v_or_b32_e32 v35, 0x200, v0
	v_cmp_gt_i32_e32 vcc, s2, v35
	s_and_saveexec_b64 s[4:5], vcc
	s_cbranch_execz .LBB26_306
; %bb.292:
	s_cmp_lt_i32 s3, 1
	s_mov_b64 s[6:7], 0
	s_cbranch_scc1 .LBB26_297
; %bb.293:
	s_cmp_gt_i32 s3, 1
	s_cbranch_scc0 .LBB26_298
; %bb.294:
	s_cmp_eq_u32 s3, 2
	s_cbranch_scc0 .LBB26_536
; %bb.295:
	s_waitcnt vmcnt(0)
	v_cmp_le_i16_sdwa s[10:11], sext(v34), sext(v33) src0_sel:BYTE_0 src1_sel:BYTE_0
	s_mov_b64 s[12:13], 0
	s_branch .LBB26_300
.LBB26_296:
	s_waitcnt vmcnt(0)
	v_cmp_lt_i16_sdwa s[12:13], sext(v35), sext(v36) src0_sel:BYTE_0 src1_sel:BYTE_0
	s_andn2_b64 s[10:11], s[10:11], exec
	s_and_b64 s[12:13], s[12:13], exec
	s_or_b64 s[10:11], s[10:11], s[12:13]
	s_cbranch_execz .LBB26_289
	s_branch .LBB26_290
.LBB26_297:
                                        ; implicit-def: $sgpr10_sgpr11
	s_mov_b64 s[12:13], 0
	s_cbranch_execnz .LBB26_301
	s_branch .LBB26_302
.LBB26_298:
	s_mov_b64 s[12:13], 0
                                        ; implicit-def: $sgpr10_sgpr11
	s_cbranch_execz .LBB26_300
; %bb.299:
	s_waitcnt vmcnt(0)
	v_cmp_gt_i16_sdwa s[14:15], sext(v34), sext(v33) src0_sel:BYTE_0 src1_sel:BYTE_0
	s_andn2_b64 s[10:11], s[10:11], exec
	s_and_b64 s[14:15], s[14:15], exec
	s_or_b64 s[10:11], s[10:11], s[14:15]
.LBB26_300:
	s_branch .LBB26_302
.LBB26_301:
	s_cmp_lg_u32 s3, 0
	s_mov_b64 s[6:7], -1
	s_cselect_b64 s[12:13], -1, 0
.LBB26_302:
	s_andn2_b64 vcc, exec, s[12:13]
	s_cbranch_vccz .LBB26_311
; %bb.303:
	s_andn2_b64 vcc, exec, s[6:7]
	s_cbranch_vccnz .LBB26_305
.LBB26_304:
	s_waitcnt vmcnt(0)
	v_cmp_ge_i16_sdwa s[6:7], sext(v34), sext(v33) src0_sel:BYTE_0 src1_sel:BYTE_0
	s_andn2_b64 s[10:11], s[10:11], exec
	s_and_b64 s[6:7], s[6:7], exec
	s_or_b64 s[10:11], s[10:11], s[6:7]
.LBB26_305:
	s_movk_i32 s6, 0xff00
	s_waitcnt vmcnt(0)
	v_and_b32_sdwa v33, v6, s6 dst_sel:DWORD dst_unused:UNUSED_PAD src0_sel:WORD_1 src1_sel:DWORD
	v_cndmask_b32_e64 v34, 0, 1, s[10:11]
	v_or_b32_sdwa v33, v34, v33 dst_sel:WORD_1 dst_unused:UNUSED_PAD src0_sel:DWORD src1_sel:DWORD
	s_mov_b32 s6, 0xffff
	v_and_or_b32 v6, v6, s6, v33
.LBB26_306:
	s_or_b64 exec, exec, s[4:5]
	s_waitcnt vmcnt(0)
	v_or_b32_e32 v33, 0x300, v0
	v_cmp_gt_i32_e32 vcc, s2, v33
	s_and_saveexec_b64 s[4:5], vcc
	s_cbranch_execz .LBB26_321
; %bb.307:
	s_cmp_lt_i32 s3, 1
	s_mov_b64 s[6:7], 0
	s_cbranch_scc1 .LBB26_312
; %bb.308:
	s_cmp_gt_i32 s3, 1
	s_cbranch_scc0 .LBB26_313
; %bb.309:
	s_cmp_eq_u32 s3, 2
	s_cbranch_scc0 .LBB26_537
; %bb.310:
	v_cmp_le_i16_sdwa s[10:11], sext(v32), sext(v31) src0_sel:BYTE_0 src1_sel:BYTE_0
	s_mov_b64 s[12:13], 0
	s_branch .LBB26_315
.LBB26_311:
	s_waitcnt vmcnt(0)
	v_cmp_lt_i16_sdwa s[12:13], sext(v34), sext(v33) src0_sel:BYTE_0 src1_sel:BYTE_0
	s_andn2_b64 s[10:11], s[10:11], exec
	s_and_b64 s[12:13], s[12:13], exec
	s_or_b64 s[10:11], s[10:11], s[12:13]
	s_cbranch_execz .LBB26_304
	s_branch .LBB26_305
.LBB26_312:
                                        ; implicit-def: $sgpr10_sgpr11
	s_mov_b64 s[12:13], 0
	s_cbranch_execnz .LBB26_316
	s_branch .LBB26_317
.LBB26_313:
	s_mov_b64 s[12:13], 0
                                        ; implicit-def: $sgpr10_sgpr11
	s_cbranch_execz .LBB26_315
; %bb.314:
	v_cmp_gt_i16_sdwa s[14:15], sext(v32), sext(v31) src0_sel:BYTE_0 src1_sel:BYTE_0
	s_andn2_b64 s[10:11], s[10:11], exec
	s_and_b64 s[14:15], s[14:15], exec
	s_or_b64 s[10:11], s[10:11], s[14:15]
.LBB26_315:
	s_branch .LBB26_317
.LBB26_316:
	s_cmp_lg_u32 s3, 0
	s_mov_b64 s[6:7], -1
	s_cselect_b64 s[12:13], -1, 0
.LBB26_317:
	s_andn2_b64 vcc, exec, s[12:13]
	s_cbranch_vccz .LBB26_326
; %bb.318:
	s_andn2_b64 vcc, exec, s[6:7]
	s_cbranch_vccnz .LBB26_320
.LBB26_319:
	v_cmp_ge_i16_sdwa s[6:7], sext(v32), sext(v31) src0_sel:BYTE_0 src1_sel:BYTE_0
	s_andn2_b64 s[10:11], s[10:11], exec
	s_and_b64 s[6:7], s[6:7], exec
	s_or_b64 s[10:11], s[10:11], s[6:7]
.LBB26_320:
	s_movk_i32 s6, 0xff
	v_cndmask_b32_e64 v32, 0, 1, s[10:11]
	v_and_b32_sdwa v31, v6, s6 dst_sel:DWORD dst_unused:UNUSED_PAD src0_sel:WORD_1 src1_sel:DWORD
	v_lshlrev_b16_e32 v32, 8, v32
	v_or_b32_sdwa v31, v31, v32 dst_sel:WORD_1 dst_unused:UNUSED_PAD src0_sel:DWORD src1_sel:DWORD
	s_mov_b32 s6, 0xffff
	v_and_or_b32 v6, v6, s6, v31
.LBB26_321:
	s_or_b64 exec, exec, s[4:5]
	v_or_b32_e32 v31, 0x400, v0
	v_cmp_gt_i32_e32 vcc, s2, v31
	s_and_saveexec_b64 s[4:5], vcc
	s_cbranch_execz .LBB26_336
; %bb.322:
	s_cmp_lt_i32 s3, 1
	s_mov_b64 s[6:7], 0
	s_cbranch_scc1 .LBB26_327
; %bb.323:
	s_cmp_gt_i32 s3, 1
	s_cbranch_scc0 .LBB26_328
; %bb.324:
	s_cmp_eq_u32 s3, 2
	s_cbranch_scc0 .LBB26_538
; %bb.325:
	v_cmp_le_i16_sdwa s[10:11], sext(v30), sext(v29) src0_sel:BYTE_0 src1_sel:BYTE_0
	s_mov_b64 s[12:13], 0
	s_branch .LBB26_330
.LBB26_326:
	v_cmp_lt_i16_sdwa s[12:13], sext(v32), sext(v31) src0_sel:BYTE_0 src1_sel:BYTE_0
	s_andn2_b64 s[10:11], s[10:11], exec
	s_and_b64 s[12:13], s[12:13], exec
	s_or_b64 s[10:11], s[10:11], s[12:13]
	s_cbranch_execz .LBB26_319
	s_branch .LBB26_320
.LBB26_327:
                                        ; implicit-def: $sgpr10_sgpr11
	s_mov_b64 s[12:13], 0
	s_cbranch_execnz .LBB26_331
	s_branch .LBB26_332
.LBB26_328:
	s_mov_b64 s[12:13], 0
                                        ; implicit-def: $sgpr10_sgpr11
	s_cbranch_execz .LBB26_330
; %bb.329:
	v_cmp_gt_i16_sdwa s[14:15], sext(v30), sext(v29) src0_sel:BYTE_0 src1_sel:BYTE_0
	s_andn2_b64 s[10:11], s[10:11], exec
	s_and_b64 s[14:15], s[14:15], exec
	s_or_b64 s[10:11], s[10:11], s[14:15]
.LBB26_330:
	s_branch .LBB26_332
.LBB26_331:
	s_cmp_lg_u32 s3, 0
	s_mov_b64 s[6:7], -1
	s_cselect_b64 s[12:13], -1, 0
.LBB26_332:
	s_andn2_b64 vcc, exec, s[12:13]
	s_cbranch_vccz .LBB26_341
; %bb.333:
	s_andn2_b64 vcc, exec, s[6:7]
	s_cbranch_vccnz .LBB26_335
.LBB26_334:
	v_cmp_ge_i16_sdwa s[6:7], sext(v30), sext(v29) src0_sel:BYTE_0 src1_sel:BYTE_0
	s_andn2_b64 s[10:11], s[10:11], exec
	s_and_b64 s[6:7], s[6:7], exec
	s_or_b64 s[10:11], s[10:11], s[6:7]
.LBB26_335:
	v_and_b32_e32 v29, 0xffffff00, v3
	v_cndmask_b32_e64 v30, 0, 1, s[10:11]
	v_or_b32_e32 v29, v30, v29
	v_and_b32_e32 v29, 0xffff, v29
	s_mov_b32 s6, 0xffff0000
	v_and_or_b32 v3, v3, s6, v29
.LBB26_336:
	s_or_b64 exec, exec, s[4:5]
	v_or_b32_e32 v29, 0x500, v0
	v_cmp_gt_i32_e32 vcc, s2, v29
	s_and_saveexec_b64 s[4:5], vcc
	s_cbranch_execz .LBB26_351
; %bb.337:
	s_cmp_lt_i32 s3, 1
	s_mov_b64 s[6:7], 0
	s_cbranch_scc1 .LBB26_342
; %bb.338:
	s_cmp_gt_i32 s3, 1
	s_cbranch_scc0 .LBB26_343
; %bb.339:
	s_cmp_eq_u32 s3, 2
	s_cbranch_scc0 .LBB26_539
; %bb.340:
	v_cmp_le_i16_sdwa s[10:11], sext(v28), sext(v27) src0_sel:BYTE_0 src1_sel:BYTE_0
	s_mov_b64 s[12:13], 0
	s_branch .LBB26_345
.LBB26_341:
	v_cmp_lt_i16_sdwa s[12:13], sext(v30), sext(v29) src0_sel:BYTE_0 src1_sel:BYTE_0
	s_andn2_b64 s[10:11], s[10:11], exec
	s_and_b64 s[12:13], s[12:13], exec
	s_or_b64 s[10:11], s[10:11], s[12:13]
	s_cbranch_execz .LBB26_334
	s_branch .LBB26_335
.LBB26_342:
                                        ; implicit-def: $sgpr10_sgpr11
	s_mov_b64 s[12:13], 0
	s_cbranch_execnz .LBB26_346
	s_branch .LBB26_347
.LBB26_343:
	s_mov_b64 s[12:13], 0
                                        ; implicit-def: $sgpr10_sgpr11
	s_cbranch_execz .LBB26_345
; %bb.344:
	v_cmp_gt_i16_sdwa s[14:15], sext(v28), sext(v27) src0_sel:BYTE_0 src1_sel:BYTE_0
	s_andn2_b64 s[10:11], s[10:11], exec
	s_and_b64 s[14:15], s[14:15], exec
	s_or_b64 s[10:11], s[10:11], s[14:15]
.LBB26_345:
	s_branch .LBB26_347
.LBB26_346:
	s_cmp_lg_u32 s3, 0
	s_mov_b64 s[6:7], -1
	s_cselect_b64 s[12:13], -1, 0
.LBB26_347:
	s_andn2_b64 vcc, exec, s[12:13]
	s_cbranch_vccz .LBB26_356
; %bb.348:
	s_andn2_b64 vcc, exec, s[6:7]
	s_cbranch_vccnz .LBB26_350
.LBB26_349:
	v_cmp_ge_i16_sdwa s[6:7], sext(v28), sext(v27) src0_sel:BYTE_0 src1_sel:BYTE_0
	s_andn2_b64 s[10:11], s[10:11], exec
	s_and_b64 s[6:7], s[6:7], exec
	s_or_b64 s[10:11], s[10:11], s[6:7]
.LBB26_350:
	v_cndmask_b32_e64 v27, 0, 1, s[10:11]
	v_lshlrev_b16_e32 v27, 8, v27
	v_or_b32_sdwa v27, v3, v27 dst_sel:DWORD dst_unused:UNUSED_PAD src0_sel:BYTE_0 src1_sel:DWORD
	v_and_b32_e32 v27, 0xffff, v27
	s_mov_b32 s6, 0xffff0000
	v_and_or_b32 v3, v3, s6, v27
.LBB26_351:
	s_or_b64 exec, exec, s[4:5]
	v_or_b32_e32 v27, 0x600, v0
	v_cmp_gt_i32_e32 vcc, s2, v27
	s_and_saveexec_b64 s[4:5], vcc
	s_cbranch_execz .LBB26_366
; %bb.352:
	s_cmp_lt_i32 s3, 1
	s_mov_b64 s[6:7], 0
	s_cbranch_scc1 .LBB26_357
; %bb.353:
	s_cmp_gt_i32 s3, 1
	s_cbranch_scc0 .LBB26_358
; %bb.354:
	s_cmp_eq_u32 s3, 2
	s_cbranch_scc0 .LBB26_540
; %bb.355:
	v_cmp_le_i16_sdwa s[10:11], sext(v26), sext(v25) src0_sel:BYTE_0 src1_sel:BYTE_0
	s_mov_b64 s[12:13], 0
	s_branch .LBB26_360
.LBB26_356:
	v_cmp_lt_i16_sdwa s[12:13], sext(v28), sext(v27) src0_sel:BYTE_0 src1_sel:BYTE_0
	s_andn2_b64 s[10:11], s[10:11], exec
	s_and_b64 s[12:13], s[12:13], exec
	s_or_b64 s[10:11], s[10:11], s[12:13]
	s_cbranch_execz .LBB26_349
	s_branch .LBB26_350
.LBB26_357:
                                        ; implicit-def: $sgpr10_sgpr11
	s_mov_b64 s[12:13], 0
	s_cbranch_execnz .LBB26_361
	s_branch .LBB26_362
.LBB26_358:
	s_mov_b64 s[12:13], 0
                                        ; implicit-def: $sgpr10_sgpr11
	s_cbranch_execz .LBB26_360
; %bb.359:
	v_cmp_gt_i16_sdwa s[14:15], sext(v26), sext(v25) src0_sel:BYTE_0 src1_sel:BYTE_0
	s_andn2_b64 s[10:11], s[10:11], exec
	s_and_b64 s[14:15], s[14:15], exec
	s_or_b64 s[10:11], s[10:11], s[14:15]
.LBB26_360:
	s_branch .LBB26_362
.LBB26_361:
	s_cmp_lg_u32 s3, 0
	s_mov_b64 s[6:7], -1
	s_cselect_b64 s[12:13], -1, 0
.LBB26_362:
	s_andn2_b64 vcc, exec, s[12:13]
	s_cbranch_vccz .LBB26_371
; %bb.363:
	s_andn2_b64 vcc, exec, s[6:7]
	s_cbranch_vccnz .LBB26_365
.LBB26_364:
	v_cmp_ge_i16_sdwa s[6:7], sext(v26), sext(v25) src0_sel:BYTE_0 src1_sel:BYTE_0
	s_andn2_b64 s[10:11], s[10:11], exec
	s_and_b64 s[6:7], s[6:7], exec
	s_or_b64 s[10:11], s[10:11], s[6:7]
.LBB26_365:
	s_movk_i32 s6, 0xff00
	v_and_b32_sdwa v25, v3, s6 dst_sel:DWORD dst_unused:UNUSED_PAD src0_sel:WORD_1 src1_sel:DWORD
	v_cndmask_b32_e64 v26, 0, 1, s[10:11]
	v_or_b32_sdwa v25, v26, v25 dst_sel:WORD_1 dst_unused:UNUSED_PAD src0_sel:DWORD src1_sel:DWORD
	s_mov_b32 s6, 0xffff
	v_and_or_b32 v3, v3, s6, v25
.LBB26_366:
	s_or_b64 exec, exec, s[4:5]
	v_or_b32_e32 v25, 0x700, v0
	v_cmp_gt_i32_e32 vcc, s2, v25
	s_and_saveexec_b64 s[4:5], vcc
	s_cbranch_execz .LBB26_381
; %bb.367:
	s_cmp_lt_i32 s3, 1
	s_mov_b64 s[6:7], 0
	s_cbranch_scc1 .LBB26_372
; %bb.368:
	s_cmp_gt_i32 s3, 1
	s_cbranch_scc0 .LBB26_373
; %bb.369:
	s_cmp_eq_u32 s3, 2
	s_cbranch_scc0 .LBB26_541
; %bb.370:
	v_cmp_le_i16_sdwa s[10:11], sext(v24), sext(v23) src0_sel:BYTE_0 src1_sel:BYTE_0
	s_mov_b64 s[12:13], 0
	s_branch .LBB26_375
.LBB26_371:
	v_cmp_lt_i16_sdwa s[12:13], sext(v26), sext(v25) src0_sel:BYTE_0 src1_sel:BYTE_0
	s_andn2_b64 s[10:11], s[10:11], exec
	s_and_b64 s[12:13], s[12:13], exec
	s_or_b64 s[10:11], s[10:11], s[12:13]
	s_cbranch_execz .LBB26_364
	s_branch .LBB26_365
.LBB26_372:
                                        ; implicit-def: $sgpr10_sgpr11
	s_mov_b64 s[12:13], 0
	s_cbranch_execnz .LBB26_376
	s_branch .LBB26_377
.LBB26_373:
	s_mov_b64 s[12:13], 0
                                        ; implicit-def: $sgpr10_sgpr11
	s_cbranch_execz .LBB26_375
; %bb.374:
	v_cmp_gt_i16_sdwa s[14:15], sext(v24), sext(v23) src0_sel:BYTE_0 src1_sel:BYTE_0
	s_andn2_b64 s[10:11], s[10:11], exec
	s_and_b64 s[14:15], s[14:15], exec
	s_or_b64 s[10:11], s[10:11], s[14:15]
.LBB26_375:
	s_branch .LBB26_377
.LBB26_376:
	s_cmp_lg_u32 s3, 0
	s_mov_b64 s[6:7], -1
	s_cselect_b64 s[12:13], -1, 0
.LBB26_377:
	s_andn2_b64 vcc, exec, s[12:13]
	s_cbranch_vccz .LBB26_386
; %bb.378:
	s_andn2_b64 vcc, exec, s[6:7]
	s_cbranch_vccnz .LBB26_380
.LBB26_379:
	v_cmp_ge_i16_sdwa s[6:7], sext(v24), sext(v23) src0_sel:BYTE_0 src1_sel:BYTE_0
	s_andn2_b64 s[10:11], s[10:11], exec
	s_and_b64 s[6:7], s[6:7], exec
	s_or_b64 s[10:11], s[10:11], s[6:7]
.LBB26_380:
	s_movk_i32 s6, 0xff
	v_cndmask_b32_e64 v24, 0, 1, s[10:11]
	v_and_b32_sdwa v23, v3, s6 dst_sel:DWORD dst_unused:UNUSED_PAD src0_sel:WORD_1 src1_sel:DWORD
	v_lshlrev_b16_e32 v24, 8, v24
	v_or_b32_sdwa v23, v23, v24 dst_sel:WORD_1 dst_unused:UNUSED_PAD src0_sel:DWORD src1_sel:DWORD
	s_mov_b32 s6, 0xffff
	v_and_or_b32 v3, v3, s6, v23
.LBB26_381:
	s_or_b64 exec, exec, s[4:5]
	v_or_b32_e32 v23, 0x800, v0
	v_cmp_gt_i32_e32 vcc, s2, v23
	s_and_saveexec_b64 s[4:5], vcc
	s_cbranch_execz .LBB26_396
; %bb.382:
	s_cmp_lt_i32 s3, 1
	s_mov_b64 s[6:7], 0
	s_cbranch_scc1 .LBB26_387
; %bb.383:
	s_cmp_gt_i32 s3, 1
	s_cbranch_scc0 .LBB26_388
; %bb.384:
	s_cmp_eq_u32 s3, 2
	s_cbranch_scc0 .LBB26_542
; %bb.385:
	v_cmp_le_i16_sdwa s[10:11], sext(v22), sext(v21) src0_sel:BYTE_0 src1_sel:BYTE_0
	s_mov_b64 s[12:13], 0
	s_branch .LBB26_390
.LBB26_386:
	v_cmp_lt_i16_sdwa s[12:13], sext(v24), sext(v23) src0_sel:BYTE_0 src1_sel:BYTE_0
	s_andn2_b64 s[10:11], s[10:11], exec
	s_and_b64 s[12:13], s[12:13], exec
	s_or_b64 s[10:11], s[10:11], s[12:13]
	s_cbranch_execz .LBB26_379
	s_branch .LBB26_380
.LBB26_387:
                                        ; implicit-def: $sgpr10_sgpr11
	s_mov_b64 s[12:13], 0
	s_cbranch_execnz .LBB26_391
	s_branch .LBB26_392
.LBB26_388:
	s_mov_b64 s[12:13], 0
                                        ; implicit-def: $sgpr10_sgpr11
	s_cbranch_execz .LBB26_390
; %bb.389:
	v_cmp_gt_i16_sdwa s[14:15], sext(v22), sext(v21) src0_sel:BYTE_0 src1_sel:BYTE_0
	s_andn2_b64 s[10:11], s[10:11], exec
	s_and_b64 s[14:15], s[14:15], exec
	s_or_b64 s[10:11], s[10:11], s[14:15]
.LBB26_390:
	s_branch .LBB26_392
.LBB26_391:
	s_cmp_lg_u32 s3, 0
	s_mov_b64 s[6:7], -1
	s_cselect_b64 s[12:13], -1, 0
.LBB26_392:
	s_andn2_b64 vcc, exec, s[12:13]
	s_cbranch_vccz .LBB26_401
; %bb.393:
	s_andn2_b64 vcc, exec, s[6:7]
	s_cbranch_vccnz .LBB26_395
.LBB26_394:
	v_cmp_ge_i16_sdwa s[6:7], sext(v22), sext(v21) src0_sel:BYTE_0 src1_sel:BYTE_0
	s_andn2_b64 s[10:11], s[10:11], exec
	s_and_b64 s[6:7], s[6:7], exec
	s_or_b64 s[10:11], s[10:11], s[6:7]
.LBB26_395:
	v_and_b32_e32 v21, 0xffffff00, v2
	v_cndmask_b32_e64 v22, 0, 1, s[10:11]
	v_or_b32_e32 v21, v22, v21
	v_and_b32_e32 v21, 0xffff, v21
	s_mov_b32 s6, 0xffff0000
	v_and_or_b32 v2, v2, s6, v21
.LBB26_396:
	s_or_b64 exec, exec, s[4:5]
	v_or_b32_e32 v21, 0x900, v0
	v_cmp_gt_i32_e32 vcc, s2, v21
	s_and_saveexec_b64 s[4:5], vcc
	s_cbranch_execz .LBB26_411
; %bb.397:
	s_cmp_lt_i32 s3, 1
	s_mov_b64 s[6:7], 0
	s_cbranch_scc1 .LBB26_402
; %bb.398:
	s_cmp_gt_i32 s3, 1
	s_cbranch_scc0 .LBB26_403
; %bb.399:
	s_cmp_eq_u32 s3, 2
	s_cbranch_scc0 .LBB26_543
; %bb.400:
	v_cmp_le_i16_sdwa s[10:11], sext(v20), sext(v19) src0_sel:BYTE_0 src1_sel:BYTE_0
	s_mov_b64 s[12:13], 0
	s_branch .LBB26_405
.LBB26_401:
	v_cmp_lt_i16_sdwa s[12:13], sext(v22), sext(v21) src0_sel:BYTE_0 src1_sel:BYTE_0
	s_andn2_b64 s[10:11], s[10:11], exec
	s_and_b64 s[12:13], s[12:13], exec
	s_or_b64 s[10:11], s[10:11], s[12:13]
	s_cbranch_execz .LBB26_394
	s_branch .LBB26_395
.LBB26_402:
                                        ; implicit-def: $sgpr10_sgpr11
	s_mov_b64 s[12:13], 0
	s_cbranch_execnz .LBB26_406
	s_branch .LBB26_407
.LBB26_403:
	s_mov_b64 s[12:13], 0
                                        ; implicit-def: $sgpr10_sgpr11
	s_cbranch_execz .LBB26_405
; %bb.404:
	v_cmp_gt_i16_sdwa s[14:15], sext(v20), sext(v19) src0_sel:BYTE_0 src1_sel:BYTE_0
	s_andn2_b64 s[10:11], s[10:11], exec
	s_and_b64 s[14:15], s[14:15], exec
	s_or_b64 s[10:11], s[10:11], s[14:15]
.LBB26_405:
	s_branch .LBB26_407
.LBB26_406:
	s_cmp_lg_u32 s3, 0
	s_mov_b64 s[6:7], -1
	s_cselect_b64 s[12:13], -1, 0
.LBB26_407:
	s_andn2_b64 vcc, exec, s[12:13]
	s_cbranch_vccz .LBB26_416
; %bb.408:
	s_andn2_b64 vcc, exec, s[6:7]
	s_cbranch_vccnz .LBB26_410
.LBB26_409:
	v_cmp_ge_i16_sdwa s[6:7], sext(v20), sext(v19) src0_sel:BYTE_0 src1_sel:BYTE_0
	s_andn2_b64 s[10:11], s[10:11], exec
	s_and_b64 s[6:7], s[6:7], exec
	s_or_b64 s[10:11], s[10:11], s[6:7]
.LBB26_410:
	v_cndmask_b32_e64 v19, 0, 1, s[10:11]
	v_lshlrev_b16_e32 v19, 8, v19
	v_or_b32_sdwa v19, v2, v19 dst_sel:DWORD dst_unused:UNUSED_PAD src0_sel:BYTE_0 src1_sel:DWORD
	v_and_b32_e32 v19, 0xffff, v19
	s_mov_b32 s6, 0xffff0000
	v_and_or_b32 v2, v2, s6, v19
.LBB26_411:
	s_or_b64 exec, exec, s[4:5]
	v_or_b32_e32 v19, 0xa00, v0
	v_cmp_gt_i32_e32 vcc, s2, v19
	s_and_saveexec_b64 s[4:5], vcc
	s_cbranch_execz .LBB26_426
; %bb.412:
	s_cmp_lt_i32 s3, 1
	s_mov_b64 s[6:7], 0
	s_cbranch_scc1 .LBB26_417
; %bb.413:
	s_cmp_gt_i32 s3, 1
	s_cbranch_scc0 .LBB26_418
; %bb.414:
	s_cmp_eq_u32 s3, 2
	s_cbranch_scc0 .LBB26_544
; %bb.415:
	v_cmp_le_i16_sdwa s[10:11], sext(v18), sext(v17) src0_sel:BYTE_0 src1_sel:BYTE_0
	s_mov_b64 s[12:13], 0
	s_branch .LBB26_420
.LBB26_416:
	v_cmp_lt_i16_sdwa s[12:13], sext(v20), sext(v19) src0_sel:BYTE_0 src1_sel:BYTE_0
	s_andn2_b64 s[10:11], s[10:11], exec
	s_and_b64 s[12:13], s[12:13], exec
	s_or_b64 s[10:11], s[10:11], s[12:13]
	s_cbranch_execz .LBB26_409
	s_branch .LBB26_410
.LBB26_417:
                                        ; implicit-def: $sgpr10_sgpr11
	s_mov_b64 s[12:13], 0
	s_cbranch_execnz .LBB26_421
	s_branch .LBB26_422
.LBB26_418:
	s_mov_b64 s[12:13], 0
                                        ; implicit-def: $sgpr10_sgpr11
	s_cbranch_execz .LBB26_420
; %bb.419:
	v_cmp_gt_i16_sdwa s[14:15], sext(v18), sext(v17) src0_sel:BYTE_0 src1_sel:BYTE_0
	s_andn2_b64 s[10:11], s[10:11], exec
	s_and_b64 s[14:15], s[14:15], exec
	s_or_b64 s[10:11], s[10:11], s[14:15]
.LBB26_420:
	s_branch .LBB26_422
.LBB26_421:
	s_cmp_lg_u32 s3, 0
	s_mov_b64 s[6:7], -1
	s_cselect_b64 s[12:13], -1, 0
.LBB26_422:
	s_andn2_b64 vcc, exec, s[12:13]
	s_cbranch_vccz .LBB26_431
; %bb.423:
	s_andn2_b64 vcc, exec, s[6:7]
	s_cbranch_vccnz .LBB26_425
.LBB26_424:
	v_cmp_ge_i16_sdwa s[6:7], sext(v18), sext(v17) src0_sel:BYTE_0 src1_sel:BYTE_0
	s_andn2_b64 s[10:11], s[10:11], exec
	s_and_b64 s[6:7], s[6:7], exec
	s_or_b64 s[10:11], s[10:11], s[6:7]
.LBB26_425:
	s_movk_i32 s6, 0xff00
	v_and_b32_sdwa v17, v2, s6 dst_sel:DWORD dst_unused:UNUSED_PAD src0_sel:WORD_1 src1_sel:DWORD
	v_cndmask_b32_e64 v18, 0, 1, s[10:11]
	v_or_b32_sdwa v17, v18, v17 dst_sel:WORD_1 dst_unused:UNUSED_PAD src0_sel:DWORD src1_sel:DWORD
	s_mov_b32 s6, 0xffff
	v_and_or_b32 v2, v2, s6, v17
.LBB26_426:
	s_or_b64 exec, exec, s[4:5]
	v_or_b32_e32 v17, 0xb00, v0
	v_cmp_gt_i32_e32 vcc, s2, v17
	s_and_saveexec_b64 s[4:5], vcc
	s_cbranch_execz .LBB26_441
; %bb.427:
	s_cmp_lt_i32 s3, 1
	s_mov_b64 s[6:7], 0
	s_cbranch_scc1 .LBB26_432
; %bb.428:
	s_cmp_gt_i32 s3, 1
	s_cbranch_scc0 .LBB26_433
; %bb.429:
	s_cmp_eq_u32 s3, 2
	s_cbranch_scc0 .LBB26_545
; %bb.430:
	v_cmp_le_i16_sdwa s[10:11], sext(v16), sext(v15) src0_sel:BYTE_0 src1_sel:BYTE_0
	s_mov_b64 s[12:13], 0
	s_branch .LBB26_435
.LBB26_431:
	v_cmp_lt_i16_sdwa s[12:13], sext(v18), sext(v17) src0_sel:BYTE_0 src1_sel:BYTE_0
	s_andn2_b64 s[10:11], s[10:11], exec
	s_and_b64 s[12:13], s[12:13], exec
	s_or_b64 s[10:11], s[10:11], s[12:13]
	s_cbranch_execz .LBB26_424
	s_branch .LBB26_425
.LBB26_432:
                                        ; implicit-def: $sgpr10_sgpr11
	s_mov_b64 s[12:13], 0
	s_cbranch_execnz .LBB26_436
	s_branch .LBB26_437
.LBB26_433:
	s_mov_b64 s[12:13], 0
                                        ; implicit-def: $sgpr10_sgpr11
	s_cbranch_execz .LBB26_435
; %bb.434:
	v_cmp_gt_i16_sdwa s[14:15], sext(v16), sext(v15) src0_sel:BYTE_0 src1_sel:BYTE_0
	s_andn2_b64 s[10:11], s[10:11], exec
	s_and_b64 s[14:15], s[14:15], exec
	s_or_b64 s[10:11], s[10:11], s[14:15]
.LBB26_435:
	s_branch .LBB26_437
.LBB26_436:
	s_cmp_lg_u32 s3, 0
	s_mov_b64 s[6:7], -1
	s_cselect_b64 s[12:13], -1, 0
.LBB26_437:
	s_andn2_b64 vcc, exec, s[12:13]
	s_cbranch_vccz .LBB26_446
; %bb.438:
	s_andn2_b64 vcc, exec, s[6:7]
	s_cbranch_vccnz .LBB26_440
.LBB26_439:
	v_cmp_ge_i16_sdwa s[6:7], sext(v16), sext(v15) src0_sel:BYTE_0 src1_sel:BYTE_0
	s_andn2_b64 s[10:11], s[10:11], exec
	s_and_b64 s[6:7], s[6:7], exec
	s_or_b64 s[10:11], s[10:11], s[6:7]
.LBB26_440:
	s_movk_i32 s6, 0xff
	v_cndmask_b32_e64 v16, 0, 1, s[10:11]
	v_and_b32_sdwa v15, v2, s6 dst_sel:DWORD dst_unused:UNUSED_PAD src0_sel:WORD_1 src1_sel:DWORD
	v_lshlrev_b16_e32 v16, 8, v16
	v_or_b32_sdwa v15, v15, v16 dst_sel:WORD_1 dst_unused:UNUSED_PAD src0_sel:DWORD src1_sel:DWORD
	s_mov_b32 s6, 0xffff
	v_and_or_b32 v2, v2, s6, v15
.LBB26_441:
	s_or_b64 exec, exec, s[4:5]
	v_or_b32_e32 v15, 0xc00, v0
	v_cmp_gt_i32_e32 vcc, s2, v15
	s_and_saveexec_b64 s[4:5], vcc
	s_cbranch_execz .LBB26_456
; %bb.442:
	s_cmp_lt_i32 s3, 1
	s_mov_b64 s[6:7], 0
	s_cbranch_scc1 .LBB26_447
; %bb.443:
	s_cmp_gt_i32 s3, 1
	s_cbranch_scc0 .LBB26_448
; %bb.444:
	s_cmp_eq_u32 s3, 2
	s_cbranch_scc0 .LBB26_546
; %bb.445:
	v_cmp_le_i16_sdwa s[10:11], sext(v14), sext(v13) src0_sel:BYTE_0 src1_sel:BYTE_0
	s_mov_b64 s[12:13], 0
	s_branch .LBB26_450
.LBB26_446:
	v_cmp_lt_i16_sdwa s[12:13], sext(v16), sext(v15) src0_sel:BYTE_0 src1_sel:BYTE_0
	s_andn2_b64 s[10:11], s[10:11], exec
	s_and_b64 s[12:13], s[12:13], exec
	s_or_b64 s[10:11], s[10:11], s[12:13]
	s_cbranch_execz .LBB26_439
	s_branch .LBB26_440
.LBB26_447:
                                        ; implicit-def: $sgpr10_sgpr11
	s_mov_b64 s[12:13], 0
	s_cbranch_execnz .LBB26_451
	s_branch .LBB26_452
.LBB26_448:
	s_mov_b64 s[12:13], 0
                                        ; implicit-def: $sgpr10_sgpr11
	s_cbranch_execz .LBB26_450
; %bb.449:
	v_cmp_gt_i16_sdwa s[14:15], sext(v14), sext(v13) src0_sel:BYTE_0 src1_sel:BYTE_0
	s_andn2_b64 s[10:11], s[10:11], exec
	s_and_b64 s[14:15], s[14:15], exec
	s_or_b64 s[10:11], s[10:11], s[14:15]
.LBB26_450:
	s_branch .LBB26_452
.LBB26_451:
	s_cmp_lg_u32 s3, 0
	s_mov_b64 s[6:7], -1
	s_cselect_b64 s[12:13], -1, 0
.LBB26_452:
	s_andn2_b64 vcc, exec, s[12:13]
	s_cbranch_vccz .LBB26_461
; %bb.453:
	s_andn2_b64 vcc, exec, s[6:7]
	s_cbranch_vccnz .LBB26_455
.LBB26_454:
	v_cmp_ge_i16_sdwa s[6:7], sext(v14), sext(v13) src0_sel:BYTE_0 src1_sel:BYTE_0
	s_andn2_b64 s[10:11], s[10:11], exec
	s_and_b64 s[6:7], s[6:7], exec
	s_or_b64 s[10:11], s[10:11], s[6:7]
.LBB26_455:
	v_and_b32_e32 v13, 0xffffff00, v1
	v_cndmask_b32_e64 v14, 0, 1, s[10:11]
	v_or_b32_e32 v13, v14, v13
	v_and_b32_e32 v13, 0xffff, v13
	s_mov_b32 s6, 0xffff0000
	v_and_or_b32 v1, v1, s6, v13
.LBB26_456:
	s_or_b64 exec, exec, s[4:5]
	v_or_b32_e32 v13, 0xd00, v0
	v_cmp_gt_i32_e32 vcc, s2, v13
	s_and_saveexec_b64 s[4:5], vcc
	s_cbranch_execz .LBB26_471
; %bb.457:
	s_cmp_lt_i32 s3, 1
	s_mov_b64 s[6:7], 0
	s_cbranch_scc1 .LBB26_462
; %bb.458:
	s_cmp_gt_i32 s3, 1
	s_cbranch_scc0 .LBB26_463
; %bb.459:
	s_cmp_eq_u32 s3, 2
	s_cbranch_scc0 .LBB26_547
; %bb.460:
	v_cmp_le_i16_sdwa s[10:11], sext(v12), sext(v11) src0_sel:BYTE_0 src1_sel:BYTE_0
	s_mov_b64 s[12:13], 0
	s_branch .LBB26_465
.LBB26_461:
	v_cmp_lt_i16_sdwa s[12:13], sext(v14), sext(v13) src0_sel:BYTE_0 src1_sel:BYTE_0
	s_andn2_b64 s[10:11], s[10:11], exec
	s_and_b64 s[12:13], s[12:13], exec
	s_or_b64 s[10:11], s[10:11], s[12:13]
	s_cbranch_execz .LBB26_454
	s_branch .LBB26_455
.LBB26_462:
                                        ; implicit-def: $sgpr10_sgpr11
	s_mov_b64 s[12:13], 0
	s_cbranch_execnz .LBB26_466
	s_branch .LBB26_467
.LBB26_463:
	s_mov_b64 s[12:13], 0
                                        ; implicit-def: $sgpr10_sgpr11
	s_cbranch_execz .LBB26_465
; %bb.464:
	v_cmp_gt_i16_sdwa s[14:15], sext(v12), sext(v11) src0_sel:BYTE_0 src1_sel:BYTE_0
	s_andn2_b64 s[10:11], s[10:11], exec
	s_and_b64 s[14:15], s[14:15], exec
	s_or_b64 s[10:11], s[10:11], s[14:15]
.LBB26_465:
	s_branch .LBB26_467
.LBB26_466:
	s_cmp_lg_u32 s3, 0
	s_mov_b64 s[6:7], -1
	s_cselect_b64 s[12:13], -1, 0
.LBB26_467:
	s_andn2_b64 vcc, exec, s[12:13]
	s_cbranch_vccz .LBB26_476
; %bb.468:
	s_andn2_b64 vcc, exec, s[6:7]
	s_cbranch_vccnz .LBB26_470
.LBB26_469:
	v_cmp_ge_i16_sdwa s[6:7], sext(v12), sext(v11) src0_sel:BYTE_0 src1_sel:BYTE_0
	s_andn2_b64 s[10:11], s[10:11], exec
	s_and_b64 s[6:7], s[6:7], exec
	s_or_b64 s[10:11], s[10:11], s[6:7]
.LBB26_470:
	v_cndmask_b32_e64 v11, 0, 1, s[10:11]
	v_lshlrev_b16_e32 v11, 8, v11
	v_or_b32_sdwa v11, v1, v11 dst_sel:DWORD dst_unused:UNUSED_PAD src0_sel:BYTE_0 src1_sel:DWORD
	v_and_b32_e32 v11, 0xffff, v11
	s_mov_b32 s6, 0xffff0000
	v_and_or_b32 v1, v1, s6, v11
.LBB26_471:
	s_or_b64 exec, exec, s[4:5]
	v_or_b32_e32 v11, 0xe00, v0
	v_cmp_gt_i32_e32 vcc, s2, v11
	s_and_saveexec_b64 s[4:5], vcc
	s_cbranch_execz .LBB26_486
; %bb.472:
	s_cmp_lt_i32 s3, 1
	s_mov_b64 s[6:7], 0
	s_cbranch_scc1 .LBB26_477
; %bb.473:
	s_cmp_gt_i32 s3, 1
	s_cbranch_scc0 .LBB26_478
; %bb.474:
	s_cmp_eq_u32 s3, 2
	s_cbranch_scc0 .LBB26_548
; %bb.475:
	v_cmp_le_i16_sdwa s[10:11], sext(v10), sext(v9) src0_sel:BYTE_0 src1_sel:BYTE_0
	s_mov_b64 s[12:13], 0
	s_branch .LBB26_480
.LBB26_476:
	v_cmp_lt_i16_sdwa s[12:13], sext(v12), sext(v11) src0_sel:BYTE_0 src1_sel:BYTE_0
	s_andn2_b64 s[10:11], s[10:11], exec
	s_and_b64 s[12:13], s[12:13], exec
	s_or_b64 s[10:11], s[10:11], s[12:13]
	s_cbranch_execz .LBB26_469
	s_branch .LBB26_470
.LBB26_477:
                                        ; implicit-def: $sgpr10_sgpr11
	s_mov_b64 s[12:13], 0
	s_cbranch_execnz .LBB26_481
	s_branch .LBB26_482
.LBB26_478:
	s_mov_b64 s[12:13], 0
                                        ; implicit-def: $sgpr10_sgpr11
	s_cbranch_execz .LBB26_480
; %bb.479:
	v_cmp_gt_i16_sdwa s[14:15], sext(v10), sext(v9) src0_sel:BYTE_0 src1_sel:BYTE_0
	s_andn2_b64 s[10:11], s[10:11], exec
	s_and_b64 s[14:15], s[14:15], exec
	s_or_b64 s[10:11], s[10:11], s[14:15]
.LBB26_480:
	s_branch .LBB26_482
.LBB26_481:
	s_cmp_lg_u32 s3, 0
	s_mov_b64 s[6:7], -1
	s_cselect_b64 s[12:13], -1, 0
.LBB26_482:
	s_andn2_b64 vcc, exec, s[12:13]
	s_cbranch_vccz .LBB26_491
; %bb.483:
	s_andn2_b64 vcc, exec, s[6:7]
	s_cbranch_vccnz .LBB26_485
.LBB26_484:
	v_cmp_ge_i16_sdwa s[6:7], sext(v10), sext(v9) src0_sel:BYTE_0 src1_sel:BYTE_0
	s_andn2_b64 s[10:11], s[10:11], exec
	s_and_b64 s[6:7], s[6:7], exec
	s_or_b64 s[10:11], s[10:11], s[6:7]
.LBB26_485:
	s_movk_i32 s6, 0xff00
	v_and_b32_sdwa v9, v1, s6 dst_sel:DWORD dst_unused:UNUSED_PAD src0_sel:WORD_1 src1_sel:DWORD
	v_cndmask_b32_e64 v10, 0, 1, s[10:11]
	v_or_b32_sdwa v9, v10, v9 dst_sel:WORD_1 dst_unused:UNUSED_PAD src0_sel:DWORD src1_sel:DWORD
	s_mov_b32 s6, 0xffff
	v_and_or_b32 v1, v1, s6, v9
.LBB26_486:
	s_or_b64 exec, exec, s[4:5]
	v_or_b32_e32 v9, 0xf00, v0
	v_cmp_gt_i32_e32 vcc, s2, v9
	s_and_saveexec_b64 s[4:5], vcc
	s_cbranch_execz .LBB26_501
; %bb.487:
	s_cmp_lt_i32 s3, 1
	s_mov_b64 s[6:7], 0
	s_cbranch_scc1 .LBB26_492
; %bb.488:
	s_cmp_gt_i32 s3, 1
	s_cbranch_scc0 .LBB26_493
; %bb.489:
	s_cmp_eq_u32 s3, 2
	s_cbranch_scc0 .LBB26_549
; %bb.490:
	v_cmp_le_i16_sdwa s[10:11], sext(v8), sext(v7) src0_sel:BYTE_0 src1_sel:BYTE_0
	s_mov_b64 s[12:13], 0
	s_branch .LBB26_495
.LBB26_491:
	v_cmp_lt_i16_sdwa s[12:13], sext(v10), sext(v9) src0_sel:BYTE_0 src1_sel:BYTE_0
	s_andn2_b64 s[10:11], s[10:11], exec
	s_and_b64 s[12:13], s[12:13], exec
	s_or_b64 s[10:11], s[10:11], s[12:13]
	s_cbranch_execz .LBB26_484
	s_branch .LBB26_485
.LBB26_492:
                                        ; implicit-def: $sgpr10_sgpr11
	s_mov_b64 s[12:13], 0
	s_cbranch_execnz .LBB26_496
	s_branch .LBB26_497
.LBB26_493:
	s_mov_b64 s[12:13], 0
                                        ; implicit-def: $sgpr10_sgpr11
	s_cbranch_execz .LBB26_495
; %bb.494:
	v_cmp_gt_i16_sdwa s[14:15], sext(v8), sext(v7) src0_sel:BYTE_0 src1_sel:BYTE_0
	s_andn2_b64 s[10:11], s[10:11], exec
	s_and_b64 s[14:15], s[14:15], exec
	s_or_b64 s[10:11], s[10:11], s[14:15]
.LBB26_495:
	s_branch .LBB26_497
.LBB26_496:
	s_cmp_lg_u32 s3, 0
	s_mov_b64 s[6:7], -1
	s_cselect_b64 s[12:13], -1, 0
.LBB26_497:
	s_andn2_b64 vcc, exec, s[12:13]
	s_cbranch_vccz .LBB26_534
; %bb.498:
	s_andn2_b64 vcc, exec, s[6:7]
	s_cbranch_vccnz .LBB26_500
.LBB26_499:
	v_cmp_ge_i16_sdwa s[6:7], sext(v8), sext(v7) src0_sel:BYTE_0 src1_sel:BYTE_0
	s_andn2_b64 s[10:11], s[10:11], exec
	s_and_b64 s[6:7], s[6:7], exec
	s_or_b64 s[10:11], s[10:11], s[6:7]
.LBB26_500:
	s_movk_i32 s3, 0xff
	v_cndmask_b32_e64 v8, 0, 1, s[10:11]
	v_and_b32_sdwa v7, v1, s3 dst_sel:DWORD dst_unused:UNUSED_PAD src0_sel:WORD_1 src1_sel:DWORD
	v_lshlrev_b16_e32 v8, 8, v8
	v_or_b32_sdwa v7, v7, v8 dst_sel:WORD_1 dst_unused:UNUSED_PAD src0_sel:DWORD src1_sel:DWORD
	s_mov_b32 s3, 0xffff
	v_and_or_b32 v1, v1, s3, v7
.LBB26_501:
	s_or_b64 exec, exec, s[4:5]
	s_and_saveexec_b64 s[4:5], s[0:1]
	s_xor_b64 s[0:1], exec, s[4:5]
	s_cbranch_execz .LBB26_503
; %bb.502:
	v_mov_b32_e32 v0, v4
	global_store_byte v5, v6, s[8:9]
.LBB26_503:
	s_or_b64 exec, exec, s[0:1]
	v_cmp_gt_i32_e32 vcc, s2, v0
	s_and_saveexec_b64 s[0:1], vcc
	s_cbranch_execnz .LBB26_519
; %bb.504:
	s_or_b64 exec, exec, s[0:1]
	v_cmp_gt_i32_e32 vcc, s2, v0
	s_and_saveexec_b64 s[0:1], vcc
	s_cbranch_execnz .LBB26_520
.LBB26_505:
	s_or_b64 exec, exec, s[0:1]
	v_cmp_gt_i32_e32 vcc, s2, v0
	s_and_saveexec_b64 s[0:1], vcc
	s_cbranch_execnz .LBB26_521
.LBB26_506:
	s_or_b64 exec, exec, s[0:1]
	v_cmp_gt_i32_e32 vcc, s2, v0
	s_and_saveexec_b64 s[0:1], vcc
	s_cbranch_execnz .LBB26_522
.LBB26_507:
	s_or_b64 exec, exec, s[0:1]
	v_cmp_gt_i32_e32 vcc, s2, v0
	s_and_saveexec_b64 s[0:1], vcc
	s_cbranch_execnz .LBB26_523
.LBB26_508:
	s_or_b64 exec, exec, s[0:1]
	v_cmp_gt_i32_e32 vcc, s2, v0
	s_and_saveexec_b64 s[0:1], vcc
	s_cbranch_execnz .LBB26_524
.LBB26_509:
	s_or_b64 exec, exec, s[0:1]
	v_cmp_gt_i32_e32 vcc, s2, v0
	s_and_saveexec_b64 s[0:1], vcc
	s_cbranch_execnz .LBB26_525
.LBB26_510:
	s_or_b64 exec, exec, s[0:1]
	v_cmp_gt_i32_e32 vcc, s2, v0
	s_and_saveexec_b64 s[0:1], vcc
	s_cbranch_execnz .LBB26_526
.LBB26_511:
	s_or_b64 exec, exec, s[0:1]
	v_cmp_gt_i32_e32 vcc, s2, v0
	s_and_saveexec_b64 s[0:1], vcc
	s_cbranch_execnz .LBB26_527
.LBB26_512:
	s_or_b64 exec, exec, s[0:1]
	v_cmp_gt_i32_e32 vcc, s2, v0
	s_and_saveexec_b64 s[0:1], vcc
	s_cbranch_execnz .LBB26_528
.LBB26_513:
	s_or_b64 exec, exec, s[0:1]
	v_cmp_gt_i32_e32 vcc, s2, v0
	s_and_saveexec_b64 s[0:1], vcc
	s_cbranch_execnz .LBB26_529
.LBB26_514:
	s_or_b64 exec, exec, s[0:1]
	v_cmp_gt_i32_e32 vcc, s2, v0
	s_and_saveexec_b64 s[0:1], vcc
	s_cbranch_execnz .LBB26_530
.LBB26_515:
	s_or_b64 exec, exec, s[0:1]
	v_cmp_gt_i32_e32 vcc, s2, v0
	s_and_saveexec_b64 s[0:1], vcc
	s_cbranch_execnz .LBB26_531
.LBB26_516:
	s_or_b64 exec, exec, s[0:1]
	v_cmp_gt_i32_e32 vcc, s2, v0
	s_and_saveexec_b64 s[0:1], vcc
	s_cbranch_execnz .LBB26_532
.LBB26_517:
	s_or_b64 exec, exec, s[0:1]
	v_cmp_gt_i32_e32 vcc, s2, v0
	s_and_saveexec_b64 s[0:1], vcc
	s_cbranch_execz .LBB26_533
.LBB26_518:
	v_lshrrev_b32_e32 v1, 24, v1
	v_add_u32_e32 v0, s33, v0
	global_store_byte v0, v1, s[8:9]
	s_endpgm
.LBB26_519:
	v_lshrrev_b32_e32 v4, 8, v6
	v_add_u32_e32 v5, s33, v0
	v_add_u32_e32 v0, 0x100, v0
	global_store_byte v5, v4, s[8:9]
	s_or_b64 exec, exec, s[0:1]
	v_cmp_gt_i32_e32 vcc, s2, v0
	s_and_saveexec_b64 s[0:1], vcc
	s_cbranch_execz .LBB26_505
.LBB26_520:
	v_add_u32_e32 v4, s33, v0
	v_add_u32_e32 v0, 0x100, v0
	global_store_byte_d16_hi v4, v6, s[8:9]
	s_or_b64 exec, exec, s[0:1]
	v_cmp_gt_i32_e32 vcc, s2, v0
	s_and_saveexec_b64 s[0:1], vcc
	s_cbranch_execz .LBB26_506
.LBB26_521:
	v_lshrrev_b32_e32 v4, 24, v6
	v_add_u32_e32 v5, s33, v0
	v_add_u32_e32 v0, 0x100, v0
	global_store_byte v5, v4, s[8:9]
	s_or_b64 exec, exec, s[0:1]
	v_cmp_gt_i32_e32 vcc, s2, v0
	s_and_saveexec_b64 s[0:1], vcc
	s_cbranch_execz .LBB26_507
.LBB26_522:
	v_add_u32_e32 v4, s33, v0
	v_add_u32_e32 v0, 0x100, v0
	global_store_byte v4, v3, s[8:9]
	s_or_b64 exec, exec, s[0:1]
	v_cmp_gt_i32_e32 vcc, s2, v0
	s_and_saveexec_b64 s[0:1], vcc
	s_cbranch_execz .LBB26_508
.LBB26_523:
	v_lshrrev_b32_e32 v4, 8, v3
	v_add_u32_e32 v5, s33, v0
	v_add_u32_e32 v0, 0x100, v0
	global_store_byte v5, v4, s[8:9]
	s_or_b64 exec, exec, s[0:1]
	v_cmp_gt_i32_e32 vcc, s2, v0
	s_and_saveexec_b64 s[0:1], vcc
	s_cbranch_execz .LBB26_509
.LBB26_524:
	v_add_u32_e32 v4, s33, v0
	v_add_u32_e32 v0, 0x100, v0
	global_store_byte_d16_hi v4, v3, s[8:9]
	s_or_b64 exec, exec, s[0:1]
	v_cmp_gt_i32_e32 vcc, s2, v0
	s_and_saveexec_b64 s[0:1], vcc
	s_cbranch_execz .LBB26_510
.LBB26_525:
	v_lshrrev_b32_e32 v3, 24, v3
	v_add_u32_e32 v4, s33, v0
	v_add_u32_e32 v0, 0x100, v0
	global_store_byte v4, v3, s[8:9]
	s_or_b64 exec, exec, s[0:1]
	v_cmp_gt_i32_e32 vcc, s2, v0
	s_and_saveexec_b64 s[0:1], vcc
	s_cbranch_execz .LBB26_511
.LBB26_526:
	v_add_u32_e32 v3, s33, v0
	v_add_u32_e32 v0, 0x100, v0
	global_store_byte v3, v2, s[8:9]
	s_or_b64 exec, exec, s[0:1]
	v_cmp_gt_i32_e32 vcc, s2, v0
	s_and_saveexec_b64 s[0:1], vcc
	s_cbranch_execz .LBB26_512
.LBB26_527:
	v_lshrrev_b32_e32 v3, 8, v2
	v_add_u32_e32 v4, s33, v0
	v_add_u32_e32 v0, 0x100, v0
	global_store_byte v4, v3, s[8:9]
	s_or_b64 exec, exec, s[0:1]
	v_cmp_gt_i32_e32 vcc, s2, v0
	s_and_saveexec_b64 s[0:1], vcc
	s_cbranch_execz .LBB26_513
.LBB26_528:
	v_add_u32_e32 v3, s33, v0
	v_add_u32_e32 v0, 0x100, v0
	global_store_byte_d16_hi v3, v2, s[8:9]
	s_or_b64 exec, exec, s[0:1]
	v_cmp_gt_i32_e32 vcc, s2, v0
	s_and_saveexec_b64 s[0:1], vcc
	s_cbranch_execz .LBB26_514
.LBB26_529:
	v_lshrrev_b32_e32 v2, 24, v2
	v_add_u32_e32 v3, s33, v0
	v_add_u32_e32 v0, 0x100, v0
	global_store_byte v3, v2, s[8:9]
	s_or_b64 exec, exec, s[0:1]
	v_cmp_gt_i32_e32 vcc, s2, v0
	s_and_saveexec_b64 s[0:1], vcc
	s_cbranch_execz .LBB26_515
.LBB26_530:
	v_add_u32_e32 v2, s33, v0
	v_add_u32_e32 v0, 0x100, v0
	global_store_byte v2, v1, s[8:9]
	s_or_b64 exec, exec, s[0:1]
	v_cmp_gt_i32_e32 vcc, s2, v0
	s_and_saveexec_b64 s[0:1], vcc
	s_cbranch_execz .LBB26_516
.LBB26_531:
	v_lshrrev_b32_e32 v2, 8, v1
	v_add_u32_e32 v3, s33, v0
	v_add_u32_e32 v0, 0x100, v0
	global_store_byte v3, v2, s[8:9]
	s_or_b64 exec, exec, s[0:1]
	v_cmp_gt_i32_e32 vcc, s2, v0
	s_and_saveexec_b64 s[0:1], vcc
	s_cbranch_execz .LBB26_517
.LBB26_532:
	v_add_u32_e32 v2, s33, v0
	v_add_u32_e32 v0, 0x100, v0
	global_store_byte_d16_hi v2, v1, s[8:9]
	s_or_b64 exec, exec, s[0:1]
	v_cmp_gt_i32_e32 vcc, s2, v0
	s_and_saveexec_b64 s[0:1], vcc
	s_cbranch_execnz .LBB26_518
.LBB26_533:
	s_endpgm
.LBB26_534:
	v_cmp_lt_i16_sdwa s[12:13], sext(v8), sext(v7) src0_sel:BYTE_0 src1_sel:BYTE_0
	s_andn2_b64 s[10:11], s[10:11], exec
	s_and_b64 s[12:13], s[12:13], exec
	s_or_b64 s[10:11], s[10:11], s[12:13]
	s_cbranch_execz .LBB26_499
	s_branch .LBB26_500
.LBB26_535:
	s_mov_b64 s[12:13], -1
                                        ; implicit-def: $sgpr10_sgpr11
	s_branch .LBB26_285
.LBB26_536:
	s_mov_b64 s[12:13], -1
                                        ; implicit-def: $sgpr10_sgpr11
	s_branch .LBB26_300
.LBB26_537:
	s_mov_b64 s[12:13], -1
                                        ; implicit-def: $sgpr10_sgpr11
	s_branch .LBB26_315
.LBB26_538:
	s_mov_b64 s[12:13], -1
                                        ; implicit-def: $sgpr10_sgpr11
	s_branch .LBB26_330
.LBB26_539:
	s_mov_b64 s[12:13], -1
                                        ; implicit-def: $sgpr10_sgpr11
	s_branch .LBB26_345
.LBB26_540:
	s_mov_b64 s[12:13], -1
                                        ; implicit-def: $sgpr10_sgpr11
	s_branch .LBB26_360
.LBB26_541:
	s_mov_b64 s[12:13], -1
                                        ; implicit-def: $sgpr10_sgpr11
	s_branch .LBB26_375
.LBB26_542:
	s_mov_b64 s[12:13], -1
                                        ; implicit-def: $sgpr10_sgpr11
	s_branch .LBB26_390
.LBB26_543:
	s_mov_b64 s[12:13], -1
                                        ; implicit-def: $sgpr10_sgpr11
	s_branch .LBB26_405
.LBB26_544:
	s_mov_b64 s[12:13], -1
                                        ; implicit-def: $sgpr10_sgpr11
	s_branch .LBB26_420
.LBB26_545:
	s_mov_b64 s[12:13], -1
                                        ; implicit-def: $sgpr10_sgpr11
	s_branch .LBB26_435
.LBB26_546:
	s_mov_b64 s[12:13], -1
                                        ; implicit-def: $sgpr10_sgpr11
	s_branch .LBB26_450
.LBB26_547:
	s_mov_b64 s[12:13], -1
                                        ; implicit-def: $sgpr10_sgpr11
	s_branch .LBB26_465
.LBB26_548:
	s_mov_b64 s[12:13], -1
                                        ; implicit-def: $sgpr10_sgpr11
	s_branch .LBB26_480
.LBB26_549:
	s_mov_b64 s[12:13], -1
                                        ; implicit-def: $sgpr10_sgpr11
	s_branch .LBB26_495
	.section	.rodata,"a",@progbits
	.p2align	6, 0x0
	.amdhsa_kernel _ZN2at6native29vectorized_elementwise_kernelILi4ENS0_12_GLOBAL__N_114CompareFunctorIaEESt5arrayIPcLm3EEEEviT0_T1_
		.amdhsa_group_segment_fixed_size 0
		.amdhsa_private_segment_fixed_size 0
		.amdhsa_kernarg_size 32
		.amdhsa_user_sgpr_count 6
		.amdhsa_user_sgpr_private_segment_buffer 1
		.amdhsa_user_sgpr_dispatch_ptr 0
		.amdhsa_user_sgpr_queue_ptr 0
		.amdhsa_user_sgpr_kernarg_segment_ptr 1
		.amdhsa_user_sgpr_dispatch_id 0
		.amdhsa_user_sgpr_flat_scratch_init 0
		.amdhsa_user_sgpr_private_segment_size 0
		.amdhsa_uses_dynamic_stack 0
		.amdhsa_system_sgpr_private_segment_wavefront_offset 0
		.amdhsa_system_sgpr_workgroup_id_x 1
		.amdhsa_system_sgpr_workgroup_id_y 0
		.amdhsa_system_sgpr_workgroup_id_z 0
		.amdhsa_system_sgpr_workgroup_info 0
		.amdhsa_system_vgpr_workitem_id 0
		.amdhsa_next_free_vgpr 39
		.amdhsa_next_free_sgpr 49
		.amdhsa_reserve_vcc 1
		.amdhsa_reserve_flat_scratch 0
		.amdhsa_float_round_mode_32 0
		.amdhsa_float_round_mode_16_64 0
		.amdhsa_float_denorm_mode_32 3
		.amdhsa_float_denorm_mode_16_64 3
		.amdhsa_dx10_clamp 1
		.amdhsa_ieee_mode 1
		.amdhsa_fp16_overflow 0
		.amdhsa_exception_fp_ieee_invalid_op 0
		.amdhsa_exception_fp_denorm_src 0
		.amdhsa_exception_fp_ieee_div_zero 0
		.amdhsa_exception_fp_ieee_overflow 0
		.amdhsa_exception_fp_ieee_underflow 0
		.amdhsa_exception_fp_ieee_inexact 0
		.amdhsa_exception_int_div_zero 0
	.end_amdhsa_kernel
	.section	.text._ZN2at6native29vectorized_elementwise_kernelILi4ENS0_12_GLOBAL__N_114CompareFunctorIaEESt5arrayIPcLm3EEEEviT0_T1_,"axG",@progbits,_ZN2at6native29vectorized_elementwise_kernelILi4ENS0_12_GLOBAL__N_114CompareFunctorIaEESt5arrayIPcLm3EEEEviT0_T1_,comdat
.Lfunc_end26:
	.size	_ZN2at6native29vectorized_elementwise_kernelILi4ENS0_12_GLOBAL__N_114CompareFunctorIaEESt5arrayIPcLm3EEEEviT0_T1_, .Lfunc_end26-_ZN2at6native29vectorized_elementwise_kernelILi4ENS0_12_GLOBAL__N_114CompareFunctorIaEESt5arrayIPcLm3EEEEviT0_T1_
                                        ; -- End function
	.set _ZN2at6native29vectorized_elementwise_kernelILi4ENS0_12_GLOBAL__N_114CompareFunctorIaEESt5arrayIPcLm3EEEEviT0_T1_.num_vgpr, 39
	.set _ZN2at6native29vectorized_elementwise_kernelILi4ENS0_12_GLOBAL__N_114CompareFunctorIaEESt5arrayIPcLm3EEEEviT0_T1_.num_agpr, 0
	.set _ZN2at6native29vectorized_elementwise_kernelILi4ENS0_12_GLOBAL__N_114CompareFunctorIaEESt5arrayIPcLm3EEEEviT0_T1_.numbered_sgpr, 49
	.set _ZN2at6native29vectorized_elementwise_kernelILi4ENS0_12_GLOBAL__N_114CompareFunctorIaEESt5arrayIPcLm3EEEEviT0_T1_.num_named_barrier, 0
	.set _ZN2at6native29vectorized_elementwise_kernelILi4ENS0_12_GLOBAL__N_114CompareFunctorIaEESt5arrayIPcLm3EEEEviT0_T1_.private_seg_size, 0
	.set _ZN2at6native29vectorized_elementwise_kernelILi4ENS0_12_GLOBAL__N_114CompareFunctorIaEESt5arrayIPcLm3EEEEviT0_T1_.uses_vcc, 1
	.set _ZN2at6native29vectorized_elementwise_kernelILi4ENS0_12_GLOBAL__N_114CompareFunctorIaEESt5arrayIPcLm3EEEEviT0_T1_.uses_flat_scratch, 0
	.set _ZN2at6native29vectorized_elementwise_kernelILi4ENS0_12_GLOBAL__N_114CompareFunctorIaEESt5arrayIPcLm3EEEEviT0_T1_.has_dyn_sized_stack, 0
	.set _ZN2at6native29vectorized_elementwise_kernelILi4ENS0_12_GLOBAL__N_114CompareFunctorIaEESt5arrayIPcLm3EEEEviT0_T1_.has_recursion, 0
	.set _ZN2at6native29vectorized_elementwise_kernelILi4ENS0_12_GLOBAL__N_114CompareFunctorIaEESt5arrayIPcLm3EEEEviT0_T1_.has_indirect_call, 0
	.section	.AMDGPU.csdata,"",@progbits
; Kernel info:
; codeLenInByte = 10196
; TotalNumSgprs: 53
; NumVgprs: 39
; ScratchSize: 0
; MemoryBound: 0
; FloatMode: 240
; IeeeMode: 1
; LDSByteSize: 0 bytes/workgroup (compile time only)
; SGPRBlocks: 6
; VGPRBlocks: 9
; NumSGPRsForWavesPerEU: 53
; NumVGPRsForWavesPerEU: 39
; Occupancy: 6
; WaveLimiterHint : 1
; COMPUTE_PGM_RSRC2:SCRATCH_EN: 0
; COMPUTE_PGM_RSRC2:USER_SGPR: 6
; COMPUTE_PGM_RSRC2:TRAP_HANDLER: 0
; COMPUTE_PGM_RSRC2:TGID_X_EN: 1
; COMPUTE_PGM_RSRC2:TGID_Y_EN: 0
; COMPUTE_PGM_RSRC2:TGID_Z_EN: 0
; COMPUTE_PGM_RSRC2:TIDIG_COMP_CNT: 0
	.section	.text._ZN2at6native29vectorized_elementwise_kernelILi2ENS0_12_GLOBAL__N_114CompareFunctorIaEESt5arrayIPcLm3EEEEviT0_T1_,"axG",@progbits,_ZN2at6native29vectorized_elementwise_kernelILi2ENS0_12_GLOBAL__N_114CompareFunctorIaEESt5arrayIPcLm3EEEEviT0_T1_,comdat
	.globl	_ZN2at6native29vectorized_elementwise_kernelILi2ENS0_12_GLOBAL__N_114CompareFunctorIaEESt5arrayIPcLm3EEEEviT0_T1_ ; -- Begin function _ZN2at6native29vectorized_elementwise_kernelILi2ENS0_12_GLOBAL__N_114CompareFunctorIaEESt5arrayIPcLm3EEEEviT0_T1_
	.p2align	8
	.type	_ZN2at6native29vectorized_elementwise_kernelILi2ENS0_12_GLOBAL__N_114CompareFunctorIaEESt5arrayIPcLm3EEEEviT0_T1_,@function
_ZN2at6native29vectorized_elementwise_kernelILi2ENS0_12_GLOBAL__N_114CompareFunctorIaEESt5arrayIPcLm3EEEEviT0_T1_: ; @_ZN2at6native29vectorized_elementwise_kernelILi2ENS0_12_GLOBAL__N_114CompareFunctorIaEESt5arrayIPcLm3EEEEviT0_T1_
; %bb.0:
	s_load_dwordx2 s[2:3], s[4:5], 0x0
	s_load_dwordx4 s[8:11], s[4:5], 0x8
	s_load_dwordx2 s[12:13], s[4:5], 0x18
	s_lshl_b32 s33, s6, 12
	s_mov_b64 s[0:1], -1
	s_waitcnt lgkmcnt(0)
	s_sub_i32 s2, s2, s33
	s_cmpk_gt_i32 s2, 0xfff
	s_cbranch_scc0 .LBB27_211
; %bb.1:
	s_ashr_i32 s48, s33, 31
	s_add_u32 s0, s10, s33
	s_addc_u32 s1, s11, s48
	v_lshlrev_b32_e32 v1, 1, v0
	global_load_ushort v16, v1, s[0:1]
	global_load_ushort v14, v1, s[0:1] offset:512
	global_load_ushort v12, v1, s[0:1] offset:1024
	;; [unrolled: 1-line block ×7, first 2 shown]
	s_add_u32 s0, s12, s33
	s_addc_u32 s1, s13, s48
	global_load_ushort v17, v1, s[0:1]
	global_load_ushort v15, v1, s[0:1] offset:512
	global_load_ushort v13, v1, s[0:1] offset:1024
	;; [unrolled: 1-line block ×7, first 2 shown]
	s_cmp_lt_i32 s3, 1
	s_mov_b64 s[4:5], 0
	s_cbranch_scc1 .LBB27_5
; %bb.2:
	s_cmp_gt_i32 s3, 1
	s_cbranch_scc0 .LBB27_6
; %bb.3:
	s_cmp_eq_u32 s3, 2
	s_cbranch_scc0 .LBB27_7
; %bb.4:
	s_waitcnt vmcnt(7)
	v_cmp_le_i16_sdwa s[0:1], sext(v16), sext(v17) src0_sel:BYTE_0 src1_sel:BYTE_0
	s_mov_b64 s[6:7], 0
	s_branch .LBB27_8
.LBB27_5:
                                        ; implicit-def: $sgpr0_sgpr1
	s_mov_b64 s[6:7], 0
	s_cbranch_execnz .LBB27_11
	s_branch .LBB27_12
.LBB27_6:
	s_mov_b64 s[6:7], 0
                                        ; implicit-def: $sgpr0_sgpr1
	s_cbranch_execnz .LBB27_9
	s_branch .LBB27_10
.LBB27_7:
	s_mov_b64 s[6:7], -1
                                        ; implicit-def: $sgpr0_sgpr1
.LBB27_8:
	s_branch .LBB27_10
.LBB27_9:
	s_waitcnt vmcnt(7)
	v_cmp_gt_i16_sdwa s[14:15], sext(v16), sext(v17) src0_sel:BYTE_0 src1_sel:BYTE_0
	s_andn2_b64 s[0:1], s[0:1], exec
	s_and_b64 s[14:15], s[14:15], exec
	s_or_b64 s[0:1], s[0:1], s[14:15]
.LBB27_10:
	s_branch .LBB27_12
.LBB27_11:
	s_cmp_lg_u32 s3, 0
	s_mov_b64 s[4:5], -1
	s_cselect_b64 s[6:7], -1, 0
.LBB27_12:
	s_andn2_b64 vcc, exec, s[6:7]
	s_cbranch_vccz .LBB27_18
; %bb.13:
	s_andn2_b64 vcc, exec, s[4:5]
	s_cbranch_vccz .LBB27_19
.LBB27_14:
	s_cmp_lt_i32 s3, 1
	s_mov_b64 s[6:7], 0
	s_cbranch_scc1 .LBB27_20
.LBB27_15:
	s_cmp_gt_i32 s3, 1
	s_cbranch_scc0 .LBB27_21
; %bb.16:
	s_cmp_eq_u32 s3, 2
	s_cbranch_scc0 .LBB27_251
; %bb.17:
	s_waitcnt vmcnt(7)
	v_cmp_le_i16_sdwa s[4:5], sext(v16), sext(v17) src0_sel:BYTE_1 src1_sel:BYTE_1
	s_mov_b64 s[14:15], 0
	s_branch .LBB27_23
.LBB27_18:
	s_waitcnt vmcnt(7)
	v_cmp_lt_i16_sdwa s[6:7], sext(v16), sext(v17) src0_sel:BYTE_0 src1_sel:BYTE_0
	s_andn2_b64 s[0:1], s[0:1], exec
	s_and_b64 s[6:7], s[6:7], exec
	s_or_b64 s[0:1], s[0:1], s[6:7]
	s_cbranch_execnz .LBB27_14
.LBB27_19:
	s_waitcnt vmcnt(7)
	v_cmp_ge_i16_sdwa s[4:5], sext(v16), sext(v17) src0_sel:BYTE_0 src1_sel:BYTE_0
	s_andn2_b64 s[0:1], s[0:1], exec
	s_and_b64 s[4:5], s[4:5], exec
	s_or_b64 s[0:1], s[0:1], s[4:5]
	s_cmp_lt_i32 s3, 1
	s_mov_b64 s[6:7], 0
	s_cbranch_scc0 .LBB27_15
.LBB27_20:
                                        ; implicit-def: $sgpr4_sgpr5
	s_mov_b64 s[14:15], 0
	s_cbranch_execnz .LBB27_24
	s_branch .LBB27_25
.LBB27_21:
	s_mov_b64 s[14:15], 0
                                        ; implicit-def: $sgpr4_sgpr5
	s_cbranch_execz .LBB27_23
; %bb.22:
	s_waitcnt vmcnt(7)
	v_cmp_gt_i16_sdwa s[16:17], sext(v16), sext(v17) src0_sel:BYTE_1 src1_sel:BYTE_1
	s_andn2_b64 s[4:5], s[4:5], exec
	s_and_b64 s[16:17], s[16:17], exec
	s_or_b64 s[4:5], s[4:5], s[16:17]
.LBB27_23:
	s_branch .LBB27_25
.LBB27_24:
	s_cmp_lg_u32 s3, 0
	s_mov_b64 s[6:7], -1
	s_cselect_b64 s[14:15], -1, 0
.LBB27_25:
	s_andn2_b64 vcc, exec, s[14:15]
	s_cbranch_vccz .LBB27_31
; %bb.26:
	s_andn2_b64 vcc, exec, s[6:7]
	s_cbranch_vccz .LBB27_32
.LBB27_27:
	s_cmp_lt_i32 s3, 1
	s_mov_b64 s[14:15], 0
	s_cbranch_scc1 .LBB27_33
.LBB27_28:
	s_cmp_gt_i32 s3, 1
	s_cbranch_scc0 .LBB27_34
; %bb.29:
	s_cmp_eq_u32 s3, 2
	s_cbranch_scc0 .LBB27_252
; %bb.30:
	s_waitcnt vmcnt(6)
	v_cmp_le_i16_sdwa s[6:7], sext(v14), sext(v15) src0_sel:BYTE_0 src1_sel:BYTE_0
	s_mov_b64 s[16:17], 0
	s_branch .LBB27_36
.LBB27_31:
	s_waitcnt vmcnt(7)
	v_cmp_lt_i16_sdwa s[14:15], sext(v16), sext(v17) src0_sel:BYTE_1 src1_sel:BYTE_1
	s_andn2_b64 s[4:5], s[4:5], exec
	s_and_b64 s[14:15], s[14:15], exec
	s_or_b64 s[4:5], s[4:5], s[14:15]
	s_cbranch_execnz .LBB27_27
.LBB27_32:
	s_waitcnt vmcnt(7)
	v_cmp_ge_i16_sdwa s[6:7], sext(v16), sext(v17) src0_sel:BYTE_1 src1_sel:BYTE_1
	s_andn2_b64 s[4:5], s[4:5], exec
	s_and_b64 s[6:7], s[6:7], exec
	s_or_b64 s[4:5], s[4:5], s[6:7]
	s_cmp_lt_i32 s3, 1
	s_mov_b64 s[14:15], 0
	s_cbranch_scc0 .LBB27_28
.LBB27_33:
                                        ; implicit-def: $sgpr6_sgpr7
	s_mov_b64 s[16:17], 0
	s_cbranch_execnz .LBB27_37
	s_branch .LBB27_38
.LBB27_34:
	s_mov_b64 s[16:17], 0
                                        ; implicit-def: $sgpr6_sgpr7
	s_cbranch_execz .LBB27_36
; %bb.35:
	s_waitcnt vmcnt(6)
	v_cmp_gt_i16_sdwa s[18:19], sext(v14), sext(v15) src0_sel:BYTE_0 src1_sel:BYTE_0
	s_andn2_b64 s[6:7], s[6:7], exec
	s_and_b64 s[18:19], s[18:19], exec
	s_or_b64 s[6:7], s[6:7], s[18:19]
.LBB27_36:
	s_branch .LBB27_38
.LBB27_37:
	s_cmp_lg_u32 s3, 0
	s_mov_b64 s[14:15], -1
	s_cselect_b64 s[16:17], -1, 0
.LBB27_38:
	s_andn2_b64 vcc, exec, s[16:17]
	s_cbranch_vccz .LBB27_44
; %bb.39:
	s_andn2_b64 vcc, exec, s[14:15]
	s_cbranch_vccz .LBB27_45
.LBB27_40:
	s_cmp_lt_i32 s3, 1
	s_mov_b64 s[16:17], 0
	s_cbranch_scc1 .LBB27_46
.LBB27_41:
	s_cmp_gt_i32 s3, 1
	s_cbranch_scc0 .LBB27_47
; %bb.42:
	s_cmp_eq_u32 s3, 2
	s_cbranch_scc0 .LBB27_253
; %bb.43:
	s_waitcnt vmcnt(6)
	v_cmp_le_i16_sdwa s[14:15], sext(v14), sext(v15) src0_sel:BYTE_1 src1_sel:BYTE_1
	s_mov_b64 s[18:19], 0
	s_branch .LBB27_49
.LBB27_44:
	s_waitcnt vmcnt(6)
	v_cmp_lt_i16_sdwa s[16:17], sext(v14), sext(v15) src0_sel:BYTE_0 src1_sel:BYTE_0
	s_andn2_b64 s[6:7], s[6:7], exec
	s_and_b64 s[16:17], s[16:17], exec
	s_or_b64 s[6:7], s[6:7], s[16:17]
	s_cbranch_execnz .LBB27_40
.LBB27_45:
	s_waitcnt vmcnt(6)
	v_cmp_ge_i16_sdwa s[14:15], sext(v14), sext(v15) src0_sel:BYTE_0 src1_sel:BYTE_0
	s_andn2_b64 s[6:7], s[6:7], exec
	s_and_b64 s[14:15], s[14:15], exec
	s_or_b64 s[6:7], s[6:7], s[14:15]
	s_cmp_lt_i32 s3, 1
	s_mov_b64 s[16:17], 0
	s_cbranch_scc0 .LBB27_41
.LBB27_46:
                                        ; implicit-def: $sgpr14_sgpr15
	s_mov_b64 s[18:19], 0
	s_cbranch_execnz .LBB27_50
	s_branch .LBB27_51
.LBB27_47:
	s_mov_b64 s[18:19], 0
                                        ; implicit-def: $sgpr14_sgpr15
	s_cbranch_execz .LBB27_49
; %bb.48:
	s_waitcnt vmcnt(6)
	v_cmp_gt_i16_sdwa s[20:21], sext(v14), sext(v15) src0_sel:BYTE_1 src1_sel:BYTE_1
	s_andn2_b64 s[14:15], s[14:15], exec
	s_and_b64 s[20:21], s[20:21], exec
	s_or_b64 s[14:15], s[14:15], s[20:21]
.LBB27_49:
	s_branch .LBB27_51
.LBB27_50:
	s_cmp_lg_u32 s3, 0
	s_mov_b64 s[16:17], -1
	s_cselect_b64 s[18:19], -1, 0
.LBB27_51:
	s_andn2_b64 vcc, exec, s[18:19]
	s_cbranch_vccz .LBB27_57
; %bb.52:
	s_andn2_b64 vcc, exec, s[16:17]
	s_cbranch_vccz .LBB27_58
.LBB27_53:
	s_cmp_lt_i32 s3, 1
	s_mov_b64 s[18:19], 0
	s_cbranch_scc1 .LBB27_59
.LBB27_54:
	s_cmp_gt_i32 s3, 1
	s_cbranch_scc0 .LBB27_60
; %bb.55:
	s_cmp_eq_u32 s3, 2
	s_cbranch_scc0 .LBB27_254
; %bb.56:
	s_waitcnt vmcnt(5)
	v_cmp_le_i16_sdwa s[16:17], sext(v12), sext(v13) src0_sel:BYTE_0 src1_sel:BYTE_0
	s_mov_b64 s[20:21], 0
	s_branch .LBB27_62
.LBB27_57:
	s_waitcnt vmcnt(6)
	v_cmp_lt_i16_sdwa s[18:19], sext(v14), sext(v15) src0_sel:BYTE_1 src1_sel:BYTE_1
	s_andn2_b64 s[14:15], s[14:15], exec
	s_and_b64 s[18:19], s[18:19], exec
	s_or_b64 s[14:15], s[14:15], s[18:19]
	s_cbranch_execnz .LBB27_53
.LBB27_58:
	s_waitcnt vmcnt(6)
	v_cmp_ge_i16_sdwa s[16:17], sext(v14), sext(v15) src0_sel:BYTE_1 src1_sel:BYTE_1
	s_andn2_b64 s[14:15], s[14:15], exec
	s_and_b64 s[16:17], s[16:17], exec
	s_or_b64 s[14:15], s[14:15], s[16:17]
	s_cmp_lt_i32 s3, 1
	s_mov_b64 s[18:19], 0
	s_cbranch_scc0 .LBB27_54
.LBB27_59:
                                        ; implicit-def: $sgpr16_sgpr17
	s_mov_b64 s[20:21], 0
	s_cbranch_execnz .LBB27_63
	s_branch .LBB27_64
.LBB27_60:
	s_mov_b64 s[20:21], 0
                                        ; implicit-def: $sgpr16_sgpr17
	s_cbranch_execz .LBB27_62
; %bb.61:
	s_waitcnt vmcnt(5)
	v_cmp_gt_i16_sdwa s[22:23], sext(v12), sext(v13) src0_sel:BYTE_0 src1_sel:BYTE_0
	s_andn2_b64 s[16:17], s[16:17], exec
	s_and_b64 s[22:23], s[22:23], exec
	s_or_b64 s[16:17], s[16:17], s[22:23]
.LBB27_62:
	s_branch .LBB27_64
.LBB27_63:
	s_cmp_lg_u32 s3, 0
	s_mov_b64 s[18:19], -1
	s_cselect_b64 s[20:21], -1, 0
.LBB27_64:
	s_andn2_b64 vcc, exec, s[20:21]
	s_cbranch_vccz .LBB27_70
; %bb.65:
	s_andn2_b64 vcc, exec, s[18:19]
	s_cbranch_vccz .LBB27_71
.LBB27_66:
	s_cmp_lt_i32 s3, 1
	s_mov_b64 s[20:21], 0
	s_cbranch_scc1 .LBB27_72
.LBB27_67:
	s_cmp_gt_i32 s3, 1
	s_cbranch_scc0 .LBB27_73
; %bb.68:
	s_cmp_eq_u32 s3, 2
	s_cbranch_scc0 .LBB27_255
; %bb.69:
	s_waitcnt vmcnt(5)
	v_cmp_le_i16_sdwa s[18:19], sext(v12), sext(v13) src0_sel:BYTE_1 src1_sel:BYTE_1
	s_mov_b64 s[22:23], 0
	s_branch .LBB27_75
.LBB27_70:
	s_waitcnt vmcnt(5)
	v_cmp_lt_i16_sdwa s[20:21], sext(v12), sext(v13) src0_sel:BYTE_0 src1_sel:BYTE_0
	s_andn2_b64 s[16:17], s[16:17], exec
	s_and_b64 s[20:21], s[20:21], exec
	s_or_b64 s[16:17], s[16:17], s[20:21]
	s_cbranch_execnz .LBB27_66
.LBB27_71:
	s_waitcnt vmcnt(5)
	v_cmp_ge_i16_sdwa s[18:19], sext(v12), sext(v13) src0_sel:BYTE_0 src1_sel:BYTE_0
	s_andn2_b64 s[16:17], s[16:17], exec
	s_and_b64 s[18:19], s[18:19], exec
	s_or_b64 s[16:17], s[16:17], s[18:19]
	s_cmp_lt_i32 s3, 1
	s_mov_b64 s[20:21], 0
	s_cbranch_scc0 .LBB27_67
.LBB27_72:
                                        ; implicit-def: $sgpr18_sgpr19
	s_mov_b64 s[22:23], 0
	s_cbranch_execnz .LBB27_76
	s_branch .LBB27_77
.LBB27_73:
	s_mov_b64 s[22:23], 0
                                        ; implicit-def: $sgpr18_sgpr19
	s_cbranch_execz .LBB27_75
; %bb.74:
	s_waitcnt vmcnt(5)
	v_cmp_gt_i16_sdwa s[24:25], sext(v12), sext(v13) src0_sel:BYTE_1 src1_sel:BYTE_1
	s_andn2_b64 s[18:19], s[18:19], exec
	s_and_b64 s[24:25], s[24:25], exec
	s_or_b64 s[18:19], s[18:19], s[24:25]
.LBB27_75:
	s_branch .LBB27_77
.LBB27_76:
	s_cmp_lg_u32 s3, 0
	s_mov_b64 s[20:21], -1
	s_cselect_b64 s[22:23], -1, 0
.LBB27_77:
	s_andn2_b64 vcc, exec, s[22:23]
	s_cbranch_vccz .LBB27_83
; %bb.78:
	s_andn2_b64 vcc, exec, s[20:21]
	s_cbranch_vccz .LBB27_84
.LBB27_79:
	s_cmp_lt_i32 s3, 1
	s_mov_b64 s[22:23], 0
	s_cbranch_scc1 .LBB27_85
.LBB27_80:
	s_cmp_gt_i32 s3, 1
	s_cbranch_scc0 .LBB27_86
; %bb.81:
	s_cmp_eq_u32 s3, 2
	s_cbranch_scc0 .LBB27_256
; %bb.82:
	s_waitcnt vmcnt(4)
	v_cmp_le_i16_sdwa s[20:21], sext(v10), sext(v11) src0_sel:BYTE_0 src1_sel:BYTE_0
	s_mov_b64 s[24:25], 0
	s_branch .LBB27_88
.LBB27_83:
	s_waitcnt vmcnt(5)
	v_cmp_lt_i16_sdwa s[22:23], sext(v12), sext(v13) src0_sel:BYTE_1 src1_sel:BYTE_1
	s_andn2_b64 s[18:19], s[18:19], exec
	s_and_b64 s[22:23], s[22:23], exec
	s_or_b64 s[18:19], s[18:19], s[22:23]
	s_cbranch_execnz .LBB27_79
.LBB27_84:
	s_waitcnt vmcnt(5)
	v_cmp_ge_i16_sdwa s[20:21], sext(v12), sext(v13) src0_sel:BYTE_1 src1_sel:BYTE_1
	s_andn2_b64 s[18:19], s[18:19], exec
	s_and_b64 s[20:21], s[20:21], exec
	s_or_b64 s[18:19], s[18:19], s[20:21]
	s_cmp_lt_i32 s3, 1
	s_mov_b64 s[22:23], 0
	s_cbranch_scc0 .LBB27_80
.LBB27_85:
                                        ; implicit-def: $sgpr20_sgpr21
	s_mov_b64 s[24:25], 0
	s_cbranch_execnz .LBB27_89
	s_branch .LBB27_90
.LBB27_86:
	s_mov_b64 s[24:25], 0
                                        ; implicit-def: $sgpr20_sgpr21
	s_cbranch_execz .LBB27_88
; %bb.87:
	s_waitcnt vmcnt(4)
	v_cmp_gt_i16_sdwa s[26:27], sext(v10), sext(v11) src0_sel:BYTE_0 src1_sel:BYTE_0
	s_andn2_b64 s[20:21], s[20:21], exec
	s_and_b64 s[26:27], s[26:27], exec
	s_or_b64 s[20:21], s[20:21], s[26:27]
.LBB27_88:
	s_branch .LBB27_90
.LBB27_89:
	s_cmp_lg_u32 s3, 0
	s_mov_b64 s[22:23], -1
	s_cselect_b64 s[24:25], -1, 0
.LBB27_90:
	s_andn2_b64 vcc, exec, s[24:25]
	s_cbranch_vccz .LBB27_96
; %bb.91:
	s_andn2_b64 vcc, exec, s[22:23]
	s_cbranch_vccz .LBB27_97
.LBB27_92:
	s_cmp_lt_i32 s3, 1
	s_mov_b64 s[24:25], 0
	s_cbranch_scc1 .LBB27_98
.LBB27_93:
	s_cmp_gt_i32 s3, 1
	s_cbranch_scc0 .LBB27_99
; %bb.94:
	s_cmp_eq_u32 s3, 2
	s_cbranch_scc0 .LBB27_257
; %bb.95:
	s_waitcnt vmcnt(4)
	v_cmp_le_i16_sdwa s[22:23], sext(v10), sext(v11) src0_sel:BYTE_1 src1_sel:BYTE_1
	s_mov_b64 s[26:27], 0
	s_branch .LBB27_101
.LBB27_96:
	s_waitcnt vmcnt(4)
	v_cmp_lt_i16_sdwa s[24:25], sext(v10), sext(v11) src0_sel:BYTE_0 src1_sel:BYTE_0
	s_andn2_b64 s[20:21], s[20:21], exec
	s_and_b64 s[24:25], s[24:25], exec
	s_or_b64 s[20:21], s[20:21], s[24:25]
	s_cbranch_execnz .LBB27_92
.LBB27_97:
	s_waitcnt vmcnt(4)
	v_cmp_ge_i16_sdwa s[22:23], sext(v10), sext(v11) src0_sel:BYTE_0 src1_sel:BYTE_0
	s_andn2_b64 s[20:21], s[20:21], exec
	s_and_b64 s[22:23], s[22:23], exec
	s_or_b64 s[20:21], s[20:21], s[22:23]
	s_cmp_lt_i32 s3, 1
	s_mov_b64 s[24:25], 0
	s_cbranch_scc0 .LBB27_93
.LBB27_98:
                                        ; implicit-def: $sgpr22_sgpr23
	s_mov_b64 s[26:27], 0
	s_cbranch_execnz .LBB27_102
	s_branch .LBB27_103
.LBB27_99:
	s_mov_b64 s[26:27], 0
                                        ; implicit-def: $sgpr22_sgpr23
	s_cbranch_execz .LBB27_101
; %bb.100:
	s_waitcnt vmcnt(4)
	v_cmp_gt_i16_sdwa s[28:29], sext(v10), sext(v11) src0_sel:BYTE_1 src1_sel:BYTE_1
	s_andn2_b64 s[22:23], s[22:23], exec
	s_and_b64 s[28:29], s[28:29], exec
	s_or_b64 s[22:23], s[22:23], s[28:29]
.LBB27_101:
	s_branch .LBB27_103
.LBB27_102:
	s_cmp_lg_u32 s3, 0
	s_mov_b64 s[24:25], -1
	s_cselect_b64 s[26:27], -1, 0
.LBB27_103:
	s_andn2_b64 vcc, exec, s[26:27]
	s_cbranch_vccz .LBB27_109
; %bb.104:
	s_andn2_b64 vcc, exec, s[24:25]
	s_cbranch_vccz .LBB27_110
.LBB27_105:
	s_cmp_lt_i32 s3, 1
	s_mov_b64 s[26:27], 0
	s_cbranch_scc1 .LBB27_111
.LBB27_106:
	s_cmp_gt_i32 s3, 1
	s_cbranch_scc0 .LBB27_112
; %bb.107:
	s_cmp_eq_u32 s3, 2
	s_cbranch_scc0 .LBB27_258
; %bb.108:
	s_waitcnt vmcnt(3)
	v_cmp_le_i16_sdwa s[24:25], sext(v8), sext(v9) src0_sel:BYTE_0 src1_sel:BYTE_0
	s_mov_b64 s[28:29], 0
	s_branch .LBB27_114
.LBB27_109:
	s_waitcnt vmcnt(4)
	v_cmp_lt_i16_sdwa s[26:27], sext(v10), sext(v11) src0_sel:BYTE_1 src1_sel:BYTE_1
	s_andn2_b64 s[22:23], s[22:23], exec
	s_and_b64 s[26:27], s[26:27], exec
	s_or_b64 s[22:23], s[22:23], s[26:27]
	s_cbranch_execnz .LBB27_105
.LBB27_110:
	s_waitcnt vmcnt(4)
	v_cmp_ge_i16_sdwa s[24:25], sext(v10), sext(v11) src0_sel:BYTE_1 src1_sel:BYTE_1
	s_andn2_b64 s[22:23], s[22:23], exec
	s_and_b64 s[24:25], s[24:25], exec
	s_or_b64 s[22:23], s[22:23], s[24:25]
	s_cmp_lt_i32 s3, 1
	s_mov_b64 s[26:27], 0
	s_cbranch_scc0 .LBB27_106
.LBB27_111:
                                        ; implicit-def: $sgpr24_sgpr25
	s_mov_b64 s[28:29], 0
	s_cbranch_execnz .LBB27_115
	s_branch .LBB27_116
.LBB27_112:
	s_mov_b64 s[28:29], 0
                                        ; implicit-def: $sgpr24_sgpr25
	s_cbranch_execz .LBB27_114
; %bb.113:
	s_waitcnt vmcnt(3)
	v_cmp_gt_i16_sdwa s[30:31], sext(v8), sext(v9) src0_sel:BYTE_0 src1_sel:BYTE_0
	s_andn2_b64 s[24:25], s[24:25], exec
	s_and_b64 s[30:31], s[30:31], exec
	s_or_b64 s[24:25], s[24:25], s[30:31]
.LBB27_114:
	s_branch .LBB27_116
.LBB27_115:
	s_cmp_lg_u32 s3, 0
	s_mov_b64 s[26:27], -1
	s_cselect_b64 s[28:29], -1, 0
.LBB27_116:
	s_andn2_b64 vcc, exec, s[28:29]
	s_cbranch_vccz .LBB27_122
; %bb.117:
	s_andn2_b64 vcc, exec, s[26:27]
	s_cbranch_vccz .LBB27_123
.LBB27_118:
	s_cmp_lt_i32 s3, 1
	s_mov_b64 s[28:29], 0
	s_cbranch_scc1 .LBB27_124
.LBB27_119:
	s_cmp_gt_i32 s3, 1
	s_cbranch_scc0 .LBB27_125
; %bb.120:
	s_cmp_eq_u32 s3, 2
	s_cbranch_scc0 .LBB27_259
; %bb.121:
	s_waitcnt vmcnt(3)
	v_cmp_le_i16_sdwa s[26:27], sext(v8), sext(v9) src0_sel:BYTE_1 src1_sel:BYTE_1
	s_mov_b64 s[30:31], 0
	s_branch .LBB27_127
.LBB27_122:
	s_waitcnt vmcnt(3)
	v_cmp_lt_i16_sdwa s[28:29], sext(v8), sext(v9) src0_sel:BYTE_0 src1_sel:BYTE_0
	s_andn2_b64 s[24:25], s[24:25], exec
	s_and_b64 s[28:29], s[28:29], exec
	s_or_b64 s[24:25], s[24:25], s[28:29]
	s_cbranch_execnz .LBB27_118
.LBB27_123:
	s_waitcnt vmcnt(3)
	v_cmp_ge_i16_sdwa s[26:27], sext(v8), sext(v9) src0_sel:BYTE_0 src1_sel:BYTE_0
	s_andn2_b64 s[24:25], s[24:25], exec
	s_and_b64 s[26:27], s[26:27], exec
	s_or_b64 s[24:25], s[24:25], s[26:27]
	s_cmp_lt_i32 s3, 1
	s_mov_b64 s[28:29], 0
	s_cbranch_scc0 .LBB27_119
.LBB27_124:
                                        ; implicit-def: $sgpr26_sgpr27
	s_mov_b64 s[30:31], 0
	s_cbranch_execnz .LBB27_128
	s_branch .LBB27_129
.LBB27_125:
	s_mov_b64 s[30:31], 0
                                        ; implicit-def: $sgpr26_sgpr27
	s_cbranch_execz .LBB27_127
; %bb.126:
	s_waitcnt vmcnt(3)
	v_cmp_gt_i16_sdwa s[34:35], sext(v8), sext(v9) src0_sel:BYTE_1 src1_sel:BYTE_1
	s_andn2_b64 s[26:27], s[26:27], exec
	s_and_b64 s[34:35], s[34:35], exec
	s_or_b64 s[26:27], s[26:27], s[34:35]
.LBB27_127:
	s_branch .LBB27_129
.LBB27_128:
	s_cmp_lg_u32 s3, 0
	s_mov_b64 s[28:29], -1
	s_cselect_b64 s[30:31], -1, 0
.LBB27_129:
	s_andn2_b64 vcc, exec, s[30:31]
	s_cbranch_vccz .LBB27_135
; %bb.130:
	s_andn2_b64 vcc, exec, s[28:29]
	s_cbranch_vccz .LBB27_136
.LBB27_131:
	s_cmp_lt_i32 s3, 1
	s_mov_b64 s[30:31], 0
	s_cbranch_scc1 .LBB27_137
.LBB27_132:
	s_cmp_gt_i32 s3, 1
	s_cbranch_scc0 .LBB27_138
; %bb.133:
	s_cmp_eq_u32 s3, 2
	s_cbranch_scc0 .LBB27_260
; %bb.134:
	s_waitcnt vmcnt(2)
	v_cmp_le_i16_sdwa s[28:29], sext(v6), sext(v7) src0_sel:BYTE_0 src1_sel:BYTE_0
	s_mov_b64 s[34:35], 0
	s_branch .LBB27_140
.LBB27_135:
	s_waitcnt vmcnt(3)
	v_cmp_lt_i16_sdwa s[30:31], sext(v8), sext(v9) src0_sel:BYTE_1 src1_sel:BYTE_1
	s_andn2_b64 s[26:27], s[26:27], exec
	s_and_b64 s[30:31], s[30:31], exec
	s_or_b64 s[26:27], s[26:27], s[30:31]
	s_cbranch_execnz .LBB27_131
.LBB27_136:
	s_waitcnt vmcnt(3)
	v_cmp_ge_i16_sdwa s[28:29], sext(v8), sext(v9) src0_sel:BYTE_1 src1_sel:BYTE_1
	s_andn2_b64 s[26:27], s[26:27], exec
	s_and_b64 s[28:29], s[28:29], exec
	s_or_b64 s[26:27], s[26:27], s[28:29]
	s_cmp_lt_i32 s3, 1
	s_mov_b64 s[30:31], 0
	s_cbranch_scc0 .LBB27_132
.LBB27_137:
                                        ; implicit-def: $sgpr28_sgpr29
	s_mov_b64 s[34:35], 0
	s_cbranch_execnz .LBB27_141
	s_branch .LBB27_142
.LBB27_138:
	s_mov_b64 s[34:35], 0
                                        ; implicit-def: $sgpr28_sgpr29
	s_cbranch_execz .LBB27_140
; %bb.139:
	s_waitcnt vmcnt(2)
	v_cmp_gt_i16_sdwa s[36:37], sext(v6), sext(v7) src0_sel:BYTE_0 src1_sel:BYTE_0
	s_andn2_b64 s[28:29], s[28:29], exec
	s_and_b64 s[36:37], s[36:37], exec
	s_or_b64 s[28:29], s[28:29], s[36:37]
.LBB27_140:
	s_branch .LBB27_142
.LBB27_141:
	s_cmp_lg_u32 s3, 0
	s_mov_b64 s[30:31], -1
	s_cselect_b64 s[34:35], -1, 0
.LBB27_142:
	s_andn2_b64 vcc, exec, s[34:35]
	s_cbranch_vccz .LBB27_148
; %bb.143:
	s_andn2_b64 vcc, exec, s[30:31]
	s_cbranch_vccz .LBB27_149
.LBB27_144:
	s_cmp_lt_i32 s3, 1
	s_mov_b64 s[34:35], 0
	s_cbranch_scc1 .LBB27_150
.LBB27_145:
	s_cmp_gt_i32 s3, 1
	s_cbranch_scc0 .LBB27_151
; %bb.146:
	s_cmp_eq_u32 s3, 2
	s_cbranch_scc0 .LBB27_261
; %bb.147:
	s_waitcnt vmcnt(2)
	v_cmp_le_i16_sdwa s[30:31], sext(v6), sext(v7) src0_sel:BYTE_1 src1_sel:BYTE_1
	s_mov_b64 s[36:37], 0
	s_branch .LBB27_153
.LBB27_148:
	s_waitcnt vmcnt(2)
	v_cmp_lt_i16_sdwa s[34:35], sext(v6), sext(v7) src0_sel:BYTE_0 src1_sel:BYTE_0
	s_andn2_b64 s[28:29], s[28:29], exec
	s_and_b64 s[34:35], s[34:35], exec
	s_or_b64 s[28:29], s[28:29], s[34:35]
	s_cbranch_execnz .LBB27_144
.LBB27_149:
	s_waitcnt vmcnt(2)
	v_cmp_ge_i16_sdwa s[30:31], sext(v6), sext(v7) src0_sel:BYTE_0 src1_sel:BYTE_0
	s_andn2_b64 s[28:29], s[28:29], exec
	s_and_b64 s[30:31], s[30:31], exec
	s_or_b64 s[28:29], s[28:29], s[30:31]
	s_cmp_lt_i32 s3, 1
	s_mov_b64 s[34:35], 0
	s_cbranch_scc0 .LBB27_145
.LBB27_150:
                                        ; implicit-def: $sgpr30_sgpr31
	s_mov_b64 s[36:37], 0
	s_cbranch_execnz .LBB27_154
	s_branch .LBB27_155
.LBB27_151:
	s_mov_b64 s[36:37], 0
                                        ; implicit-def: $sgpr30_sgpr31
	s_cbranch_execz .LBB27_153
; %bb.152:
	s_waitcnt vmcnt(2)
	v_cmp_gt_i16_sdwa s[38:39], sext(v6), sext(v7) src0_sel:BYTE_1 src1_sel:BYTE_1
	s_andn2_b64 s[30:31], s[30:31], exec
	s_and_b64 s[38:39], s[38:39], exec
	s_or_b64 s[30:31], s[30:31], s[38:39]
.LBB27_153:
	s_branch .LBB27_155
.LBB27_154:
	s_cmp_lg_u32 s3, 0
	s_mov_b64 s[34:35], -1
	s_cselect_b64 s[36:37], -1, 0
.LBB27_155:
	s_andn2_b64 vcc, exec, s[36:37]
	s_cbranch_vccz .LBB27_161
; %bb.156:
	s_andn2_b64 vcc, exec, s[34:35]
	s_cbranch_vccz .LBB27_162
.LBB27_157:
	s_cmp_lt_i32 s3, 1
	s_mov_b64 s[36:37], 0
	s_cbranch_scc1 .LBB27_163
.LBB27_158:
	s_cmp_gt_i32 s3, 1
	s_cbranch_scc0 .LBB27_164
; %bb.159:
	s_cmp_eq_u32 s3, 2
	s_cbranch_scc0 .LBB27_262
; %bb.160:
	s_waitcnt vmcnt(1)
	v_cmp_le_i16_sdwa s[34:35], sext(v4), sext(v5) src0_sel:BYTE_0 src1_sel:BYTE_0
	s_mov_b64 s[38:39], 0
	s_branch .LBB27_166
.LBB27_161:
	s_waitcnt vmcnt(2)
	v_cmp_lt_i16_sdwa s[36:37], sext(v6), sext(v7) src0_sel:BYTE_1 src1_sel:BYTE_1
	s_andn2_b64 s[30:31], s[30:31], exec
	s_and_b64 s[36:37], s[36:37], exec
	s_or_b64 s[30:31], s[30:31], s[36:37]
	s_cbranch_execnz .LBB27_157
.LBB27_162:
	s_waitcnt vmcnt(2)
	v_cmp_ge_i16_sdwa s[34:35], sext(v6), sext(v7) src0_sel:BYTE_1 src1_sel:BYTE_1
	s_andn2_b64 s[30:31], s[30:31], exec
	s_and_b64 s[34:35], s[34:35], exec
	s_or_b64 s[30:31], s[30:31], s[34:35]
	s_cmp_lt_i32 s3, 1
	s_mov_b64 s[36:37], 0
	s_cbranch_scc0 .LBB27_158
.LBB27_163:
                                        ; implicit-def: $sgpr34_sgpr35
	s_mov_b64 s[38:39], 0
	s_cbranch_execnz .LBB27_167
	s_branch .LBB27_168
.LBB27_164:
	s_mov_b64 s[38:39], 0
                                        ; implicit-def: $sgpr34_sgpr35
	s_cbranch_execz .LBB27_166
; %bb.165:
	s_waitcnt vmcnt(1)
	v_cmp_gt_i16_sdwa s[40:41], sext(v4), sext(v5) src0_sel:BYTE_0 src1_sel:BYTE_0
	s_andn2_b64 s[34:35], s[34:35], exec
	s_and_b64 s[40:41], s[40:41], exec
	s_or_b64 s[34:35], s[34:35], s[40:41]
.LBB27_166:
	s_branch .LBB27_168
.LBB27_167:
	s_cmp_lg_u32 s3, 0
	s_mov_b64 s[36:37], -1
	s_cselect_b64 s[38:39], -1, 0
.LBB27_168:
	s_andn2_b64 vcc, exec, s[38:39]
	s_cbranch_vccz .LBB27_174
; %bb.169:
	s_andn2_b64 vcc, exec, s[36:37]
	s_cbranch_vccz .LBB27_175
.LBB27_170:
	s_cmp_lt_i32 s3, 1
	s_mov_b64 s[38:39], 0
	s_cbranch_scc1 .LBB27_176
.LBB27_171:
	s_cmp_gt_i32 s3, 1
	s_cbranch_scc0 .LBB27_177
; %bb.172:
	s_cmp_eq_u32 s3, 2
	s_cbranch_scc0 .LBB27_263
; %bb.173:
	s_waitcnt vmcnt(1)
	v_cmp_le_i16_sdwa s[36:37], sext(v4), sext(v5) src0_sel:BYTE_1 src1_sel:BYTE_1
	s_mov_b64 s[40:41], 0
	s_branch .LBB27_179
.LBB27_174:
	s_waitcnt vmcnt(1)
	v_cmp_lt_i16_sdwa s[38:39], sext(v4), sext(v5) src0_sel:BYTE_0 src1_sel:BYTE_0
	s_andn2_b64 s[34:35], s[34:35], exec
	s_and_b64 s[38:39], s[38:39], exec
	s_or_b64 s[34:35], s[34:35], s[38:39]
	s_cbranch_execnz .LBB27_170
.LBB27_175:
	s_waitcnt vmcnt(1)
	v_cmp_ge_i16_sdwa s[36:37], sext(v4), sext(v5) src0_sel:BYTE_0 src1_sel:BYTE_0
	s_andn2_b64 s[34:35], s[34:35], exec
	s_and_b64 s[36:37], s[36:37], exec
	s_or_b64 s[34:35], s[34:35], s[36:37]
	s_cmp_lt_i32 s3, 1
	s_mov_b64 s[38:39], 0
	s_cbranch_scc0 .LBB27_171
.LBB27_176:
                                        ; implicit-def: $sgpr36_sgpr37
	s_mov_b64 s[40:41], 0
	s_cbranch_execnz .LBB27_180
	s_branch .LBB27_181
.LBB27_177:
	s_mov_b64 s[40:41], 0
                                        ; implicit-def: $sgpr36_sgpr37
	s_cbranch_execz .LBB27_179
; %bb.178:
	s_waitcnt vmcnt(1)
	v_cmp_gt_i16_sdwa s[42:43], sext(v4), sext(v5) src0_sel:BYTE_1 src1_sel:BYTE_1
	s_andn2_b64 s[36:37], s[36:37], exec
	s_and_b64 s[42:43], s[42:43], exec
	s_or_b64 s[36:37], s[36:37], s[42:43]
.LBB27_179:
	s_branch .LBB27_181
.LBB27_180:
	s_cmp_lg_u32 s3, 0
	s_mov_b64 s[38:39], -1
	s_cselect_b64 s[40:41], -1, 0
.LBB27_181:
	s_andn2_b64 vcc, exec, s[40:41]
	s_cbranch_vccz .LBB27_187
; %bb.182:
	s_andn2_b64 vcc, exec, s[38:39]
	s_cbranch_vccz .LBB27_188
.LBB27_183:
	s_cmp_lt_i32 s3, 1
	s_mov_b64 s[40:41], 0
	s_cbranch_scc1 .LBB27_189
.LBB27_184:
	s_cmp_gt_i32 s3, 1
	s_cbranch_scc0 .LBB27_190
; %bb.185:
	s_cmp_eq_u32 s3, 2
	s_cbranch_scc0 .LBB27_264
; %bb.186:
	s_waitcnt vmcnt(0)
	v_cmp_le_i16_sdwa s[38:39], sext(v2), sext(v3) src0_sel:BYTE_0 src1_sel:BYTE_0
	s_mov_b64 s[42:43], 0
	s_branch .LBB27_192
.LBB27_187:
	s_waitcnt vmcnt(1)
	v_cmp_lt_i16_sdwa s[40:41], sext(v4), sext(v5) src0_sel:BYTE_1 src1_sel:BYTE_1
	s_andn2_b64 s[36:37], s[36:37], exec
	s_and_b64 s[40:41], s[40:41], exec
	s_or_b64 s[36:37], s[36:37], s[40:41]
	s_cbranch_execnz .LBB27_183
.LBB27_188:
	s_waitcnt vmcnt(1)
	v_cmp_ge_i16_sdwa s[38:39], sext(v4), sext(v5) src0_sel:BYTE_1 src1_sel:BYTE_1
	s_andn2_b64 s[36:37], s[36:37], exec
	s_and_b64 s[38:39], s[38:39], exec
	s_or_b64 s[36:37], s[36:37], s[38:39]
	s_cmp_lt_i32 s3, 1
	s_mov_b64 s[40:41], 0
	s_cbranch_scc0 .LBB27_184
.LBB27_189:
                                        ; implicit-def: $sgpr38_sgpr39
	s_mov_b64 s[42:43], 0
	s_cbranch_execnz .LBB27_193
	s_branch .LBB27_194
.LBB27_190:
	s_mov_b64 s[42:43], 0
                                        ; implicit-def: $sgpr38_sgpr39
	s_cbranch_execz .LBB27_192
; %bb.191:
	s_waitcnt vmcnt(0)
	v_cmp_gt_i16_sdwa s[44:45], sext(v2), sext(v3) src0_sel:BYTE_0 src1_sel:BYTE_0
	s_andn2_b64 s[38:39], s[38:39], exec
	s_and_b64 s[44:45], s[44:45], exec
	s_or_b64 s[38:39], s[38:39], s[44:45]
.LBB27_192:
	s_branch .LBB27_194
.LBB27_193:
	s_cmp_lg_u32 s3, 0
	s_mov_b64 s[40:41], -1
	s_cselect_b64 s[42:43], -1, 0
.LBB27_194:
	s_andn2_b64 vcc, exec, s[42:43]
	s_cbranch_vccz .LBB27_200
; %bb.195:
	s_andn2_b64 vcc, exec, s[40:41]
	s_cbranch_vccz .LBB27_201
.LBB27_196:
	s_cmp_lt_i32 s3, 1
	s_mov_b64 s[42:43], 0
	s_cbranch_scc1 .LBB27_202
.LBB27_197:
	s_cmp_gt_i32 s3, 1
	s_cbranch_scc0 .LBB27_203
; %bb.198:
	s_cmp_eq_u32 s3, 2
	s_cbranch_scc0 .LBB27_265
; %bb.199:
	s_waitcnt vmcnt(0)
	v_cmp_le_i16_sdwa s[40:41], sext(v2), sext(v3) src0_sel:BYTE_1 src1_sel:BYTE_1
	s_mov_b64 s[44:45], 0
	s_branch .LBB27_205
.LBB27_200:
	s_waitcnt vmcnt(0)
	v_cmp_lt_i16_sdwa s[42:43], sext(v2), sext(v3) src0_sel:BYTE_0 src1_sel:BYTE_0
	s_andn2_b64 s[38:39], s[38:39], exec
	s_and_b64 s[42:43], s[42:43], exec
	s_or_b64 s[38:39], s[38:39], s[42:43]
	s_cbranch_execnz .LBB27_196
.LBB27_201:
	s_waitcnt vmcnt(0)
	v_cmp_ge_i16_sdwa s[40:41], sext(v2), sext(v3) src0_sel:BYTE_0 src1_sel:BYTE_0
	s_andn2_b64 s[38:39], s[38:39], exec
	s_and_b64 s[40:41], s[40:41], exec
	s_or_b64 s[38:39], s[38:39], s[40:41]
	s_cmp_lt_i32 s3, 1
	s_mov_b64 s[42:43], 0
	s_cbranch_scc0 .LBB27_197
.LBB27_202:
                                        ; implicit-def: $sgpr40_sgpr41
	s_mov_b64 s[44:45], 0
	s_cbranch_execnz .LBB27_206
	s_branch .LBB27_207
.LBB27_203:
	s_mov_b64 s[44:45], 0
                                        ; implicit-def: $sgpr40_sgpr41
	s_cbranch_execz .LBB27_205
; %bb.204:
	s_waitcnt vmcnt(0)
	v_cmp_gt_i16_sdwa s[46:47], sext(v2), sext(v3) src0_sel:BYTE_1 src1_sel:BYTE_1
	s_andn2_b64 s[40:41], s[40:41], exec
	s_and_b64 s[46:47], s[46:47], exec
	s_or_b64 s[40:41], s[40:41], s[46:47]
.LBB27_205:
	s_branch .LBB27_207
.LBB27_206:
	s_cmp_lg_u32 s3, 0
	s_mov_b64 s[42:43], -1
	s_cselect_b64 s[44:45], -1, 0
.LBB27_207:
	s_andn2_b64 vcc, exec, s[44:45]
	s_cbranch_vccz .LBB27_249
; %bb.208:
	s_andn2_b64 vcc, exec, s[42:43]
	s_cbranch_vccnz .LBB27_210
.LBB27_209:
	s_waitcnt vmcnt(0)
	v_cmp_ge_i16_sdwa s[42:43], sext(v2), sext(v3) src0_sel:BYTE_1 src1_sel:BYTE_1
	s_andn2_b64 s[40:41], s[40:41], exec
	s_and_b64 s[42:43], s[42:43], exec
	s_or_b64 s[40:41], s[40:41], s[42:43]
.LBB27_210:
	s_waitcnt vmcnt(8)
	v_cndmask_b32_e64 v2, 0, 1, s[14:15]
	v_lshlrev_b16_e32 v2, 8, v2
	s_waitcnt vmcnt(0)
	v_cndmask_b32_e64 v3, 0, 1, s[6:7]
	v_or_b32_e32 v2, v3, v2
	v_cndmask_b32_e64 v3, 0, 1, s[4:5]
	v_lshlrev_b16_e32 v3, 8, v3
	v_cndmask_b32_e64 v4, 0, 1, s[0:1]
	v_or_b32_e32 v3, v4, v3
	v_cndmask_b32_e64 v4, 0, 1, s[22:23]
	v_lshlrev_b16_e32 v4, 8, v4
	;; [unrolled: 4-line block ×6, first 2 shown]
	v_cndmask_b32_e64 v9, 0, 1, s[38:39]
	v_or_b32_e32 v8, v9, v8
	v_cndmask_b32_e64 v9, 0, 1, s[36:37]
	s_add_u32 s0, s8, s33
	v_lshlrev_b16_e32 v9, 8, v9
	v_cndmask_b32_e64 v10, 0, 1, s[34:35]
	s_addc_u32 s1, s9, s48
	v_or_b32_e32 v9, v10, v9
	global_store_short v1, v3, s[0:1]
	global_store_short v1, v2, s[0:1] offset:512
	global_store_short v1, v5, s[0:1] offset:1024
	;; [unrolled: 1-line block ×7, first 2 shown]
	s_mov_b64 s[0:1], 0
.LBB27_211:
	s_and_b64 vcc, exec, s[0:1]
	s_cbranch_vccz .LBB27_519
; %bb.212:
	v_cmp_gt_i32_e64 s[0:1], s2, v0
	v_mov_b32_e32 v6, 0
	v_or_b32_e32 v5, s33, v0
	v_mov_b32_e32 v8, 0
	v_mov_b32_e32 v7, 0
	;; [unrolled: 1-line block ×32, first 2 shown]
	s_and_saveexec_b64 s[4:5], s[0:1]
	s_cbranch_execz .LBB27_244
; %bb.213:
	global_load_ubyte v37, v5, s[10:11]
	global_load_ubyte v38, v5, s[12:13]
	v_or_b32_e32 v1, 0x100, v0
	v_cmp_gt_u32_e32 vcc, s2, v1
	v_mov_b32_e32 v36, 0
	v_mov_b32_e32 v35, 0
	;; [unrolled: 1-line block ×30, first 2 shown]
	s_and_saveexec_b64 s[6:7], vcc
	s_cbranch_execz .LBB27_243
; %bb.214:
	v_add_u32_e32 v3, s33, v0
	global_load_ubyte v35, v3, s[10:11] offset:256
	global_load_ubyte v36, v3, s[12:13] offset:256
	v_or_b32_e32 v1, 0x200, v0
	v_mov_b32_e32 v33, 0
	v_cmp_gt_u32_e32 vcc, s2, v1
	v_mov_b32_e32 v34, 0
	v_mov_b32_e32 v31, 0
	;; [unrolled: 1-line block ×27, first 2 shown]
	s_and_saveexec_b64 s[14:15], vcc
	s_cbranch_execz .LBB27_242
; %bb.215:
	v_mov_b32_e32 v2, s11
	v_add_co_u32_e32 v1, vcc, s10, v3
	v_addc_co_u32_e32 v2, vcc, 0, v2, vcc
	v_mov_b32_e32 v4, s13
	v_add_co_u32_e32 v3, vcc, s12, v3
	v_addc_co_u32_e32 v4, vcc, 0, v4, vcc
	global_load_ubyte v34, v[1:2], off offset:512
	global_load_ubyte v33, v[3:4], off offset:512
	v_or_b32_e32 v7, 0x300, v0
	v_cmp_gt_u32_e32 vcc, s2, v7
	v_mov_b32_e32 v31, 0
	v_mov_b32_e32 v32, 0
	;; [unrolled: 1-line block ×26, first 2 shown]
	s_and_saveexec_b64 s[10:11], vcc
	s_cbranch_execz .LBB27_241
; %bb.216:
	global_load_ubyte v32, v[1:2], off offset:768
	global_load_ubyte v31, v[3:4], off offset:768
	v_or_b32_e32 v7, 0x400, v0
	v_cmp_gt_u32_e32 vcc, s2, v7
	v_mov_b32_e32 v29, 0
	v_mov_b32_e32 v30, 0
	;; [unrolled: 1-line block ×24, first 2 shown]
	s_and_saveexec_b64 s[12:13], vcc
	s_cbranch_execz .LBB27_240
; %bb.217:
	global_load_ubyte v30, v[1:2], off offset:1024
	global_load_ubyte v29, v[3:4], off offset:1024
	v_or_b32_e32 v7, 0x500, v0
	v_cmp_gt_u32_e32 vcc, s2, v7
	v_mov_b32_e32 v27, 0
	v_mov_b32_e32 v28, 0
	;; [unrolled: 1-line block ×22, first 2 shown]
	s_and_saveexec_b64 s[16:17], vcc
	s_cbranch_execz .LBB27_239
; %bb.218:
	global_load_ubyte v28, v[1:2], off offset:1280
	global_load_ubyte v27, v[3:4], off offset:1280
	v_or_b32_e32 v7, 0x600, v0
	v_cmp_gt_u32_e32 vcc, s2, v7
	v_mov_b32_e32 v25, 0
	v_mov_b32_e32 v26, 0
	;; [unrolled: 1-line block ×20, first 2 shown]
	s_and_saveexec_b64 s[18:19], vcc
	s_cbranch_execz .LBB27_238
; %bb.219:
	global_load_ubyte v26, v[1:2], off offset:1536
	global_load_ubyte v25, v[3:4], off offset:1536
	v_or_b32_e32 v7, 0x700, v0
	v_cmp_gt_u32_e32 vcc, s2, v7
	v_mov_b32_e32 v23, 0
	v_mov_b32_e32 v24, 0
	;; [unrolled: 1-line block ×18, first 2 shown]
	s_and_saveexec_b64 s[20:21], vcc
	s_cbranch_execz .LBB27_237
; %bb.220:
	global_load_ubyte v24, v[1:2], off offset:1792
	global_load_ubyte v23, v[3:4], off offset:1792
	v_or_b32_e32 v7, 0x800, v0
	v_cmp_gt_u32_e32 vcc, s2, v7
	v_mov_b32_e32 v21, 0
	v_mov_b32_e32 v22, 0
	;; [unrolled: 1-line block ×16, first 2 shown]
	s_and_saveexec_b64 s[22:23], vcc
	s_cbranch_execz .LBB27_236
; %bb.221:
	global_load_ubyte v22, v[1:2], off offset:2048
	global_load_ubyte v21, v[3:4], off offset:2048
	v_or_b32_e32 v7, 0x900, v0
	v_cmp_gt_u32_e32 vcc, s2, v7
	v_mov_b32_e32 v19, 0
	v_mov_b32_e32 v20, 0
	;; [unrolled: 1-line block ×14, first 2 shown]
	s_and_saveexec_b64 s[24:25], vcc
	s_cbranch_execz .LBB27_235
; %bb.222:
	global_load_ubyte v20, v[1:2], off offset:2304
	global_load_ubyte v19, v[3:4], off offset:2304
	v_or_b32_e32 v7, 0xa00, v0
	v_cmp_gt_u32_e32 vcc, s2, v7
	v_mov_b32_e32 v17, 0
	v_mov_b32_e32 v18, 0
	;; [unrolled: 1-line block ×12, first 2 shown]
	s_and_saveexec_b64 s[26:27], vcc
	s_cbranch_execz .LBB27_234
; %bb.223:
	global_load_ubyte v18, v[1:2], off offset:2560
	global_load_ubyte v17, v[3:4], off offset:2560
	v_or_b32_e32 v7, 0xb00, v0
	v_cmp_gt_u32_e32 vcc, s2, v7
	v_mov_b32_e32 v15, 0
	v_mov_b32_e32 v16, 0
	;; [unrolled: 1-line block ×10, first 2 shown]
	s_and_saveexec_b64 s[28:29], vcc
	s_cbranch_execz .LBB27_233
; %bb.224:
	global_load_ubyte v16, v[1:2], off offset:2816
	global_load_ubyte v15, v[3:4], off offset:2816
	v_or_b32_e32 v7, 0xc00, v0
	v_cmp_gt_u32_e32 vcc, s2, v7
	v_mov_b32_e32 v13, 0
	v_mov_b32_e32 v14, 0
	v_mov_b32_e32 v11, 0
	v_mov_b32_e32 v12, 0
	v_mov_b32_e32 v9, 0
	v_mov_b32_e32 v10, 0
	v_mov_b32_e32 v7, 0
	v_mov_b32_e32 v8, 0
	s_and_saveexec_b64 s[30:31], vcc
	s_cbranch_execz .LBB27_232
; %bb.225:
	global_load_ubyte v14, v[1:2], off offset:3072
	global_load_ubyte v13, v[3:4], off offset:3072
	v_or_b32_e32 v7, 0xd00, v0
	v_cmp_gt_u32_e32 vcc, s2, v7
	v_mov_b32_e32 v11, 0
	v_mov_b32_e32 v12, 0
	;; [unrolled: 1-line block ×6, first 2 shown]
	s_and_saveexec_b64 s[34:35], vcc
	s_cbranch_execz .LBB27_231
; %bb.226:
	global_load_ubyte v12, v[1:2], off offset:3328
	global_load_ubyte v11, v[3:4], off offset:3328
	v_or_b32_e32 v7, 0xe00, v0
	v_cmp_gt_u32_e32 vcc, s2, v7
	v_mov_b32_e32 v9, 0
	v_mov_b32_e32 v10, 0
	;; [unrolled: 1-line block ×4, first 2 shown]
	s_and_saveexec_b64 s[36:37], vcc
	s_cbranch_execz .LBB27_230
; %bb.227:
	global_load_ubyte v10, v[1:2], off offset:3584
	global_load_ubyte v9, v[3:4], off offset:3584
	v_or_b32_e32 v7, 0xf00, v0
	v_cmp_gt_u32_e32 vcc, s2, v7
	v_mov_b32_e32 v7, 0
	v_mov_b32_e32 v8, 0
	s_and_saveexec_b64 s[38:39], vcc
	s_cbranch_execz .LBB27_229
; %bb.228:
	global_load_ubyte v8, v[1:2], off offset:3840
	global_load_ubyte v7, v[3:4], off offset:3840
.LBB27_229:
	s_or_b64 exec, exec, s[38:39]
.LBB27_230:
	s_or_b64 exec, exec, s[36:37]
.LBB27_231:
	s_or_b64 exec, exec, s[34:35]
.LBB27_232:
	s_or_b64 exec, exec, s[30:31]
.LBB27_233:
	s_or_b64 exec, exec, s[28:29]
.LBB27_234:
	s_or_b64 exec, exec, s[26:27]
.LBB27_235:
	s_or_b64 exec, exec, s[24:25]
.LBB27_236:
	s_or_b64 exec, exec, s[22:23]
.LBB27_237:
	s_or_b64 exec, exec, s[20:21]
.LBB27_238:
	s_or_b64 exec, exec, s[18:19]
.LBB27_239:
	s_or_b64 exec, exec, s[16:17]
.LBB27_240:
	s_or_b64 exec, exec, s[12:13]
.LBB27_241:
	s_or_b64 exec, exec, s[10:11]
.LBB27_242:
	s_or_b64 exec, exec, s[14:15]
.LBB27_243:
	s_or_b64 exec, exec, s[6:7]
.LBB27_244:
	s_or_b64 exec, exec, s[4:5]
	v_mov_b32_e32 v3, v6
	v_mov_b32_e32 v2, v6
	v_mov_b32_e32 v1, v6
	s_and_saveexec_b64 s[4:5], s[0:1]
	s_cbranch_execz .LBB27_276
; %bb.245:
	s_cmp_lt_i32 s3, 1
	s_mov_b64 s[6:7], 0
	s_cbranch_scc1 .LBB27_250
; %bb.246:
	s_cmp_gt_i32 s3, 1
	s_cbranch_scc0 .LBB27_266
; %bb.247:
	s_cmp_eq_u32 s3, 2
	s_cbranch_scc0 .LBB27_267
; %bb.248:
	s_waitcnt vmcnt(0)
	v_cmp_le_i16_sdwa s[10:11], sext(v37), sext(v38) src0_sel:BYTE_0 src1_sel:BYTE_0
	s_mov_b64 s[12:13], 0
	s_branch .LBB27_268
.LBB27_249:
	s_waitcnt vmcnt(0)
	v_cmp_lt_i16_sdwa s[44:45], sext(v2), sext(v3) src0_sel:BYTE_1 src1_sel:BYTE_1
	s_andn2_b64 s[40:41], s[40:41], exec
	s_and_b64 s[44:45], s[44:45], exec
	s_or_b64 s[40:41], s[40:41], s[44:45]
	s_cbranch_execz .LBB27_209
	s_branch .LBB27_210
.LBB27_250:
                                        ; implicit-def: $sgpr10_sgpr11
	s_mov_b64 s[12:13], 0
	s_cbranch_execnz .LBB27_271
	s_branch .LBB27_272
.LBB27_251:
	s_mov_b64 s[14:15], -1
                                        ; implicit-def: $sgpr4_sgpr5
	s_branch .LBB27_23
.LBB27_252:
	s_mov_b64 s[16:17], -1
                                        ; implicit-def: $sgpr6_sgpr7
	s_branch .LBB27_36
.LBB27_253:
	s_mov_b64 s[18:19], -1
                                        ; implicit-def: $sgpr14_sgpr15
	s_branch .LBB27_49
.LBB27_254:
	s_mov_b64 s[20:21], -1
                                        ; implicit-def: $sgpr16_sgpr17
	s_branch .LBB27_62
.LBB27_255:
	s_mov_b64 s[22:23], -1
                                        ; implicit-def: $sgpr18_sgpr19
	s_branch .LBB27_75
.LBB27_256:
	s_mov_b64 s[24:25], -1
                                        ; implicit-def: $sgpr20_sgpr21
	s_branch .LBB27_88
.LBB27_257:
	s_mov_b64 s[26:27], -1
                                        ; implicit-def: $sgpr22_sgpr23
	s_branch .LBB27_101
.LBB27_258:
	s_mov_b64 s[28:29], -1
                                        ; implicit-def: $sgpr24_sgpr25
	s_branch .LBB27_114
.LBB27_259:
	s_mov_b64 s[30:31], -1
                                        ; implicit-def: $sgpr26_sgpr27
	s_branch .LBB27_127
.LBB27_260:
	s_mov_b64 s[34:35], -1
                                        ; implicit-def: $sgpr28_sgpr29
	s_branch .LBB27_140
.LBB27_261:
	s_mov_b64 s[36:37], -1
                                        ; implicit-def: $sgpr30_sgpr31
	s_branch .LBB27_153
.LBB27_262:
	s_mov_b64 s[38:39], -1
                                        ; implicit-def: $sgpr34_sgpr35
	s_branch .LBB27_166
.LBB27_263:
	s_mov_b64 s[40:41], -1
                                        ; implicit-def: $sgpr36_sgpr37
	s_branch .LBB27_179
.LBB27_264:
	s_mov_b64 s[42:43], -1
                                        ; implicit-def: $sgpr38_sgpr39
	s_branch .LBB27_192
.LBB27_265:
	s_mov_b64 s[44:45], -1
                                        ; implicit-def: $sgpr40_sgpr41
	s_branch .LBB27_205
.LBB27_266:
	s_mov_b64 s[12:13], 0
                                        ; implicit-def: $sgpr10_sgpr11
	s_cbranch_execnz .LBB27_269
	s_branch .LBB27_270
.LBB27_267:
	s_mov_b64 s[12:13], -1
                                        ; implicit-def: $sgpr10_sgpr11
.LBB27_268:
	s_branch .LBB27_270
.LBB27_269:
	s_waitcnt vmcnt(0)
	v_cmp_gt_i16_sdwa s[14:15], sext(v37), sext(v38) src0_sel:BYTE_0 src1_sel:BYTE_0
	s_andn2_b64 s[10:11], s[10:11], exec
	s_and_b64 s[14:15], s[14:15], exec
	s_or_b64 s[10:11], s[10:11], s[14:15]
.LBB27_270:
	s_branch .LBB27_272
.LBB27_271:
	s_cmp_lg_u32 s3, 0
	s_mov_b64 s[6:7], -1
	s_cselect_b64 s[12:13], -1, 0
.LBB27_272:
	s_andn2_b64 vcc, exec, s[12:13]
	s_cbranch_vccz .LBB27_281
; %bb.273:
	s_andn2_b64 vcc, exec, s[6:7]
	s_cbranch_vccnz .LBB27_275
.LBB27_274:
	s_waitcnt vmcnt(0)
	v_cmp_ge_i16_sdwa s[6:7], sext(v37), sext(v38) src0_sel:BYTE_0 src1_sel:BYTE_0
	s_andn2_b64 s[10:11], s[10:11], exec
	s_and_b64 s[6:7], s[6:7], exec
	s_or_b64 s[10:11], s[10:11], s[6:7]
.LBB27_275:
	v_cndmask_b32_e64 v1, 0, 1, s[10:11]
	v_mov_b32_e32 v3, 0
	v_and_b32_e32 v6, 0xffff, v1
	v_mov_b32_e32 v2, v3
	v_mov_b32_e32 v1, v3
.LBB27_276:
	s_or_b64 exec, exec, s[4:5]
	v_or_b32_e32 v4, 0x100, v0
	v_cmp_gt_i32_e32 vcc, s2, v4
	s_and_saveexec_b64 s[4:5], vcc
	s_cbranch_execz .LBB27_291
; %bb.277:
	s_cmp_lt_i32 s3, 1
	s_mov_b64 s[6:7], 0
	s_cbranch_scc1 .LBB27_282
; %bb.278:
	s_cmp_gt_i32 s3, 1
	s_cbranch_scc0 .LBB27_283
; %bb.279:
	s_cmp_eq_u32 s3, 2
	s_cbranch_scc0 .LBB27_535
; %bb.280:
	s_waitcnt vmcnt(0)
	v_cmp_le_i16_sdwa s[10:11], sext(v35), sext(v36) src0_sel:BYTE_0 src1_sel:BYTE_0
	s_mov_b64 s[12:13], 0
	s_branch .LBB27_285
.LBB27_281:
	s_waitcnt vmcnt(0)
	v_cmp_lt_i16_sdwa s[12:13], sext(v37), sext(v38) src0_sel:BYTE_0 src1_sel:BYTE_0
	s_andn2_b64 s[10:11], s[10:11], exec
	s_and_b64 s[12:13], s[12:13], exec
	s_or_b64 s[10:11], s[10:11], s[12:13]
	s_cbranch_execz .LBB27_274
	s_branch .LBB27_275
.LBB27_282:
                                        ; implicit-def: $sgpr10_sgpr11
	s_mov_b64 s[12:13], 0
	s_cbranch_execnz .LBB27_286
	s_branch .LBB27_287
.LBB27_283:
	s_mov_b64 s[12:13], 0
                                        ; implicit-def: $sgpr10_sgpr11
	s_cbranch_execz .LBB27_285
; %bb.284:
	s_waitcnt vmcnt(0)
	v_cmp_gt_i16_sdwa s[14:15], sext(v35), sext(v36) src0_sel:BYTE_0 src1_sel:BYTE_0
	s_andn2_b64 s[10:11], s[10:11], exec
	s_and_b64 s[14:15], s[14:15], exec
	s_or_b64 s[10:11], s[10:11], s[14:15]
.LBB27_285:
	s_branch .LBB27_287
.LBB27_286:
	s_cmp_lg_u32 s3, 0
	s_mov_b64 s[6:7], -1
	s_cselect_b64 s[12:13], -1, 0
.LBB27_287:
	s_andn2_b64 vcc, exec, s[12:13]
	s_cbranch_vccz .LBB27_296
; %bb.288:
	s_andn2_b64 vcc, exec, s[6:7]
	s_cbranch_vccnz .LBB27_290
.LBB27_289:
	s_waitcnt vmcnt(0)
	v_cmp_ge_i16_sdwa s[6:7], sext(v35), sext(v36) src0_sel:BYTE_0 src1_sel:BYTE_0
	s_andn2_b64 s[10:11], s[10:11], exec
	s_and_b64 s[6:7], s[6:7], exec
	s_or_b64 s[10:11], s[10:11], s[6:7]
.LBB27_290:
	s_waitcnt vmcnt(1)
	v_cndmask_b32_e64 v35, 0, 1, s[10:11]
	v_lshlrev_b16_e32 v35, 8, v35
	v_or_b32_sdwa v35, v6, v35 dst_sel:DWORD dst_unused:UNUSED_PAD src0_sel:BYTE_0 src1_sel:DWORD
	v_and_b32_e32 v35, 0xffff, v35
	s_mov_b32 s6, 0xffff0000
	v_and_or_b32 v6, v6, s6, v35
.LBB27_291:
	s_or_b64 exec, exec, s[4:5]
	s_waitcnt vmcnt(1)
	v_or_b32_e32 v35, 0x200, v0
	v_cmp_gt_i32_e32 vcc, s2, v35
	s_and_saveexec_b64 s[4:5], vcc
	s_cbranch_execz .LBB27_306
; %bb.292:
	s_cmp_lt_i32 s3, 1
	s_mov_b64 s[6:7], 0
	s_cbranch_scc1 .LBB27_297
; %bb.293:
	s_cmp_gt_i32 s3, 1
	s_cbranch_scc0 .LBB27_298
; %bb.294:
	s_cmp_eq_u32 s3, 2
	s_cbranch_scc0 .LBB27_536
; %bb.295:
	s_waitcnt vmcnt(0)
	v_cmp_le_i16_sdwa s[10:11], sext(v34), sext(v33) src0_sel:BYTE_0 src1_sel:BYTE_0
	s_mov_b64 s[12:13], 0
	s_branch .LBB27_300
.LBB27_296:
	s_waitcnt vmcnt(0)
	v_cmp_lt_i16_sdwa s[12:13], sext(v35), sext(v36) src0_sel:BYTE_0 src1_sel:BYTE_0
	s_andn2_b64 s[10:11], s[10:11], exec
	s_and_b64 s[12:13], s[12:13], exec
	s_or_b64 s[10:11], s[10:11], s[12:13]
	s_cbranch_execz .LBB27_289
	s_branch .LBB27_290
.LBB27_297:
                                        ; implicit-def: $sgpr10_sgpr11
	s_mov_b64 s[12:13], 0
	s_cbranch_execnz .LBB27_301
	s_branch .LBB27_302
.LBB27_298:
	s_mov_b64 s[12:13], 0
                                        ; implicit-def: $sgpr10_sgpr11
	s_cbranch_execz .LBB27_300
; %bb.299:
	s_waitcnt vmcnt(0)
	v_cmp_gt_i16_sdwa s[14:15], sext(v34), sext(v33) src0_sel:BYTE_0 src1_sel:BYTE_0
	s_andn2_b64 s[10:11], s[10:11], exec
	s_and_b64 s[14:15], s[14:15], exec
	s_or_b64 s[10:11], s[10:11], s[14:15]
.LBB27_300:
	s_branch .LBB27_302
.LBB27_301:
	s_cmp_lg_u32 s3, 0
	s_mov_b64 s[6:7], -1
	s_cselect_b64 s[12:13], -1, 0
.LBB27_302:
	s_andn2_b64 vcc, exec, s[12:13]
	s_cbranch_vccz .LBB27_311
; %bb.303:
	s_andn2_b64 vcc, exec, s[6:7]
	s_cbranch_vccnz .LBB27_305
.LBB27_304:
	s_waitcnt vmcnt(0)
	v_cmp_ge_i16_sdwa s[6:7], sext(v34), sext(v33) src0_sel:BYTE_0 src1_sel:BYTE_0
	s_andn2_b64 s[10:11], s[10:11], exec
	s_and_b64 s[6:7], s[6:7], exec
	s_or_b64 s[10:11], s[10:11], s[6:7]
.LBB27_305:
	s_movk_i32 s6, 0xff00
	s_waitcnt vmcnt(0)
	v_and_b32_sdwa v33, v6, s6 dst_sel:DWORD dst_unused:UNUSED_PAD src0_sel:WORD_1 src1_sel:DWORD
	v_cndmask_b32_e64 v34, 0, 1, s[10:11]
	v_or_b32_sdwa v33, v34, v33 dst_sel:WORD_1 dst_unused:UNUSED_PAD src0_sel:DWORD src1_sel:DWORD
	s_mov_b32 s6, 0xffff
	v_and_or_b32 v6, v6, s6, v33
.LBB27_306:
	s_or_b64 exec, exec, s[4:5]
	s_waitcnt vmcnt(0)
	v_or_b32_e32 v33, 0x300, v0
	v_cmp_gt_i32_e32 vcc, s2, v33
	s_and_saveexec_b64 s[4:5], vcc
	s_cbranch_execz .LBB27_321
; %bb.307:
	s_cmp_lt_i32 s3, 1
	s_mov_b64 s[6:7], 0
	s_cbranch_scc1 .LBB27_312
; %bb.308:
	s_cmp_gt_i32 s3, 1
	s_cbranch_scc0 .LBB27_313
; %bb.309:
	s_cmp_eq_u32 s3, 2
	s_cbranch_scc0 .LBB27_537
; %bb.310:
	v_cmp_le_i16_sdwa s[10:11], sext(v32), sext(v31) src0_sel:BYTE_0 src1_sel:BYTE_0
	s_mov_b64 s[12:13], 0
	s_branch .LBB27_315
.LBB27_311:
	s_waitcnt vmcnt(0)
	v_cmp_lt_i16_sdwa s[12:13], sext(v34), sext(v33) src0_sel:BYTE_0 src1_sel:BYTE_0
	s_andn2_b64 s[10:11], s[10:11], exec
	s_and_b64 s[12:13], s[12:13], exec
	s_or_b64 s[10:11], s[10:11], s[12:13]
	s_cbranch_execz .LBB27_304
	s_branch .LBB27_305
.LBB27_312:
                                        ; implicit-def: $sgpr10_sgpr11
	s_mov_b64 s[12:13], 0
	s_cbranch_execnz .LBB27_316
	s_branch .LBB27_317
.LBB27_313:
	s_mov_b64 s[12:13], 0
                                        ; implicit-def: $sgpr10_sgpr11
	s_cbranch_execz .LBB27_315
; %bb.314:
	v_cmp_gt_i16_sdwa s[14:15], sext(v32), sext(v31) src0_sel:BYTE_0 src1_sel:BYTE_0
	s_andn2_b64 s[10:11], s[10:11], exec
	s_and_b64 s[14:15], s[14:15], exec
	s_or_b64 s[10:11], s[10:11], s[14:15]
.LBB27_315:
	s_branch .LBB27_317
.LBB27_316:
	s_cmp_lg_u32 s3, 0
	s_mov_b64 s[6:7], -1
	s_cselect_b64 s[12:13], -1, 0
.LBB27_317:
	s_andn2_b64 vcc, exec, s[12:13]
	s_cbranch_vccz .LBB27_326
; %bb.318:
	s_andn2_b64 vcc, exec, s[6:7]
	s_cbranch_vccnz .LBB27_320
.LBB27_319:
	v_cmp_ge_i16_sdwa s[6:7], sext(v32), sext(v31) src0_sel:BYTE_0 src1_sel:BYTE_0
	s_andn2_b64 s[10:11], s[10:11], exec
	s_and_b64 s[6:7], s[6:7], exec
	s_or_b64 s[10:11], s[10:11], s[6:7]
.LBB27_320:
	s_movk_i32 s6, 0xff
	v_cndmask_b32_e64 v32, 0, 1, s[10:11]
	v_and_b32_sdwa v31, v6, s6 dst_sel:DWORD dst_unused:UNUSED_PAD src0_sel:WORD_1 src1_sel:DWORD
	v_lshlrev_b16_e32 v32, 8, v32
	v_or_b32_sdwa v31, v31, v32 dst_sel:WORD_1 dst_unused:UNUSED_PAD src0_sel:DWORD src1_sel:DWORD
	s_mov_b32 s6, 0xffff
	v_and_or_b32 v6, v6, s6, v31
.LBB27_321:
	s_or_b64 exec, exec, s[4:5]
	v_or_b32_e32 v31, 0x400, v0
	v_cmp_gt_i32_e32 vcc, s2, v31
	s_and_saveexec_b64 s[4:5], vcc
	s_cbranch_execz .LBB27_336
; %bb.322:
	s_cmp_lt_i32 s3, 1
	s_mov_b64 s[6:7], 0
	s_cbranch_scc1 .LBB27_327
; %bb.323:
	s_cmp_gt_i32 s3, 1
	s_cbranch_scc0 .LBB27_328
; %bb.324:
	s_cmp_eq_u32 s3, 2
	s_cbranch_scc0 .LBB27_538
; %bb.325:
	v_cmp_le_i16_sdwa s[10:11], sext(v30), sext(v29) src0_sel:BYTE_0 src1_sel:BYTE_0
	s_mov_b64 s[12:13], 0
	s_branch .LBB27_330
.LBB27_326:
	v_cmp_lt_i16_sdwa s[12:13], sext(v32), sext(v31) src0_sel:BYTE_0 src1_sel:BYTE_0
	s_andn2_b64 s[10:11], s[10:11], exec
	s_and_b64 s[12:13], s[12:13], exec
	s_or_b64 s[10:11], s[10:11], s[12:13]
	s_cbranch_execz .LBB27_319
	s_branch .LBB27_320
.LBB27_327:
                                        ; implicit-def: $sgpr10_sgpr11
	s_mov_b64 s[12:13], 0
	s_cbranch_execnz .LBB27_331
	s_branch .LBB27_332
.LBB27_328:
	s_mov_b64 s[12:13], 0
                                        ; implicit-def: $sgpr10_sgpr11
	s_cbranch_execz .LBB27_330
; %bb.329:
	v_cmp_gt_i16_sdwa s[14:15], sext(v30), sext(v29) src0_sel:BYTE_0 src1_sel:BYTE_0
	s_andn2_b64 s[10:11], s[10:11], exec
	s_and_b64 s[14:15], s[14:15], exec
	s_or_b64 s[10:11], s[10:11], s[14:15]
.LBB27_330:
	s_branch .LBB27_332
.LBB27_331:
	s_cmp_lg_u32 s3, 0
	s_mov_b64 s[6:7], -1
	s_cselect_b64 s[12:13], -1, 0
.LBB27_332:
	s_andn2_b64 vcc, exec, s[12:13]
	s_cbranch_vccz .LBB27_341
; %bb.333:
	s_andn2_b64 vcc, exec, s[6:7]
	s_cbranch_vccnz .LBB27_335
.LBB27_334:
	v_cmp_ge_i16_sdwa s[6:7], sext(v30), sext(v29) src0_sel:BYTE_0 src1_sel:BYTE_0
	s_andn2_b64 s[10:11], s[10:11], exec
	s_and_b64 s[6:7], s[6:7], exec
	s_or_b64 s[10:11], s[10:11], s[6:7]
.LBB27_335:
	v_and_b32_e32 v29, 0xffffff00, v3
	v_cndmask_b32_e64 v30, 0, 1, s[10:11]
	v_or_b32_e32 v29, v30, v29
	v_and_b32_e32 v29, 0xffff, v29
	s_mov_b32 s6, 0xffff0000
	v_and_or_b32 v3, v3, s6, v29
.LBB27_336:
	s_or_b64 exec, exec, s[4:5]
	v_or_b32_e32 v29, 0x500, v0
	v_cmp_gt_i32_e32 vcc, s2, v29
	s_and_saveexec_b64 s[4:5], vcc
	s_cbranch_execz .LBB27_351
; %bb.337:
	s_cmp_lt_i32 s3, 1
	s_mov_b64 s[6:7], 0
	s_cbranch_scc1 .LBB27_342
; %bb.338:
	s_cmp_gt_i32 s3, 1
	s_cbranch_scc0 .LBB27_343
; %bb.339:
	s_cmp_eq_u32 s3, 2
	s_cbranch_scc0 .LBB27_539
; %bb.340:
	v_cmp_le_i16_sdwa s[10:11], sext(v28), sext(v27) src0_sel:BYTE_0 src1_sel:BYTE_0
	s_mov_b64 s[12:13], 0
	s_branch .LBB27_345
.LBB27_341:
	v_cmp_lt_i16_sdwa s[12:13], sext(v30), sext(v29) src0_sel:BYTE_0 src1_sel:BYTE_0
	s_andn2_b64 s[10:11], s[10:11], exec
	s_and_b64 s[12:13], s[12:13], exec
	s_or_b64 s[10:11], s[10:11], s[12:13]
	s_cbranch_execz .LBB27_334
	s_branch .LBB27_335
.LBB27_342:
                                        ; implicit-def: $sgpr10_sgpr11
	s_mov_b64 s[12:13], 0
	s_cbranch_execnz .LBB27_346
	s_branch .LBB27_347
.LBB27_343:
	s_mov_b64 s[12:13], 0
                                        ; implicit-def: $sgpr10_sgpr11
	s_cbranch_execz .LBB27_345
; %bb.344:
	v_cmp_gt_i16_sdwa s[14:15], sext(v28), sext(v27) src0_sel:BYTE_0 src1_sel:BYTE_0
	s_andn2_b64 s[10:11], s[10:11], exec
	s_and_b64 s[14:15], s[14:15], exec
	s_or_b64 s[10:11], s[10:11], s[14:15]
.LBB27_345:
	s_branch .LBB27_347
.LBB27_346:
	s_cmp_lg_u32 s3, 0
	s_mov_b64 s[6:7], -1
	s_cselect_b64 s[12:13], -1, 0
.LBB27_347:
	s_andn2_b64 vcc, exec, s[12:13]
	s_cbranch_vccz .LBB27_356
; %bb.348:
	s_andn2_b64 vcc, exec, s[6:7]
	s_cbranch_vccnz .LBB27_350
.LBB27_349:
	v_cmp_ge_i16_sdwa s[6:7], sext(v28), sext(v27) src0_sel:BYTE_0 src1_sel:BYTE_0
	s_andn2_b64 s[10:11], s[10:11], exec
	s_and_b64 s[6:7], s[6:7], exec
	s_or_b64 s[10:11], s[10:11], s[6:7]
.LBB27_350:
	v_cndmask_b32_e64 v27, 0, 1, s[10:11]
	v_lshlrev_b16_e32 v27, 8, v27
	v_or_b32_sdwa v27, v3, v27 dst_sel:DWORD dst_unused:UNUSED_PAD src0_sel:BYTE_0 src1_sel:DWORD
	v_and_b32_e32 v27, 0xffff, v27
	s_mov_b32 s6, 0xffff0000
	v_and_or_b32 v3, v3, s6, v27
.LBB27_351:
	s_or_b64 exec, exec, s[4:5]
	v_or_b32_e32 v27, 0x600, v0
	v_cmp_gt_i32_e32 vcc, s2, v27
	s_and_saveexec_b64 s[4:5], vcc
	s_cbranch_execz .LBB27_366
; %bb.352:
	s_cmp_lt_i32 s3, 1
	s_mov_b64 s[6:7], 0
	s_cbranch_scc1 .LBB27_357
; %bb.353:
	s_cmp_gt_i32 s3, 1
	s_cbranch_scc0 .LBB27_358
; %bb.354:
	s_cmp_eq_u32 s3, 2
	s_cbranch_scc0 .LBB27_540
; %bb.355:
	v_cmp_le_i16_sdwa s[10:11], sext(v26), sext(v25) src0_sel:BYTE_0 src1_sel:BYTE_0
	s_mov_b64 s[12:13], 0
	s_branch .LBB27_360
.LBB27_356:
	v_cmp_lt_i16_sdwa s[12:13], sext(v28), sext(v27) src0_sel:BYTE_0 src1_sel:BYTE_0
	s_andn2_b64 s[10:11], s[10:11], exec
	s_and_b64 s[12:13], s[12:13], exec
	s_or_b64 s[10:11], s[10:11], s[12:13]
	s_cbranch_execz .LBB27_349
	s_branch .LBB27_350
.LBB27_357:
                                        ; implicit-def: $sgpr10_sgpr11
	s_mov_b64 s[12:13], 0
	s_cbranch_execnz .LBB27_361
	s_branch .LBB27_362
.LBB27_358:
	s_mov_b64 s[12:13], 0
                                        ; implicit-def: $sgpr10_sgpr11
	s_cbranch_execz .LBB27_360
; %bb.359:
	v_cmp_gt_i16_sdwa s[14:15], sext(v26), sext(v25) src0_sel:BYTE_0 src1_sel:BYTE_0
	s_andn2_b64 s[10:11], s[10:11], exec
	s_and_b64 s[14:15], s[14:15], exec
	s_or_b64 s[10:11], s[10:11], s[14:15]
.LBB27_360:
	s_branch .LBB27_362
.LBB27_361:
	s_cmp_lg_u32 s3, 0
	s_mov_b64 s[6:7], -1
	s_cselect_b64 s[12:13], -1, 0
.LBB27_362:
	s_andn2_b64 vcc, exec, s[12:13]
	s_cbranch_vccz .LBB27_371
; %bb.363:
	s_andn2_b64 vcc, exec, s[6:7]
	s_cbranch_vccnz .LBB27_365
.LBB27_364:
	v_cmp_ge_i16_sdwa s[6:7], sext(v26), sext(v25) src0_sel:BYTE_0 src1_sel:BYTE_0
	s_andn2_b64 s[10:11], s[10:11], exec
	s_and_b64 s[6:7], s[6:7], exec
	s_or_b64 s[10:11], s[10:11], s[6:7]
.LBB27_365:
	s_movk_i32 s6, 0xff00
	v_and_b32_sdwa v25, v3, s6 dst_sel:DWORD dst_unused:UNUSED_PAD src0_sel:WORD_1 src1_sel:DWORD
	v_cndmask_b32_e64 v26, 0, 1, s[10:11]
	v_or_b32_sdwa v25, v26, v25 dst_sel:WORD_1 dst_unused:UNUSED_PAD src0_sel:DWORD src1_sel:DWORD
	s_mov_b32 s6, 0xffff
	v_and_or_b32 v3, v3, s6, v25
.LBB27_366:
	s_or_b64 exec, exec, s[4:5]
	v_or_b32_e32 v25, 0x700, v0
	v_cmp_gt_i32_e32 vcc, s2, v25
	s_and_saveexec_b64 s[4:5], vcc
	s_cbranch_execz .LBB27_381
; %bb.367:
	s_cmp_lt_i32 s3, 1
	s_mov_b64 s[6:7], 0
	s_cbranch_scc1 .LBB27_372
; %bb.368:
	s_cmp_gt_i32 s3, 1
	s_cbranch_scc0 .LBB27_373
; %bb.369:
	s_cmp_eq_u32 s3, 2
	s_cbranch_scc0 .LBB27_541
; %bb.370:
	v_cmp_le_i16_sdwa s[10:11], sext(v24), sext(v23) src0_sel:BYTE_0 src1_sel:BYTE_0
	s_mov_b64 s[12:13], 0
	s_branch .LBB27_375
.LBB27_371:
	v_cmp_lt_i16_sdwa s[12:13], sext(v26), sext(v25) src0_sel:BYTE_0 src1_sel:BYTE_0
	s_andn2_b64 s[10:11], s[10:11], exec
	s_and_b64 s[12:13], s[12:13], exec
	s_or_b64 s[10:11], s[10:11], s[12:13]
	s_cbranch_execz .LBB27_364
	s_branch .LBB27_365
.LBB27_372:
                                        ; implicit-def: $sgpr10_sgpr11
	s_mov_b64 s[12:13], 0
	s_cbranch_execnz .LBB27_376
	s_branch .LBB27_377
.LBB27_373:
	s_mov_b64 s[12:13], 0
                                        ; implicit-def: $sgpr10_sgpr11
	s_cbranch_execz .LBB27_375
; %bb.374:
	v_cmp_gt_i16_sdwa s[14:15], sext(v24), sext(v23) src0_sel:BYTE_0 src1_sel:BYTE_0
	s_andn2_b64 s[10:11], s[10:11], exec
	s_and_b64 s[14:15], s[14:15], exec
	s_or_b64 s[10:11], s[10:11], s[14:15]
.LBB27_375:
	s_branch .LBB27_377
.LBB27_376:
	s_cmp_lg_u32 s3, 0
	s_mov_b64 s[6:7], -1
	s_cselect_b64 s[12:13], -1, 0
.LBB27_377:
	s_andn2_b64 vcc, exec, s[12:13]
	s_cbranch_vccz .LBB27_386
; %bb.378:
	s_andn2_b64 vcc, exec, s[6:7]
	s_cbranch_vccnz .LBB27_380
.LBB27_379:
	v_cmp_ge_i16_sdwa s[6:7], sext(v24), sext(v23) src0_sel:BYTE_0 src1_sel:BYTE_0
	s_andn2_b64 s[10:11], s[10:11], exec
	s_and_b64 s[6:7], s[6:7], exec
	s_or_b64 s[10:11], s[10:11], s[6:7]
.LBB27_380:
	s_movk_i32 s6, 0xff
	v_cndmask_b32_e64 v24, 0, 1, s[10:11]
	v_and_b32_sdwa v23, v3, s6 dst_sel:DWORD dst_unused:UNUSED_PAD src0_sel:WORD_1 src1_sel:DWORD
	v_lshlrev_b16_e32 v24, 8, v24
	v_or_b32_sdwa v23, v23, v24 dst_sel:WORD_1 dst_unused:UNUSED_PAD src0_sel:DWORD src1_sel:DWORD
	s_mov_b32 s6, 0xffff
	v_and_or_b32 v3, v3, s6, v23
.LBB27_381:
	s_or_b64 exec, exec, s[4:5]
	v_or_b32_e32 v23, 0x800, v0
	v_cmp_gt_i32_e32 vcc, s2, v23
	s_and_saveexec_b64 s[4:5], vcc
	s_cbranch_execz .LBB27_396
; %bb.382:
	s_cmp_lt_i32 s3, 1
	s_mov_b64 s[6:7], 0
	s_cbranch_scc1 .LBB27_387
; %bb.383:
	s_cmp_gt_i32 s3, 1
	s_cbranch_scc0 .LBB27_388
; %bb.384:
	s_cmp_eq_u32 s3, 2
	s_cbranch_scc0 .LBB27_542
; %bb.385:
	v_cmp_le_i16_sdwa s[10:11], sext(v22), sext(v21) src0_sel:BYTE_0 src1_sel:BYTE_0
	s_mov_b64 s[12:13], 0
	s_branch .LBB27_390
.LBB27_386:
	v_cmp_lt_i16_sdwa s[12:13], sext(v24), sext(v23) src0_sel:BYTE_0 src1_sel:BYTE_0
	s_andn2_b64 s[10:11], s[10:11], exec
	s_and_b64 s[12:13], s[12:13], exec
	s_or_b64 s[10:11], s[10:11], s[12:13]
	s_cbranch_execz .LBB27_379
	s_branch .LBB27_380
.LBB27_387:
                                        ; implicit-def: $sgpr10_sgpr11
	s_mov_b64 s[12:13], 0
	s_cbranch_execnz .LBB27_391
	s_branch .LBB27_392
.LBB27_388:
	s_mov_b64 s[12:13], 0
                                        ; implicit-def: $sgpr10_sgpr11
	s_cbranch_execz .LBB27_390
; %bb.389:
	v_cmp_gt_i16_sdwa s[14:15], sext(v22), sext(v21) src0_sel:BYTE_0 src1_sel:BYTE_0
	s_andn2_b64 s[10:11], s[10:11], exec
	s_and_b64 s[14:15], s[14:15], exec
	s_or_b64 s[10:11], s[10:11], s[14:15]
.LBB27_390:
	s_branch .LBB27_392
.LBB27_391:
	s_cmp_lg_u32 s3, 0
	s_mov_b64 s[6:7], -1
	s_cselect_b64 s[12:13], -1, 0
.LBB27_392:
	s_andn2_b64 vcc, exec, s[12:13]
	s_cbranch_vccz .LBB27_401
; %bb.393:
	s_andn2_b64 vcc, exec, s[6:7]
	s_cbranch_vccnz .LBB27_395
.LBB27_394:
	v_cmp_ge_i16_sdwa s[6:7], sext(v22), sext(v21) src0_sel:BYTE_0 src1_sel:BYTE_0
	s_andn2_b64 s[10:11], s[10:11], exec
	s_and_b64 s[6:7], s[6:7], exec
	s_or_b64 s[10:11], s[10:11], s[6:7]
.LBB27_395:
	v_and_b32_e32 v21, 0xffffff00, v2
	v_cndmask_b32_e64 v22, 0, 1, s[10:11]
	v_or_b32_e32 v21, v22, v21
	v_and_b32_e32 v21, 0xffff, v21
	s_mov_b32 s6, 0xffff0000
	v_and_or_b32 v2, v2, s6, v21
.LBB27_396:
	s_or_b64 exec, exec, s[4:5]
	v_or_b32_e32 v21, 0x900, v0
	v_cmp_gt_i32_e32 vcc, s2, v21
	s_and_saveexec_b64 s[4:5], vcc
	s_cbranch_execz .LBB27_411
; %bb.397:
	s_cmp_lt_i32 s3, 1
	s_mov_b64 s[6:7], 0
	s_cbranch_scc1 .LBB27_402
; %bb.398:
	s_cmp_gt_i32 s3, 1
	s_cbranch_scc0 .LBB27_403
; %bb.399:
	s_cmp_eq_u32 s3, 2
	s_cbranch_scc0 .LBB27_543
; %bb.400:
	v_cmp_le_i16_sdwa s[10:11], sext(v20), sext(v19) src0_sel:BYTE_0 src1_sel:BYTE_0
	s_mov_b64 s[12:13], 0
	s_branch .LBB27_405
.LBB27_401:
	v_cmp_lt_i16_sdwa s[12:13], sext(v22), sext(v21) src0_sel:BYTE_0 src1_sel:BYTE_0
	s_andn2_b64 s[10:11], s[10:11], exec
	s_and_b64 s[12:13], s[12:13], exec
	s_or_b64 s[10:11], s[10:11], s[12:13]
	s_cbranch_execz .LBB27_394
	s_branch .LBB27_395
.LBB27_402:
                                        ; implicit-def: $sgpr10_sgpr11
	s_mov_b64 s[12:13], 0
	s_cbranch_execnz .LBB27_406
	s_branch .LBB27_407
.LBB27_403:
	s_mov_b64 s[12:13], 0
                                        ; implicit-def: $sgpr10_sgpr11
	s_cbranch_execz .LBB27_405
; %bb.404:
	v_cmp_gt_i16_sdwa s[14:15], sext(v20), sext(v19) src0_sel:BYTE_0 src1_sel:BYTE_0
	s_andn2_b64 s[10:11], s[10:11], exec
	s_and_b64 s[14:15], s[14:15], exec
	s_or_b64 s[10:11], s[10:11], s[14:15]
.LBB27_405:
	s_branch .LBB27_407
.LBB27_406:
	s_cmp_lg_u32 s3, 0
	s_mov_b64 s[6:7], -1
	s_cselect_b64 s[12:13], -1, 0
.LBB27_407:
	s_andn2_b64 vcc, exec, s[12:13]
	s_cbranch_vccz .LBB27_416
; %bb.408:
	s_andn2_b64 vcc, exec, s[6:7]
	s_cbranch_vccnz .LBB27_410
.LBB27_409:
	v_cmp_ge_i16_sdwa s[6:7], sext(v20), sext(v19) src0_sel:BYTE_0 src1_sel:BYTE_0
	s_andn2_b64 s[10:11], s[10:11], exec
	s_and_b64 s[6:7], s[6:7], exec
	s_or_b64 s[10:11], s[10:11], s[6:7]
.LBB27_410:
	v_cndmask_b32_e64 v19, 0, 1, s[10:11]
	v_lshlrev_b16_e32 v19, 8, v19
	v_or_b32_sdwa v19, v2, v19 dst_sel:DWORD dst_unused:UNUSED_PAD src0_sel:BYTE_0 src1_sel:DWORD
	v_and_b32_e32 v19, 0xffff, v19
	s_mov_b32 s6, 0xffff0000
	v_and_or_b32 v2, v2, s6, v19
.LBB27_411:
	s_or_b64 exec, exec, s[4:5]
	v_or_b32_e32 v19, 0xa00, v0
	v_cmp_gt_i32_e32 vcc, s2, v19
	s_and_saveexec_b64 s[4:5], vcc
	s_cbranch_execz .LBB27_426
; %bb.412:
	s_cmp_lt_i32 s3, 1
	s_mov_b64 s[6:7], 0
	s_cbranch_scc1 .LBB27_417
; %bb.413:
	s_cmp_gt_i32 s3, 1
	s_cbranch_scc0 .LBB27_418
; %bb.414:
	s_cmp_eq_u32 s3, 2
	s_cbranch_scc0 .LBB27_544
; %bb.415:
	v_cmp_le_i16_sdwa s[10:11], sext(v18), sext(v17) src0_sel:BYTE_0 src1_sel:BYTE_0
	s_mov_b64 s[12:13], 0
	s_branch .LBB27_420
.LBB27_416:
	v_cmp_lt_i16_sdwa s[12:13], sext(v20), sext(v19) src0_sel:BYTE_0 src1_sel:BYTE_0
	s_andn2_b64 s[10:11], s[10:11], exec
	s_and_b64 s[12:13], s[12:13], exec
	s_or_b64 s[10:11], s[10:11], s[12:13]
	s_cbranch_execz .LBB27_409
	s_branch .LBB27_410
.LBB27_417:
                                        ; implicit-def: $sgpr10_sgpr11
	s_mov_b64 s[12:13], 0
	s_cbranch_execnz .LBB27_421
	s_branch .LBB27_422
.LBB27_418:
	s_mov_b64 s[12:13], 0
                                        ; implicit-def: $sgpr10_sgpr11
	s_cbranch_execz .LBB27_420
; %bb.419:
	v_cmp_gt_i16_sdwa s[14:15], sext(v18), sext(v17) src0_sel:BYTE_0 src1_sel:BYTE_0
	s_andn2_b64 s[10:11], s[10:11], exec
	s_and_b64 s[14:15], s[14:15], exec
	s_or_b64 s[10:11], s[10:11], s[14:15]
.LBB27_420:
	s_branch .LBB27_422
.LBB27_421:
	s_cmp_lg_u32 s3, 0
	s_mov_b64 s[6:7], -1
	s_cselect_b64 s[12:13], -1, 0
.LBB27_422:
	s_andn2_b64 vcc, exec, s[12:13]
	s_cbranch_vccz .LBB27_431
; %bb.423:
	s_andn2_b64 vcc, exec, s[6:7]
	s_cbranch_vccnz .LBB27_425
.LBB27_424:
	v_cmp_ge_i16_sdwa s[6:7], sext(v18), sext(v17) src0_sel:BYTE_0 src1_sel:BYTE_0
	s_andn2_b64 s[10:11], s[10:11], exec
	s_and_b64 s[6:7], s[6:7], exec
	s_or_b64 s[10:11], s[10:11], s[6:7]
.LBB27_425:
	s_movk_i32 s6, 0xff00
	v_and_b32_sdwa v17, v2, s6 dst_sel:DWORD dst_unused:UNUSED_PAD src0_sel:WORD_1 src1_sel:DWORD
	v_cndmask_b32_e64 v18, 0, 1, s[10:11]
	v_or_b32_sdwa v17, v18, v17 dst_sel:WORD_1 dst_unused:UNUSED_PAD src0_sel:DWORD src1_sel:DWORD
	s_mov_b32 s6, 0xffff
	v_and_or_b32 v2, v2, s6, v17
.LBB27_426:
	s_or_b64 exec, exec, s[4:5]
	v_or_b32_e32 v17, 0xb00, v0
	v_cmp_gt_i32_e32 vcc, s2, v17
	s_and_saveexec_b64 s[4:5], vcc
	s_cbranch_execz .LBB27_441
; %bb.427:
	s_cmp_lt_i32 s3, 1
	s_mov_b64 s[6:7], 0
	s_cbranch_scc1 .LBB27_432
; %bb.428:
	s_cmp_gt_i32 s3, 1
	s_cbranch_scc0 .LBB27_433
; %bb.429:
	s_cmp_eq_u32 s3, 2
	s_cbranch_scc0 .LBB27_545
; %bb.430:
	v_cmp_le_i16_sdwa s[10:11], sext(v16), sext(v15) src0_sel:BYTE_0 src1_sel:BYTE_0
	s_mov_b64 s[12:13], 0
	s_branch .LBB27_435
.LBB27_431:
	v_cmp_lt_i16_sdwa s[12:13], sext(v18), sext(v17) src0_sel:BYTE_0 src1_sel:BYTE_0
	s_andn2_b64 s[10:11], s[10:11], exec
	s_and_b64 s[12:13], s[12:13], exec
	s_or_b64 s[10:11], s[10:11], s[12:13]
	s_cbranch_execz .LBB27_424
	s_branch .LBB27_425
.LBB27_432:
                                        ; implicit-def: $sgpr10_sgpr11
	s_mov_b64 s[12:13], 0
	s_cbranch_execnz .LBB27_436
	s_branch .LBB27_437
.LBB27_433:
	s_mov_b64 s[12:13], 0
                                        ; implicit-def: $sgpr10_sgpr11
	s_cbranch_execz .LBB27_435
; %bb.434:
	v_cmp_gt_i16_sdwa s[14:15], sext(v16), sext(v15) src0_sel:BYTE_0 src1_sel:BYTE_0
	s_andn2_b64 s[10:11], s[10:11], exec
	s_and_b64 s[14:15], s[14:15], exec
	s_or_b64 s[10:11], s[10:11], s[14:15]
.LBB27_435:
	s_branch .LBB27_437
.LBB27_436:
	s_cmp_lg_u32 s3, 0
	s_mov_b64 s[6:7], -1
	s_cselect_b64 s[12:13], -1, 0
.LBB27_437:
	s_andn2_b64 vcc, exec, s[12:13]
	s_cbranch_vccz .LBB27_446
; %bb.438:
	s_andn2_b64 vcc, exec, s[6:7]
	s_cbranch_vccnz .LBB27_440
.LBB27_439:
	v_cmp_ge_i16_sdwa s[6:7], sext(v16), sext(v15) src0_sel:BYTE_0 src1_sel:BYTE_0
	s_andn2_b64 s[10:11], s[10:11], exec
	s_and_b64 s[6:7], s[6:7], exec
	s_or_b64 s[10:11], s[10:11], s[6:7]
.LBB27_440:
	s_movk_i32 s6, 0xff
	v_cndmask_b32_e64 v16, 0, 1, s[10:11]
	v_and_b32_sdwa v15, v2, s6 dst_sel:DWORD dst_unused:UNUSED_PAD src0_sel:WORD_1 src1_sel:DWORD
	v_lshlrev_b16_e32 v16, 8, v16
	v_or_b32_sdwa v15, v15, v16 dst_sel:WORD_1 dst_unused:UNUSED_PAD src0_sel:DWORD src1_sel:DWORD
	s_mov_b32 s6, 0xffff
	v_and_or_b32 v2, v2, s6, v15
.LBB27_441:
	s_or_b64 exec, exec, s[4:5]
	v_or_b32_e32 v15, 0xc00, v0
	v_cmp_gt_i32_e32 vcc, s2, v15
	s_and_saveexec_b64 s[4:5], vcc
	s_cbranch_execz .LBB27_456
; %bb.442:
	s_cmp_lt_i32 s3, 1
	s_mov_b64 s[6:7], 0
	s_cbranch_scc1 .LBB27_447
; %bb.443:
	s_cmp_gt_i32 s3, 1
	s_cbranch_scc0 .LBB27_448
; %bb.444:
	s_cmp_eq_u32 s3, 2
	s_cbranch_scc0 .LBB27_546
; %bb.445:
	v_cmp_le_i16_sdwa s[10:11], sext(v14), sext(v13) src0_sel:BYTE_0 src1_sel:BYTE_0
	s_mov_b64 s[12:13], 0
	s_branch .LBB27_450
.LBB27_446:
	v_cmp_lt_i16_sdwa s[12:13], sext(v16), sext(v15) src0_sel:BYTE_0 src1_sel:BYTE_0
	s_andn2_b64 s[10:11], s[10:11], exec
	s_and_b64 s[12:13], s[12:13], exec
	s_or_b64 s[10:11], s[10:11], s[12:13]
	s_cbranch_execz .LBB27_439
	s_branch .LBB27_440
.LBB27_447:
                                        ; implicit-def: $sgpr10_sgpr11
	s_mov_b64 s[12:13], 0
	s_cbranch_execnz .LBB27_451
	s_branch .LBB27_452
.LBB27_448:
	s_mov_b64 s[12:13], 0
                                        ; implicit-def: $sgpr10_sgpr11
	s_cbranch_execz .LBB27_450
; %bb.449:
	v_cmp_gt_i16_sdwa s[14:15], sext(v14), sext(v13) src0_sel:BYTE_0 src1_sel:BYTE_0
	s_andn2_b64 s[10:11], s[10:11], exec
	s_and_b64 s[14:15], s[14:15], exec
	s_or_b64 s[10:11], s[10:11], s[14:15]
.LBB27_450:
	s_branch .LBB27_452
.LBB27_451:
	s_cmp_lg_u32 s3, 0
	s_mov_b64 s[6:7], -1
	s_cselect_b64 s[12:13], -1, 0
.LBB27_452:
	s_andn2_b64 vcc, exec, s[12:13]
	s_cbranch_vccz .LBB27_461
; %bb.453:
	s_andn2_b64 vcc, exec, s[6:7]
	s_cbranch_vccnz .LBB27_455
.LBB27_454:
	v_cmp_ge_i16_sdwa s[6:7], sext(v14), sext(v13) src0_sel:BYTE_0 src1_sel:BYTE_0
	s_andn2_b64 s[10:11], s[10:11], exec
	s_and_b64 s[6:7], s[6:7], exec
	s_or_b64 s[10:11], s[10:11], s[6:7]
.LBB27_455:
	v_and_b32_e32 v13, 0xffffff00, v1
	v_cndmask_b32_e64 v14, 0, 1, s[10:11]
	v_or_b32_e32 v13, v14, v13
	v_and_b32_e32 v13, 0xffff, v13
	s_mov_b32 s6, 0xffff0000
	v_and_or_b32 v1, v1, s6, v13
.LBB27_456:
	s_or_b64 exec, exec, s[4:5]
	v_or_b32_e32 v13, 0xd00, v0
	v_cmp_gt_i32_e32 vcc, s2, v13
	s_and_saveexec_b64 s[4:5], vcc
	s_cbranch_execz .LBB27_471
; %bb.457:
	s_cmp_lt_i32 s3, 1
	s_mov_b64 s[6:7], 0
	s_cbranch_scc1 .LBB27_462
; %bb.458:
	s_cmp_gt_i32 s3, 1
	s_cbranch_scc0 .LBB27_463
; %bb.459:
	s_cmp_eq_u32 s3, 2
	s_cbranch_scc0 .LBB27_547
; %bb.460:
	v_cmp_le_i16_sdwa s[10:11], sext(v12), sext(v11) src0_sel:BYTE_0 src1_sel:BYTE_0
	s_mov_b64 s[12:13], 0
	s_branch .LBB27_465
.LBB27_461:
	v_cmp_lt_i16_sdwa s[12:13], sext(v14), sext(v13) src0_sel:BYTE_0 src1_sel:BYTE_0
	s_andn2_b64 s[10:11], s[10:11], exec
	s_and_b64 s[12:13], s[12:13], exec
	s_or_b64 s[10:11], s[10:11], s[12:13]
	s_cbranch_execz .LBB27_454
	s_branch .LBB27_455
.LBB27_462:
                                        ; implicit-def: $sgpr10_sgpr11
	s_mov_b64 s[12:13], 0
	s_cbranch_execnz .LBB27_466
	s_branch .LBB27_467
.LBB27_463:
	s_mov_b64 s[12:13], 0
                                        ; implicit-def: $sgpr10_sgpr11
	s_cbranch_execz .LBB27_465
; %bb.464:
	v_cmp_gt_i16_sdwa s[14:15], sext(v12), sext(v11) src0_sel:BYTE_0 src1_sel:BYTE_0
	s_andn2_b64 s[10:11], s[10:11], exec
	s_and_b64 s[14:15], s[14:15], exec
	s_or_b64 s[10:11], s[10:11], s[14:15]
.LBB27_465:
	s_branch .LBB27_467
.LBB27_466:
	s_cmp_lg_u32 s3, 0
	s_mov_b64 s[6:7], -1
	s_cselect_b64 s[12:13], -1, 0
.LBB27_467:
	s_andn2_b64 vcc, exec, s[12:13]
	s_cbranch_vccz .LBB27_476
; %bb.468:
	s_andn2_b64 vcc, exec, s[6:7]
	s_cbranch_vccnz .LBB27_470
.LBB27_469:
	v_cmp_ge_i16_sdwa s[6:7], sext(v12), sext(v11) src0_sel:BYTE_0 src1_sel:BYTE_0
	s_andn2_b64 s[10:11], s[10:11], exec
	s_and_b64 s[6:7], s[6:7], exec
	s_or_b64 s[10:11], s[10:11], s[6:7]
.LBB27_470:
	v_cndmask_b32_e64 v11, 0, 1, s[10:11]
	v_lshlrev_b16_e32 v11, 8, v11
	v_or_b32_sdwa v11, v1, v11 dst_sel:DWORD dst_unused:UNUSED_PAD src0_sel:BYTE_0 src1_sel:DWORD
	v_and_b32_e32 v11, 0xffff, v11
	s_mov_b32 s6, 0xffff0000
	v_and_or_b32 v1, v1, s6, v11
.LBB27_471:
	s_or_b64 exec, exec, s[4:5]
	v_or_b32_e32 v11, 0xe00, v0
	v_cmp_gt_i32_e32 vcc, s2, v11
	s_and_saveexec_b64 s[4:5], vcc
	s_cbranch_execz .LBB27_486
; %bb.472:
	s_cmp_lt_i32 s3, 1
	s_mov_b64 s[6:7], 0
	s_cbranch_scc1 .LBB27_477
; %bb.473:
	s_cmp_gt_i32 s3, 1
	s_cbranch_scc0 .LBB27_478
; %bb.474:
	s_cmp_eq_u32 s3, 2
	s_cbranch_scc0 .LBB27_548
; %bb.475:
	v_cmp_le_i16_sdwa s[10:11], sext(v10), sext(v9) src0_sel:BYTE_0 src1_sel:BYTE_0
	s_mov_b64 s[12:13], 0
	s_branch .LBB27_480
.LBB27_476:
	v_cmp_lt_i16_sdwa s[12:13], sext(v12), sext(v11) src0_sel:BYTE_0 src1_sel:BYTE_0
	s_andn2_b64 s[10:11], s[10:11], exec
	s_and_b64 s[12:13], s[12:13], exec
	s_or_b64 s[10:11], s[10:11], s[12:13]
	s_cbranch_execz .LBB27_469
	s_branch .LBB27_470
.LBB27_477:
                                        ; implicit-def: $sgpr10_sgpr11
	s_mov_b64 s[12:13], 0
	s_cbranch_execnz .LBB27_481
	s_branch .LBB27_482
.LBB27_478:
	s_mov_b64 s[12:13], 0
                                        ; implicit-def: $sgpr10_sgpr11
	s_cbranch_execz .LBB27_480
; %bb.479:
	v_cmp_gt_i16_sdwa s[14:15], sext(v10), sext(v9) src0_sel:BYTE_0 src1_sel:BYTE_0
	s_andn2_b64 s[10:11], s[10:11], exec
	s_and_b64 s[14:15], s[14:15], exec
	s_or_b64 s[10:11], s[10:11], s[14:15]
.LBB27_480:
	s_branch .LBB27_482
.LBB27_481:
	s_cmp_lg_u32 s3, 0
	s_mov_b64 s[6:7], -1
	s_cselect_b64 s[12:13], -1, 0
.LBB27_482:
	s_andn2_b64 vcc, exec, s[12:13]
	s_cbranch_vccz .LBB27_491
; %bb.483:
	s_andn2_b64 vcc, exec, s[6:7]
	s_cbranch_vccnz .LBB27_485
.LBB27_484:
	v_cmp_ge_i16_sdwa s[6:7], sext(v10), sext(v9) src0_sel:BYTE_0 src1_sel:BYTE_0
	s_andn2_b64 s[10:11], s[10:11], exec
	s_and_b64 s[6:7], s[6:7], exec
	s_or_b64 s[10:11], s[10:11], s[6:7]
.LBB27_485:
	s_movk_i32 s6, 0xff00
	v_and_b32_sdwa v9, v1, s6 dst_sel:DWORD dst_unused:UNUSED_PAD src0_sel:WORD_1 src1_sel:DWORD
	v_cndmask_b32_e64 v10, 0, 1, s[10:11]
	v_or_b32_sdwa v9, v10, v9 dst_sel:WORD_1 dst_unused:UNUSED_PAD src0_sel:DWORD src1_sel:DWORD
	s_mov_b32 s6, 0xffff
	v_and_or_b32 v1, v1, s6, v9
.LBB27_486:
	s_or_b64 exec, exec, s[4:5]
	v_or_b32_e32 v9, 0xf00, v0
	v_cmp_gt_i32_e32 vcc, s2, v9
	s_and_saveexec_b64 s[4:5], vcc
	s_cbranch_execz .LBB27_501
; %bb.487:
	s_cmp_lt_i32 s3, 1
	s_mov_b64 s[6:7], 0
	s_cbranch_scc1 .LBB27_492
; %bb.488:
	s_cmp_gt_i32 s3, 1
	s_cbranch_scc0 .LBB27_493
; %bb.489:
	s_cmp_eq_u32 s3, 2
	s_cbranch_scc0 .LBB27_549
; %bb.490:
	v_cmp_le_i16_sdwa s[10:11], sext(v8), sext(v7) src0_sel:BYTE_0 src1_sel:BYTE_0
	s_mov_b64 s[12:13], 0
	s_branch .LBB27_495
.LBB27_491:
	v_cmp_lt_i16_sdwa s[12:13], sext(v10), sext(v9) src0_sel:BYTE_0 src1_sel:BYTE_0
	s_andn2_b64 s[10:11], s[10:11], exec
	s_and_b64 s[12:13], s[12:13], exec
	s_or_b64 s[10:11], s[10:11], s[12:13]
	s_cbranch_execz .LBB27_484
	s_branch .LBB27_485
.LBB27_492:
                                        ; implicit-def: $sgpr10_sgpr11
	s_mov_b64 s[12:13], 0
	s_cbranch_execnz .LBB27_496
	s_branch .LBB27_497
.LBB27_493:
	s_mov_b64 s[12:13], 0
                                        ; implicit-def: $sgpr10_sgpr11
	s_cbranch_execz .LBB27_495
; %bb.494:
	v_cmp_gt_i16_sdwa s[14:15], sext(v8), sext(v7) src0_sel:BYTE_0 src1_sel:BYTE_0
	s_andn2_b64 s[10:11], s[10:11], exec
	s_and_b64 s[14:15], s[14:15], exec
	s_or_b64 s[10:11], s[10:11], s[14:15]
.LBB27_495:
	s_branch .LBB27_497
.LBB27_496:
	s_cmp_lg_u32 s3, 0
	s_mov_b64 s[6:7], -1
	s_cselect_b64 s[12:13], -1, 0
.LBB27_497:
	s_andn2_b64 vcc, exec, s[12:13]
	s_cbranch_vccz .LBB27_534
; %bb.498:
	s_andn2_b64 vcc, exec, s[6:7]
	s_cbranch_vccnz .LBB27_500
.LBB27_499:
	v_cmp_ge_i16_sdwa s[6:7], sext(v8), sext(v7) src0_sel:BYTE_0 src1_sel:BYTE_0
	s_andn2_b64 s[10:11], s[10:11], exec
	s_and_b64 s[6:7], s[6:7], exec
	s_or_b64 s[10:11], s[10:11], s[6:7]
.LBB27_500:
	s_movk_i32 s3, 0xff
	v_cndmask_b32_e64 v8, 0, 1, s[10:11]
	v_and_b32_sdwa v7, v1, s3 dst_sel:DWORD dst_unused:UNUSED_PAD src0_sel:WORD_1 src1_sel:DWORD
	v_lshlrev_b16_e32 v8, 8, v8
	v_or_b32_sdwa v7, v7, v8 dst_sel:WORD_1 dst_unused:UNUSED_PAD src0_sel:DWORD src1_sel:DWORD
	s_mov_b32 s3, 0xffff
	v_and_or_b32 v1, v1, s3, v7
.LBB27_501:
	s_or_b64 exec, exec, s[4:5]
	s_and_saveexec_b64 s[4:5], s[0:1]
	s_xor_b64 s[0:1], exec, s[4:5]
	s_cbranch_execz .LBB27_503
; %bb.502:
	v_mov_b32_e32 v0, v4
	global_store_byte v5, v6, s[8:9]
.LBB27_503:
	s_or_b64 exec, exec, s[0:1]
	v_cmp_gt_i32_e32 vcc, s2, v0
	s_and_saveexec_b64 s[0:1], vcc
	s_cbranch_execnz .LBB27_520
; %bb.504:
	s_or_b64 exec, exec, s[0:1]
	v_cmp_gt_i32_e32 vcc, s2, v0
	s_and_saveexec_b64 s[0:1], vcc
	s_cbranch_execnz .LBB27_521
.LBB27_505:
	s_or_b64 exec, exec, s[0:1]
	v_cmp_gt_i32_e32 vcc, s2, v0
	s_and_saveexec_b64 s[0:1], vcc
	s_cbranch_execnz .LBB27_522
.LBB27_506:
	s_or_b64 exec, exec, s[0:1]
	v_cmp_gt_i32_e32 vcc, s2, v0
	s_and_saveexec_b64 s[0:1], vcc
	s_cbranch_execnz .LBB27_523
.LBB27_507:
	s_or_b64 exec, exec, s[0:1]
	v_cmp_gt_i32_e32 vcc, s2, v0
	s_and_saveexec_b64 s[0:1], vcc
	s_cbranch_execnz .LBB27_524
.LBB27_508:
	s_or_b64 exec, exec, s[0:1]
	v_cmp_gt_i32_e32 vcc, s2, v0
	s_and_saveexec_b64 s[0:1], vcc
	s_cbranch_execnz .LBB27_525
.LBB27_509:
	s_or_b64 exec, exec, s[0:1]
	v_cmp_gt_i32_e32 vcc, s2, v0
	s_and_saveexec_b64 s[0:1], vcc
	s_cbranch_execnz .LBB27_526
.LBB27_510:
	s_or_b64 exec, exec, s[0:1]
	v_cmp_gt_i32_e32 vcc, s2, v0
	s_and_saveexec_b64 s[0:1], vcc
	s_cbranch_execnz .LBB27_527
.LBB27_511:
	s_or_b64 exec, exec, s[0:1]
	v_cmp_gt_i32_e32 vcc, s2, v0
	s_and_saveexec_b64 s[0:1], vcc
	s_cbranch_execnz .LBB27_528
.LBB27_512:
	s_or_b64 exec, exec, s[0:1]
	v_cmp_gt_i32_e32 vcc, s2, v0
	s_and_saveexec_b64 s[0:1], vcc
	s_cbranch_execnz .LBB27_529
.LBB27_513:
	s_or_b64 exec, exec, s[0:1]
	v_cmp_gt_i32_e32 vcc, s2, v0
	s_and_saveexec_b64 s[0:1], vcc
	s_cbranch_execnz .LBB27_530
.LBB27_514:
	s_or_b64 exec, exec, s[0:1]
	v_cmp_gt_i32_e32 vcc, s2, v0
	s_and_saveexec_b64 s[0:1], vcc
	s_cbranch_execnz .LBB27_531
.LBB27_515:
	s_or_b64 exec, exec, s[0:1]
	v_cmp_gt_i32_e32 vcc, s2, v0
	s_and_saveexec_b64 s[0:1], vcc
	s_cbranch_execnz .LBB27_532
.LBB27_516:
	s_or_b64 exec, exec, s[0:1]
	v_cmp_gt_i32_e32 vcc, s2, v0
	s_and_saveexec_b64 s[0:1], vcc
	s_cbranch_execnz .LBB27_533
.LBB27_517:
	s_or_b64 exec, exec, s[0:1]
	v_cmp_gt_i32_e32 vcc, s2, v0
	s_and_saveexec_b64 s[0:1], vcc
	s_cbranch_execz .LBB27_519
.LBB27_518:
	v_lshrrev_b32_e32 v1, 24, v1
	v_add_u32_e32 v0, s33, v0
	global_store_byte v0, v1, s[8:9]
.LBB27_519:
	s_endpgm
.LBB27_520:
	v_lshrrev_b32_e32 v4, 8, v6
	v_add_u32_e32 v5, s33, v0
	v_add_u32_e32 v0, 0x100, v0
	global_store_byte v5, v4, s[8:9]
	s_or_b64 exec, exec, s[0:1]
	v_cmp_gt_i32_e32 vcc, s2, v0
	s_and_saveexec_b64 s[0:1], vcc
	s_cbranch_execz .LBB27_505
.LBB27_521:
	v_add_u32_e32 v4, s33, v0
	v_add_u32_e32 v0, 0x100, v0
	global_store_byte_d16_hi v4, v6, s[8:9]
	s_or_b64 exec, exec, s[0:1]
	v_cmp_gt_i32_e32 vcc, s2, v0
	s_and_saveexec_b64 s[0:1], vcc
	s_cbranch_execz .LBB27_506
.LBB27_522:
	v_lshrrev_b32_e32 v4, 24, v6
	v_add_u32_e32 v5, s33, v0
	v_add_u32_e32 v0, 0x100, v0
	global_store_byte v5, v4, s[8:9]
	s_or_b64 exec, exec, s[0:1]
	v_cmp_gt_i32_e32 vcc, s2, v0
	s_and_saveexec_b64 s[0:1], vcc
	s_cbranch_execz .LBB27_507
.LBB27_523:
	v_add_u32_e32 v4, s33, v0
	v_add_u32_e32 v0, 0x100, v0
	global_store_byte v4, v3, s[8:9]
	s_or_b64 exec, exec, s[0:1]
	v_cmp_gt_i32_e32 vcc, s2, v0
	s_and_saveexec_b64 s[0:1], vcc
	s_cbranch_execz .LBB27_508
.LBB27_524:
	v_lshrrev_b32_e32 v4, 8, v3
	v_add_u32_e32 v5, s33, v0
	v_add_u32_e32 v0, 0x100, v0
	global_store_byte v5, v4, s[8:9]
	s_or_b64 exec, exec, s[0:1]
	v_cmp_gt_i32_e32 vcc, s2, v0
	s_and_saveexec_b64 s[0:1], vcc
	s_cbranch_execz .LBB27_509
.LBB27_525:
	v_add_u32_e32 v4, s33, v0
	v_add_u32_e32 v0, 0x100, v0
	global_store_byte_d16_hi v4, v3, s[8:9]
	s_or_b64 exec, exec, s[0:1]
	v_cmp_gt_i32_e32 vcc, s2, v0
	s_and_saveexec_b64 s[0:1], vcc
	s_cbranch_execz .LBB27_510
.LBB27_526:
	v_lshrrev_b32_e32 v3, 24, v3
	v_add_u32_e32 v4, s33, v0
	v_add_u32_e32 v0, 0x100, v0
	global_store_byte v4, v3, s[8:9]
	s_or_b64 exec, exec, s[0:1]
	v_cmp_gt_i32_e32 vcc, s2, v0
	s_and_saveexec_b64 s[0:1], vcc
	s_cbranch_execz .LBB27_511
.LBB27_527:
	v_add_u32_e32 v3, s33, v0
	v_add_u32_e32 v0, 0x100, v0
	global_store_byte v3, v2, s[8:9]
	s_or_b64 exec, exec, s[0:1]
	v_cmp_gt_i32_e32 vcc, s2, v0
	s_and_saveexec_b64 s[0:1], vcc
	s_cbranch_execz .LBB27_512
.LBB27_528:
	v_lshrrev_b32_e32 v3, 8, v2
	v_add_u32_e32 v4, s33, v0
	v_add_u32_e32 v0, 0x100, v0
	global_store_byte v4, v3, s[8:9]
	s_or_b64 exec, exec, s[0:1]
	v_cmp_gt_i32_e32 vcc, s2, v0
	s_and_saveexec_b64 s[0:1], vcc
	s_cbranch_execz .LBB27_513
.LBB27_529:
	v_add_u32_e32 v3, s33, v0
	v_add_u32_e32 v0, 0x100, v0
	global_store_byte_d16_hi v3, v2, s[8:9]
	s_or_b64 exec, exec, s[0:1]
	v_cmp_gt_i32_e32 vcc, s2, v0
	s_and_saveexec_b64 s[0:1], vcc
	s_cbranch_execz .LBB27_514
.LBB27_530:
	v_lshrrev_b32_e32 v2, 24, v2
	v_add_u32_e32 v3, s33, v0
	v_add_u32_e32 v0, 0x100, v0
	global_store_byte v3, v2, s[8:9]
	s_or_b64 exec, exec, s[0:1]
	v_cmp_gt_i32_e32 vcc, s2, v0
	s_and_saveexec_b64 s[0:1], vcc
	s_cbranch_execz .LBB27_515
.LBB27_531:
	v_add_u32_e32 v2, s33, v0
	v_add_u32_e32 v0, 0x100, v0
	global_store_byte v2, v1, s[8:9]
	s_or_b64 exec, exec, s[0:1]
	v_cmp_gt_i32_e32 vcc, s2, v0
	s_and_saveexec_b64 s[0:1], vcc
	s_cbranch_execz .LBB27_516
.LBB27_532:
	v_lshrrev_b32_e32 v2, 8, v1
	v_add_u32_e32 v3, s33, v0
	v_add_u32_e32 v0, 0x100, v0
	global_store_byte v3, v2, s[8:9]
	s_or_b64 exec, exec, s[0:1]
	v_cmp_gt_i32_e32 vcc, s2, v0
	s_and_saveexec_b64 s[0:1], vcc
	s_cbranch_execz .LBB27_517
.LBB27_533:
	v_add_u32_e32 v2, s33, v0
	v_add_u32_e32 v0, 0x100, v0
	global_store_byte_d16_hi v2, v1, s[8:9]
	s_or_b64 exec, exec, s[0:1]
	v_cmp_gt_i32_e32 vcc, s2, v0
	s_and_saveexec_b64 s[0:1], vcc
	s_cbranch_execnz .LBB27_518
	s_branch .LBB27_519
.LBB27_534:
	v_cmp_lt_i16_sdwa s[12:13], sext(v8), sext(v7) src0_sel:BYTE_0 src1_sel:BYTE_0
	s_andn2_b64 s[10:11], s[10:11], exec
	s_and_b64 s[12:13], s[12:13], exec
	s_or_b64 s[10:11], s[10:11], s[12:13]
	s_cbranch_execz .LBB27_499
	s_branch .LBB27_500
.LBB27_535:
	s_mov_b64 s[12:13], -1
                                        ; implicit-def: $sgpr10_sgpr11
	s_branch .LBB27_285
.LBB27_536:
	s_mov_b64 s[12:13], -1
                                        ; implicit-def: $sgpr10_sgpr11
	s_branch .LBB27_300
.LBB27_537:
	s_mov_b64 s[12:13], -1
                                        ; implicit-def: $sgpr10_sgpr11
	s_branch .LBB27_315
.LBB27_538:
	s_mov_b64 s[12:13], -1
                                        ; implicit-def: $sgpr10_sgpr11
	s_branch .LBB27_330
.LBB27_539:
	s_mov_b64 s[12:13], -1
                                        ; implicit-def: $sgpr10_sgpr11
	s_branch .LBB27_345
.LBB27_540:
	s_mov_b64 s[12:13], -1
                                        ; implicit-def: $sgpr10_sgpr11
	s_branch .LBB27_360
.LBB27_541:
	s_mov_b64 s[12:13], -1
                                        ; implicit-def: $sgpr10_sgpr11
	s_branch .LBB27_375
.LBB27_542:
	s_mov_b64 s[12:13], -1
                                        ; implicit-def: $sgpr10_sgpr11
	s_branch .LBB27_390
.LBB27_543:
	s_mov_b64 s[12:13], -1
                                        ; implicit-def: $sgpr10_sgpr11
	s_branch .LBB27_405
.LBB27_544:
	s_mov_b64 s[12:13], -1
                                        ; implicit-def: $sgpr10_sgpr11
	s_branch .LBB27_420
.LBB27_545:
	s_mov_b64 s[12:13], -1
                                        ; implicit-def: $sgpr10_sgpr11
	s_branch .LBB27_435
.LBB27_546:
	s_mov_b64 s[12:13], -1
                                        ; implicit-def: $sgpr10_sgpr11
	s_branch .LBB27_450
.LBB27_547:
	s_mov_b64 s[12:13], -1
                                        ; implicit-def: $sgpr10_sgpr11
	s_branch .LBB27_465
.LBB27_548:
	s_mov_b64 s[12:13], -1
                                        ; implicit-def: $sgpr10_sgpr11
	s_branch .LBB27_480
.LBB27_549:
	s_mov_b64 s[12:13], -1
                                        ; implicit-def: $sgpr10_sgpr11
	s_branch .LBB27_495
	.section	.rodata,"a",@progbits
	.p2align	6, 0x0
	.amdhsa_kernel _ZN2at6native29vectorized_elementwise_kernelILi2ENS0_12_GLOBAL__N_114CompareFunctorIaEESt5arrayIPcLm3EEEEviT0_T1_
		.amdhsa_group_segment_fixed_size 0
		.amdhsa_private_segment_fixed_size 0
		.amdhsa_kernarg_size 32
		.amdhsa_user_sgpr_count 6
		.amdhsa_user_sgpr_private_segment_buffer 1
		.amdhsa_user_sgpr_dispatch_ptr 0
		.amdhsa_user_sgpr_queue_ptr 0
		.amdhsa_user_sgpr_kernarg_segment_ptr 1
		.amdhsa_user_sgpr_dispatch_id 0
		.amdhsa_user_sgpr_flat_scratch_init 0
		.amdhsa_user_sgpr_private_segment_size 0
		.amdhsa_uses_dynamic_stack 0
		.amdhsa_system_sgpr_private_segment_wavefront_offset 0
		.amdhsa_system_sgpr_workgroup_id_x 1
		.amdhsa_system_sgpr_workgroup_id_y 0
		.amdhsa_system_sgpr_workgroup_id_z 0
		.amdhsa_system_sgpr_workgroup_info 0
		.amdhsa_system_vgpr_workitem_id 0
		.amdhsa_next_free_vgpr 39
		.amdhsa_next_free_sgpr 49
		.amdhsa_reserve_vcc 1
		.amdhsa_reserve_flat_scratch 0
		.amdhsa_float_round_mode_32 0
		.amdhsa_float_round_mode_16_64 0
		.amdhsa_float_denorm_mode_32 3
		.amdhsa_float_denorm_mode_16_64 3
		.amdhsa_dx10_clamp 1
		.amdhsa_ieee_mode 1
		.amdhsa_fp16_overflow 0
		.amdhsa_exception_fp_ieee_invalid_op 0
		.amdhsa_exception_fp_denorm_src 0
		.amdhsa_exception_fp_ieee_div_zero 0
		.amdhsa_exception_fp_ieee_overflow 0
		.amdhsa_exception_fp_ieee_underflow 0
		.amdhsa_exception_fp_ieee_inexact 0
		.amdhsa_exception_int_div_zero 0
	.end_amdhsa_kernel
	.section	.text._ZN2at6native29vectorized_elementwise_kernelILi2ENS0_12_GLOBAL__N_114CompareFunctorIaEESt5arrayIPcLm3EEEEviT0_T1_,"axG",@progbits,_ZN2at6native29vectorized_elementwise_kernelILi2ENS0_12_GLOBAL__N_114CompareFunctorIaEESt5arrayIPcLm3EEEEviT0_T1_,comdat
.Lfunc_end27:
	.size	_ZN2at6native29vectorized_elementwise_kernelILi2ENS0_12_GLOBAL__N_114CompareFunctorIaEESt5arrayIPcLm3EEEEviT0_T1_, .Lfunc_end27-_ZN2at6native29vectorized_elementwise_kernelILi2ENS0_12_GLOBAL__N_114CompareFunctorIaEESt5arrayIPcLm3EEEEviT0_T1_
                                        ; -- End function
	.set _ZN2at6native29vectorized_elementwise_kernelILi2ENS0_12_GLOBAL__N_114CompareFunctorIaEESt5arrayIPcLm3EEEEviT0_T1_.num_vgpr, 39
	.set _ZN2at6native29vectorized_elementwise_kernelILi2ENS0_12_GLOBAL__N_114CompareFunctorIaEESt5arrayIPcLm3EEEEviT0_T1_.num_agpr, 0
	.set _ZN2at6native29vectorized_elementwise_kernelILi2ENS0_12_GLOBAL__N_114CompareFunctorIaEESt5arrayIPcLm3EEEEviT0_T1_.numbered_sgpr, 49
	.set _ZN2at6native29vectorized_elementwise_kernelILi2ENS0_12_GLOBAL__N_114CompareFunctorIaEESt5arrayIPcLm3EEEEviT0_T1_.num_named_barrier, 0
	.set _ZN2at6native29vectorized_elementwise_kernelILi2ENS0_12_GLOBAL__N_114CompareFunctorIaEESt5arrayIPcLm3EEEEviT0_T1_.private_seg_size, 0
	.set _ZN2at6native29vectorized_elementwise_kernelILi2ENS0_12_GLOBAL__N_114CompareFunctorIaEESt5arrayIPcLm3EEEEviT0_T1_.uses_vcc, 1
	.set _ZN2at6native29vectorized_elementwise_kernelILi2ENS0_12_GLOBAL__N_114CompareFunctorIaEESt5arrayIPcLm3EEEEviT0_T1_.uses_flat_scratch, 0
	.set _ZN2at6native29vectorized_elementwise_kernelILi2ENS0_12_GLOBAL__N_114CompareFunctorIaEESt5arrayIPcLm3EEEEviT0_T1_.has_dyn_sized_stack, 0
	.set _ZN2at6native29vectorized_elementwise_kernelILi2ENS0_12_GLOBAL__N_114CompareFunctorIaEESt5arrayIPcLm3EEEEviT0_T1_.has_recursion, 0
	.set _ZN2at6native29vectorized_elementwise_kernelILi2ENS0_12_GLOBAL__N_114CompareFunctorIaEESt5arrayIPcLm3EEEEviT0_T1_.has_indirect_call, 0
	.section	.AMDGPU.csdata,"",@progbits
; Kernel info:
; codeLenInByte = 10104
; TotalNumSgprs: 53
; NumVgprs: 39
; ScratchSize: 0
; MemoryBound: 0
; FloatMode: 240
; IeeeMode: 1
; LDSByteSize: 0 bytes/workgroup (compile time only)
; SGPRBlocks: 6
; VGPRBlocks: 9
; NumSGPRsForWavesPerEU: 53
; NumVGPRsForWavesPerEU: 39
; Occupancy: 6
; WaveLimiterHint : 1
; COMPUTE_PGM_RSRC2:SCRATCH_EN: 0
; COMPUTE_PGM_RSRC2:USER_SGPR: 6
; COMPUTE_PGM_RSRC2:TRAP_HANDLER: 0
; COMPUTE_PGM_RSRC2:TGID_X_EN: 1
; COMPUTE_PGM_RSRC2:TGID_Y_EN: 0
; COMPUTE_PGM_RSRC2:TGID_Z_EN: 0
; COMPUTE_PGM_RSRC2:TIDIG_COMP_CNT: 0
	.section	.text._ZN2at6native27unrolled_elementwise_kernelINS0_12_GLOBAL__N_114CompareFunctorIaEESt5arrayIPcLm3EELi4E23TrivialOffsetCalculatorILi2EjES8_ILi1EjENS0_6memory15LoadWithoutCastENSB_16StoreWithoutCastEEEviT_T0_T2_T3_T4_T5_,"axG",@progbits,_ZN2at6native27unrolled_elementwise_kernelINS0_12_GLOBAL__N_114CompareFunctorIaEESt5arrayIPcLm3EELi4E23TrivialOffsetCalculatorILi2EjES8_ILi1EjENS0_6memory15LoadWithoutCastENSB_16StoreWithoutCastEEEviT_T0_T2_T3_T4_T5_,comdat
	.globl	_ZN2at6native27unrolled_elementwise_kernelINS0_12_GLOBAL__N_114CompareFunctorIaEESt5arrayIPcLm3EELi4E23TrivialOffsetCalculatorILi2EjES8_ILi1EjENS0_6memory15LoadWithoutCastENSB_16StoreWithoutCastEEEviT_T0_T2_T3_T4_T5_ ; -- Begin function _ZN2at6native27unrolled_elementwise_kernelINS0_12_GLOBAL__N_114CompareFunctorIaEESt5arrayIPcLm3EELi4E23TrivialOffsetCalculatorILi2EjES8_ILi1EjENS0_6memory15LoadWithoutCastENSB_16StoreWithoutCastEEEviT_T0_T2_T3_T4_T5_
	.p2align	8
	.type	_ZN2at6native27unrolled_elementwise_kernelINS0_12_GLOBAL__N_114CompareFunctorIaEESt5arrayIPcLm3EELi4E23TrivialOffsetCalculatorILi2EjES8_ILi1EjENS0_6memory15LoadWithoutCastENSB_16StoreWithoutCastEEEviT_T0_T2_T3_T4_T5_,@function
_ZN2at6native27unrolled_elementwise_kernelINS0_12_GLOBAL__N_114CompareFunctorIaEESt5arrayIPcLm3EELi4E23TrivialOffsetCalculatorILi2EjES8_ILi1EjENS0_6memory15LoadWithoutCastENSB_16StoreWithoutCastEEEviT_T0_T2_T3_T4_T5_: ; @_ZN2at6native27unrolled_elementwise_kernelINS0_12_GLOBAL__N_114CompareFunctorIaEESt5arrayIPcLm3EELi4E23TrivialOffsetCalculatorILi2EjES8_ILi1EjENS0_6memory15LoadWithoutCastENSB_16StoreWithoutCastEEEviT_T0_T2_T3_T4_T5_
; %bb.0:
	s_load_dwordx2 s[2:3], s[4:5], 0x0
	s_load_dwordx4 s[8:11], s[4:5], 0x8
	s_load_dwordx2 s[12:13], s[4:5], 0x18
	s_lshl_b32 s18, s6, 10
	v_mov_b32_e32 v4, 0
	s_waitcnt lgkmcnt(0)
	s_sub_i32 s2, s2, s18
	v_cmp_gt_i32_e64 s[0:1], s2, v0
	v_or_b32_e32 v1, s18, v0
	v_mov_b32_e32 v3, 0
	v_mov_b32_e32 v2, 0
	;; [unrolled: 1-line block ×8, first 2 shown]
	s_and_saveexec_b64 s[4:5], s[0:1]
	s_cbranch_execz .LBB28_8
; %bb.1:
	global_load_ubyte v7, v1, s[10:11]
	global_load_ubyte v10, v1, s[12:13]
	v_or_b32_e32 v11, 0x100, v0
	v_cmp_gt_u32_e32 vcc, s2, v11
	v_mov_b32_e32 v9, 0
	v_mov_b32_e32 v8, 0
	;; [unrolled: 1-line block ×6, first 2 shown]
	s_and_saveexec_b64 s[6:7], vcc
	s_cbranch_execz .LBB28_7
; %bb.2:
	v_add_u32_e32 v2, s18, v11
	global_load_ubyte v8, v2, s[10:11]
	global_load_ubyte v9, v2, s[12:13]
	v_or_b32_e32 v11, 0x200, v0
	v_cmp_gt_u32_e32 vcc, s2, v11
	v_mov_b32_e32 v5, 0
	v_mov_b32_e32 v6, 0
	;; [unrolled: 1-line block ×4, first 2 shown]
	s_and_saveexec_b64 s[14:15], vcc
	s_cbranch_execz .LBB28_6
; %bb.3:
	v_add_u32_e32 v2, s18, v11
	global_load_ubyte v6, v2, s[10:11]
	global_load_ubyte v5, v2, s[12:13]
	v_or_b32_e32 v11, 0x300, v0
	v_cmp_gt_u32_e32 vcc, s2, v11
	v_mov_b32_e32 v2, 0
	v_mov_b32_e32 v3, 0
	s_and_saveexec_b64 s[16:17], vcc
	s_cbranch_execz .LBB28_5
; %bb.4:
	v_add_u32_e32 v11, s18, v11
	global_load_ubyte v3, v11, s[10:11]
	global_load_ubyte v2, v11, s[12:13]
.LBB28_5:
	s_or_b64 exec, exec, s[16:17]
.LBB28_6:
	s_or_b64 exec, exec, s[14:15]
.LBB28_7:
	s_or_b64 exec, exec, s[6:7]
.LBB28_8:
	s_or_b64 exec, exec, s[4:5]
	s_and_saveexec_b64 s[4:5], s[0:1]
	s_cbranch_execz .LBB28_24
; %bb.9:
	s_cmp_lt_i32 s3, 1
	s_mov_b64 s[6:7], 0
	s_cbranch_scc1 .LBB28_13
; %bb.10:
	s_cmp_gt_i32 s3, 1
	s_cbranch_scc0 .LBB28_14
; %bb.11:
	s_cmp_eq_u32 s3, 2
	s_cbranch_scc0 .LBB28_15
; %bb.12:
	s_waitcnt vmcnt(0)
	v_cmp_le_i16_sdwa s[10:11], sext(v7), sext(v10) src0_sel:BYTE_0 src1_sel:BYTE_0
	s_mov_b64 s[12:13], 0
	s_branch .LBB28_16
.LBB28_13:
                                        ; implicit-def: $sgpr10_sgpr11
	s_mov_b64 s[12:13], 0
	s_cbranch_execnz .LBB28_19
	s_branch .LBB28_20
.LBB28_14:
	s_mov_b64 s[12:13], 0
                                        ; implicit-def: $sgpr10_sgpr11
	s_cbranch_execnz .LBB28_17
	s_branch .LBB28_18
.LBB28_15:
	s_mov_b64 s[12:13], -1
                                        ; implicit-def: $sgpr10_sgpr11
.LBB28_16:
	s_branch .LBB28_18
.LBB28_17:
	s_waitcnt vmcnt(0)
	v_cmp_gt_i16_sdwa s[14:15], sext(v7), sext(v10) src0_sel:BYTE_0 src1_sel:BYTE_0
	s_andn2_b64 s[10:11], s[10:11], exec
	s_and_b64 s[14:15], s[14:15], exec
	s_or_b64 s[10:11], s[10:11], s[14:15]
.LBB28_18:
	s_branch .LBB28_20
.LBB28_19:
	s_cmp_lg_u32 s3, 0
	s_mov_b64 s[6:7], -1
	s_cselect_b64 s[12:13], -1, 0
.LBB28_20:
	s_andn2_b64 vcc, exec, s[12:13]
	s_cbranch_vccz .LBB28_29
; %bb.21:
	s_andn2_b64 vcc, exec, s[6:7]
	s_cbranch_vccnz .LBB28_23
.LBB28_22:
	s_waitcnt vmcnt(0)
	v_cmp_ge_i16_sdwa s[6:7], sext(v7), sext(v10) src0_sel:BYTE_0 src1_sel:BYTE_0
	s_andn2_b64 s[10:11], s[10:11], exec
	s_and_b64 s[6:7], s[6:7], exec
	s_or_b64 s[10:11], s[10:11], s[6:7]
.LBB28_23:
	v_cndmask_b32_e64 v4, 0, 1, s[10:11]
.LBB28_24:
	s_or_b64 exec, exec, s[4:5]
	s_waitcnt vmcnt(1)
	v_or_b32_e32 v7, 0x100, v0
	v_cmp_gt_i32_e32 vcc, s2, v7
	s_and_saveexec_b64 s[4:5], vcc
	s_cbranch_execz .LBB28_39
; %bb.25:
	s_cmp_lt_i32 s3, 1
	s_mov_b64 s[6:7], 0
	s_cbranch_scc1 .LBB28_30
; %bb.26:
	s_cmp_gt_i32 s3, 1
	s_cbranch_scc0 .LBB28_31
; %bb.27:
	s_cmp_eq_u32 s3, 2
	s_cbranch_scc0 .LBB28_79
; %bb.28:
	s_waitcnt vmcnt(0)
	v_cmp_le_i16_sdwa s[10:11], sext(v8), sext(v9) src0_sel:BYTE_0 src1_sel:BYTE_0
	s_mov_b64 s[12:13], 0
	s_branch .LBB28_33
.LBB28_29:
	s_waitcnt vmcnt(0)
	v_cmp_lt_i16_sdwa s[12:13], sext(v7), sext(v10) src0_sel:BYTE_0 src1_sel:BYTE_0
	s_andn2_b64 s[10:11], s[10:11], exec
	s_and_b64 s[12:13], s[12:13], exec
	s_or_b64 s[10:11], s[10:11], s[12:13]
	s_cbranch_execz .LBB28_22
	s_branch .LBB28_23
.LBB28_30:
                                        ; implicit-def: $sgpr10_sgpr11
	s_mov_b64 s[12:13], 0
	s_cbranch_execnz .LBB28_34
	s_branch .LBB28_35
.LBB28_31:
	s_mov_b64 s[12:13], 0
                                        ; implicit-def: $sgpr10_sgpr11
	s_cbranch_execz .LBB28_33
; %bb.32:
	s_waitcnt vmcnt(0)
	v_cmp_gt_i16_sdwa s[14:15], sext(v8), sext(v9) src0_sel:BYTE_0 src1_sel:BYTE_0
	s_andn2_b64 s[10:11], s[10:11], exec
	s_and_b64 s[14:15], s[14:15], exec
	s_or_b64 s[10:11], s[10:11], s[14:15]
.LBB28_33:
	s_branch .LBB28_35
.LBB28_34:
	s_cmp_lg_u32 s3, 0
	s_mov_b64 s[6:7], -1
	s_cselect_b64 s[12:13], -1, 0
.LBB28_35:
	s_andn2_b64 vcc, exec, s[12:13]
	s_cbranch_vccz .LBB28_44
; %bb.36:
	s_andn2_b64 vcc, exec, s[6:7]
	s_cbranch_vccnz .LBB28_38
.LBB28_37:
	s_waitcnt vmcnt(0)
	v_cmp_ge_i16_sdwa s[6:7], sext(v8), sext(v9) src0_sel:BYTE_0 src1_sel:BYTE_0
	s_andn2_b64 s[10:11], s[10:11], exec
	s_and_b64 s[6:7], s[6:7], exec
	s_or_b64 s[10:11], s[10:11], s[6:7]
.LBB28_38:
	v_cndmask_b32_e64 v8, 0, 1, s[10:11]
	v_lshlrev_b16_e32 v8, 8, v8
	v_or_b32_e32 v4, v4, v8
	v_and_b32_e32 v4, 0xffff, v4
.LBB28_39:
	s_or_b64 exec, exec, s[4:5]
	v_or_b32_e32 v8, 0x200, v0
	v_cmp_gt_i32_e32 vcc, s2, v8
	s_and_saveexec_b64 s[4:5], vcc
	s_cbranch_execz .LBB28_54
; %bb.40:
	s_cmp_lt_i32 s3, 1
	s_mov_b64 s[6:7], 0
	s_cbranch_scc1 .LBB28_45
; %bb.41:
	s_cmp_gt_i32 s3, 1
	s_cbranch_scc0 .LBB28_46
; %bb.42:
	s_cmp_eq_u32 s3, 2
	s_cbranch_scc0 .LBB28_80
; %bb.43:
	s_waitcnt vmcnt(0)
	v_cmp_le_i16_sdwa s[10:11], sext(v6), sext(v5) src0_sel:BYTE_0 src1_sel:BYTE_0
	s_mov_b64 s[12:13], 0
	s_branch .LBB28_48
.LBB28_44:
	s_waitcnt vmcnt(0)
	v_cmp_lt_i16_sdwa s[12:13], sext(v8), sext(v9) src0_sel:BYTE_0 src1_sel:BYTE_0
	s_andn2_b64 s[10:11], s[10:11], exec
	s_and_b64 s[12:13], s[12:13], exec
	s_or_b64 s[10:11], s[10:11], s[12:13]
	s_cbranch_execz .LBB28_37
	s_branch .LBB28_38
.LBB28_45:
                                        ; implicit-def: $sgpr10_sgpr11
	s_mov_b64 s[12:13], 0
	s_cbranch_execnz .LBB28_49
	s_branch .LBB28_50
.LBB28_46:
	s_mov_b64 s[12:13], 0
                                        ; implicit-def: $sgpr10_sgpr11
	s_cbranch_execz .LBB28_48
; %bb.47:
	s_waitcnt vmcnt(0)
	v_cmp_gt_i16_sdwa s[14:15], sext(v6), sext(v5) src0_sel:BYTE_0 src1_sel:BYTE_0
	s_andn2_b64 s[10:11], s[10:11], exec
	s_and_b64 s[14:15], s[14:15], exec
	s_or_b64 s[10:11], s[10:11], s[14:15]
.LBB28_48:
	s_branch .LBB28_50
.LBB28_49:
	s_cmp_lg_u32 s3, 0
	s_mov_b64 s[6:7], -1
	s_cselect_b64 s[12:13], -1, 0
.LBB28_50:
	s_andn2_b64 vcc, exec, s[12:13]
	s_cbranch_vccz .LBB28_59
; %bb.51:
	s_andn2_b64 vcc, exec, s[6:7]
	s_cbranch_vccnz .LBB28_53
.LBB28_52:
	s_waitcnt vmcnt(0)
	v_cmp_ge_i16_sdwa s[6:7], sext(v6), sext(v5) src0_sel:BYTE_0 src1_sel:BYTE_0
	s_andn2_b64 s[10:11], s[10:11], exec
	s_and_b64 s[6:7], s[6:7], exec
	s_or_b64 s[10:11], s[10:11], s[6:7]
.LBB28_53:
	s_waitcnt vmcnt(0)
	v_cndmask_b32_e64 v5, 0, 1, s[10:11]
	v_lshl_or_b32 v4, v5, 16, v4
.LBB28_54:
	s_or_b64 exec, exec, s[4:5]
	s_waitcnt vmcnt(0)
	v_or_b32_e32 v5, 0x300, v0
	v_cmp_gt_i32_e32 vcc, s2, v5
	s_and_saveexec_b64 s[4:5], vcc
	s_cbranch_execz .LBB28_69
; %bb.55:
	s_cmp_lt_i32 s3, 1
	s_mov_b64 s[6:7], 0
	s_cbranch_scc1 .LBB28_60
; %bb.56:
	s_cmp_gt_i32 s3, 1
	s_cbranch_scc0 .LBB28_61
; %bb.57:
	s_cmp_eq_u32 s3, 2
	s_cbranch_scc0 .LBB28_81
; %bb.58:
	v_cmp_le_i16_sdwa s[10:11], sext(v3), sext(v2) src0_sel:BYTE_0 src1_sel:BYTE_0
	s_mov_b64 s[12:13], 0
	s_branch .LBB28_63
.LBB28_59:
	s_waitcnt vmcnt(0)
	v_cmp_lt_i16_sdwa s[12:13], sext(v6), sext(v5) src0_sel:BYTE_0 src1_sel:BYTE_0
	s_andn2_b64 s[10:11], s[10:11], exec
	s_and_b64 s[12:13], s[12:13], exec
	s_or_b64 s[10:11], s[10:11], s[12:13]
	s_cbranch_execz .LBB28_52
	s_branch .LBB28_53
.LBB28_60:
                                        ; implicit-def: $sgpr10_sgpr11
	s_mov_b64 s[12:13], 0
	s_cbranch_execnz .LBB28_64
	s_branch .LBB28_65
.LBB28_61:
	s_mov_b64 s[12:13], 0
                                        ; implicit-def: $sgpr10_sgpr11
	s_cbranch_execz .LBB28_63
; %bb.62:
	v_cmp_gt_i16_sdwa s[14:15], sext(v3), sext(v2) src0_sel:BYTE_0 src1_sel:BYTE_0
	s_andn2_b64 s[10:11], s[10:11], exec
	s_and_b64 s[14:15], s[14:15], exec
	s_or_b64 s[10:11], s[10:11], s[14:15]
.LBB28_63:
	s_branch .LBB28_65
.LBB28_64:
	s_cmp_lg_u32 s3, 0
	s_mov_b64 s[6:7], -1
	s_cselect_b64 s[12:13], -1, 0
.LBB28_65:
	s_andn2_b64 vcc, exec, s[12:13]
	s_cbranch_vccz .LBB28_78
; %bb.66:
	s_andn2_b64 vcc, exec, s[6:7]
	s_cbranch_vccnz .LBB28_68
.LBB28_67:
	v_cmp_ge_i16_sdwa s[6:7], sext(v3), sext(v2) src0_sel:BYTE_0 src1_sel:BYTE_0
	s_andn2_b64 s[10:11], s[10:11], exec
	s_and_b64 s[6:7], s[6:7], exec
	s_or_b64 s[10:11], s[10:11], s[6:7]
.LBB28_68:
	v_cndmask_b32_e64 v2, 0, 1, s[10:11]
	v_lshlrev_b16_e32 v2, 8, v2
	v_or_b32_sdwa v2, v4, v2 dst_sel:WORD_1 dst_unused:UNUSED_PAD src0_sel:WORD_1 src1_sel:DWORD
	s_mov_b32 s3, 0xffff
	v_and_or_b32 v4, v4, s3, v2
.LBB28_69:
	s_or_b64 exec, exec, s[4:5]
	s_and_saveexec_b64 s[4:5], s[0:1]
	s_xor_b64 s[0:1], exec, s[4:5]
	s_cbranch_execz .LBB28_71
; %bb.70:
	v_mov_b32_e32 v0, v7
	global_store_byte v1, v4, s[8:9]
.LBB28_71:
	s_or_b64 exec, exec, s[0:1]
	v_cmp_gt_i32_e32 vcc, s2, v0
	s_and_saveexec_b64 s[0:1], vcc
	s_cbranch_execnz .LBB28_75
; %bb.72:
	s_or_b64 exec, exec, s[0:1]
	v_cmp_gt_i32_e32 vcc, s2, v0
	s_and_saveexec_b64 s[0:1], vcc
	s_cbranch_execnz .LBB28_76
.LBB28_73:
	s_or_b64 exec, exec, s[0:1]
	v_cmp_gt_i32_e32 vcc, s2, v0
	s_and_saveexec_b64 s[0:1], vcc
	s_cbranch_execnz .LBB28_77
.LBB28_74:
	s_endpgm
.LBB28_75:
	v_add_u32_e32 v1, 0x100, v0
	v_add_u32_e32 v0, s18, v0
	v_lshrrev_b32_e32 v2, 8, v4
	global_store_byte v0, v2, s[8:9]
	v_mov_b32_e32 v0, v1
	s_or_b64 exec, exec, s[0:1]
	v_cmp_gt_i32_e32 vcc, s2, v0
	s_and_saveexec_b64 s[0:1], vcc
	s_cbranch_execz .LBB28_73
.LBB28_76:
	v_add_u32_e32 v1, 0x100, v0
	v_add_u32_e32 v0, s18, v0
	global_store_byte_d16_hi v0, v4, s[8:9]
	v_mov_b32_e32 v0, v1
	s_or_b64 exec, exec, s[0:1]
	v_cmp_gt_i32_e32 vcc, s2, v0
	s_and_saveexec_b64 s[0:1], vcc
	s_cbranch_execz .LBB28_74
.LBB28_77:
	v_add_u32_e32 v0, s18, v0
	v_lshrrev_b32_e32 v1, 24, v4
	global_store_byte v0, v1, s[8:9]
	s_endpgm
.LBB28_78:
	v_cmp_lt_i16_sdwa s[12:13], sext(v3), sext(v2) src0_sel:BYTE_0 src1_sel:BYTE_0
	s_andn2_b64 s[10:11], s[10:11], exec
	s_and_b64 s[12:13], s[12:13], exec
	s_or_b64 s[10:11], s[10:11], s[12:13]
	s_cbranch_execz .LBB28_67
	s_branch .LBB28_68
.LBB28_79:
	s_mov_b64 s[12:13], -1
                                        ; implicit-def: $sgpr10_sgpr11
	s_branch .LBB28_33
.LBB28_80:
	s_mov_b64 s[12:13], -1
                                        ; implicit-def: $sgpr10_sgpr11
	s_branch .LBB28_48
.LBB28_81:
	s_mov_b64 s[12:13], -1
                                        ; implicit-def: $sgpr10_sgpr11
	s_branch .LBB28_63
	.section	.rodata,"a",@progbits
	.p2align	6, 0x0
	.amdhsa_kernel _ZN2at6native27unrolled_elementwise_kernelINS0_12_GLOBAL__N_114CompareFunctorIaEESt5arrayIPcLm3EELi4E23TrivialOffsetCalculatorILi2EjES8_ILi1EjENS0_6memory15LoadWithoutCastENSB_16StoreWithoutCastEEEviT_T0_T2_T3_T4_T5_
		.amdhsa_group_segment_fixed_size 0
		.amdhsa_private_segment_fixed_size 0
		.amdhsa_kernarg_size 36
		.amdhsa_user_sgpr_count 6
		.amdhsa_user_sgpr_private_segment_buffer 1
		.amdhsa_user_sgpr_dispatch_ptr 0
		.amdhsa_user_sgpr_queue_ptr 0
		.amdhsa_user_sgpr_kernarg_segment_ptr 1
		.amdhsa_user_sgpr_dispatch_id 0
		.amdhsa_user_sgpr_flat_scratch_init 0
		.amdhsa_user_sgpr_private_segment_size 0
		.amdhsa_uses_dynamic_stack 0
		.amdhsa_system_sgpr_private_segment_wavefront_offset 0
		.amdhsa_system_sgpr_workgroup_id_x 1
		.amdhsa_system_sgpr_workgroup_id_y 0
		.amdhsa_system_sgpr_workgroup_id_z 0
		.amdhsa_system_sgpr_workgroup_info 0
		.amdhsa_system_vgpr_workitem_id 0
		.amdhsa_next_free_vgpr 12
		.amdhsa_next_free_sgpr 19
		.amdhsa_reserve_vcc 1
		.amdhsa_reserve_flat_scratch 0
		.amdhsa_float_round_mode_32 0
		.amdhsa_float_round_mode_16_64 0
		.amdhsa_float_denorm_mode_32 3
		.amdhsa_float_denorm_mode_16_64 3
		.amdhsa_dx10_clamp 1
		.amdhsa_ieee_mode 1
		.amdhsa_fp16_overflow 0
		.amdhsa_exception_fp_ieee_invalid_op 0
		.amdhsa_exception_fp_denorm_src 0
		.amdhsa_exception_fp_ieee_div_zero 0
		.amdhsa_exception_fp_ieee_overflow 0
		.amdhsa_exception_fp_ieee_underflow 0
		.amdhsa_exception_fp_ieee_inexact 0
		.amdhsa_exception_int_div_zero 0
	.end_amdhsa_kernel
	.section	.text._ZN2at6native27unrolled_elementwise_kernelINS0_12_GLOBAL__N_114CompareFunctorIaEESt5arrayIPcLm3EELi4E23TrivialOffsetCalculatorILi2EjES8_ILi1EjENS0_6memory15LoadWithoutCastENSB_16StoreWithoutCastEEEviT_T0_T2_T3_T4_T5_,"axG",@progbits,_ZN2at6native27unrolled_elementwise_kernelINS0_12_GLOBAL__N_114CompareFunctorIaEESt5arrayIPcLm3EELi4E23TrivialOffsetCalculatorILi2EjES8_ILi1EjENS0_6memory15LoadWithoutCastENSB_16StoreWithoutCastEEEviT_T0_T2_T3_T4_T5_,comdat
.Lfunc_end28:
	.size	_ZN2at6native27unrolled_elementwise_kernelINS0_12_GLOBAL__N_114CompareFunctorIaEESt5arrayIPcLm3EELi4E23TrivialOffsetCalculatorILi2EjES8_ILi1EjENS0_6memory15LoadWithoutCastENSB_16StoreWithoutCastEEEviT_T0_T2_T3_T4_T5_, .Lfunc_end28-_ZN2at6native27unrolled_elementwise_kernelINS0_12_GLOBAL__N_114CompareFunctorIaEESt5arrayIPcLm3EELi4E23TrivialOffsetCalculatorILi2EjES8_ILi1EjENS0_6memory15LoadWithoutCastENSB_16StoreWithoutCastEEEviT_T0_T2_T3_T4_T5_
                                        ; -- End function
	.set _ZN2at6native27unrolled_elementwise_kernelINS0_12_GLOBAL__N_114CompareFunctorIaEESt5arrayIPcLm3EELi4E23TrivialOffsetCalculatorILi2EjES8_ILi1EjENS0_6memory15LoadWithoutCastENSB_16StoreWithoutCastEEEviT_T0_T2_T3_T4_T5_.num_vgpr, 12
	.set _ZN2at6native27unrolled_elementwise_kernelINS0_12_GLOBAL__N_114CompareFunctorIaEESt5arrayIPcLm3EELi4E23TrivialOffsetCalculatorILi2EjES8_ILi1EjENS0_6memory15LoadWithoutCastENSB_16StoreWithoutCastEEEviT_T0_T2_T3_T4_T5_.num_agpr, 0
	.set _ZN2at6native27unrolled_elementwise_kernelINS0_12_GLOBAL__N_114CompareFunctorIaEESt5arrayIPcLm3EELi4E23TrivialOffsetCalculatorILi2EjES8_ILi1EjENS0_6memory15LoadWithoutCastENSB_16StoreWithoutCastEEEviT_T0_T2_T3_T4_T5_.numbered_sgpr, 19
	.set _ZN2at6native27unrolled_elementwise_kernelINS0_12_GLOBAL__N_114CompareFunctorIaEESt5arrayIPcLm3EELi4E23TrivialOffsetCalculatorILi2EjES8_ILi1EjENS0_6memory15LoadWithoutCastENSB_16StoreWithoutCastEEEviT_T0_T2_T3_T4_T5_.num_named_barrier, 0
	.set _ZN2at6native27unrolled_elementwise_kernelINS0_12_GLOBAL__N_114CompareFunctorIaEESt5arrayIPcLm3EELi4E23TrivialOffsetCalculatorILi2EjES8_ILi1EjENS0_6memory15LoadWithoutCastENSB_16StoreWithoutCastEEEviT_T0_T2_T3_T4_T5_.private_seg_size, 0
	.set _ZN2at6native27unrolled_elementwise_kernelINS0_12_GLOBAL__N_114CompareFunctorIaEESt5arrayIPcLm3EELi4E23TrivialOffsetCalculatorILi2EjES8_ILi1EjENS0_6memory15LoadWithoutCastENSB_16StoreWithoutCastEEEviT_T0_T2_T3_T4_T5_.uses_vcc, 1
	.set _ZN2at6native27unrolled_elementwise_kernelINS0_12_GLOBAL__N_114CompareFunctorIaEESt5arrayIPcLm3EELi4E23TrivialOffsetCalculatorILi2EjES8_ILi1EjENS0_6memory15LoadWithoutCastENSB_16StoreWithoutCastEEEviT_T0_T2_T3_T4_T5_.uses_flat_scratch, 0
	.set _ZN2at6native27unrolled_elementwise_kernelINS0_12_GLOBAL__N_114CompareFunctorIaEESt5arrayIPcLm3EELi4E23TrivialOffsetCalculatorILi2EjES8_ILi1EjENS0_6memory15LoadWithoutCastENSB_16StoreWithoutCastEEEviT_T0_T2_T3_T4_T5_.has_dyn_sized_stack, 0
	.set _ZN2at6native27unrolled_elementwise_kernelINS0_12_GLOBAL__N_114CompareFunctorIaEESt5arrayIPcLm3EELi4E23TrivialOffsetCalculatorILi2EjES8_ILi1EjENS0_6memory15LoadWithoutCastENSB_16StoreWithoutCastEEEviT_T0_T2_T3_T4_T5_.has_recursion, 0
	.set _ZN2at6native27unrolled_elementwise_kernelINS0_12_GLOBAL__N_114CompareFunctorIaEESt5arrayIPcLm3EELi4E23TrivialOffsetCalculatorILi2EjES8_ILi1EjENS0_6memory15LoadWithoutCastENSB_16StoreWithoutCastEEEviT_T0_T2_T3_T4_T5_.has_indirect_call, 0
	.section	.AMDGPU.csdata,"",@progbits
; Kernel info:
; codeLenInByte = 1392
; TotalNumSgprs: 23
; NumVgprs: 12
; ScratchSize: 0
; MemoryBound: 0
; FloatMode: 240
; IeeeMode: 1
; LDSByteSize: 0 bytes/workgroup (compile time only)
; SGPRBlocks: 2
; VGPRBlocks: 2
; NumSGPRsForWavesPerEU: 23
; NumVGPRsForWavesPerEU: 12
; Occupancy: 10
; WaveLimiterHint : 0
; COMPUTE_PGM_RSRC2:SCRATCH_EN: 0
; COMPUTE_PGM_RSRC2:USER_SGPR: 6
; COMPUTE_PGM_RSRC2:TRAP_HANDLER: 0
; COMPUTE_PGM_RSRC2:TGID_X_EN: 1
; COMPUTE_PGM_RSRC2:TGID_Y_EN: 0
; COMPUTE_PGM_RSRC2:TGID_Z_EN: 0
; COMPUTE_PGM_RSRC2:TIDIG_COMP_CNT: 0
	.section	.text._ZN2at6native32elementwise_kernel_manual_unrollILi128ELi8EZNS0_22gpu_kernel_impl_nocastINS0_12_GLOBAL__N_114CompareFunctorIaEEEEvRNS_18TensorIteratorBaseERKT_EUlibE_EEviT1_,"axG",@progbits,_ZN2at6native32elementwise_kernel_manual_unrollILi128ELi8EZNS0_22gpu_kernel_impl_nocastINS0_12_GLOBAL__N_114CompareFunctorIaEEEEvRNS_18TensorIteratorBaseERKT_EUlibE_EEviT1_,comdat
	.globl	_ZN2at6native32elementwise_kernel_manual_unrollILi128ELi8EZNS0_22gpu_kernel_impl_nocastINS0_12_GLOBAL__N_114CompareFunctorIaEEEEvRNS_18TensorIteratorBaseERKT_EUlibE_EEviT1_ ; -- Begin function _ZN2at6native32elementwise_kernel_manual_unrollILi128ELi8EZNS0_22gpu_kernel_impl_nocastINS0_12_GLOBAL__N_114CompareFunctorIaEEEEvRNS_18TensorIteratorBaseERKT_EUlibE_EEviT1_
	.p2align	8
	.type	_ZN2at6native32elementwise_kernel_manual_unrollILi128ELi8EZNS0_22gpu_kernel_impl_nocastINS0_12_GLOBAL__N_114CompareFunctorIaEEEEvRNS_18TensorIteratorBaseERKT_EUlibE_EEviT1_,@function
_ZN2at6native32elementwise_kernel_manual_unrollILi128ELi8EZNS0_22gpu_kernel_impl_nocastINS0_12_GLOBAL__N_114CompareFunctorIaEEEEvRNS_18TensorIteratorBaseERKT_EUlibE_EEviT1_: ; @_ZN2at6native32elementwise_kernel_manual_unrollILi128ELi8EZNS0_22gpu_kernel_impl_nocastINS0_12_GLOBAL__N_114CompareFunctorIaEEEEvRNS_18TensorIteratorBaseERKT_EUlibE_EEviT1_
; %bb.0:
	s_load_dword s43, s[4:5], 0x0
	s_load_dword s33, s[4:5], 0x8
	s_add_u32 s12, s4, 8
	s_addc_u32 s13, s5, 0
	v_lshl_or_b32 v21, s6, 10, v0
	v_or_b32_e32 v37, 0x380, v21
	s_waitcnt lgkmcnt(0)
	s_add_i32 s40, s33, -1
	s_cmp_gt_u32 s40, 1
	v_cmp_le_i32_e32 vcc, s43, v37
	s_cselect_b64 s[14:15], -1, 0
	s_and_saveexec_b64 s[0:1], vcc
	s_xor_b64 s[16:17], exec, s[0:1]
	s_cbranch_execz .LBB29_211
; %bb.1:
	s_load_dwordx4 s[8:11], s[12:13], 0x4
	s_load_dwordx2 s[22:23], s[12:13], 0x14
	s_load_dwordx4 s[4:7], s[12:13], 0xc4
	s_load_dwordx2 s[20:21], s[12:13], 0xd4
	s_load_dwordx2 s[18:19], s[12:13], 0x198
	s_load_dwordx4 s[0:3], s[12:13], 0x188
	s_load_dword s41, s[12:13], 0x1a0
	s_cmp_lg_u32 s33, 0
	s_cselect_b64 s[26:27], -1, 0
	s_min_u32 s42, s40, 15
	s_cmp_gt_u32 s33, 1
	s_cselect_b64 s[24:25], -1, 0
	v_cmp_gt_i32_e32 vcc, s43, v21
	s_and_saveexec_b64 s[28:29], vcc
	s_cbranch_execnz .LBB29_9
; %bb.2:
	s_or_b64 exec, exec, s[28:29]
	v_cmp_gt_i32_e32 vcc, s43, v21
	s_and_saveexec_b64 s[28:29], vcc
	s_cbranch_execnz .LBB29_35
.LBB29_3:
	s_or_b64 exec, exec, s[28:29]
	v_cmp_gt_i32_e32 vcc, s43, v21
	s_and_saveexec_b64 s[28:29], vcc
	s_cbranch_execnz .LBB29_60
.LBB29_4:
	s_or_b64 exec, exec, s[28:29]
	v_cmp_gt_i32_e32 vcc, s43, v21
	s_and_saveexec_b64 s[28:29], vcc
	s_cbranch_execnz .LBB29_85
.LBB29_5:
	s_or_b64 exec, exec, s[28:29]
	v_cmp_gt_i32_e32 vcc, s43, v21
	s_and_saveexec_b64 s[28:29], vcc
	s_cbranch_execnz .LBB29_110
.LBB29_6:
	s_or_b64 exec, exec, s[28:29]
	v_cmp_gt_i32_e32 vcc, s43, v21
	s_and_saveexec_b64 s[28:29], vcc
	s_cbranch_execnz .LBB29_135
.LBB29_7:
	s_or_b64 exec, exec, s[28:29]
	v_cmp_gt_i32_e32 vcc, s43, v21
	s_and_saveexec_b64 s[28:29], vcc
	s_cbranch_execnz .LBB29_160
.LBB29_8:
	s_or_b64 exec, exec, s[28:29]
	v_cmp_gt_i32_e32 vcc, s43, v21
	s_and_saveexec_b64 s[28:29], vcc
	s_cbranch_execnz .LBB29_185
	s_branch .LBB29_210
.LBB29_9:
	s_andn2_b64 vcc, exec, s[14:15]
	s_cbranch_vccnz .LBB29_15
; %bb.10:
	s_andn2_b64 vcc, exec, s[26:27]
	s_cbranch_vccnz .LBB29_16
; %bb.11:
	s_add_i32 s30, s42, 1
	s_and_b32 s34, s30, 30
	s_add_u32 s30, s12, 0xffffffe8
	s_addc_u32 s31, s13, -1
	v_mov_b32_e32 v2, 0
	v_mov_b32_e32 v4, 0
	v_mov_b32_e32 v0, 0
	v_mov_b32_e32 v1, v21
.LBB29_12:                              ; =>This Inner Loop Header: Depth=1
	s_load_dwordx4 s[36:39], s[30:31], 0x1c
	s_load_dwordx2 s[48:49], s[30:31], 0x2c
	s_load_dwordx2 s[50:51], s[30:31], 0xec
	s_load_dwordx4 s[44:47], s[30:31], 0xdc
	s_add_u32 s30, s30, 24
	s_waitcnt lgkmcnt(0)
	v_mul_hi_u32 v3, s37, v1
	s_addc_u32 s31, s31, 0
	s_add_i32 s34, s34, -2
	s_cmp_lg_u32 s34, 0
	v_add_u32_e32 v3, v1, v3
	v_lshrrev_b32_e32 v3, s38, v3
	v_mul_lo_u32 v5, v3, s36
	v_mul_hi_u32 v6, s48, v3
	v_sub_u32_e32 v5, v1, v5
	v_add_u32_e32 v1, v3, v6
	v_lshrrev_b32_e32 v1, s49, v1
	v_mul_lo_u32 v8, v1, s39
	v_mul_lo_u32 v6, v5, s44
	;; [unrolled: 1-line block ×4, first 2 shown]
	v_sub_u32_e32 v3, v3, v8
	v_mul_lo_u32 v8, v3, s47
	v_mul_lo_u32 v9, v3, s50
	;; [unrolled: 1-line block ×3, first 2 shown]
	v_add3_u32 v0, v6, v0, v8
	v_add3_u32 v4, v7, v4, v9
	;; [unrolled: 1-line block ×3, first 2 shown]
	s_cbranch_scc1 .LBB29_12
; %bb.13:
	s_bitcmp1_b32 s42, 0
	s_cselect_b64 s[34:35], -1, 0
	s_and_b64 vcc, exec, s[34:35]
	s_cbranch_vccnz .LBB29_17
; %bb.14:
	s_load_dwordx2 s[34:35], s[30:31], 0x1c
	s_load_dword s38, s[30:31], 0x24
	s_load_dwordx2 s[36:37], s[30:31], 0xdc
	s_waitcnt lgkmcnt(0)
	v_mul_hi_u32 v3, s35, v1
	v_add_u32_e32 v3, v1, v3
	v_lshrrev_b32_e32 v3, s38, v3
	v_mul_lo_u32 v3, v3, s34
	s_load_dword s34, s[30:31], 0xe4
	v_sub_u32_e32 v3, v1, v3
	v_mad_u64_u32 v[0:1], s[30:31], v3, s36, v[0:1]
	v_mad_u64_u32 v[4:5], s[30:31], v3, s37, v[4:5]
	s_waitcnt lgkmcnt(0)
	v_mad_u64_u32 v[2:3], s[30:31], v3, s34, v[2:3]
	s_cbranch_execz .LBB29_18
	s_branch .LBB29_20
.LBB29_15:
                                        ; implicit-def: $vgpr0
                                        ; implicit-def: $vgpr4
                                        ; implicit-def: $vgpr2
	s_branch .LBB29_18
.LBB29_16:
	v_mov_b32_e32 v0, 0
	v_mov_b32_e32 v4, 0
	;; [unrolled: 1-line block ×3, first 2 shown]
.LBB29_17:
	s_cbranch_execnz .LBB29_20
.LBB29_18:
	s_waitcnt lgkmcnt(0)
	v_mul_hi_u32 v0, s9, v21
	s_andn2_b64 vcc, exec, s[24:25]
	v_add_u32_e32 v0, v21, v0
	v_lshrrev_b32_e32 v1, s10, v0
	v_mul_lo_u32 v0, v1, s8
	v_sub_u32_e32 v2, v21, v0
	v_mul_lo_u32 v0, v2, s4
	v_mul_lo_u32 v4, v2, s5
	;; [unrolled: 1-line block ×3, first 2 shown]
	s_cbranch_vccnz .LBB29_20
; %bb.19:
	v_mul_hi_u32 v3, s22, v1
	v_add_u32_e32 v3, v1, v3
	v_lshrrev_b32_e32 v3, s23, v3
	v_mul_lo_u32 v3, v3, s11
	v_sub_u32_e32 v3, v1, v3
	v_mad_u64_u32 v[0:1], s[30:31], v3, s7, v[0:1]
	v_mad_u64_u32 v[4:5], s[30:31], v3, s20, v[4:5]
	;; [unrolled: 1-line block ×3, first 2 shown]
.LBB29_20:
	s_waitcnt lgkmcnt(0)
	global_load_sbyte v1, v4, s[2:3]
	global_load_sbyte v3, v2, s[18:19]
	s_cmp_lt_i32 s41, 1
	s_mov_b64 s[30:31], 0
	s_cbranch_scc1 .LBB29_24
; %bb.21:
	s_cmp_gt_i32 s41, 1
	s_cbranch_scc0 .LBB29_25
; %bb.22:
	s_cmp_eq_u32 s41, 2
	s_cbranch_scc0 .LBB29_26
; %bb.23:
	s_waitcnt vmcnt(0)
	v_cmp_le_i16_e64 s[34:35], v1, v3
	s_mov_b64 s[36:37], 0
	s_branch .LBB29_27
.LBB29_24:
                                        ; implicit-def: $sgpr34_sgpr35
	s_mov_b64 s[36:37], 0
	s_cbranch_execnz .LBB29_30
	s_branch .LBB29_31
.LBB29_25:
	s_mov_b64 s[36:37], 0
                                        ; implicit-def: $sgpr34_sgpr35
	s_cbranch_execnz .LBB29_28
	s_branch .LBB29_29
.LBB29_26:
	s_mov_b64 s[36:37], -1
                                        ; implicit-def: $sgpr34_sgpr35
.LBB29_27:
	s_branch .LBB29_29
.LBB29_28:
	s_waitcnt vmcnt(0)
	v_cmp_gt_i16_e32 vcc, v1, v3
	s_andn2_b64 s[34:35], s[34:35], exec
	s_and_b64 s[38:39], vcc, exec
	s_or_b64 s[34:35], s[34:35], s[38:39]
.LBB29_29:
	s_branch .LBB29_31
.LBB29_30:
	s_cmp_lg_u32 s41, 0
	s_mov_b64 s[30:31], -1
	s_cselect_b64 s[36:37], -1, 0
.LBB29_31:
	s_andn2_b64 vcc, exec, s[36:37]
	s_cbranch_vccz .LBB29_41
; %bb.32:
	s_andn2_b64 vcc, exec, s[30:31]
	s_cbranch_vccnz .LBB29_34
.LBB29_33:
	s_waitcnt vmcnt(0)
	v_cmp_ge_i16_e32 vcc, v1, v3
	s_andn2_b64 s[30:31], s[34:35], exec
	s_and_b64 s[34:35], vcc, exec
	s_or_b64 s[34:35], s[30:31], s[34:35]
.LBB29_34:
	s_waitcnt vmcnt(1)
	v_cndmask_b32_e64 v1, 0, 1, s[34:35]
	v_add_u32_e32 v21, 0x80, v21
	global_store_byte v0, v1, s[0:1]
	s_or_b64 exec, exec, s[28:29]
	v_cmp_gt_i32_e32 vcc, s43, v21
	s_and_saveexec_b64 s[28:29], vcc
	s_cbranch_execz .LBB29_3
.LBB29_35:
	s_andn2_b64 vcc, exec, s[14:15]
	s_cbranch_vccnz .LBB29_42
; %bb.36:
	s_andn2_b64 vcc, exec, s[26:27]
	s_cbranch_vccnz .LBB29_43
; %bb.37:
	s_add_i32 s30, s42, 1
	s_and_b32 s34, s30, 30
	s_add_u32 s30, s12, 0xffffffe8
	s_addc_u32 s31, s13, -1
	v_mov_b32_e32 v2, 0
	v_mov_b32_e32 v4, 0
	v_mov_b32_e32 v0, 0
	v_mov_b32_e32 v1, v21
.LBB29_38:                              ; =>This Inner Loop Header: Depth=1
	s_load_dwordx4 s[36:39], s[30:31], 0x1c
	s_load_dwordx2 s[48:49], s[30:31], 0x2c
	s_load_dwordx2 s[50:51], s[30:31], 0xec
	s_load_dwordx4 s[44:47], s[30:31], 0xdc
	s_add_u32 s30, s30, 24
	s_waitcnt vmcnt(1) lgkmcnt(0)
	v_mul_hi_u32 v3, s37, v1
	s_addc_u32 s31, s31, 0
	s_add_i32 s34, s34, -2
	s_cmp_eq_u32 s34, 0
	v_add_u32_e32 v3, v1, v3
	v_lshrrev_b32_e32 v3, s38, v3
	v_mul_lo_u32 v5, v3, s36
	v_mul_hi_u32 v6, s48, v3
	v_sub_u32_e32 v5, v1, v5
	v_add_u32_e32 v1, v3, v6
	v_lshrrev_b32_e32 v1, s49, v1
	v_mul_lo_u32 v8, v1, s39
	v_mul_lo_u32 v6, v5, s44
	;; [unrolled: 1-line block ×4, first 2 shown]
	v_sub_u32_e32 v3, v3, v8
	v_mul_lo_u32 v8, v3, s47
	v_mul_lo_u32 v9, v3, s50
	;; [unrolled: 1-line block ×3, first 2 shown]
	v_add3_u32 v0, v6, v0, v8
	v_add3_u32 v4, v7, v4, v9
	;; [unrolled: 1-line block ×3, first 2 shown]
	s_cbranch_scc0 .LBB29_38
; %bb.39:
	s_bitcmp1_b32 s42, 0
	s_cselect_b64 s[34:35], -1, 0
	s_and_b64 vcc, exec, s[34:35]
	s_cbranch_vccnz .LBB29_44
; %bb.40:
	s_load_dwordx2 s[34:35], s[30:31], 0x1c
	s_load_dword s38, s[30:31], 0x24
	s_load_dwordx2 s[36:37], s[30:31], 0xdc
	s_waitcnt lgkmcnt(0)
	v_mul_hi_u32 v3, s35, v1
	v_add_u32_e32 v3, v1, v3
	v_lshrrev_b32_e32 v3, s38, v3
	v_mul_lo_u32 v3, v3, s34
	s_load_dword s34, s[30:31], 0xe4
	v_sub_u32_e32 v3, v1, v3
	v_mad_u64_u32 v[0:1], s[30:31], v3, s36, v[0:1]
	v_mad_u64_u32 v[4:5], s[30:31], v3, s37, v[4:5]
	s_waitcnt lgkmcnt(0)
	v_mad_u64_u32 v[2:3], s[30:31], v3, s34, v[2:3]
	s_branch .LBB29_44
.LBB29_41:
	s_waitcnt vmcnt(0)
	v_cmp_lt_i16_e32 vcc, v1, v3
	s_andn2_b64 s[34:35], s[34:35], exec
	s_and_b64 s[36:37], vcc, exec
	s_or_b64 s[34:35], s[34:35], s[36:37]
	s_cbranch_execz .LBB29_33
	s_branch .LBB29_34
.LBB29_42:
                                        ; implicit-def: $vgpr0
                                        ; implicit-def: $vgpr4
                                        ; implicit-def: $vgpr2
	s_branch .LBB29_45
.LBB29_43:
	v_mov_b32_e32 v0, 0
	v_mov_b32_e32 v4, 0
	;; [unrolled: 1-line block ×3, first 2 shown]
.LBB29_44:
	s_cbranch_execnz .LBB29_47
.LBB29_45:
	s_waitcnt lgkmcnt(0)
	v_mul_hi_u32 v0, s9, v21
	s_andn2_b64 vcc, exec, s[24:25]
	v_add_u32_e32 v0, v21, v0
	v_lshrrev_b32_e32 v1, s10, v0
	v_mul_lo_u32 v0, v1, s8
	v_sub_u32_e32 v2, v21, v0
	v_mul_lo_u32 v0, v2, s4
	v_mul_lo_u32 v4, v2, s5
	v_mul_lo_u32 v2, v2, s6
	s_cbranch_vccnz .LBB29_47
; %bb.46:
	s_waitcnt vmcnt(1)
	v_mul_hi_u32 v3, s22, v1
	v_add_u32_e32 v3, v1, v3
	v_lshrrev_b32_e32 v3, s23, v3
	v_mul_lo_u32 v3, v3, s11
	v_sub_u32_e32 v3, v1, v3
	v_mad_u64_u32 v[0:1], s[30:31], v3, s7, v[0:1]
	v_mad_u64_u32 v[4:5], s[30:31], v3, s20, v[4:5]
	;; [unrolled: 1-line block ×3, first 2 shown]
.LBB29_47:
	s_waitcnt lgkmcnt(0)
	global_load_sbyte v1, v4, s[2:3]
	global_load_sbyte v3, v2, s[18:19]
	s_cmp_lt_i32 s41, 1
	s_mov_b64 s[30:31], 0
	s_cbranch_scc1 .LBB29_51
; %bb.48:
	s_cmp_gt_i32 s41, 1
	s_cbranch_scc0 .LBB29_52
; %bb.49:
	s_cmp_eq_u32 s41, 2
	s_cbranch_scc0 .LBB29_423
; %bb.50:
	s_waitcnt vmcnt(0)
	v_cmp_le_i16_e64 s[34:35], v1, v3
	s_mov_b64 s[36:37], 0
	s_branch .LBB29_54
.LBB29_51:
                                        ; implicit-def: $sgpr34_sgpr35
	s_mov_b64 s[36:37], 0
	s_cbranch_execnz .LBB29_55
	s_branch .LBB29_56
.LBB29_52:
	s_mov_b64 s[36:37], 0
                                        ; implicit-def: $sgpr34_sgpr35
	s_cbranch_execz .LBB29_54
; %bb.53:
	s_waitcnt vmcnt(0)
	v_cmp_gt_i16_e32 vcc, v1, v3
	s_andn2_b64 s[34:35], s[34:35], exec
	s_and_b64 s[38:39], vcc, exec
	s_or_b64 s[34:35], s[34:35], s[38:39]
.LBB29_54:
	s_branch .LBB29_56
.LBB29_55:
	s_cmp_lg_u32 s41, 0
	s_mov_b64 s[30:31], -1
	s_cselect_b64 s[36:37], -1, 0
.LBB29_56:
	s_andn2_b64 vcc, exec, s[36:37]
	s_cbranch_vccz .LBB29_66
; %bb.57:
	s_andn2_b64 vcc, exec, s[30:31]
	s_cbranch_vccnz .LBB29_59
.LBB29_58:
	s_waitcnt vmcnt(0)
	v_cmp_ge_i16_e32 vcc, v1, v3
	s_andn2_b64 s[30:31], s[34:35], exec
	s_and_b64 s[34:35], vcc, exec
	s_or_b64 s[34:35], s[30:31], s[34:35]
.LBB29_59:
	s_waitcnt vmcnt(1)
	v_cndmask_b32_e64 v1, 0, 1, s[34:35]
	v_add_u32_e32 v21, 0x80, v21
	global_store_byte v0, v1, s[0:1]
	s_or_b64 exec, exec, s[28:29]
	v_cmp_gt_i32_e32 vcc, s43, v21
	s_and_saveexec_b64 s[28:29], vcc
	s_cbranch_execz .LBB29_4
.LBB29_60:
	s_andn2_b64 vcc, exec, s[14:15]
	s_cbranch_vccnz .LBB29_67
; %bb.61:
	s_andn2_b64 vcc, exec, s[26:27]
	s_cbranch_vccnz .LBB29_68
; %bb.62:
	s_add_i32 s30, s42, 1
	s_and_b32 s34, s30, 30
	s_add_u32 s30, s12, 0xffffffe8
	s_addc_u32 s31, s13, -1
	v_mov_b32_e32 v2, 0
	v_mov_b32_e32 v4, 0
	;; [unrolled: 1-line block ×4, first 2 shown]
.LBB29_63:                              ; =>This Inner Loop Header: Depth=1
	s_load_dwordx4 s[36:39], s[30:31], 0x1c
	s_load_dwordx2 s[48:49], s[30:31], 0x2c
	s_load_dwordx2 s[50:51], s[30:31], 0xec
	s_load_dwordx4 s[44:47], s[30:31], 0xdc
	s_add_u32 s30, s30, 24
	s_waitcnt vmcnt(1) lgkmcnt(0)
	v_mul_hi_u32 v3, s37, v1
	s_addc_u32 s31, s31, 0
	s_add_i32 s34, s34, -2
	s_cmp_eq_u32 s34, 0
	v_add_u32_e32 v3, v1, v3
	v_lshrrev_b32_e32 v3, s38, v3
	v_mul_lo_u32 v5, v3, s36
	v_mul_hi_u32 v6, s48, v3
	v_sub_u32_e32 v5, v1, v5
	v_add_u32_e32 v1, v3, v6
	v_lshrrev_b32_e32 v1, s49, v1
	v_mul_lo_u32 v8, v1, s39
	v_mul_lo_u32 v6, v5, s44
	;; [unrolled: 1-line block ×4, first 2 shown]
	v_sub_u32_e32 v3, v3, v8
	v_mul_lo_u32 v8, v3, s47
	v_mul_lo_u32 v9, v3, s50
	;; [unrolled: 1-line block ×3, first 2 shown]
	v_add3_u32 v0, v6, v0, v8
	v_add3_u32 v4, v7, v4, v9
	;; [unrolled: 1-line block ×3, first 2 shown]
	s_cbranch_scc0 .LBB29_63
; %bb.64:
	s_bitcmp1_b32 s42, 0
	s_cselect_b64 s[34:35], -1, 0
	s_and_b64 vcc, exec, s[34:35]
	s_cbranch_vccnz .LBB29_69
; %bb.65:
	s_load_dwordx2 s[34:35], s[30:31], 0x1c
	s_load_dword s38, s[30:31], 0x24
	s_load_dwordx2 s[36:37], s[30:31], 0xdc
	s_waitcnt lgkmcnt(0)
	v_mul_hi_u32 v3, s35, v1
	v_add_u32_e32 v3, v1, v3
	v_lshrrev_b32_e32 v3, s38, v3
	v_mul_lo_u32 v3, v3, s34
	s_load_dword s34, s[30:31], 0xe4
	v_sub_u32_e32 v3, v1, v3
	v_mad_u64_u32 v[0:1], s[30:31], v3, s36, v[0:1]
	v_mad_u64_u32 v[4:5], s[30:31], v3, s37, v[4:5]
	s_waitcnt lgkmcnt(0)
	v_mad_u64_u32 v[2:3], s[30:31], v3, s34, v[2:3]
	s_branch .LBB29_69
.LBB29_66:
	s_waitcnt vmcnt(0)
	v_cmp_lt_i16_e32 vcc, v1, v3
	s_andn2_b64 s[34:35], s[34:35], exec
	s_and_b64 s[36:37], vcc, exec
	s_or_b64 s[34:35], s[34:35], s[36:37]
	s_cbranch_execz .LBB29_58
	s_branch .LBB29_59
.LBB29_67:
                                        ; implicit-def: $vgpr0
                                        ; implicit-def: $vgpr4
                                        ; implicit-def: $vgpr2
	s_branch .LBB29_70
.LBB29_68:
	v_mov_b32_e32 v0, 0
	v_mov_b32_e32 v4, 0
	;; [unrolled: 1-line block ×3, first 2 shown]
.LBB29_69:
	s_cbranch_execnz .LBB29_72
.LBB29_70:
	s_waitcnt lgkmcnt(0)
	v_mul_hi_u32 v0, s9, v21
	s_andn2_b64 vcc, exec, s[24:25]
	v_add_u32_e32 v0, v21, v0
	v_lshrrev_b32_e32 v1, s10, v0
	v_mul_lo_u32 v0, v1, s8
	v_sub_u32_e32 v2, v21, v0
	v_mul_lo_u32 v0, v2, s4
	v_mul_lo_u32 v4, v2, s5
	;; [unrolled: 1-line block ×3, first 2 shown]
	s_cbranch_vccnz .LBB29_72
; %bb.71:
	s_waitcnt vmcnt(1)
	v_mul_hi_u32 v3, s22, v1
	v_add_u32_e32 v3, v1, v3
	v_lshrrev_b32_e32 v3, s23, v3
	v_mul_lo_u32 v3, v3, s11
	v_sub_u32_e32 v3, v1, v3
	v_mad_u64_u32 v[0:1], s[30:31], v3, s7, v[0:1]
	v_mad_u64_u32 v[4:5], s[30:31], v3, s20, v[4:5]
	;; [unrolled: 1-line block ×3, first 2 shown]
.LBB29_72:
	s_waitcnt lgkmcnt(0)
	global_load_sbyte v1, v4, s[2:3]
	global_load_sbyte v3, v2, s[18:19]
	s_cmp_lt_i32 s41, 1
	s_mov_b64 s[30:31], 0
	s_cbranch_scc1 .LBB29_76
; %bb.73:
	s_cmp_gt_i32 s41, 1
	s_cbranch_scc0 .LBB29_77
; %bb.74:
	s_cmp_eq_u32 s41, 2
	s_cbranch_scc0 .LBB29_424
; %bb.75:
	s_waitcnt vmcnt(0)
	v_cmp_le_i16_e64 s[34:35], v1, v3
	s_mov_b64 s[36:37], 0
	s_branch .LBB29_79
.LBB29_76:
                                        ; implicit-def: $sgpr34_sgpr35
	s_mov_b64 s[36:37], 0
	s_cbranch_execnz .LBB29_80
	s_branch .LBB29_81
.LBB29_77:
	s_mov_b64 s[36:37], 0
                                        ; implicit-def: $sgpr34_sgpr35
	s_cbranch_execz .LBB29_79
; %bb.78:
	s_waitcnt vmcnt(0)
	v_cmp_gt_i16_e32 vcc, v1, v3
	s_andn2_b64 s[34:35], s[34:35], exec
	s_and_b64 s[38:39], vcc, exec
	s_or_b64 s[34:35], s[34:35], s[38:39]
.LBB29_79:
	s_branch .LBB29_81
.LBB29_80:
	s_cmp_lg_u32 s41, 0
	s_mov_b64 s[30:31], -1
	s_cselect_b64 s[36:37], -1, 0
.LBB29_81:
	s_andn2_b64 vcc, exec, s[36:37]
	s_cbranch_vccz .LBB29_91
; %bb.82:
	s_andn2_b64 vcc, exec, s[30:31]
	s_cbranch_vccnz .LBB29_84
.LBB29_83:
	s_waitcnt vmcnt(0)
	v_cmp_ge_i16_e32 vcc, v1, v3
	s_andn2_b64 s[30:31], s[34:35], exec
	s_and_b64 s[34:35], vcc, exec
	s_or_b64 s[34:35], s[30:31], s[34:35]
.LBB29_84:
	s_waitcnt vmcnt(1)
	v_cndmask_b32_e64 v1, 0, 1, s[34:35]
	v_add_u32_e32 v21, 0x80, v21
	global_store_byte v0, v1, s[0:1]
	s_or_b64 exec, exec, s[28:29]
	v_cmp_gt_i32_e32 vcc, s43, v21
	s_and_saveexec_b64 s[28:29], vcc
	s_cbranch_execz .LBB29_5
.LBB29_85:
	s_andn2_b64 vcc, exec, s[14:15]
	s_cbranch_vccnz .LBB29_92
; %bb.86:
	s_andn2_b64 vcc, exec, s[26:27]
	s_cbranch_vccnz .LBB29_93
; %bb.87:
	s_add_i32 s30, s42, 1
	s_and_b32 s34, s30, 30
	s_add_u32 s30, s12, 0xffffffe8
	s_addc_u32 s31, s13, -1
	v_mov_b32_e32 v2, 0
	v_mov_b32_e32 v4, 0
	v_mov_b32_e32 v0, 0
	v_mov_b32_e32 v1, v21
.LBB29_88:                              ; =>This Inner Loop Header: Depth=1
	s_load_dwordx4 s[36:39], s[30:31], 0x1c
	s_load_dwordx2 s[48:49], s[30:31], 0x2c
	s_load_dwordx2 s[50:51], s[30:31], 0xec
	s_load_dwordx4 s[44:47], s[30:31], 0xdc
	s_add_u32 s30, s30, 24
	s_waitcnt vmcnt(1) lgkmcnt(0)
	v_mul_hi_u32 v3, s37, v1
	s_addc_u32 s31, s31, 0
	s_add_i32 s34, s34, -2
	s_cmp_eq_u32 s34, 0
	v_add_u32_e32 v3, v1, v3
	v_lshrrev_b32_e32 v3, s38, v3
	v_mul_lo_u32 v5, v3, s36
	v_mul_hi_u32 v6, s48, v3
	v_sub_u32_e32 v5, v1, v5
	v_add_u32_e32 v1, v3, v6
	v_lshrrev_b32_e32 v1, s49, v1
	v_mul_lo_u32 v8, v1, s39
	v_mul_lo_u32 v6, v5, s44
	v_mul_lo_u32 v7, v5, s45
	v_mul_lo_u32 v5, v5, s46
	v_sub_u32_e32 v3, v3, v8
	v_mul_lo_u32 v8, v3, s47
	v_mul_lo_u32 v9, v3, s50
	;; [unrolled: 1-line block ×3, first 2 shown]
	v_add3_u32 v0, v6, v0, v8
	v_add3_u32 v4, v7, v4, v9
	;; [unrolled: 1-line block ×3, first 2 shown]
	s_cbranch_scc0 .LBB29_88
; %bb.89:
	s_bitcmp1_b32 s42, 0
	s_cselect_b64 s[34:35], -1, 0
	s_and_b64 vcc, exec, s[34:35]
	s_cbranch_vccnz .LBB29_94
; %bb.90:
	s_load_dwordx2 s[34:35], s[30:31], 0x1c
	s_load_dword s38, s[30:31], 0x24
	s_load_dwordx2 s[36:37], s[30:31], 0xdc
	s_waitcnt lgkmcnt(0)
	v_mul_hi_u32 v3, s35, v1
	v_add_u32_e32 v3, v1, v3
	v_lshrrev_b32_e32 v3, s38, v3
	v_mul_lo_u32 v3, v3, s34
	s_load_dword s34, s[30:31], 0xe4
	v_sub_u32_e32 v3, v1, v3
	v_mad_u64_u32 v[0:1], s[30:31], v3, s36, v[0:1]
	v_mad_u64_u32 v[4:5], s[30:31], v3, s37, v[4:5]
	s_waitcnt lgkmcnt(0)
	v_mad_u64_u32 v[2:3], s[30:31], v3, s34, v[2:3]
	s_branch .LBB29_94
.LBB29_91:
	s_waitcnt vmcnt(0)
	v_cmp_lt_i16_e32 vcc, v1, v3
	s_andn2_b64 s[34:35], s[34:35], exec
	s_and_b64 s[36:37], vcc, exec
	s_or_b64 s[34:35], s[34:35], s[36:37]
	s_cbranch_execz .LBB29_83
	s_branch .LBB29_84
.LBB29_92:
                                        ; implicit-def: $vgpr0
                                        ; implicit-def: $vgpr4
                                        ; implicit-def: $vgpr2
	s_branch .LBB29_95
.LBB29_93:
	v_mov_b32_e32 v0, 0
	v_mov_b32_e32 v4, 0
	;; [unrolled: 1-line block ×3, first 2 shown]
.LBB29_94:
	s_cbranch_execnz .LBB29_97
.LBB29_95:
	s_waitcnt lgkmcnt(0)
	v_mul_hi_u32 v0, s9, v21
	s_andn2_b64 vcc, exec, s[24:25]
	v_add_u32_e32 v0, v21, v0
	v_lshrrev_b32_e32 v1, s10, v0
	v_mul_lo_u32 v0, v1, s8
	v_sub_u32_e32 v2, v21, v0
	v_mul_lo_u32 v0, v2, s4
	v_mul_lo_u32 v4, v2, s5
	v_mul_lo_u32 v2, v2, s6
	s_cbranch_vccnz .LBB29_97
; %bb.96:
	s_waitcnt vmcnt(1)
	v_mul_hi_u32 v3, s22, v1
	v_add_u32_e32 v3, v1, v3
	v_lshrrev_b32_e32 v3, s23, v3
	v_mul_lo_u32 v3, v3, s11
	v_sub_u32_e32 v3, v1, v3
	v_mad_u64_u32 v[0:1], s[30:31], v3, s7, v[0:1]
	v_mad_u64_u32 v[4:5], s[30:31], v3, s20, v[4:5]
	;; [unrolled: 1-line block ×3, first 2 shown]
.LBB29_97:
	s_waitcnt lgkmcnt(0)
	global_load_sbyte v1, v4, s[2:3]
	global_load_sbyte v3, v2, s[18:19]
	s_cmp_lt_i32 s41, 1
	s_mov_b64 s[30:31], 0
	s_cbranch_scc1 .LBB29_101
; %bb.98:
	s_cmp_gt_i32 s41, 1
	s_cbranch_scc0 .LBB29_102
; %bb.99:
	s_cmp_eq_u32 s41, 2
	s_cbranch_scc0 .LBB29_425
; %bb.100:
	s_waitcnt vmcnt(0)
	v_cmp_le_i16_e64 s[34:35], v1, v3
	s_mov_b64 s[36:37], 0
	s_branch .LBB29_104
.LBB29_101:
                                        ; implicit-def: $sgpr34_sgpr35
	s_mov_b64 s[36:37], 0
	s_cbranch_execnz .LBB29_105
	s_branch .LBB29_106
.LBB29_102:
	s_mov_b64 s[36:37], 0
                                        ; implicit-def: $sgpr34_sgpr35
	s_cbranch_execz .LBB29_104
; %bb.103:
	s_waitcnt vmcnt(0)
	v_cmp_gt_i16_e32 vcc, v1, v3
	s_andn2_b64 s[34:35], s[34:35], exec
	s_and_b64 s[38:39], vcc, exec
	s_or_b64 s[34:35], s[34:35], s[38:39]
.LBB29_104:
	s_branch .LBB29_106
.LBB29_105:
	s_cmp_lg_u32 s41, 0
	s_mov_b64 s[30:31], -1
	s_cselect_b64 s[36:37], -1, 0
.LBB29_106:
	s_andn2_b64 vcc, exec, s[36:37]
	s_cbranch_vccz .LBB29_116
; %bb.107:
	s_andn2_b64 vcc, exec, s[30:31]
	s_cbranch_vccnz .LBB29_109
.LBB29_108:
	s_waitcnt vmcnt(0)
	v_cmp_ge_i16_e32 vcc, v1, v3
	s_andn2_b64 s[30:31], s[34:35], exec
	s_and_b64 s[34:35], vcc, exec
	s_or_b64 s[34:35], s[30:31], s[34:35]
.LBB29_109:
	s_waitcnt vmcnt(1)
	v_cndmask_b32_e64 v1, 0, 1, s[34:35]
	v_add_u32_e32 v21, 0x80, v21
	global_store_byte v0, v1, s[0:1]
	s_or_b64 exec, exec, s[28:29]
	v_cmp_gt_i32_e32 vcc, s43, v21
	s_and_saveexec_b64 s[28:29], vcc
	s_cbranch_execz .LBB29_6
.LBB29_110:
	s_andn2_b64 vcc, exec, s[14:15]
	s_cbranch_vccnz .LBB29_117
; %bb.111:
	s_andn2_b64 vcc, exec, s[26:27]
	s_cbranch_vccnz .LBB29_118
; %bb.112:
	s_add_i32 s30, s42, 1
	s_and_b32 s34, s30, 30
	s_add_u32 s30, s12, 0xffffffe8
	s_addc_u32 s31, s13, -1
	v_mov_b32_e32 v2, 0
	v_mov_b32_e32 v4, 0
	v_mov_b32_e32 v0, 0
	v_mov_b32_e32 v1, v21
.LBB29_113:                             ; =>This Inner Loop Header: Depth=1
	s_load_dwordx4 s[36:39], s[30:31], 0x1c
	s_load_dwordx2 s[48:49], s[30:31], 0x2c
	s_load_dwordx2 s[50:51], s[30:31], 0xec
	s_load_dwordx4 s[44:47], s[30:31], 0xdc
	s_add_u32 s30, s30, 24
	s_waitcnt vmcnt(1) lgkmcnt(0)
	v_mul_hi_u32 v3, s37, v1
	s_addc_u32 s31, s31, 0
	s_add_i32 s34, s34, -2
	s_cmp_eq_u32 s34, 0
	v_add_u32_e32 v3, v1, v3
	v_lshrrev_b32_e32 v3, s38, v3
	v_mul_lo_u32 v5, v3, s36
	v_mul_hi_u32 v6, s48, v3
	v_sub_u32_e32 v5, v1, v5
	v_add_u32_e32 v1, v3, v6
	v_lshrrev_b32_e32 v1, s49, v1
	v_mul_lo_u32 v8, v1, s39
	v_mul_lo_u32 v6, v5, s44
	;; [unrolled: 1-line block ×4, first 2 shown]
	v_sub_u32_e32 v3, v3, v8
	v_mul_lo_u32 v8, v3, s47
	v_mul_lo_u32 v9, v3, s50
	;; [unrolled: 1-line block ×3, first 2 shown]
	v_add3_u32 v0, v6, v0, v8
	v_add3_u32 v4, v7, v4, v9
	;; [unrolled: 1-line block ×3, first 2 shown]
	s_cbranch_scc0 .LBB29_113
; %bb.114:
	s_bitcmp1_b32 s42, 0
	s_cselect_b64 s[34:35], -1, 0
	s_and_b64 vcc, exec, s[34:35]
	s_cbranch_vccnz .LBB29_119
; %bb.115:
	s_load_dwordx2 s[34:35], s[30:31], 0x1c
	s_load_dword s38, s[30:31], 0x24
	s_load_dwordx2 s[36:37], s[30:31], 0xdc
	s_waitcnt lgkmcnt(0)
	v_mul_hi_u32 v3, s35, v1
	v_add_u32_e32 v3, v1, v3
	v_lshrrev_b32_e32 v3, s38, v3
	v_mul_lo_u32 v3, v3, s34
	s_load_dword s34, s[30:31], 0xe4
	v_sub_u32_e32 v3, v1, v3
	v_mad_u64_u32 v[0:1], s[30:31], v3, s36, v[0:1]
	v_mad_u64_u32 v[4:5], s[30:31], v3, s37, v[4:5]
	s_waitcnt lgkmcnt(0)
	v_mad_u64_u32 v[2:3], s[30:31], v3, s34, v[2:3]
	s_branch .LBB29_119
.LBB29_116:
	s_waitcnt vmcnt(0)
	v_cmp_lt_i16_e32 vcc, v1, v3
	s_andn2_b64 s[34:35], s[34:35], exec
	s_and_b64 s[36:37], vcc, exec
	s_or_b64 s[34:35], s[34:35], s[36:37]
	s_cbranch_execz .LBB29_108
	s_branch .LBB29_109
.LBB29_117:
                                        ; implicit-def: $vgpr0
                                        ; implicit-def: $vgpr4
                                        ; implicit-def: $vgpr2
	s_branch .LBB29_120
.LBB29_118:
	v_mov_b32_e32 v0, 0
	v_mov_b32_e32 v4, 0
	;; [unrolled: 1-line block ×3, first 2 shown]
.LBB29_119:
	s_cbranch_execnz .LBB29_122
.LBB29_120:
	s_waitcnt lgkmcnt(0)
	v_mul_hi_u32 v0, s9, v21
	s_andn2_b64 vcc, exec, s[24:25]
	v_add_u32_e32 v0, v21, v0
	v_lshrrev_b32_e32 v1, s10, v0
	v_mul_lo_u32 v0, v1, s8
	v_sub_u32_e32 v2, v21, v0
	v_mul_lo_u32 v0, v2, s4
	v_mul_lo_u32 v4, v2, s5
	;; [unrolled: 1-line block ×3, first 2 shown]
	s_cbranch_vccnz .LBB29_122
; %bb.121:
	s_waitcnt vmcnt(1)
	v_mul_hi_u32 v3, s22, v1
	v_add_u32_e32 v3, v1, v3
	v_lshrrev_b32_e32 v3, s23, v3
	v_mul_lo_u32 v3, v3, s11
	v_sub_u32_e32 v3, v1, v3
	v_mad_u64_u32 v[0:1], s[30:31], v3, s7, v[0:1]
	v_mad_u64_u32 v[4:5], s[30:31], v3, s20, v[4:5]
	;; [unrolled: 1-line block ×3, first 2 shown]
.LBB29_122:
	s_waitcnt lgkmcnt(0)
	global_load_sbyte v1, v4, s[2:3]
	global_load_sbyte v3, v2, s[18:19]
	s_cmp_lt_i32 s41, 1
	s_mov_b64 s[30:31], 0
	s_cbranch_scc1 .LBB29_126
; %bb.123:
	s_cmp_gt_i32 s41, 1
	s_cbranch_scc0 .LBB29_127
; %bb.124:
	s_cmp_eq_u32 s41, 2
	s_cbranch_scc0 .LBB29_426
; %bb.125:
	s_waitcnt vmcnt(0)
	v_cmp_le_i16_e64 s[34:35], v1, v3
	s_mov_b64 s[36:37], 0
	s_branch .LBB29_129
.LBB29_126:
                                        ; implicit-def: $sgpr34_sgpr35
	s_mov_b64 s[36:37], 0
	s_cbranch_execnz .LBB29_130
	s_branch .LBB29_131
.LBB29_127:
	s_mov_b64 s[36:37], 0
                                        ; implicit-def: $sgpr34_sgpr35
	s_cbranch_execz .LBB29_129
; %bb.128:
	s_waitcnt vmcnt(0)
	v_cmp_gt_i16_e32 vcc, v1, v3
	s_andn2_b64 s[34:35], s[34:35], exec
	s_and_b64 s[38:39], vcc, exec
	s_or_b64 s[34:35], s[34:35], s[38:39]
.LBB29_129:
	s_branch .LBB29_131
.LBB29_130:
	s_cmp_lg_u32 s41, 0
	s_mov_b64 s[30:31], -1
	s_cselect_b64 s[36:37], -1, 0
.LBB29_131:
	s_andn2_b64 vcc, exec, s[36:37]
	s_cbranch_vccz .LBB29_141
; %bb.132:
	s_andn2_b64 vcc, exec, s[30:31]
	s_cbranch_vccnz .LBB29_134
.LBB29_133:
	s_waitcnt vmcnt(0)
	v_cmp_ge_i16_e32 vcc, v1, v3
	s_andn2_b64 s[30:31], s[34:35], exec
	s_and_b64 s[34:35], vcc, exec
	s_or_b64 s[34:35], s[30:31], s[34:35]
.LBB29_134:
	s_waitcnt vmcnt(1)
	v_cndmask_b32_e64 v1, 0, 1, s[34:35]
	v_add_u32_e32 v21, 0x80, v21
	global_store_byte v0, v1, s[0:1]
	s_or_b64 exec, exec, s[28:29]
	v_cmp_gt_i32_e32 vcc, s43, v21
	s_and_saveexec_b64 s[28:29], vcc
	s_cbranch_execz .LBB29_7
.LBB29_135:
	s_andn2_b64 vcc, exec, s[14:15]
	s_cbranch_vccnz .LBB29_142
; %bb.136:
	s_andn2_b64 vcc, exec, s[26:27]
	s_cbranch_vccnz .LBB29_143
; %bb.137:
	s_add_i32 s30, s42, 1
	s_and_b32 s34, s30, 30
	s_add_u32 s30, s12, 0xffffffe8
	s_addc_u32 s31, s13, -1
	v_mov_b32_e32 v2, 0
	v_mov_b32_e32 v4, 0
	;; [unrolled: 1-line block ×4, first 2 shown]
.LBB29_138:                             ; =>This Inner Loop Header: Depth=1
	s_load_dwordx4 s[36:39], s[30:31], 0x1c
	s_load_dwordx2 s[48:49], s[30:31], 0x2c
	s_load_dwordx2 s[50:51], s[30:31], 0xec
	s_load_dwordx4 s[44:47], s[30:31], 0xdc
	s_add_u32 s30, s30, 24
	s_waitcnt vmcnt(1) lgkmcnt(0)
	v_mul_hi_u32 v3, s37, v1
	s_addc_u32 s31, s31, 0
	s_add_i32 s34, s34, -2
	s_cmp_eq_u32 s34, 0
	v_add_u32_e32 v3, v1, v3
	v_lshrrev_b32_e32 v3, s38, v3
	v_mul_lo_u32 v5, v3, s36
	v_mul_hi_u32 v6, s48, v3
	v_sub_u32_e32 v5, v1, v5
	v_add_u32_e32 v1, v3, v6
	v_lshrrev_b32_e32 v1, s49, v1
	v_mul_lo_u32 v8, v1, s39
	v_mul_lo_u32 v6, v5, s44
	;; [unrolled: 1-line block ×4, first 2 shown]
	v_sub_u32_e32 v3, v3, v8
	v_mul_lo_u32 v8, v3, s47
	v_mul_lo_u32 v9, v3, s50
	;; [unrolled: 1-line block ×3, first 2 shown]
	v_add3_u32 v0, v6, v0, v8
	v_add3_u32 v4, v7, v4, v9
	;; [unrolled: 1-line block ×3, first 2 shown]
	s_cbranch_scc0 .LBB29_138
; %bb.139:
	s_bitcmp1_b32 s42, 0
	s_cselect_b64 s[34:35], -1, 0
	s_and_b64 vcc, exec, s[34:35]
	s_cbranch_vccnz .LBB29_144
; %bb.140:
	s_load_dwordx2 s[34:35], s[30:31], 0x1c
	s_load_dword s38, s[30:31], 0x24
	s_load_dwordx2 s[36:37], s[30:31], 0xdc
	s_waitcnt lgkmcnt(0)
	v_mul_hi_u32 v3, s35, v1
	v_add_u32_e32 v3, v1, v3
	v_lshrrev_b32_e32 v3, s38, v3
	v_mul_lo_u32 v3, v3, s34
	s_load_dword s34, s[30:31], 0xe4
	v_sub_u32_e32 v3, v1, v3
	v_mad_u64_u32 v[0:1], s[30:31], v3, s36, v[0:1]
	v_mad_u64_u32 v[4:5], s[30:31], v3, s37, v[4:5]
	s_waitcnt lgkmcnt(0)
	v_mad_u64_u32 v[2:3], s[30:31], v3, s34, v[2:3]
	s_branch .LBB29_144
.LBB29_141:
	s_waitcnt vmcnt(0)
	v_cmp_lt_i16_e32 vcc, v1, v3
	s_andn2_b64 s[34:35], s[34:35], exec
	s_and_b64 s[36:37], vcc, exec
	s_or_b64 s[34:35], s[34:35], s[36:37]
	s_cbranch_execz .LBB29_133
	s_branch .LBB29_134
.LBB29_142:
                                        ; implicit-def: $vgpr0
                                        ; implicit-def: $vgpr4
                                        ; implicit-def: $vgpr2
	s_branch .LBB29_145
.LBB29_143:
	v_mov_b32_e32 v0, 0
	v_mov_b32_e32 v4, 0
	;; [unrolled: 1-line block ×3, first 2 shown]
.LBB29_144:
	s_cbranch_execnz .LBB29_147
.LBB29_145:
	s_waitcnt lgkmcnt(0)
	v_mul_hi_u32 v0, s9, v21
	s_andn2_b64 vcc, exec, s[24:25]
	v_add_u32_e32 v0, v21, v0
	v_lshrrev_b32_e32 v1, s10, v0
	v_mul_lo_u32 v0, v1, s8
	v_sub_u32_e32 v2, v21, v0
	v_mul_lo_u32 v0, v2, s4
	v_mul_lo_u32 v4, v2, s5
	;; [unrolled: 1-line block ×3, first 2 shown]
	s_cbranch_vccnz .LBB29_147
; %bb.146:
	s_waitcnt vmcnt(1)
	v_mul_hi_u32 v3, s22, v1
	v_add_u32_e32 v3, v1, v3
	v_lshrrev_b32_e32 v3, s23, v3
	v_mul_lo_u32 v3, v3, s11
	v_sub_u32_e32 v3, v1, v3
	v_mad_u64_u32 v[0:1], s[30:31], v3, s7, v[0:1]
	v_mad_u64_u32 v[4:5], s[30:31], v3, s20, v[4:5]
	;; [unrolled: 1-line block ×3, first 2 shown]
.LBB29_147:
	s_waitcnt lgkmcnt(0)
	global_load_sbyte v1, v4, s[2:3]
	global_load_sbyte v3, v2, s[18:19]
	s_cmp_lt_i32 s41, 1
	s_mov_b64 s[30:31], 0
	s_cbranch_scc1 .LBB29_151
; %bb.148:
	s_cmp_gt_i32 s41, 1
	s_cbranch_scc0 .LBB29_152
; %bb.149:
	s_cmp_eq_u32 s41, 2
	s_cbranch_scc0 .LBB29_427
; %bb.150:
	s_waitcnt vmcnt(0)
	v_cmp_le_i16_e64 s[34:35], v1, v3
	s_mov_b64 s[36:37], 0
	s_branch .LBB29_154
.LBB29_151:
                                        ; implicit-def: $sgpr34_sgpr35
	s_mov_b64 s[36:37], 0
	s_cbranch_execnz .LBB29_155
	s_branch .LBB29_156
.LBB29_152:
	s_mov_b64 s[36:37], 0
                                        ; implicit-def: $sgpr34_sgpr35
	s_cbranch_execz .LBB29_154
; %bb.153:
	s_waitcnt vmcnt(0)
	v_cmp_gt_i16_e32 vcc, v1, v3
	s_andn2_b64 s[34:35], s[34:35], exec
	s_and_b64 s[38:39], vcc, exec
	s_or_b64 s[34:35], s[34:35], s[38:39]
.LBB29_154:
	s_branch .LBB29_156
.LBB29_155:
	s_cmp_lg_u32 s41, 0
	s_mov_b64 s[30:31], -1
	s_cselect_b64 s[36:37], -1, 0
.LBB29_156:
	s_andn2_b64 vcc, exec, s[36:37]
	s_cbranch_vccz .LBB29_166
; %bb.157:
	s_andn2_b64 vcc, exec, s[30:31]
	s_cbranch_vccnz .LBB29_159
.LBB29_158:
	s_waitcnt vmcnt(0)
	v_cmp_ge_i16_e32 vcc, v1, v3
	s_andn2_b64 s[30:31], s[34:35], exec
	s_and_b64 s[34:35], vcc, exec
	s_or_b64 s[34:35], s[30:31], s[34:35]
.LBB29_159:
	s_waitcnt vmcnt(1)
	v_cndmask_b32_e64 v1, 0, 1, s[34:35]
	v_add_u32_e32 v21, 0x80, v21
	global_store_byte v0, v1, s[0:1]
	s_or_b64 exec, exec, s[28:29]
	v_cmp_gt_i32_e32 vcc, s43, v21
	s_and_saveexec_b64 s[28:29], vcc
	s_cbranch_execz .LBB29_8
.LBB29_160:
	s_andn2_b64 vcc, exec, s[14:15]
	s_cbranch_vccnz .LBB29_167
; %bb.161:
	s_andn2_b64 vcc, exec, s[26:27]
	s_cbranch_vccnz .LBB29_168
; %bb.162:
	s_add_i32 s30, s42, 1
	s_and_b32 s34, s30, 30
	s_add_u32 s30, s12, 0xffffffe8
	s_addc_u32 s31, s13, -1
	v_mov_b32_e32 v2, 0
	v_mov_b32_e32 v4, 0
	;; [unrolled: 1-line block ×4, first 2 shown]
.LBB29_163:                             ; =>This Inner Loop Header: Depth=1
	s_load_dwordx4 s[36:39], s[30:31], 0x1c
	s_load_dwordx2 s[48:49], s[30:31], 0x2c
	s_load_dwordx2 s[50:51], s[30:31], 0xec
	s_load_dwordx4 s[44:47], s[30:31], 0xdc
	s_add_u32 s30, s30, 24
	s_waitcnt vmcnt(1) lgkmcnt(0)
	v_mul_hi_u32 v3, s37, v1
	s_addc_u32 s31, s31, 0
	s_add_i32 s34, s34, -2
	s_cmp_eq_u32 s34, 0
	v_add_u32_e32 v3, v1, v3
	v_lshrrev_b32_e32 v3, s38, v3
	v_mul_lo_u32 v5, v3, s36
	v_mul_hi_u32 v6, s48, v3
	v_sub_u32_e32 v5, v1, v5
	v_add_u32_e32 v1, v3, v6
	v_lshrrev_b32_e32 v1, s49, v1
	v_mul_lo_u32 v8, v1, s39
	v_mul_lo_u32 v6, v5, s44
	;; [unrolled: 1-line block ×4, first 2 shown]
	v_sub_u32_e32 v3, v3, v8
	v_mul_lo_u32 v8, v3, s47
	v_mul_lo_u32 v9, v3, s50
	v_mul_lo_u32 v3, v3, s51
	v_add3_u32 v0, v6, v0, v8
	v_add3_u32 v4, v7, v4, v9
	;; [unrolled: 1-line block ×3, first 2 shown]
	s_cbranch_scc0 .LBB29_163
; %bb.164:
	s_bitcmp1_b32 s42, 0
	s_cselect_b64 s[34:35], -1, 0
	s_and_b64 vcc, exec, s[34:35]
	s_cbranch_vccnz .LBB29_169
; %bb.165:
	s_load_dwordx2 s[34:35], s[30:31], 0x1c
	s_load_dword s38, s[30:31], 0x24
	s_load_dwordx2 s[36:37], s[30:31], 0xdc
	s_waitcnt lgkmcnt(0)
	v_mul_hi_u32 v3, s35, v1
	v_add_u32_e32 v3, v1, v3
	v_lshrrev_b32_e32 v3, s38, v3
	v_mul_lo_u32 v3, v3, s34
	s_load_dword s34, s[30:31], 0xe4
	v_sub_u32_e32 v3, v1, v3
	v_mad_u64_u32 v[0:1], s[30:31], v3, s36, v[0:1]
	v_mad_u64_u32 v[4:5], s[30:31], v3, s37, v[4:5]
	s_waitcnt lgkmcnt(0)
	v_mad_u64_u32 v[2:3], s[30:31], v3, s34, v[2:3]
	s_branch .LBB29_169
.LBB29_166:
	s_waitcnt vmcnt(0)
	v_cmp_lt_i16_e32 vcc, v1, v3
	s_andn2_b64 s[34:35], s[34:35], exec
	s_and_b64 s[36:37], vcc, exec
	s_or_b64 s[34:35], s[34:35], s[36:37]
	s_cbranch_execz .LBB29_158
	s_branch .LBB29_159
.LBB29_167:
                                        ; implicit-def: $vgpr0
                                        ; implicit-def: $vgpr4
                                        ; implicit-def: $vgpr2
	s_branch .LBB29_170
.LBB29_168:
	v_mov_b32_e32 v0, 0
	v_mov_b32_e32 v4, 0
	;; [unrolled: 1-line block ×3, first 2 shown]
.LBB29_169:
	s_cbranch_execnz .LBB29_172
.LBB29_170:
	s_waitcnt lgkmcnt(0)
	v_mul_hi_u32 v0, s9, v21
	s_andn2_b64 vcc, exec, s[24:25]
	v_add_u32_e32 v0, v21, v0
	v_lshrrev_b32_e32 v1, s10, v0
	v_mul_lo_u32 v0, v1, s8
	v_sub_u32_e32 v2, v21, v0
	v_mul_lo_u32 v0, v2, s4
	v_mul_lo_u32 v4, v2, s5
	v_mul_lo_u32 v2, v2, s6
	s_cbranch_vccnz .LBB29_172
; %bb.171:
	s_waitcnt vmcnt(1)
	v_mul_hi_u32 v3, s22, v1
	v_add_u32_e32 v3, v1, v3
	v_lshrrev_b32_e32 v3, s23, v3
	v_mul_lo_u32 v3, v3, s11
	v_sub_u32_e32 v3, v1, v3
	v_mad_u64_u32 v[0:1], s[30:31], v3, s7, v[0:1]
	v_mad_u64_u32 v[4:5], s[30:31], v3, s20, v[4:5]
	;; [unrolled: 1-line block ×3, first 2 shown]
.LBB29_172:
	s_waitcnt lgkmcnt(0)
	global_load_sbyte v1, v4, s[2:3]
	global_load_sbyte v3, v2, s[18:19]
	s_cmp_lt_i32 s41, 1
	s_mov_b64 s[30:31], 0
	s_cbranch_scc1 .LBB29_176
; %bb.173:
	s_cmp_gt_i32 s41, 1
	s_cbranch_scc0 .LBB29_177
; %bb.174:
	s_cmp_eq_u32 s41, 2
	s_cbranch_scc0 .LBB29_428
; %bb.175:
	s_waitcnt vmcnt(0)
	v_cmp_le_i16_e64 s[34:35], v1, v3
	s_mov_b64 s[36:37], 0
	s_branch .LBB29_179
.LBB29_176:
                                        ; implicit-def: $sgpr34_sgpr35
	s_mov_b64 s[36:37], 0
	s_cbranch_execnz .LBB29_180
	s_branch .LBB29_181
.LBB29_177:
	s_mov_b64 s[36:37], 0
                                        ; implicit-def: $sgpr34_sgpr35
	s_cbranch_execz .LBB29_179
; %bb.178:
	s_waitcnt vmcnt(0)
	v_cmp_gt_i16_e32 vcc, v1, v3
	s_andn2_b64 s[34:35], s[34:35], exec
	s_and_b64 s[38:39], vcc, exec
	s_or_b64 s[34:35], s[34:35], s[38:39]
.LBB29_179:
	s_branch .LBB29_181
.LBB29_180:
	s_cmp_lg_u32 s41, 0
	s_mov_b64 s[30:31], -1
	s_cselect_b64 s[36:37], -1, 0
.LBB29_181:
	s_andn2_b64 vcc, exec, s[36:37]
	s_cbranch_vccz .LBB29_191
; %bb.182:
	s_andn2_b64 vcc, exec, s[30:31]
	s_cbranch_vccnz .LBB29_184
.LBB29_183:
	s_waitcnt vmcnt(0)
	v_cmp_ge_i16_e32 vcc, v1, v3
	s_andn2_b64 s[30:31], s[34:35], exec
	s_and_b64 s[34:35], vcc, exec
	s_or_b64 s[34:35], s[30:31], s[34:35]
.LBB29_184:
	s_waitcnt vmcnt(1)
	v_cndmask_b32_e64 v1, 0, 1, s[34:35]
	v_add_u32_e32 v21, 0x80, v21
	global_store_byte v0, v1, s[0:1]
	s_or_b64 exec, exec, s[28:29]
	v_cmp_gt_i32_e32 vcc, s43, v21
	s_and_saveexec_b64 s[28:29], vcc
	s_cbranch_execz .LBB29_210
.LBB29_185:
	s_andn2_b64 vcc, exec, s[14:15]
	s_cbranch_vccnz .LBB29_192
; %bb.186:
	s_andn2_b64 vcc, exec, s[26:27]
	s_cbranch_vccnz .LBB29_193
; %bb.187:
	s_add_i32 s26, s42, 1
	s_and_b32 s30, s26, 30
	s_add_u32 s26, s12, 0xffffffe8
	s_addc_u32 s27, s13, -1
	v_mov_b32_e32 v2, 0
	v_mov_b32_e32 v4, 0
	;; [unrolled: 1-line block ×4, first 2 shown]
.LBB29_188:                             ; =>This Inner Loop Header: Depth=1
	s_load_dwordx4 s[36:39], s[26:27], 0x1c
	s_load_dwordx2 s[34:35], s[26:27], 0x2c
	s_load_dwordx2 s[48:49], s[26:27], 0xec
	s_load_dwordx4 s[44:47], s[26:27], 0xdc
	s_add_u32 s26, s26, 24
	s_waitcnt vmcnt(1) lgkmcnt(0)
	v_mul_hi_u32 v3, s37, v1
	s_addc_u32 s27, s27, 0
	s_add_i32 s30, s30, -2
	s_cmp_eq_u32 s30, 0
	v_add_u32_e32 v3, v1, v3
	v_lshrrev_b32_e32 v3, s38, v3
	v_mul_lo_u32 v5, v3, s36
	v_mul_hi_u32 v6, s34, v3
	v_sub_u32_e32 v5, v1, v5
	v_add_u32_e32 v1, v3, v6
	v_lshrrev_b32_e32 v1, s35, v1
	v_mul_lo_u32 v8, v1, s39
	v_mul_lo_u32 v6, v5, s44
	v_mul_lo_u32 v7, v5, s45
	v_mul_lo_u32 v5, v5, s46
	v_sub_u32_e32 v3, v3, v8
	v_mul_lo_u32 v8, v3, s47
	v_mul_lo_u32 v9, v3, s48
	;; [unrolled: 1-line block ×3, first 2 shown]
	v_add3_u32 v0, v6, v0, v8
	v_add3_u32 v4, v7, v4, v9
	;; [unrolled: 1-line block ×3, first 2 shown]
	s_cbranch_scc0 .LBB29_188
; %bb.189:
	s_bitcmp1_b32 s42, 0
	s_cselect_b64 s[30:31], -1, 0
	s_and_b64 vcc, exec, s[30:31]
	s_cbranch_vccnz .LBB29_194
; %bb.190:
	s_load_dwordx2 s[30:31], s[26:27], 0x1c
	s_load_dword s36, s[26:27], 0x24
	s_load_dwordx2 s[34:35], s[26:27], 0xdc
	s_waitcnt lgkmcnt(0)
	v_mul_hi_u32 v3, s31, v1
	v_add_u32_e32 v3, v1, v3
	v_lshrrev_b32_e32 v3, s36, v3
	v_mul_lo_u32 v3, v3, s30
	s_load_dword s30, s[26:27], 0xe4
	v_sub_u32_e32 v3, v1, v3
	v_mad_u64_u32 v[0:1], s[26:27], v3, s34, v[0:1]
	v_mad_u64_u32 v[4:5], s[26:27], v3, s35, v[4:5]
	s_waitcnt lgkmcnt(0)
	v_mad_u64_u32 v[2:3], s[26:27], v3, s30, v[2:3]
	s_branch .LBB29_194
.LBB29_191:
	s_waitcnt vmcnt(0)
	v_cmp_lt_i16_e32 vcc, v1, v3
	s_andn2_b64 s[34:35], s[34:35], exec
	s_and_b64 s[36:37], vcc, exec
	s_or_b64 s[34:35], s[34:35], s[36:37]
	s_cbranch_execz .LBB29_183
	s_branch .LBB29_184
.LBB29_192:
                                        ; implicit-def: $vgpr0
                                        ; implicit-def: $vgpr4
                                        ; implicit-def: $vgpr2
	s_branch .LBB29_195
.LBB29_193:
	v_mov_b32_e32 v0, 0
	v_mov_b32_e32 v4, 0
	;; [unrolled: 1-line block ×3, first 2 shown]
.LBB29_194:
	s_cbranch_execnz .LBB29_197
.LBB29_195:
	s_waitcnt lgkmcnt(0)
	v_mul_hi_u32 v0, s9, v21
	s_andn2_b64 vcc, exec, s[24:25]
	v_add_u32_e32 v0, v21, v0
	v_lshrrev_b32_e32 v1, s10, v0
	v_mul_lo_u32 v0, v1, s8
	v_sub_u32_e32 v2, v21, v0
	v_mul_lo_u32 v0, v2, s4
	v_mul_lo_u32 v4, v2, s5
	v_mul_lo_u32 v2, v2, s6
	s_cbranch_vccnz .LBB29_197
; %bb.196:
	s_waitcnt vmcnt(1)
	v_mul_hi_u32 v3, s22, v1
	v_add_u32_e32 v3, v1, v3
	v_lshrrev_b32_e32 v3, s23, v3
	v_mul_lo_u32 v3, v3, s11
	v_sub_u32_e32 v3, v1, v3
	v_mad_u64_u32 v[0:1], s[4:5], v3, s7, v[0:1]
	v_mad_u64_u32 v[4:5], s[4:5], v3, s20, v[4:5]
	;; [unrolled: 1-line block ×3, first 2 shown]
.LBB29_197:
	s_waitcnt lgkmcnt(0)
	global_load_sbyte v1, v4, s[2:3]
	global_load_sbyte v3, v2, s[18:19]
	s_cmp_lt_i32 s41, 1
	s_mov_b64 s[2:3], 0
	s_cbranch_scc1 .LBB29_201
; %bb.198:
	s_cmp_gt_i32 s41, 1
	s_cbranch_scc0 .LBB29_202
; %bb.199:
	s_cmp_eq_u32 s41, 2
	s_cbranch_scc0 .LBB29_429
; %bb.200:
	s_waitcnt vmcnt(0)
	v_cmp_le_i16_e64 s[4:5], v1, v3
	s_mov_b64 s[6:7], 0
	s_branch .LBB29_204
.LBB29_201:
                                        ; implicit-def: $sgpr4_sgpr5
	s_mov_b64 s[6:7], 0
	s_cbranch_execnz .LBB29_205
	s_branch .LBB29_206
.LBB29_202:
	s_mov_b64 s[6:7], 0
                                        ; implicit-def: $sgpr4_sgpr5
	s_cbranch_execz .LBB29_204
; %bb.203:
	s_waitcnt vmcnt(0)
	v_cmp_gt_i16_e32 vcc, v1, v3
	s_andn2_b64 s[4:5], s[4:5], exec
	s_and_b64 s[8:9], vcc, exec
	s_or_b64 s[4:5], s[4:5], s[8:9]
.LBB29_204:
	s_branch .LBB29_206
.LBB29_205:
	s_cmp_lg_u32 s41, 0
	s_mov_b64 s[2:3], -1
	s_cselect_b64 s[6:7], -1, 0
.LBB29_206:
	s_andn2_b64 vcc, exec, s[6:7]
	s_cbranch_vccz .LBB29_220
; %bb.207:
	s_andn2_b64 vcc, exec, s[2:3]
	s_cbranch_vccnz .LBB29_209
.LBB29_208:
	s_waitcnt vmcnt(0)
	v_cmp_ge_i16_e32 vcc, v1, v3
	s_andn2_b64 s[2:3], s[4:5], exec
	s_and_b64 s[4:5], vcc, exec
	s_or_b64 s[4:5], s[2:3], s[4:5]
.LBB29_209:
	s_waitcnt vmcnt(1)
	v_cndmask_b32_e64 v1, 0, 1, s[4:5]
	global_store_byte v0, v1, s[0:1]
.LBB29_210:
	s_or_b64 exec, exec, s[28:29]
                                        ; implicit-def: $vgpr37
                                        ; implicit-def: $vgpr21
.LBB29_211:
	s_waitcnt lgkmcnt(0)
	s_andn2_saveexec_b64 s[0:1], s[16:17]
	s_cbranch_execz .LBB29_218
; %bb.212:
	v_cndmask_b32_e64 v0, 0, 1, s[14:15]
	v_cmp_ne_u32_e64 s[0:1], 1, v0
	s_andn2_b64 vcc, exec, s[14:15]
	s_cbranch_vccnz .LBB29_219
; %bb.213:
	s_cmp_lg_u32 s33, 0
	s_cbranch_scc0 .LBB29_221
; %bb.214:
	s_min_u32 s4, s40, 15
	s_add_i32 s2, s4, 1
	s_and_b32 s5, s2, 30
	s_add_u32 s2, s12, 0xffffffe8
	s_addc_u32 s3, s13, -1
	v_mov_b32_e32 v6, 0
	v_mov_b32_e32 v8, 0
	;; [unrolled: 1-line block ×4, first 2 shown]
.LBB29_215:                             ; =>This Inner Loop Header: Depth=1
	s_load_dwordx4 s[8:11], s[2:3], 0x1c
	s_load_dwordx2 s[6:7], s[2:3], 0x2c
	s_load_dwordx2 s[14:15], s[2:3], 0xec
	s_load_dwordx4 s[16:19], s[2:3], 0xdc
	s_add_u32 s2, s2, 24
	s_waitcnt lgkmcnt(0)
	v_mul_hi_u32 v2, s9, v1
	s_addc_u32 s3, s3, 0
	s_add_i32 s5, s5, -2
	s_cmp_lg_u32 s5, 0
	v_add_u32_e32 v2, v1, v2
	v_lshrrev_b32_e32 v2, s10, v2
	s_waitcnt vmcnt(1)
	v_mul_lo_u32 v3, v2, s8
	v_mul_hi_u32 v4, s6, v2
	v_sub_u32_e32 v3, v1, v3
	v_add_u32_e32 v1, v2, v4
	v_lshrrev_b32_e32 v1, s7, v1
	v_mul_lo_u32 v7, v1, s11
	v_mul_lo_u32 v4, v3, s16
	;; [unrolled: 1-line block ×4, first 2 shown]
	v_sub_u32_e32 v2, v2, v7
	v_mul_lo_u32 v7, v2, s19
	v_mul_lo_u32 v9, v2, s14
	;; [unrolled: 1-line block ×3, first 2 shown]
	v_add3_u32 v0, v4, v0, v7
	v_add3_u32 v8, v5, v8, v9
	;; [unrolled: 1-line block ×3, first 2 shown]
	s_cbranch_scc1 .LBB29_215
; %bb.216:
	s_bitcmp1_b32 s4, 0
	s_cselect_b64 s[4:5], -1, 0
	s_and_b64 vcc, exec, s[4:5]
	s_cbranch_vccnz .LBB29_222
; %bb.217:
	s_load_dwordx2 s[4:5], s[2:3], 0x1c
	s_load_dword s8, s[2:3], 0x24
	s_load_dwordx2 s[6:7], s[2:3], 0xdc
	s_waitcnt lgkmcnt(0)
	v_mul_hi_u32 v2, s5, v1
	v_add_u32_e32 v2, v1, v2
	v_lshrrev_b32_e32 v2, s8, v2
	v_mul_lo_u32 v2, v2, s4
	s_load_dword s4, s[2:3], 0xe4
	v_sub_u32_e32 v2, v1, v2
	v_mad_u64_u32 v[0:1], s[2:3], v2, s6, v[0:1]
	v_mad_u64_u32 v[8:9], s[2:3], v2, s7, v[8:9]
	s_waitcnt lgkmcnt(0)
	v_mad_u64_u32 v[6:7], s[2:3], v2, s4, v[6:7]
	s_cbranch_execz .LBB29_223
	s_branch .LBB29_225
.LBB29_218:
	s_endpgm
.LBB29_219:
                                        ; implicit-def: $vgpr0
                                        ; implicit-def: $vgpr8
                                        ; implicit-def: $vgpr6
	s_branch .LBB29_223
.LBB29_220:
	s_waitcnt vmcnt(0)
	v_cmp_lt_i16_e32 vcc, v1, v3
	s_andn2_b64 s[4:5], s[4:5], exec
	s_and_b64 s[6:7], vcc, exec
	s_or_b64 s[4:5], s[4:5], s[6:7]
	s_cbranch_execz .LBB29_208
	s_branch .LBB29_209
.LBB29_221:
	v_mov_b32_e32 v0, 0
	v_mov_b32_e32 v8, 0
	;; [unrolled: 1-line block ×3, first 2 shown]
.LBB29_222:
	s_cbranch_execnz .LBB29_225
.LBB29_223:
	s_load_dwordx4 s[4:7], s[12:13], 0x4
	s_load_dwordx4 s[8:11], s[12:13], 0xc4
	s_cmp_lt_u32 s33, 2
	s_waitcnt lgkmcnt(0)
	v_mul_hi_u32 v0, s5, v21
	v_add_u32_e32 v0, v21, v0
	v_lshrrev_b32_e32 v1, s6, v0
	v_mul_lo_u32 v0, v1, s4
	v_sub_u32_e32 v2, v21, v0
	v_mul_lo_u32 v0, v2, s8
	v_mul_lo_u32 v8, v2, s9
	;; [unrolled: 1-line block ×3, first 2 shown]
	s_cbranch_scc1 .LBB29_225
; %bb.224:
	s_load_dwordx4 s[4:7], s[12:13], 0x10
	s_load_dwordx4 s[8:11], s[12:13], 0xd0
	s_waitcnt lgkmcnt(0)
	v_mul_hi_u32 v2, s5, v1
	v_add_u32_e32 v2, v1, v2
	v_lshrrev_b32_e32 v2, s6, v2
	v_mul_lo_u32 v2, v2, s4
	v_sub_u32_e32 v2, v1, v2
	v_mad_u64_u32 v[0:1], s[2:3], v2, s8, v[0:1]
	v_mad_u64_u32 v[8:9], s[2:3], v2, s9, v[8:9]
	;; [unrolled: 1-line block ×3, first 2 shown]
.LBB29_225:
	s_and_b64 vcc, exec, s[0:1]
	s_waitcnt vmcnt(1)
	v_add_u32_e32 v3, 0x80, v21
	s_cbranch_vccnz .LBB29_231
; %bb.226:
	s_cmp_lg_u32 s33, 0
	s_cbranch_scc0 .LBB29_232
; %bb.227:
	s_min_u32 s4, s40, 15
	s_add_i32 s2, s4, 1
	s_and_b32 s5, s2, 30
	s_add_u32 s2, s12, 0xffffffe8
	s_addc_u32 s3, s13, -1
	v_mov_b32_e32 v9, 0
	v_mov_b32_e32 v11, 0
	;; [unrolled: 1-line block ×4, first 2 shown]
.LBB29_228:                             ; =>This Inner Loop Header: Depth=1
	s_load_dwordx4 s[8:11], s[2:3], 0x1c
	s_load_dwordx2 s[6:7], s[2:3], 0x2c
	s_load_dwordx2 s[14:15], s[2:3], 0xec
	s_load_dwordx4 s[16:19], s[2:3], 0xdc
	s_add_u32 s2, s2, 24
	s_waitcnt lgkmcnt(0)
	v_mul_hi_u32 v4, s9, v2
	s_addc_u32 s3, s3, 0
	s_add_i32 s5, s5, -2
	s_cmp_lg_u32 s5, 0
	v_add_u32_e32 v4, v2, v4
	v_lshrrev_b32_e32 v4, s10, v4
	v_mul_lo_u32 v5, v4, s8
	v_mul_hi_u32 v7, s6, v4
	v_sub_u32_e32 v5, v2, v5
	v_add_u32_e32 v2, v4, v7
	v_lshrrev_b32_e32 v2, s7, v2
	v_mul_lo_u32 v12, v2, s11
	v_mul_lo_u32 v7, v5, s16
	;; [unrolled: 1-line block ×4, first 2 shown]
	v_sub_u32_e32 v4, v4, v12
	v_mul_lo_u32 v12, v4, s19
	v_mul_lo_u32 v13, v4, s14
	;; [unrolled: 1-line block ×3, first 2 shown]
	v_add3_u32 v1, v7, v1, v12
	v_add3_u32 v11, v10, v11, v13
	;; [unrolled: 1-line block ×3, first 2 shown]
	s_cbranch_scc1 .LBB29_228
; %bb.229:
	s_bitcmp1_b32 s4, 0
	s_cselect_b64 s[4:5], -1, 0
	s_and_b64 vcc, exec, s[4:5]
	s_cbranch_vccnz .LBB29_233
; %bb.230:
	s_load_dwordx2 s[4:5], s[2:3], 0x1c
	s_load_dword s8, s[2:3], 0x24
	s_load_dwordx2 s[6:7], s[2:3], 0xdc
	s_waitcnt lgkmcnt(0)
	v_mul_hi_u32 v4, s5, v2
	v_add_u32_e32 v4, v2, v4
	v_lshrrev_b32_e32 v4, s8, v4
	v_mul_lo_u32 v4, v4, s4
	s_load_dword s4, s[2:3], 0xe4
	v_sub_u32_e32 v4, v2, v4
	v_mad_u64_u32 v[1:2], s[2:3], v4, s6, v[1:2]
	v_mad_u64_u32 v[11:12], s[2:3], v4, s7, v[11:12]
	s_waitcnt lgkmcnt(0)
	v_mad_u64_u32 v[9:10], s[2:3], v4, s4, v[9:10]
	s_cbranch_execz .LBB29_234
	s_branch .LBB29_236
.LBB29_231:
                                        ; implicit-def: $vgpr1
                                        ; implicit-def: $vgpr11
                                        ; implicit-def: $vgpr9
	s_branch .LBB29_234
.LBB29_232:
	v_mov_b32_e32 v1, 0
	v_mov_b32_e32 v11, 0
	;; [unrolled: 1-line block ×3, first 2 shown]
.LBB29_233:
	s_cbranch_execnz .LBB29_236
.LBB29_234:
	s_load_dwordx4 s[4:7], s[12:13], 0x4
	s_load_dwordx4 s[8:11], s[12:13], 0xc4
	s_cmp_lt_u32 s33, 2
	s_waitcnt lgkmcnt(0)
	v_mul_hi_u32 v1, s5, v3
	v_add_u32_e32 v1, v3, v1
	v_lshrrev_b32_e32 v2, s6, v1
	v_mul_lo_u32 v1, v2, s4
	v_sub_u32_e32 v3, v3, v1
	v_mul_lo_u32 v1, v3, s8
	v_mul_lo_u32 v11, v3, s9
	;; [unrolled: 1-line block ×3, first 2 shown]
	s_cbranch_scc1 .LBB29_236
; %bb.235:
	s_load_dwordx4 s[4:7], s[12:13], 0x10
	s_load_dwordx4 s[8:11], s[12:13], 0xd0
	s_waitcnt lgkmcnt(0)
	v_mul_hi_u32 v3, s5, v2
	v_add_u32_e32 v3, v2, v3
	v_lshrrev_b32_e32 v3, s6, v3
	v_mul_lo_u32 v3, v3, s4
	v_sub_u32_e32 v3, v2, v3
	v_mad_u64_u32 v[1:2], s[2:3], v3, s8, v[1:2]
	v_mad_u64_u32 v[11:12], s[2:3], v3, s9, v[11:12]
	;; [unrolled: 1-line block ×3, first 2 shown]
.LBB29_236:
	s_and_b64 vcc, exec, s[0:1]
	v_add_u32_e32 v4, 0x100, v21
	s_cbranch_vccnz .LBB29_242
; %bb.237:
	s_cmp_lg_u32 s33, 0
	s_cbranch_scc0 .LBB29_243
; %bb.238:
	s_min_u32 s4, s40, 15
	s_add_i32 s2, s4, 1
	s_and_b32 s5, s2, 30
	s_add_u32 s2, s12, 0xffffffe8
	s_addc_u32 s3, s13, -1
	v_mov_b32_e32 v14, 0
	v_mov_b32_e32 v16, 0
	;; [unrolled: 1-line block ×4, first 2 shown]
.LBB29_239:                             ; =>This Inner Loop Header: Depth=1
	s_load_dwordx4 s[8:11], s[2:3], 0x1c
	s_load_dwordx2 s[6:7], s[2:3], 0x2c
	s_load_dwordx2 s[14:15], s[2:3], 0xec
	s_load_dwordx4 s[16:19], s[2:3], 0xdc
	s_add_u32 s2, s2, 24
	s_waitcnt lgkmcnt(0)
	v_mul_hi_u32 v5, s9, v3
	s_addc_u32 s3, s3, 0
	s_add_i32 s5, s5, -2
	s_cmp_lg_u32 s5, 0
	v_add_u32_e32 v5, v3, v5
	v_lshrrev_b32_e32 v5, s10, v5
	v_mul_lo_u32 v7, v5, s8
	v_mul_hi_u32 v10, s6, v5
	v_sub_u32_e32 v7, v3, v7
	v_add_u32_e32 v3, v5, v10
	v_lshrrev_b32_e32 v3, s7, v3
	v_mul_lo_u32 v13, v3, s11
	v_mul_lo_u32 v10, v7, s16
	;; [unrolled: 1-line block ×4, first 2 shown]
	v_sub_u32_e32 v5, v5, v13
	v_mul_lo_u32 v13, v5, s19
	v_mul_lo_u32 v15, v5, s14
	;; [unrolled: 1-line block ×3, first 2 shown]
	v_add3_u32 v2, v10, v2, v13
	v_add3_u32 v16, v12, v16, v15
	v_add3_u32 v14, v7, v14, v5
	s_cbranch_scc1 .LBB29_239
; %bb.240:
	s_bitcmp1_b32 s4, 0
	s_cselect_b64 s[4:5], -1, 0
	s_and_b64 vcc, exec, s[4:5]
	s_cbranch_vccnz .LBB29_244
; %bb.241:
	s_load_dwordx2 s[4:5], s[2:3], 0x1c
	s_load_dword s8, s[2:3], 0x24
	s_load_dwordx2 s[6:7], s[2:3], 0xdc
	s_waitcnt lgkmcnt(0)
	v_mul_hi_u32 v5, s5, v3
	v_add_u32_e32 v5, v3, v5
	v_lshrrev_b32_e32 v5, s8, v5
	v_mul_lo_u32 v5, v5, s4
	s_load_dword s4, s[2:3], 0xe4
	v_sub_u32_e32 v5, v3, v5
	v_mad_u64_u32 v[2:3], s[2:3], v5, s6, v[2:3]
	v_mad_u64_u32 v[16:17], s[2:3], v5, s7, v[16:17]
	s_waitcnt lgkmcnt(0)
	v_mad_u64_u32 v[14:15], s[2:3], v5, s4, v[14:15]
	s_cbranch_execz .LBB29_245
	s_branch .LBB29_247
.LBB29_242:
                                        ; implicit-def: $vgpr2
                                        ; implicit-def: $vgpr16
                                        ; implicit-def: $vgpr14
	s_branch .LBB29_245
.LBB29_243:
	v_mov_b32_e32 v2, 0
	v_mov_b32_e32 v16, 0
	;; [unrolled: 1-line block ×3, first 2 shown]
.LBB29_244:
	s_cbranch_execnz .LBB29_247
.LBB29_245:
	s_load_dwordx4 s[4:7], s[12:13], 0x4
	s_load_dwordx4 s[8:11], s[12:13], 0xc4
	s_cmp_lt_u32 s33, 2
	s_waitcnt lgkmcnt(0)
	v_mul_hi_u32 v2, s5, v4
	v_add_u32_e32 v2, v4, v2
	v_lshrrev_b32_e32 v3, s6, v2
	v_mul_lo_u32 v2, v3, s4
	v_sub_u32_e32 v4, v4, v2
	v_mul_lo_u32 v2, v4, s8
	v_mul_lo_u32 v16, v4, s9
	;; [unrolled: 1-line block ×3, first 2 shown]
	s_cbranch_scc1 .LBB29_247
; %bb.246:
	s_load_dwordx4 s[4:7], s[12:13], 0x10
	s_load_dwordx4 s[8:11], s[12:13], 0xd0
	s_waitcnt lgkmcnt(0)
	v_mul_hi_u32 v4, s5, v3
	v_add_u32_e32 v4, v3, v4
	v_lshrrev_b32_e32 v4, s6, v4
	v_mul_lo_u32 v4, v4, s4
	v_sub_u32_e32 v4, v3, v4
	v_mad_u64_u32 v[2:3], s[2:3], v4, s8, v[2:3]
	v_mad_u64_u32 v[16:17], s[2:3], v4, s9, v[16:17]
	;; [unrolled: 1-line block ×3, first 2 shown]
.LBB29_247:
	s_and_b64 vcc, exec, s[0:1]
	v_add_u32_e32 v5, 0x180, v21
	s_cbranch_vccnz .LBB29_253
; %bb.248:
	s_cmp_lg_u32 s33, 0
	s_cbranch_scc0 .LBB29_254
; %bb.249:
	s_min_u32 s4, s40, 15
	s_add_i32 s2, s4, 1
	s_and_b32 s5, s2, 30
	s_add_u32 s2, s12, 0xffffffe8
	s_addc_u32 s3, s13, -1
	v_mov_b32_e32 v17, 0
	v_mov_b32_e32 v19, 0
	;; [unrolled: 1-line block ×4, first 2 shown]
.LBB29_250:                             ; =>This Inner Loop Header: Depth=1
	s_load_dwordx4 s[8:11], s[2:3], 0x1c
	s_load_dwordx2 s[6:7], s[2:3], 0x2c
	s_load_dwordx2 s[14:15], s[2:3], 0xec
	s_load_dwordx4 s[16:19], s[2:3], 0xdc
	s_add_u32 s2, s2, 24
	s_waitcnt lgkmcnt(0)
	v_mul_hi_u32 v7, s9, v4
	s_addc_u32 s3, s3, 0
	s_add_i32 s5, s5, -2
	s_cmp_lg_u32 s5, 0
	v_add_u32_e32 v7, v4, v7
	v_lshrrev_b32_e32 v7, s10, v7
	v_mul_lo_u32 v10, v7, s8
	v_mul_hi_u32 v12, s6, v7
	v_sub_u32_e32 v10, v4, v10
	v_add_u32_e32 v4, v7, v12
	v_lshrrev_b32_e32 v4, s7, v4
	v_mul_lo_u32 v15, v4, s11
	v_mul_lo_u32 v12, v10, s16
	v_mul_lo_u32 v13, v10, s17
	v_mul_lo_u32 v10, v10, s18
	v_sub_u32_e32 v7, v7, v15
	v_mul_lo_u32 v15, v7, s19
	v_mul_lo_u32 v18, v7, s14
	;; [unrolled: 1-line block ×3, first 2 shown]
	v_add3_u32 v3, v12, v3, v15
	v_add3_u32 v19, v13, v19, v18
	;; [unrolled: 1-line block ×3, first 2 shown]
	s_cbranch_scc1 .LBB29_250
; %bb.251:
	s_bitcmp1_b32 s4, 0
	s_cselect_b64 s[4:5], -1, 0
	s_and_b64 vcc, exec, s[4:5]
	s_cbranch_vccnz .LBB29_255
; %bb.252:
	s_load_dwordx2 s[4:5], s[2:3], 0x1c
	s_load_dword s8, s[2:3], 0x24
	s_load_dwordx2 s[6:7], s[2:3], 0xdc
	s_waitcnt lgkmcnt(0)
	v_mul_hi_u32 v7, s5, v4
	v_add_u32_e32 v7, v4, v7
	v_lshrrev_b32_e32 v7, s8, v7
	v_mul_lo_u32 v7, v7, s4
	s_load_dword s4, s[2:3], 0xe4
	v_sub_u32_e32 v7, v4, v7
	v_mad_u64_u32 v[3:4], s[2:3], v7, s6, v[3:4]
	v_mad_u64_u32 v[19:20], s[2:3], v7, s7, v[19:20]
	s_waitcnt lgkmcnt(0)
	v_mad_u64_u32 v[17:18], s[2:3], v7, s4, v[17:18]
	s_cbranch_execz .LBB29_256
	s_branch .LBB29_258
.LBB29_253:
                                        ; implicit-def: $vgpr3
                                        ; implicit-def: $vgpr19
                                        ; implicit-def: $vgpr17
	s_branch .LBB29_256
.LBB29_254:
	v_mov_b32_e32 v3, 0
	v_mov_b32_e32 v19, 0
	;; [unrolled: 1-line block ×3, first 2 shown]
.LBB29_255:
	s_cbranch_execnz .LBB29_258
.LBB29_256:
	s_load_dwordx4 s[4:7], s[12:13], 0x4
	s_load_dwordx4 s[8:11], s[12:13], 0xc4
	s_cmp_lt_u32 s33, 2
	s_waitcnt lgkmcnt(0)
	v_mul_hi_u32 v3, s5, v5
	v_add_u32_e32 v3, v5, v3
	v_lshrrev_b32_e32 v4, s6, v3
	v_mul_lo_u32 v3, v4, s4
	v_sub_u32_e32 v5, v5, v3
	v_mul_lo_u32 v3, v5, s8
	v_mul_lo_u32 v19, v5, s9
	;; [unrolled: 1-line block ×3, first 2 shown]
	s_cbranch_scc1 .LBB29_258
; %bb.257:
	s_load_dwordx4 s[4:7], s[12:13], 0x10
	s_load_dwordx4 s[8:11], s[12:13], 0xd0
	s_waitcnt lgkmcnt(0)
	v_mul_hi_u32 v5, s5, v4
	v_add_u32_e32 v5, v4, v5
	v_lshrrev_b32_e32 v5, s6, v5
	v_mul_lo_u32 v5, v5, s4
	v_sub_u32_e32 v5, v4, v5
	v_mad_u64_u32 v[3:4], s[2:3], v5, s8, v[3:4]
	v_mad_u64_u32 v[19:20], s[2:3], v5, s9, v[19:20]
	;; [unrolled: 1-line block ×3, first 2 shown]
.LBB29_258:
	s_and_b64 vcc, exec, s[0:1]
	v_add_u32_e32 v7, 0x200, v21
	s_cbranch_vccnz .LBB29_264
; %bb.259:
	s_cmp_lg_u32 s33, 0
	s_cbranch_scc0 .LBB29_265
; %bb.260:
	s_min_u32 s4, s40, 15
	s_add_i32 s2, s4, 1
	s_and_b32 s5, s2, 30
	s_add_u32 s2, s12, 0xffffffe8
	s_addc_u32 s3, s13, -1
	v_mov_b32_e32 v22, 0
	v_mov_b32_e32 v24, 0
	;; [unrolled: 1-line block ×4, first 2 shown]
.LBB29_261:                             ; =>This Inner Loop Header: Depth=1
	s_load_dwordx4 s[8:11], s[2:3], 0x1c
	s_load_dwordx2 s[6:7], s[2:3], 0x2c
	s_load_dwordx2 s[14:15], s[2:3], 0xec
	s_load_dwordx4 s[16:19], s[2:3], 0xdc
	s_add_u32 s2, s2, 24
	s_waitcnt lgkmcnt(0)
	v_mul_hi_u32 v10, s9, v5
	s_addc_u32 s3, s3, 0
	s_add_i32 s5, s5, -2
	s_cmp_lg_u32 s5, 0
	v_add_u32_e32 v10, v5, v10
	v_lshrrev_b32_e32 v10, s10, v10
	v_mul_lo_u32 v12, v10, s8
	v_mul_hi_u32 v13, s6, v10
	v_sub_u32_e32 v12, v5, v12
	v_add_u32_e32 v5, v10, v13
	v_lshrrev_b32_e32 v5, s7, v5
	v_mul_lo_u32 v18, v5, s11
	v_mul_lo_u32 v13, v12, s16
	;; [unrolled: 1-line block ×4, first 2 shown]
	v_sub_u32_e32 v10, v10, v18
	v_mul_lo_u32 v18, v10, s19
	v_mul_lo_u32 v20, v10, s14
	;; [unrolled: 1-line block ×3, first 2 shown]
	v_add3_u32 v4, v13, v4, v18
	v_add3_u32 v24, v15, v24, v20
	;; [unrolled: 1-line block ×3, first 2 shown]
	s_cbranch_scc1 .LBB29_261
; %bb.262:
	s_bitcmp1_b32 s4, 0
	s_cselect_b64 s[4:5], -1, 0
	s_and_b64 vcc, exec, s[4:5]
	s_cbranch_vccnz .LBB29_266
; %bb.263:
	s_load_dwordx2 s[4:5], s[2:3], 0x1c
	s_load_dword s8, s[2:3], 0x24
	s_load_dwordx2 s[6:7], s[2:3], 0xdc
	s_waitcnt lgkmcnt(0)
	v_mul_hi_u32 v10, s5, v5
	v_add_u32_e32 v10, v5, v10
	v_lshrrev_b32_e32 v10, s8, v10
	v_mul_lo_u32 v10, v10, s4
	s_load_dword s4, s[2:3], 0xe4
	v_sub_u32_e32 v10, v5, v10
	v_mad_u64_u32 v[4:5], s[2:3], v10, s6, v[4:5]
	v_mad_u64_u32 v[24:25], s[2:3], v10, s7, v[24:25]
	s_waitcnt lgkmcnt(0)
	v_mad_u64_u32 v[22:23], s[2:3], v10, s4, v[22:23]
	s_cbranch_execz .LBB29_267
	s_branch .LBB29_269
.LBB29_264:
                                        ; implicit-def: $vgpr4
                                        ; implicit-def: $vgpr24
                                        ; implicit-def: $vgpr22
	s_branch .LBB29_267
.LBB29_265:
	v_mov_b32_e32 v4, 0
	v_mov_b32_e32 v24, 0
	;; [unrolled: 1-line block ×3, first 2 shown]
.LBB29_266:
	s_cbranch_execnz .LBB29_269
.LBB29_267:
	s_load_dwordx4 s[4:7], s[12:13], 0x4
	s_load_dwordx4 s[8:11], s[12:13], 0xc4
	s_cmp_lt_u32 s33, 2
	s_waitcnt lgkmcnt(0)
	v_mul_hi_u32 v4, s5, v7
	v_add_u32_e32 v4, v7, v4
	v_lshrrev_b32_e32 v5, s6, v4
	v_mul_lo_u32 v4, v5, s4
	v_sub_u32_e32 v7, v7, v4
	v_mul_lo_u32 v4, v7, s8
	v_mul_lo_u32 v24, v7, s9
	;; [unrolled: 1-line block ×3, first 2 shown]
	s_cbranch_scc1 .LBB29_269
; %bb.268:
	s_load_dwordx4 s[4:7], s[12:13], 0x10
	s_load_dwordx4 s[8:11], s[12:13], 0xd0
	s_waitcnt lgkmcnt(0)
	v_mul_hi_u32 v7, s5, v5
	v_add_u32_e32 v7, v5, v7
	v_lshrrev_b32_e32 v7, s6, v7
	v_mul_lo_u32 v7, v7, s4
	v_sub_u32_e32 v7, v5, v7
	v_mad_u64_u32 v[4:5], s[2:3], v7, s8, v[4:5]
	v_mad_u64_u32 v[24:25], s[2:3], v7, s9, v[24:25]
	;; [unrolled: 1-line block ×3, first 2 shown]
.LBB29_269:
	s_and_b64 vcc, exec, s[0:1]
	v_add_u32_e32 v5, 0x280, v21
	s_cbranch_vccnz .LBB29_275
; %bb.270:
	s_cmp_lg_u32 s33, 0
	s_cbranch_scc0 .LBB29_276
; %bb.271:
	s_min_u32 s4, s40, 15
	s_add_i32 s2, s4, 1
	s_and_b32 s5, s2, 30
	s_add_u32 s2, s12, 0xffffffe8
	s_addc_u32 s3, s13, -1
	v_mov_b32_e32 v25, 0
	v_mov_b32_e32 v27, 0
	;; [unrolled: 1-line block ×4, first 2 shown]
.LBB29_272:                             ; =>This Inner Loop Header: Depth=1
	s_load_dwordx4 s[8:11], s[2:3], 0x1c
	s_load_dwordx2 s[6:7], s[2:3], 0x2c
	s_load_dwordx2 s[14:15], s[2:3], 0xec
	s_load_dwordx4 s[16:19], s[2:3], 0xdc
	s_add_u32 s2, s2, 24
	s_waitcnt lgkmcnt(0)
	v_mul_hi_u32 v10, s9, v7
	s_addc_u32 s3, s3, 0
	s_add_i32 s5, s5, -2
	s_cmp_lg_u32 s5, 0
	v_add_u32_e32 v10, v7, v10
	v_lshrrev_b32_e32 v10, s10, v10
	v_mul_lo_u32 v13, v10, s8
	v_mul_hi_u32 v15, s6, v10
	v_sub_u32_e32 v13, v7, v13
	v_add_u32_e32 v7, v10, v15
	v_lshrrev_b32_e32 v7, s7, v7
	v_mul_lo_u32 v20, v7, s11
	v_mul_lo_u32 v15, v13, s16
	;; [unrolled: 1-line block ×4, first 2 shown]
	v_sub_u32_e32 v10, v10, v20
	v_mul_lo_u32 v20, v10, s19
	v_mul_lo_u32 v23, v10, s14
	;; [unrolled: 1-line block ×3, first 2 shown]
	v_add3_u32 v12, v15, v12, v20
	v_add3_u32 v27, v18, v27, v23
	;; [unrolled: 1-line block ×3, first 2 shown]
	s_cbranch_scc1 .LBB29_272
; %bb.273:
	s_bitcmp1_b32 s4, 0
	s_cselect_b64 s[4:5], -1, 0
	s_and_b64 vcc, exec, s[4:5]
	s_cbranch_vccnz .LBB29_277
; %bb.274:
	s_load_dwordx2 s[4:5], s[2:3], 0x1c
	s_load_dword s8, s[2:3], 0x24
	s_load_dwordx2 s[6:7], s[2:3], 0xdc
	s_waitcnt lgkmcnt(0)
	v_mul_hi_u32 v10, s5, v7
	v_add_u32_e32 v10, v7, v10
	v_lshrrev_b32_e32 v10, s8, v10
	v_mul_lo_u32 v10, v10, s4
	s_load_dword s4, s[2:3], 0xe4
	v_sub_u32_e32 v7, v7, v10
	v_mad_u64_u32 v[12:13], s[2:3], v7, s6, v[12:13]
	v_mad_u64_u32 v[27:28], s[2:3], v7, s7, v[27:28]
	s_waitcnt lgkmcnt(0)
	v_mad_u64_u32 v[25:26], s[2:3], v7, s4, v[25:26]
	s_cbranch_execz .LBB29_278
	s_branch .LBB29_280
.LBB29_275:
                                        ; implicit-def: $vgpr12
                                        ; implicit-def: $vgpr27
                                        ; implicit-def: $vgpr25
	s_branch .LBB29_278
.LBB29_276:
	v_mov_b32_e32 v12, 0
	v_mov_b32_e32 v27, 0
	;; [unrolled: 1-line block ×3, first 2 shown]
.LBB29_277:
	s_cbranch_execnz .LBB29_280
.LBB29_278:
	s_load_dwordx4 s[4:7], s[12:13], 0x4
	s_load_dwordx4 s[8:11], s[12:13], 0xc4
	s_cmp_lt_u32 s33, 2
	s_waitcnt lgkmcnt(0)
	v_mul_hi_u32 v7, s5, v5
	v_add_u32_e32 v7, v5, v7
	v_lshrrev_b32_e32 v7, s6, v7
	v_mul_lo_u32 v10, v7, s4
	v_sub_u32_e32 v5, v5, v10
	v_mul_lo_u32 v12, v5, s8
	v_mul_lo_u32 v27, v5, s9
	;; [unrolled: 1-line block ×3, first 2 shown]
	s_cbranch_scc1 .LBB29_280
; %bb.279:
	s_load_dwordx4 s[4:7], s[12:13], 0x10
	s_load_dwordx4 s[8:11], s[12:13], 0xd0
	s_waitcnt lgkmcnt(0)
	v_mul_hi_u32 v5, s5, v7
	v_add_u32_e32 v5, v7, v5
	v_lshrrev_b32_e32 v5, s6, v5
	v_mul_lo_u32 v5, v5, s4
	v_sub_u32_e32 v5, v7, v5
	v_mad_u64_u32 v[12:13], s[2:3], v5, s8, v[12:13]
	v_mad_u64_u32 v[27:28], s[2:3], v5, s9, v[27:28]
	;; [unrolled: 1-line block ×3, first 2 shown]
.LBB29_280:
	s_and_b64 vcc, exec, s[0:1]
	v_add_u32_e32 v5, 0x300, v21
	s_cbranch_vccnz .LBB29_286
; %bb.281:
	s_cmp_lg_u32 s33, 0
	s_cbranch_scc0 .LBB29_287
; %bb.282:
	s_min_u32 s4, s40, 15
	s_add_i32 s2, s4, 1
	s_and_b32 s5, s2, 30
	s_add_u32 s2, s12, 0xffffffe8
	s_addc_u32 s3, s13, -1
	v_mov_b32_e32 v30, 0
	v_mov_b32_e32 v32, 0
	;; [unrolled: 1-line block ×4, first 2 shown]
.LBB29_283:                             ; =>This Inner Loop Header: Depth=1
	s_load_dwordx4 s[8:11], s[2:3], 0x1c
	s_load_dwordx2 s[6:7], s[2:3], 0x2c
	s_load_dwordx2 s[14:15], s[2:3], 0xec
	s_load_dwordx4 s[16:19], s[2:3], 0xdc
	s_add_u32 s2, s2, 24
	s_waitcnt lgkmcnt(0)
	v_mul_hi_u32 v10, s9, v7
	s_addc_u32 s3, s3, 0
	s_add_i32 s5, s5, -2
	s_cmp_lg_u32 s5, 0
	v_add_u32_e32 v10, v7, v10
	v_lshrrev_b32_e32 v10, s10, v10
	v_mul_lo_u32 v13, v10, s8
	v_mul_hi_u32 v15, s6, v10
	v_sub_u32_e32 v13, v7, v13
	v_add_u32_e32 v7, v10, v15
	v_lshrrev_b32_e32 v7, s7, v7
	v_mul_lo_u32 v21, v7, s11
	v_mul_lo_u32 v15, v13, s16
	;; [unrolled: 1-line block ×4, first 2 shown]
	v_sub_u32_e32 v10, v10, v21
	v_mul_lo_u32 v21, v10, s19
	v_mul_lo_u32 v23, v10, s14
	;; [unrolled: 1-line block ×3, first 2 shown]
	v_add3_u32 v20, v15, v20, v21
	v_add3_u32 v32, v18, v32, v23
	;; [unrolled: 1-line block ×3, first 2 shown]
	s_cbranch_scc1 .LBB29_283
; %bb.284:
	s_bitcmp1_b32 s4, 0
	s_cselect_b64 s[4:5], -1, 0
	s_and_b64 vcc, exec, s[4:5]
	s_cbranch_vccnz .LBB29_288
; %bb.285:
	s_load_dwordx2 s[4:5], s[2:3], 0x1c
	s_load_dword s8, s[2:3], 0x24
	s_load_dwordx2 s[6:7], s[2:3], 0xdc
	s_waitcnt lgkmcnt(0)
	v_mul_hi_u32 v10, s5, v7
	v_add_u32_e32 v10, v7, v10
	v_lshrrev_b32_e32 v10, s8, v10
	v_mul_lo_u32 v10, v10, s4
	s_load_dword s4, s[2:3], 0xe4
	v_sub_u32_e32 v7, v7, v10
	v_mad_u64_u32 v[20:21], s[2:3], v7, s6, v[20:21]
	v_mad_u64_u32 v[32:33], s[2:3], v7, s7, v[32:33]
	s_waitcnt lgkmcnt(0)
	v_mad_u64_u32 v[30:31], s[2:3], v7, s4, v[30:31]
	s_cbranch_execz .LBB29_289
	s_branch .LBB29_291
.LBB29_286:
                                        ; implicit-def: $vgpr20
                                        ; implicit-def: $vgpr32
                                        ; implicit-def: $vgpr30
	s_branch .LBB29_289
.LBB29_287:
	v_mov_b32_e32 v20, 0
	v_mov_b32_e32 v32, 0
	;; [unrolled: 1-line block ×3, first 2 shown]
.LBB29_288:
	s_cbranch_execnz .LBB29_291
.LBB29_289:
	s_load_dwordx4 s[4:7], s[12:13], 0x4
	s_load_dwordx4 s[8:11], s[12:13], 0xc4
	s_cmp_lt_u32 s33, 2
	s_waitcnt lgkmcnt(0)
	v_mul_hi_u32 v7, s5, v5
	v_add_u32_e32 v7, v5, v7
	v_lshrrev_b32_e32 v7, s6, v7
	v_mul_lo_u32 v10, v7, s4
	v_sub_u32_e32 v5, v5, v10
	v_mul_lo_u32 v20, v5, s8
	v_mul_lo_u32 v32, v5, s9
	;; [unrolled: 1-line block ×3, first 2 shown]
	s_cbranch_scc1 .LBB29_291
; %bb.290:
	s_load_dwordx4 s[4:7], s[12:13], 0x10
	s_load_dwordx4 s[8:11], s[12:13], 0xd0
	s_waitcnt lgkmcnt(0)
	v_mul_hi_u32 v5, s5, v7
	v_add_u32_e32 v5, v7, v5
	v_lshrrev_b32_e32 v5, s6, v5
	v_mul_lo_u32 v5, v5, s4
	v_sub_u32_e32 v5, v7, v5
	v_mad_u64_u32 v[20:21], s[2:3], v5, s8, v[20:21]
	v_mad_u64_u32 v[32:33], s[2:3], v5, s9, v[32:33]
	;; [unrolled: 1-line block ×3, first 2 shown]
.LBB29_291:
	s_and_b64 vcc, exec, s[0:1]
	s_cbranch_vccnz .LBB29_297
; %bb.292:
	s_cmp_lg_u32 s33, 0
	s_cbranch_scc0 .LBB29_298
; %bb.293:
	s_min_u32 s2, s40, 15
	s_add_i32 s0, s2, 1
	s_and_b32 s3, s0, 30
	s_add_u32 s0, s12, 0xffffffe8
	s_addc_u32 s1, s13, -1
	v_mov_b32_e32 v35, 0
	v_mov_b32_e32 v33, 0
	;; [unrolled: 1-line block ×4, first 2 shown]
.LBB29_294:                             ; =>This Inner Loop Header: Depth=1
	s_load_dwordx4 s[4:7], s[0:1], 0x1c
	s_load_dwordx2 s[14:15], s[0:1], 0x2c
	s_load_dwordx2 s[16:17], s[0:1], 0xec
	s_load_dwordx4 s[8:11], s[0:1], 0xdc
	s_add_u32 s0, s0, 24
	s_waitcnt lgkmcnt(0)
	v_mul_hi_u32 v7, s5, v5
	s_addc_u32 s1, s1, 0
	s_add_i32 s3, s3, -2
	s_cmp_lg_u32 s3, 0
	v_add_u32_e32 v7, v5, v7
	v_lshrrev_b32_e32 v7, s6, v7
	v_mul_lo_u32 v10, v7, s4
	v_mul_hi_u32 v13, s14, v7
	v_sub_u32_e32 v10, v5, v10
	v_add_u32_e32 v5, v7, v13
	v_lshrrev_b32_e32 v5, s15, v5
	v_mul_lo_u32 v18, v5, s7
	v_mul_lo_u32 v13, v10, s8
	v_mul_lo_u32 v15, v10, s9
	v_mul_lo_u32 v10, v10, s10
	v_sub_u32_e32 v7, v7, v18
	v_mul_lo_u32 v18, v7, s11
	v_mul_lo_u32 v21, v7, s16
	;; [unrolled: 1-line block ×3, first 2 shown]
	v_add3_u32 v28, v13, v28, v18
	v_add3_u32 v33, v15, v33, v21
	;; [unrolled: 1-line block ×3, first 2 shown]
	s_cbranch_scc1 .LBB29_294
; %bb.295:
	s_bitcmp1_b32 s2, 0
	s_cselect_b64 s[2:3], -1, 0
	s_and_b64 vcc, exec, s[2:3]
	s_cbranch_vccnz .LBB29_299
; %bb.296:
	s_load_dwordx2 s[2:3], s[0:1], 0x1c
	s_load_dword s6, s[0:1], 0x24
	s_load_dwordx2 s[4:5], s[0:1], 0xdc
	s_waitcnt lgkmcnt(0)
	v_mul_hi_u32 v7, s3, v5
	v_add_u32_e32 v7, v5, v7
	v_lshrrev_b32_e32 v7, s6, v7
	v_mul_lo_u32 v7, v7, s2
	s_load_dword s2, s[0:1], 0xe4
	v_sub_u32_e32 v5, v5, v7
	v_mad_u64_u32 v[28:29], s[0:1], v5, s4, v[28:29]
	v_mad_u64_u32 v[33:34], s[0:1], v5, s5, v[33:34]
	s_waitcnt lgkmcnt(0)
	v_mad_u64_u32 v[35:36], s[0:1], v5, s2, v[35:36]
	s_cbranch_execz .LBB29_300
	s_branch .LBB29_302
.LBB29_297:
                                        ; implicit-def: $vgpr28
                                        ; implicit-def: $vgpr33
                                        ; implicit-def: $vgpr35
	s_branch .LBB29_300
.LBB29_298:
	v_mov_b32_e32 v28, 0
	v_mov_b32_e32 v33, 0
	;; [unrolled: 1-line block ×3, first 2 shown]
.LBB29_299:
	s_cbranch_execnz .LBB29_302
.LBB29_300:
	s_load_dwordx4 s[0:3], s[12:13], 0x4
	s_load_dwordx4 s[4:7], s[12:13], 0xc4
	s_cmp_lt_u32 s33, 2
	s_waitcnt lgkmcnt(0)
	v_mul_hi_u32 v5, s1, v37
	v_add_u32_e32 v5, v37, v5
	v_lshrrev_b32_e32 v5, s2, v5
	v_mul_lo_u32 v7, v5, s0
	v_sub_u32_e32 v7, v37, v7
	v_mul_lo_u32 v28, v7, s4
	v_mul_lo_u32 v33, v7, s5
	;; [unrolled: 1-line block ×3, first 2 shown]
	s_cbranch_scc1 .LBB29_302
; %bb.301:
	s_load_dwordx4 s[0:3], s[12:13], 0x10
	s_load_dwordx4 s[4:7], s[12:13], 0xd0
	s_waitcnt lgkmcnt(0)
	v_mul_hi_u32 v7, s1, v5
	v_add_u32_e32 v7, v5, v7
	v_lshrrev_b32_e32 v7, s2, v7
	v_mul_lo_u32 v7, v7, s0
	v_sub_u32_e32 v5, v5, v7
	v_mad_u64_u32 v[28:29], s[0:1], v5, s4, v[28:29]
	v_mad_u64_u32 v[33:34], s[0:1], v5, s5, v[33:34]
	;; [unrolled: 1-line block ×3, first 2 shown]
.LBB29_302:
	s_load_dwordx4 s[0:3], s[12:13], 0x188
	s_load_dwordx2 s[6:7], s[12:13], 0x198
	s_load_dword s26, s[12:13], 0x1a0
	s_mov_b64 s[8:9], 0
	s_waitcnt lgkmcnt(0)
	global_load_sbyte v5, v8, s[2:3]
	global_load_sbyte v7, v6, s[6:7]
	s_cmp_lt_i32 s26, 1
	s_cbranch_scc1 .LBB29_306
; %bb.303:
	s_cmp_gt_i32 s26, 1
	s_cbranch_scc0 .LBB29_307
; %bb.304:
	s_cmp_eq_u32 s26, 2
	s_cbranch_scc0 .LBB29_308
; %bb.305:
	s_waitcnt vmcnt(0)
	v_cmp_le_i16_e64 s[4:5], v5, v7
	s_mov_b64 s[10:11], 0
	s_branch .LBB29_309
.LBB29_306:
                                        ; implicit-def: $sgpr4_sgpr5
	s_mov_b64 s[10:11], 0
	s_cbranch_execnz .LBB29_312
	s_branch .LBB29_313
.LBB29_307:
	s_mov_b64 s[10:11], 0
                                        ; implicit-def: $sgpr4_sgpr5
	s_cbranch_execnz .LBB29_310
	s_branch .LBB29_311
.LBB29_308:
	s_mov_b64 s[10:11], -1
                                        ; implicit-def: $sgpr4_sgpr5
.LBB29_309:
	s_branch .LBB29_311
.LBB29_310:
	s_waitcnt vmcnt(0)
	v_cmp_gt_i16_e32 vcc, v5, v7
	s_andn2_b64 s[4:5], s[4:5], exec
	s_and_b64 s[12:13], vcc, exec
	s_or_b64 s[4:5], s[4:5], s[12:13]
.LBB29_311:
	s_branch .LBB29_313
.LBB29_312:
	s_cmp_lg_u32 s26, 0
	s_mov_b64 s[8:9], -1
	s_cselect_b64 s[10:11], -1, 0
.LBB29_313:
	s_andn2_b64 vcc, exec, s[10:11]
	s_cbranch_vccz .LBB29_320
; %bb.314:
	s_andn2_b64 vcc, exec, s[8:9]
	s_cbranch_vccnz .LBB29_316
.LBB29_315:
	s_waitcnt vmcnt(0)
	v_cmp_ge_i16_e32 vcc, v5, v7
	s_andn2_b64 s[4:5], s[4:5], exec
	s_and_b64 s[8:9], vcc, exec
	s_or_b64 s[4:5], s[4:5], s[8:9]
.LBB29_316:
	global_load_sbyte v5, v11, s[2:3]
	global_load_sbyte v6, v9, s[6:7]
	s_cmp_lt_i32 s26, 1
	s_mov_b64 s[10:11], 0
	s_cbranch_scc1 .LBB29_321
; %bb.317:
	s_cmp_gt_i32 s26, 1
	s_cbranch_scc0 .LBB29_322
; %bb.318:
	s_cmp_eq_u32 s26, 2
	s_cbranch_scc0 .LBB29_323
; %bb.319:
	s_waitcnt vmcnt(0)
	v_cmp_le_i16_e64 s[8:9], v5, v6
	s_mov_b64 s[12:13], 0
	s_branch .LBB29_324
.LBB29_320:
	s_waitcnt vmcnt(0)
	v_cmp_lt_i16_e32 vcc, v5, v7
	s_andn2_b64 s[4:5], s[4:5], exec
	s_and_b64 s[10:11], vcc, exec
	s_or_b64 s[4:5], s[4:5], s[10:11]
	s_cbranch_execz .LBB29_315
	s_branch .LBB29_316
.LBB29_321:
                                        ; implicit-def: $sgpr8_sgpr9
	s_mov_b64 s[12:13], 0
	s_cbranch_execnz .LBB29_327
	s_branch .LBB29_328
.LBB29_322:
	s_mov_b64 s[12:13], 0
                                        ; implicit-def: $sgpr8_sgpr9
	s_cbranch_execnz .LBB29_325
	s_branch .LBB29_326
.LBB29_323:
	s_mov_b64 s[12:13], -1
                                        ; implicit-def: $sgpr8_sgpr9
.LBB29_324:
	s_branch .LBB29_326
.LBB29_325:
	s_waitcnt vmcnt(0)
	v_cmp_gt_i16_e32 vcc, v5, v6
	s_andn2_b64 s[8:9], s[8:9], exec
	s_and_b64 s[14:15], vcc, exec
	s_or_b64 s[8:9], s[8:9], s[14:15]
.LBB29_326:
	s_branch .LBB29_328
.LBB29_327:
	s_cmp_lg_u32 s26, 0
	s_mov_b64 s[10:11], -1
	s_cselect_b64 s[12:13], -1, 0
.LBB29_328:
	s_andn2_b64 vcc, exec, s[12:13]
	s_cbranch_vccz .LBB29_335
; %bb.329:
	s_andn2_b64 vcc, exec, s[10:11]
	s_cbranch_vccnz .LBB29_331
.LBB29_330:
	s_waitcnt vmcnt(0)
	v_cmp_ge_i16_e32 vcc, v5, v6
	s_andn2_b64 s[8:9], s[8:9], exec
	s_and_b64 s[10:11], vcc, exec
	s_or_b64 s[8:9], s[8:9], s[10:11]
.LBB29_331:
	global_load_sbyte v5, v16, s[2:3]
	global_load_sbyte v6, v14, s[6:7]
	s_cmp_lt_i32 s26, 1
	s_mov_b64 s[12:13], 0
	s_cbranch_scc1 .LBB29_336
; %bb.332:
	s_cmp_gt_i32 s26, 1
	s_cbranch_scc0 .LBB29_337
; %bb.333:
	s_cmp_eq_u32 s26, 2
	s_cbranch_scc0 .LBB29_338
; %bb.334:
	s_waitcnt vmcnt(0)
	v_cmp_le_i16_e64 s[10:11], v5, v6
	s_mov_b64 s[14:15], 0
	s_branch .LBB29_339
.LBB29_335:
	s_waitcnt vmcnt(0)
	v_cmp_lt_i16_e32 vcc, v5, v6
	s_andn2_b64 s[8:9], s[8:9], exec
	s_and_b64 s[12:13], vcc, exec
	s_or_b64 s[8:9], s[8:9], s[12:13]
	s_cbranch_execz .LBB29_330
	s_branch .LBB29_331
.LBB29_336:
                                        ; implicit-def: $sgpr10_sgpr11
	s_mov_b64 s[14:15], 0
	s_cbranch_execnz .LBB29_342
	s_branch .LBB29_343
.LBB29_337:
	s_mov_b64 s[14:15], 0
                                        ; implicit-def: $sgpr10_sgpr11
	s_cbranch_execnz .LBB29_340
	s_branch .LBB29_341
.LBB29_338:
	s_mov_b64 s[14:15], -1
                                        ; implicit-def: $sgpr10_sgpr11
.LBB29_339:
	s_branch .LBB29_341
.LBB29_340:
	s_waitcnt vmcnt(0)
	v_cmp_gt_i16_e32 vcc, v5, v6
	s_andn2_b64 s[10:11], s[10:11], exec
	s_and_b64 s[16:17], vcc, exec
	s_or_b64 s[10:11], s[10:11], s[16:17]
.LBB29_341:
	s_branch .LBB29_343
.LBB29_342:
	s_cmp_lg_u32 s26, 0
	s_mov_b64 s[12:13], -1
	s_cselect_b64 s[14:15], -1, 0
.LBB29_343:
	s_andn2_b64 vcc, exec, s[14:15]
	s_cbranch_vccz .LBB29_350
; %bb.344:
	s_andn2_b64 vcc, exec, s[12:13]
	s_cbranch_vccnz .LBB29_346
.LBB29_345:
	s_waitcnt vmcnt(0)
	v_cmp_ge_i16_e32 vcc, v5, v6
	s_andn2_b64 s[10:11], s[10:11], exec
	s_and_b64 s[12:13], vcc, exec
	s_or_b64 s[10:11], s[10:11], s[12:13]
.LBB29_346:
	global_load_sbyte v5, v19, s[2:3]
	global_load_sbyte v6, v17, s[6:7]
	s_cmp_lt_i32 s26, 1
	s_mov_b64 s[14:15], 0
	s_cbranch_scc1 .LBB29_351
; %bb.347:
	s_cmp_gt_i32 s26, 1
	s_cbranch_scc0 .LBB29_352
; %bb.348:
	s_cmp_eq_u32 s26, 2
	s_cbranch_scc0 .LBB29_353
; %bb.349:
	s_waitcnt vmcnt(0)
	v_cmp_le_i16_e64 s[12:13], v5, v6
	s_mov_b64 s[16:17], 0
	s_branch .LBB29_354
.LBB29_350:
	s_waitcnt vmcnt(0)
	v_cmp_lt_i16_e32 vcc, v5, v6
	s_andn2_b64 s[10:11], s[10:11], exec
	s_and_b64 s[14:15], vcc, exec
	s_or_b64 s[10:11], s[10:11], s[14:15]
	s_cbranch_execz .LBB29_345
	s_branch .LBB29_346
.LBB29_351:
                                        ; implicit-def: $sgpr12_sgpr13
	s_mov_b64 s[16:17], 0
	s_cbranch_execnz .LBB29_357
	s_branch .LBB29_358
.LBB29_352:
	s_mov_b64 s[16:17], 0
                                        ; implicit-def: $sgpr12_sgpr13
	s_cbranch_execnz .LBB29_355
	s_branch .LBB29_356
.LBB29_353:
	s_mov_b64 s[16:17], -1
                                        ; implicit-def: $sgpr12_sgpr13
.LBB29_354:
	s_branch .LBB29_356
.LBB29_355:
	s_waitcnt vmcnt(0)
	v_cmp_gt_i16_e32 vcc, v5, v6
	s_andn2_b64 s[12:13], s[12:13], exec
	s_and_b64 s[18:19], vcc, exec
	s_or_b64 s[12:13], s[12:13], s[18:19]
.LBB29_356:
	s_branch .LBB29_358
.LBB29_357:
	s_cmp_lg_u32 s26, 0
	s_mov_b64 s[14:15], -1
	s_cselect_b64 s[16:17], -1, 0
.LBB29_358:
	s_andn2_b64 vcc, exec, s[16:17]
	s_cbranch_vccz .LBB29_365
; %bb.359:
	s_andn2_b64 vcc, exec, s[14:15]
	s_cbranch_vccnz .LBB29_361
.LBB29_360:
	s_waitcnt vmcnt(0)
	v_cmp_ge_i16_e32 vcc, v5, v6
	s_andn2_b64 s[12:13], s[12:13], exec
	s_and_b64 s[14:15], vcc, exec
	s_or_b64 s[12:13], s[12:13], s[14:15]
.LBB29_361:
	global_load_sbyte v5, v24, s[2:3]
	global_load_sbyte v6, v22, s[6:7]
	s_cmp_lt_i32 s26, 1
	s_mov_b64 s[16:17], 0
	s_cbranch_scc1 .LBB29_366
; %bb.362:
	s_cmp_gt_i32 s26, 1
	s_cbranch_scc0 .LBB29_367
; %bb.363:
	s_cmp_eq_u32 s26, 2
	s_cbranch_scc0 .LBB29_368
; %bb.364:
	s_waitcnt vmcnt(0)
	v_cmp_le_i16_e64 s[14:15], v5, v6
	s_mov_b64 s[18:19], 0
	s_branch .LBB29_369
.LBB29_365:
	s_waitcnt vmcnt(0)
	v_cmp_lt_i16_e32 vcc, v5, v6
	s_andn2_b64 s[12:13], s[12:13], exec
	s_and_b64 s[16:17], vcc, exec
	s_or_b64 s[12:13], s[12:13], s[16:17]
	s_cbranch_execz .LBB29_360
	s_branch .LBB29_361
.LBB29_366:
                                        ; implicit-def: $sgpr14_sgpr15
	s_mov_b64 s[18:19], 0
	s_cbranch_execnz .LBB29_372
	s_branch .LBB29_373
.LBB29_367:
	s_mov_b64 s[18:19], 0
                                        ; implicit-def: $sgpr14_sgpr15
	s_cbranch_execnz .LBB29_370
	s_branch .LBB29_371
.LBB29_368:
	s_mov_b64 s[18:19], -1
                                        ; implicit-def: $sgpr14_sgpr15
.LBB29_369:
	s_branch .LBB29_371
.LBB29_370:
	s_waitcnt vmcnt(0)
	v_cmp_gt_i16_e32 vcc, v5, v6
	s_andn2_b64 s[14:15], s[14:15], exec
	s_and_b64 s[20:21], vcc, exec
	s_or_b64 s[14:15], s[14:15], s[20:21]
.LBB29_371:
	s_branch .LBB29_373
.LBB29_372:
	s_cmp_lg_u32 s26, 0
	s_mov_b64 s[16:17], -1
	s_cselect_b64 s[18:19], -1, 0
.LBB29_373:
	s_andn2_b64 vcc, exec, s[18:19]
	s_cbranch_vccz .LBB29_380
; %bb.374:
	s_andn2_b64 vcc, exec, s[16:17]
	s_cbranch_vccnz .LBB29_376
.LBB29_375:
	s_waitcnt vmcnt(0)
	v_cmp_ge_i16_e32 vcc, v5, v6
	s_andn2_b64 s[14:15], s[14:15], exec
	s_and_b64 s[16:17], vcc, exec
	s_or_b64 s[14:15], s[14:15], s[16:17]
.LBB29_376:
	global_load_sbyte v5, v27, s[2:3]
	global_load_sbyte v6, v25, s[6:7]
	s_cmp_lt_i32 s26, 1
	s_mov_b64 s[18:19], 0
	s_cbranch_scc1 .LBB29_381
; %bb.377:
	s_cmp_gt_i32 s26, 1
	s_cbranch_scc0 .LBB29_382
; %bb.378:
	s_cmp_eq_u32 s26, 2
	s_cbranch_scc0 .LBB29_383
; %bb.379:
	s_waitcnt vmcnt(0)
	v_cmp_le_i16_e64 s[16:17], v5, v6
	s_mov_b64 s[20:21], 0
	s_branch .LBB29_384
.LBB29_380:
	s_waitcnt vmcnt(0)
	v_cmp_lt_i16_e32 vcc, v5, v6
	s_andn2_b64 s[14:15], s[14:15], exec
	s_and_b64 s[18:19], vcc, exec
	s_or_b64 s[14:15], s[14:15], s[18:19]
	s_cbranch_execz .LBB29_375
	s_branch .LBB29_376
.LBB29_381:
                                        ; implicit-def: $sgpr16_sgpr17
	s_mov_b64 s[20:21], 0
	s_cbranch_execnz .LBB29_387
	s_branch .LBB29_388
.LBB29_382:
	s_mov_b64 s[20:21], 0
                                        ; implicit-def: $sgpr16_sgpr17
	s_cbranch_execnz .LBB29_385
	s_branch .LBB29_386
.LBB29_383:
	s_mov_b64 s[20:21], -1
                                        ; implicit-def: $sgpr16_sgpr17
.LBB29_384:
	s_branch .LBB29_386
.LBB29_385:
	s_waitcnt vmcnt(0)
	v_cmp_gt_i16_e32 vcc, v5, v6
	s_andn2_b64 s[16:17], s[16:17], exec
	s_and_b64 s[22:23], vcc, exec
	s_or_b64 s[16:17], s[16:17], s[22:23]
.LBB29_386:
	s_branch .LBB29_388
.LBB29_387:
	s_cmp_lg_u32 s26, 0
	s_mov_b64 s[18:19], -1
	s_cselect_b64 s[20:21], -1, 0
.LBB29_388:
	s_andn2_b64 vcc, exec, s[20:21]
	s_cbranch_vccz .LBB29_395
; %bb.389:
	s_andn2_b64 vcc, exec, s[18:19]
	s_cbranch_vccnz .LBB29_391
.LBB29_390:
	s_waitcnt vmcnt(0)
	v_cmp_ge_i16_e32 vcc, v5, v6
	s_andn2_b64 s[16:17], s[16:17], exec
	s_and_b64 s[18:19], vcc, exec
	s_or_b64 s[16:17], s[16:17], s[18:19]
.LBB29_391:
	global_load_sbyte v5, v32, s[2:3]
	global_load_sbyte v6, v30, s[6:7]
	s_cmp_lt_i32 s26, 1
	s_mov_b64 s[20:21], 0
	s_cbranch_scc1 .LBB29_396
; %bb.392:
	s_cmp_gt_i32 s26, 1
	s_cbranch_scc0 .LBB29_397
; %bb.393:
	s_cmp_eq_u32 s26, 2
	s_cbranch_scc0 .LBB29_398
; %bb.394:
	s_waitcnt vmcnt(0)
	v_cmp_le_i16_e64 s[18:19], v5, v6
	s_mov_b64 s[22:23], 0
	s_branch .LBB29_399
.LBB29_395:
	s_waitcnt vmcnt(0)
	v_cmp_lt_i16_e32 vcc, v5, v6
	s_andn2_b64 s[16:17], s[16:17], exec
	s_and_b64 s[20:21], vcc, exec
	s_or_b64 s[16:17], s[16:17], s[20:21]
	s_cbranch_execz .LBB29_390
	s_branch .LBB29_391
.LBB29_396:
                                        ; implicit-def: $sgpr18_sgpr19
	s_mov_b64 s[22:23], 0
	s_cbranch_execnz .LBB29_402
	s_branch .LBB29_403
.LBB29_397:
	s_mov_b64 s[22:23], 0
                                        ; implicit-def: $sgpr18_sgpr19
	s_cbranch_execnz .LBB29_400
	s_branch .LBB29_401
.LBB29_398:
	s_mov_b64 s[22:23], -1
                                        ; implicit-def: $sgpr18_sgpr19
.LBB29_399:
	s_branch .LBB29_401
.LBB29_400:
	s_waitcnt vmcnt(0)
	v_cmp_gt_i16_e32 vcc, v5, v6
	s_andn2_b64 s[18:19], s[18:19], exec
	s_and_b64 s[24:25], vcc, exec
	s_or_b64 s[18:19], s[18:19], s[24:25]
.LBB29_401:
	s_branch .LBB29_403
.LBB29_402:
	s_cmp_lg_u32 s26, 0
	s_mov_b64 s[20:21], -1
	s_cselect_b64 s[22:23], -1, 0
.LBB29_403:
	s_andn2_b64 vcc, exec, s[22:23]
	s_cbranch_vccz .LBB29_410
; %bb.404:
	s_andn2_b64 vcc, exec, s[20:21]
	s_cbranch_vccnz .LBB29_406
.LBB29_405:
	s_waitcnt vmcnt(0)
	v_cmp_ge_i16_e32 vcc, v5, v6
	s_andn2_b64 s[18:19], s[18:19], exec
	s_and_b64 s[20:21], vcc, exec
	s_or_b64 s[18:19], s[18:19], s[20:21]
.LBB29_406:
	global_load_sbyte v5, v33, s[2:3]
	global_load_sbyte v6, v35, s[6:7]
	s_cmp_lt_i32 s26, 1
	s_mov_b64 s[6:7], 0
	s_cbranch_scc1 .LBB29_411
; %bb.407:
	s_cmp_gt_i32 s26, 1
	s_cbranch_scc0 .LBB29_412
; %bb.408:
	s_cmp_eq_u32 s26, 2
	s_cbranch_scc0 .LBB29_413
; %bb.409:
	s_waitcnt vmcnt(0)
	v_cmp_le_i16_e64 s[2:3], v5, v6
	s_mov_b64 s[20:21], 0
	s_branch .LBB29_414
.LBB29_410:
	s_waitcnt vmcnt(0)
	v_cmp_lt_i16_e32 vcc, v5, v6
	s_andn2_b64 s[18:19], s[18:19], exec
	s_and_b64 s[22:23], vcc, exec
	s_or_b64 s[18:19], s[18:19], s[22:23]
	s_cbranch_execz .LBB29_405
	s_branch .LBB29_406
.LBB29_411:
                                        ; implicit-def: $sgpr2_sgpr3
	s_mov_b64 s[20:21], 0
	s_cbranch_execnz .LBB29_417
	s_branch .LBB29_418
.LBB29_412:
	s_mov_b64 s[20:21], 0
                                        ; implicit-def: $sgpr2_sgpr3
	s_cbranch_execnz .LBB29_415
	s_branch .LBB29_416
.LBB29_413:
	s_mov_b64 s[20:21], -1
                                        ; implicit-def: $sgpr2_sgpr3
.LBB29_414:
	s_branch .LBB29_416
.LBB29_415:
	s_waitcnt vmcnt(0)
	v_cmp_gt_i16_e32 vcc, v5, v6
	s_andn2_b64 s[2:3], s[2:3], exec
	s_and_b64 s[22:23], vcc, exec
	s_or_b64 s[2:3], s[2:3], s[22:23]
.LBB29_416:
	s_branch .LBB29_418
.LBB29_417:
	s_cmp_lg_u32 s26, 0
	s_mov_b64 s[6:7], -1
	s_cselect_b64 s[20:21], -1, 0
.LBB29_418:
	s_andn2_b64 vcc, exec, s[20:21]
	s_cbranch_vccz .LBB29_422
; %bb.419:
	s_andn2_b64 vcc, exec, s[6:7]
	s_cbranch_vccnz .LBB29_421
.LBB29_420:
	s_waitcnt vmcnt(0)
	v_cmp_ge_i16_e32 vcc, v5, v6
	s_andn2_b64 s[2:3], s[2:3], exec
	s_and_b64 s[6:7], vcc, exec
	s_or_b64 s[2:3], s[2:3], s[6:7]
.LBB29_421:
	v_cndmask_b32_e64 v11, 0, 1, s[4:5]
	s_waitcnt vmcnt(1)
	v_cndmask_b32_e64 v5, 0, 1, s[18:19]
	s_waitcnt vmcnt(0)
	v_cndmask_b32_e64 v6, 0, 1, s[16:17]
	v_cndmask_b32_e64 v7, 0, 1, s[14:15]
	;; [unrolled: 1-line block ×6, first 2 shown]
	global_store_byte v0, v11, s[0:1]
	global_store_byte v1, v10, s[0:1]
	;; [unrolled: 1-line block ×8, first 2 shown]
	s_endpgm
.LBB29_422:
	s_waitcnt vmcnt(0)
	v_cmp_lt_i16_e32 vcc, v5, v6
	s_andn2_b64 s[2:3], s[2:3], exec
	s_and_b64 s[20:21], vcc, exec
	s_or_b64 s[2:3], s[2:3], s[20:21]
	s_cbranch_execz .LBB29_420
	s_branch .LBB29_421
.LBB29_423:
	s_mov_b64 s[36:37], -1
                                        ; implicit-def: $sgpr34_sgpr35
	s_branch .LBB29_54
.LBB29_424:
	s_mov_b64 s[36:37], -1
                                        ; implicit-def: $sgpr34_sgpr35
	s_branch .LBB29_79
.LBB29_425:
	s_mov_b64 s[36:37], -1
                                        ; implicit-def: $sgpr34_sgpr35
	s_branch .LBB29_104
.LBB29_426:
	s_mov_b64 s[36:37], -1
                                        ; implicit-def: $sgpr34_sgpr35
	s_branch .LBB29_129
.LBB29_427:
	s_mov_b64 s[36:37], -1
                                        ; implicit-def: $sgpr34_sgpr35
	s_branch .LBB29_154
.LBB29_428:
	s_mov_b64 s[36:37], -1
                                        ; implicit-def: $sgpr34_sgpr35
	s_branch .LBB29_179
.LBB29_429:
	s_mov_b64 s[6:7], -1
                                        ; implicit-def: $sgpr4_sgpr5
	s_branch .LBB29_204
	.section	.rodata,"a",@progbits
	.p2align	6, 0x0
	.amdhsa_kernel _ZN2at6native32elementwise_kernel_manual_unrollILi128ELi8EZNS0_22gpu_kernel_impl_nocastINS0_12_GLOBAL__N_114CompareFunctorIaEEEEvRNS_18TensorIteratorBaseERKT_EUlibE_EEviT1_
		.amdhsa_group_segment_fixed_size 0
		.amdhsa_private_segment_fixed_size 0
		.amdhsa_kernarg_size 432
		.amdhsa_user_sgpr_count 6
		.amdhsa_user_sgpr_private_segment_buffer 1
		.amdhsa_user_sgpr_dispatch_ptr 0
		.amdhsa_user_sgpr_queue_ptr 0
		.amdhsa_user_sgpr_kernarg_segment_ptr 1
		.amdhsa_user_sgpr_dispatch_id 0
		.amdhsa_user_sgpr_flat_scratch_init 0
		.amdhsa_user_sgpr_private_segment_size 0
		.amdhsa_uses_dynamic_stack 0
		.amdhsa_system_sgpr_private_segment_wavefront_offset 0
		.amdhsa_system_sgpr_workgroup_id_x 1
		.amdhsa_system_sgpr_workgroup_id_y 0
		.amdhsa_system_sgpr_workgroup_id_z 0
		.amdhsa_system_sgpr_workgroup_info 0
		.amdhsa_system_vgpr_workitem_id 0
		.amdhsa_next_free_vgpr 38
		.amdhsa_next_free_sgpr 52
		.amdhsa_reserve_vcc 1
		.amdhsa_reserve_flat_scratch 0
		.amdhsa_float_round_mode_32 0
		.amdhsa_float_round_mode_16_64 0
		.amdhsa_float_denorm_mode_32 3
		.amdhsa_float_denorm_mode_16_64 3
		.amdhsa_dx10_clamp 1
		.amdhsa_ieee_mode 1
		.amdhsa_fp16_overflow 0
		.amdhsa_exception_fp_ieee_invalid_op 0
		.amdhsa_exception_fp_denorm_src 0
		.amdhsa_exception_fp_ieee_div_zero 0
		.amdhsa_exception_fp_ieee_overflow 0
		.amdhsa_exception_fp_ieee_underflow 0
		.amdhsa_exception_fp_ieee_inexact 0
		.amdhsa_exception_int_div_zero 0
	.end_amdhsa_kernel
	.section	.text._ZN2at6native32elementwise_kernel_manual_unrollILi128ELi8EZNS0_22gpu_kernel_impl_nocastINS0_12_GLOBAL__N_114CompareFunctorIaEEEEvRNS_18TensorIteratorBaseERKT_EUlibE_EEviT1_,"axG",@progbits,_ZN2at6native32elementwise_kernel_manual_unrollILi128ELi8EZNS0_22gpu_kernel_impl_nocastINS0_12_GLOBAL__N_114CompareFunctorIaEEEEvRNS_18TensorIteratorBaseERKT_EUlibE_EEviT1_,comdat
.Lfunc_end29:
	.size	_ZN2at6native32elementwise_kernel_manual_unrollILi128ELi8EZNS0_22gpu_kernel_impl_nocastINS0_12_GLOBAL__N_114CompareFunctorIaEEEEvRNS_18TensorIteratorBaseERKT_EUlibE_EEviT1_, .Lfunc_end29-_ZN2at6native32elementwise_kernel_manual_unrollILi128ELi8EZNS0_22gpu_kernel_impl_nocastINS0_12_GLOBAL__N_114CompareFunctorIaEEEEvRNS_18TensorIteratorBaseERKT_EUlibE_EEviT1_
                                        ; -- End function
	.set _ZN2at6native32elementwise_kernel_manual_unrollILi128ELi8EZNS0_22gpu_kernel_impl_nocastINS0_12_GLOBAL__N_114CompareFunctorIaEEEEvRNS_18TensorIteratorBaseERKT_EUlibE_EEviT1_.num_vgpr, 38
	.set _ZN2at6native32elementwise_kernel_manual_unrollILi128ELi8EZNS0_22gpu_kernel_impl_nocastINS0_12_GLOBAL__N_114CompareFunctorIaEEEEvRNS_18TensorIteratorBaseERKT_EUlibE_EEviT1_.num_agpr, 0
	.set _ZN2at6native32elementwise_kernel_manual_unrollILi128ELi8EZNS0_22gpu_kernel_impl_nocastINS0_12_GLOBAL__N_114CompareFunctorIaEEEEvRNS_18TensorIteratorBaseERKT_EUlibE_EEviT1_.numbered_sgpr, 52
	.set _ZN2at6native32elementwise_kernel_manual_unrollILi128ELi8EZNS0_22gpu_kernel_impl_nocastINS0_12_GLOBAL__N_114CompareFunctorIaEEEEvRNS_18TensorIteratorBaseERKT_EUlibE_EEviT1_.num_named_barrier, 0
	.set _ZN2at6native32elementwise_kernel_manual_unrollILi128ELi8EZNS0_22gpu_kernel_impl_nocastINS0_12_GLOBAL__N_114CompareFunctorIaEEEEvRNS_18TensorIteratorBaseERKT_EUlibE_EEviT1_.private_seg_size, 0
	.set _ZN2at6native32elementwise_kernel_manual_unrollILi128ELi8EZNS0_22gpu_kernel_impl_nocastINS0_12_GLOBAL__N_114CompareFunctorIaEEEEvRNS_18TensorIteratorBaseERKT_EUlibE_EEviT1_.uses_vcc, 1
	.set _ZN2at6native32elementwise_kernel_manual_unrollILi128ELi8EZNS0_22gpu_kernel_impl_nocastINS0_12_GLOBAL__N_114CompareFunctorIaEEEEvRNS_18TensorIteratorBaseERKT_EUlibE_EEviT1_.uses_flat_scratch, 0
	.set _ZN2at6native32elementwise_kernel_manual_unrollILi128ELi8EZNS0_22gpu_kernel_impl_nocastINS0_12_GLOBAL__N_114CompareFunctorIaEEEEvRNS_18TensorIteratorBaseERKT_EUlibE_EEviT1_.has_dyn_sized_stack, 0
	.set _ZN2at6native32elementwise_kernel_manual_unrollILi128ELi8EZNS0_22gpu_kernel_impl_nocastINS0_12_GLOBAL__N_114CompareFunctorIaEEEEvRNS_18TensorIteratorBaseERKT_EUlibE_EEviT1_.has_recursion, 0
	.set _ZN2at6native32elementwise_kernel_manual_unrollILi128ELi8EZNS0_22gpu_kernel_impl_nocastINS0_12_GLOBAL__N_114CompareFunctorIaEEEEvRNS_18TensorIteratorBaseERKT_EUlibE_EEviT1_.has_indirect_call, 0
	.section	.AMDGPU.csdata,"",@progbits
; Kernel info:
; codeLenInByte = 12132
; TotalNumSgprs: 56
; NumVgprs: 38
; ScratchSize: 0
; MemoryBound: 0
; FloatMode: 240
; IeeeMode: 1
; LDSByteSize: 0 bytes/workgroup (compile time only)
; SGPRBlocks: 6
; VGPRBlocks: 9
; NumSGPRsForWavesPerEU: 56
; NumVGPRsForWavesPerEU: 38
; Occupancy: 6
; WaveLimiterHint : 1
; COMPUTE_PGM_RSRC2:SCRATCH_EN: 0
; COMPUTE_PGM_RSRC2:USER_SGPR: 6
; COMPUTE_PGM_RSRC2:TRAP_HANDLER: 0
; COMPUTE_PGM_RSRC2:TGID_X_EN: 1
; COMPUTE_PGM_RSRC2:TGID_Y_EN: 0
; COMPUTE_PGM_RSRC2:TGID_Z_EN: 0
; COMPUTE_PGM_RSRC2:TIDIG_COMP_CNT: 0
	.section	.text._ZN2at6native32elementwise_kernel_manual_unrollILi128ELi4EZNS0_15gpu_kernel_implINS0_12_GLOBAL__N_114CompareFunctorIaEEEEvRNS_18TensorIteratorBaseERKT_EUlibE_EEviT1_,"axG",@progbits,_ZN2at6native32elementwise_kernel_manual_unrollILi128ELi4EZNS0_15gpu_kernel_implINS0_12_GLOBAL__N_114CompareFunctorIaEEEEvRNS_18TensorIteratorBaseERKT_EUlibE_EEviT1_,comdat
	.globl	_ZN2at6native32elementwise_kernel_manual_unrollILi128ELi4EZNS0_15gpu_kernel_implINS0_12_GLOBAL__N_114CompareFunctorIaEEEEvRNS_18TensorIteratorBaseERKT_EUlibE_EEviT1_ ; -- Begin function _ZN2at6native32elementwise_kernel_manual_unrollILi128ELi4EZNS0_15gpu_kernel_implINS0_12_GLOBAL__N_114CompareFunctorIaEEEEvRNS_18TensorIteratorBaseERKT_EUlibE_EEviT1_
	.p2align	8
	.type	_ZN2at6native32elementwise_kernel_manual_unrollILi128ELi4EZNS0_15gpu_kernel_implINS0_12_GLOBAL__N_114CompareFunctorIaEEEEvRNS_18TensorIteratorBaseERKT_EUlibE_EEviT1_,@function
_ZN2at6native32elementwise_kernel_manual_unrollILi128ELi4EZNS0_15gpu_kernel_implINS0_12_GLOBAL__N_114CompareFunctorIaEEEEvRNS_18TensorIteratorBaseERKT_EUlibE_EEviT1_: ; @_ZN2at6native32elementwise_kernel_manual_unrollILi128ELi4EZNS0_15gpu_kernel_implINS0_12_GLOBAL__N_114CompareFunctorIaEEEEvRNS_18TensorIteratorBaseERKT_EUlibE_EEviT1_
; %bb.0:
	s_load_dword s33, s[4:5], 0x30
	s_load_dword s48, s[4:5], 0x0
	s_load_dwordx4 s[8:11], s[4:5], 0x8
	s_load_dwordx2 s[2:3], s[4:5], 0x18
	s_load_dwordx4 s[12:15], s[4:5], 0x20
	v_lshl_or_b32 v5, s6, 9, v0
	v_or_b32_e32 v0, 0x180, v5
	s_waitcnt lgkmcnt(0)
	s_lshr_b32 s55, s33, 8
	s_lshr_b32 s54, s33, 16
	v_cmp_le_i32_e32 vcc, s48, v0
	s_mov_b64 s[4:5], 0
	s_mov_b64 s[16:17], 0
	s_and_saveexec_b64 s[0:1], vcc
	s_xor_b64 s[6:7], exec, s[0:1]
	s_cbranch_execz .LBB30_1578
; %bb.1:
	v_cmp_gt_i32_e32 vcc, s48, v5
	s_mov_b64 s[0:1], -1
	s_mov_b64 s[26:27], 0
	s_mov_b64 s[20:21], 0
	;; [unrolled: 1-line block ×3, first 2 shown]
	s_and_saveexec_b64 s[22:23], vcc
	s_cbranch_execz .LBB30_391
; %bb.2:
	v_mul_lo_u32 v0, v5, s13
	v_mov_b32_e32 v1, s11
	s_and_b32 s18, s55, 0xff
	s_cmp_lt_i32 s18, 11
	v_ashrrev_i32_e32 v3, 31, v0
	v_add_co_u32_e32 v2, vcc, s10, v0
	v_addc_co_u32_e32 v3, vcc, v1, v3, vcc
	s_cbranch_scc1 .LBB30_9
; %bb.3:
	s_and_b32 s19, 0xffff, s18
	s_cmp_gt_i32 s19, 25
	s_cbranch_scc0 .LBB30_18
; %bb.4:
	s_cmp_gt_i32 s19, 28
	s_cbranch_scc0 .LBB30_25
; %bb.5:
	;; [unrolled: 3-line block ×4, first 2 shown]
	s_cmp_eq_u32 s19, 46
	s_cbranch_scc0 .LBB30_53
; %bb.8:
	global_load_dword v0, v[2:3], off
	s_waitcnt vmcnt(0)
	v_lshlrev_b32_e32 v0, 16, v0
	v_cvt_i32_f32_e32 v0, v0
	s_branch .LBB30_55
.LBB30_9:
                                        ; implicit-def: $vgpr0
	s_mov_b64 s[0:1], 0
	s_cbranch_execnz .LBB30_117
.LBB30_10:
	s_andn2_b64 vcc, exec, s[0:1]
	s_cbranch_vccnz .LBB30_164
.LBB30_11:
	s_waitcnt vmcnt(0)
	v_mul_lo_u32 v1, v5, s14
	v_mov_b32_e32 v2, s3
	s_and_b32 s24, s54, 0xff
	s_cmp_lt_i32 s24, 11
	v_ashrrev_i32_e32 v3, 31, v1
	v_add_co_u32_e32 v1, vcc, s2, v1
	v_addc_co_u32_e32 v2, vcc, v2, v3, vcc
	s_cbranch_scc1 .LBB30_19
; %bb.12:
	s_and_b32 s25, 0xffff, s24
	s_cmp_gt_i32 s25, 25
	s_cbranch_scc0 .LBB30_26
; %bb.13:
	s_cmp_gt_i32 s25, 28
	s_cbranch_scc0 .LBB30_31
; %bb.14:
	;; [unrolled: 3-line block ×4, first 2 shown]
	s_cmp_eq_u32 s25, 46
	s_mov_b64 s[16:17], 0
	s_cbranch_scc0 .LBB30_165
; %bb.17:
	global_load_dword v3, v[1:2], off
	s_mov_b64 s[0:1], -1
	s_mov_b64 s[18:19], 0
	s_waitcnt vmcnt(0)
	v_lshlrev_b32_e32 v3, 16, v3
	v_cvt_i32_f32_e32 v3, v3
	s_branch .LBB30_167
.LBB30_18:
	s_mov_b64 s[0:1], 0
                                        ; implicit-def: $vgpr0
	s_cbranch_execnz .LBB30_84
	s_branch .LBB30_116
.LBB30_19:
	s_mov_b64 s[18:19], 0
                                        ; implicit-def: $vgpr3
	s_mov_b64 s[0:1], 0
	s_cbranch_execnz .LBB30_340
.LBB30_20:
	s_andn2_b64 vcc, exec, s[0:1]
	s_cbranch_vccnz .LBB30_388
.LBB30_21:
	s_cmp_lt_i32 s15, 1
	s_mov_b64 s[0:1], 0
	s_cbranch_scc1 .LBB30_27
; %bb.22:
	s_cmp_gt_i32 s15, 1
	s_cbranch_scc0 .LBB30_32
; %bb.23:
	s_cmp_eq_u32 s15, 2
	s_cbranch_scc0 .LBB30_35
; %bb.24:
	s_waitcnt vmcnt(0)
	v_cmp_le_i16_sdwa s[16:17], sext(v0), sext(v3) src0_sel:BYTE_0 src1_sel:BYTE_0
	s_mov_b64 s[24:25], 0
	s_branch .LBB30_36
.LBB30_25:
	s_mov_b64 s[16:17], -1
	s_mov_b64 s[0:1], 0
                                        ; implicit-def: $vgpr0
	s_branch .LBB30_67
.LBB30_26:
	s_mov_b64 s[16:17], -1
	s_mov_b64 s[18:19], 0
	s_mov_b64 s[0:1], 0
                                        ; implicit-def: $vgpr3
	s_branch .LBB30_306
.LBB30_27:
                                        ; implicit-def: $sgpr16_sgpr17
	s_mov_b64 s[24:25], 0
	s_cbranch_execnz .LBB30_40
.LBB30_28:
	s_andn2_b64 vcc, exec, s[24:25]
	s_cbranch_vccnz .LBB30_41
.LBB30_29:
	s_waitcnt vmcnt(0)
	v_cmp_lt_i16_sdwa s[24:25], sext(v0), sext(v3) src0_sel:BYTE_0 src1_sel:BYTE_0
	s_andn2_b64 s[16:17], s[16:17], exec
	s_and_b64 s[24:25], s[24:25], exec
	s_or_b64 s[16:17], s[16:17], s[24:25]
	s_cbranch_execz .LBB30_42
	s_branch .LBB30_43
.LBB30_30:
	s_mov_b64 s[16:17], -1
	s_mov_b64 s[0:1], 0
                                        ; implicit-def: $vgpr0
	s_branch .LBB30_62
.LBB30_31:
	s_mov_b64 s[16:17], -1
	s_mov_b64 s[18:19], 0
	s_mov_b64 s[0:1], 0
                                        ; implicit-def: $vgpr3
	s_branch .LBB30_289
.LBB30_32:
	s_mov_b64 s[28:29], -1
	s_mov_b64 s[24:25], 0
                                        ; implicit-def: $sgpr16_sgpr17
	s_branch .LBB30_37
.LBB30_33:
	s_mov_b64 s[16:17], -1
	s_branch .LBB30_54
.LBB30_34:
	s_mov_b64 s[16:17], -1
	s_mov_b64 s[18:19], 0
	s_mov_b64 s[0:1], 0
                                        ; implicit-def: $vgpr3
	s_branch .LBB30_284
.LBB30_35:
	s_mov_b64 s[24:25], -1
                                        ; implicit-def: $sgpr16_sgpr17
.LBB30_36:
	s_mov_b64 s[28:29], 0
.LBB30_37:
	s_and_b64 vcc, exec, s[28:29]
	s_cbranch_vccz .LBB30_39
; %bb.38:
	s_waitcnt vmcnt(0)
	v_cmp_gt_i16_sdwa s[28:29], sext(v0), sext(v3) src0_sel:BYTE_0 src1_sel:BYTE_0
	s_andn2_b64 s[16:17], s[16:17], exec
	s_and_b64 s[28:29], s[28:29], exec
	s_or_b64 s[16:17], s[16:17], s[28:29]
.LBB30_39:
	s_branch .LBB30_28
.LBB30_40:
	s_cmp_lg_u32 s15, 0
	s_mov_b64 s[0:1], -1
	s_cselect_b64 s[24:25], -1, 0
	s_andn2_b64 vcc, exec, s[24:25]
	s_cbranch_vccz .LBB30_29
.LBB30_41:
	s_andn2_b64 vcc, exec, s[0:1]
	s_cbranch_vccnz .LBB30_43
.LBB30_42:
	s_waitcnt vmcnt(0)
	v_cmp_ge_i16_sdwa s[0:1], sext(v0), sext(v3) src0_sel:BYTE_0 src1_sel:BYTE_0
	s_andn2_b64 s[16:17], s[16:17], exec
	s_and_b64 s[0:1], s[0:1], exec
	s_or_b64 s[16:17], s[16:17], s[0:1]
.LBB30_43:
	v_mul_lo_u32 v0, v5, s12
	v_mov_b32_e32 v1, s9
	s_and_b32 s34, s33, 0xff
	s_cmp_lt_i32 s34, 11
	v_ashrrev_i32_e32 v2, 31, v0
	v_add_co_u32_e32 v0, vcc, s8, v0
	v_addc_co_u32_e32 v1, vcc, v1, v2, vcc
	s_cbranch_scc1 .LBB30_50
; %bb.44:
	s_and_b32 s35, 0xffff, s34
	s_cmp_gt_i32 s35, 25
	s_cbranch_scc0 .LBB30_51
; %bb.45:
	s_cmp_gt_i32 s35, 28
	s_cbranch_scc0 .LBB30_52
; %bb.46:
	;; [unrolled: 3-line block ×4, first 2 shown]
	s_mov_b64 s[28:29], 0
	s_mov_b64 s[0:1], -1
	s_cmp_eq_u32 s35, 46
	s_mov_b64 s[24:25], 0
	s_cbranch_scc0 .LBB30_171
; %bb.49:
	v_cndmask_b32_e64 v2, 0, 1.0, s[16:17]
	s_waitcnt vmcnt(0)
	v_bfe_u32 v3, v2, 16, 1
	s_movk_i32 s0, 0x7fff
	v_add3_u32 v2, v2, v3, s0
	v_lshrrev_b32_e32 v2, 16, v2
	global_store_dword v[0:1], v2, off
	s_mov_b64 s[24:25], -1
	s_mov_b64 s[0:1], 0
	s_branch .LBB30_171
.LBB30_50:
	s_mov_b64 s[28:29], -1
	s_mov_b64 s[0:1], 0
	s_mov_b64 s[24:25], 0
	s_branch .LBB30_240
.LBB30_51:
	s_mov_b64 s[28:29], -1
	s_mov_b64 s[0:1], 0
	s_mov_b64 s[24:25], 0
	s_branch .LBB30_198
.LBB30_52:
	s_mov_b64 s[28:29], -1
	s_mov_b64 s[0:1], 0
	s_mov_b64 s[24:25], 0
	s_branch .LBB30_181
.LBB30_53:
	s_mov_b64 s[20:21], -1
.LBB30_54:
	s_mov_b64 s[0:1], 0
                                        ; implicit-def: $vgpr0
.LBB30_55:
	s_and_b64 vcc, exec, s[16:17]
	s_cbranch_vccz .LBB30_61
; %bb.56:
	s_cmp_eq_u32 s19, 44
	s_cbranch_scc0 .LBB30_60
; %bb.57:
	global_load_ubyte v0, v[2:3], off
	s_mov_b64 s[0:1], -1
	s_mov_b64 s[20:21], 0
	s_waitcnt vmcnt(0)
	v_lshlrev_b32_e32 v1, 23, v0
	v_cvt_i32_f32_e32 v1, v1
	v_cmp_ne_u32_e32 vcc, 0, v0
	v_cndmask_b32_e32 v0, 0, v1, vcc
	s_branch .LBB30_61
.LBB30_58:
	s_mov_b64 s[16:17], -1
	s_mov_b64 s[18:19], 0
	s_branch .LBB30_166
.LBB30_59:
	s_mov_b64 s[28:29], -1
	s_mov_b64 s[0:1], 0
	s_mov_b64 s[24:25], 0
	s_branch .LBB30_177
.LBB30_60:
	s_mov_b64 s[20:21], -1
                                        ; implicit-def: $vgpr0
.LBB30_61:
	s_mov_b64 s[16:17], 0
.LBB30_62:
	s_and_b64 vcc, exec, s[16:17]
	s_cbranch_vccz .LBB30_66
; %bb.63:
	s_cmp_eq_u32 s19, 29
	s_cbranch_scc0 .LBB30_65
; %bb.64:
	global_load_dwordx2 v[0:1], v[2:3], off
	s_mov_b64 s[0:1], -1
	s_mov_b64 s[20:21], 0
	s_branch .LBB30_66
.LBB30_65:
	s_mov_b64 s[20:21], -1
                                        ; implicit-def: $vgpr0
.LBB30_66:
	s_mov_b64 s[16:17], 0
.LBB30_67:
	s_and_b64 vcc, exec, s[16:17]
	s_cbranch_vccz .LBB30_83
; %bb.68:
	s_cmp_lt_i32 s19, 27
	s_cbranch_scc1 .LBB30_71
; %bb.69:
	s_cmp_gt_i32 s19, 27
	s_cbranch_scc0 .LBB30_72
; %bb.70:
	global_load_dword v0, v[2:3], off
	s_mov_b64 s[0:1], 0
	s_branch .LBB30_73
.LBB30_71:
	s_mov_b64 s[0:1], -1
                                        ; implicit-def: $vgpr0
	s_branch .LBB30_76
.LBB30_72:
	s_mov_b64 s[0:1], -1
                                        ; implicit-def: $vgpr0
.LBB30_73:
	s_andn2_b64 vcc, exec, s[0:1]
	s_cbranch_vccnz .LBB30_75
; %bb.74:
	global_load_ushort v0, v[2:3], off
.LBB30_75:
	s_mov_b64 s[0:1], 0
.LBB30_76:
	s_andn2_b64 vcc, exec, s[0:1]
	s_cbranch_vccnz .LBB30_82
; %bb.77:
	global_load_ubyte v1, v[2:3], off
	s_movk_i32 s0, 0x7f
	s_mov_b64 s[16:17], 0
	s_waitcnt vmcnt(0)
	v_cmp_lt_i16_e32 vcc, s0, v1
	s_and_saveexec_b64 s[0:1], vcc
	s_xor_b64 s[0:1], exec, s[0:1]
	s_cbranch_execz .LBB30_93
; %bb.78:
	s_movk_i32 s16, 0x80
	v_cmp_ne_u16_e32 vcc, s16, v1
	s_and_b64 s[16:17], vcc, exec
	s_andn2_saveexec_b64 s[0:1], s[0:1]
	s_cbranch_execnz .LBB30_94
.LBB30_79:
	s_or_b64 exec, exec, s[0:1]
	v_mov_b32_e32 v0, 0
	s_and_saveexec_b64 s[0:1], s[16:17]
	s_cbranch_execz .LBB30_81
.LBB30_80:
	v_lshlrev_b32_e32 v0, 24, v1
	v_and_b32_e32 v1, 0xffff, v1
	v_and_b32_e32 v4, 7, v1
	v_ffbh_u32_e32 v7, v4
	v_min_u32_e32 v7, 32, v7
	v_subrev_u32_e32 v8, 28, v7
	v_bfe_u32 v6, v1, 3, 4
	v_lshlrev_b32_e32 v1, v8, v1
	v_sub_u32_e32 v7, 29, v7
	v_and_b32_e32 v1, 7, v1
	v_cmp_eq_u32_e32 vcc, 0, v6
	v_cndmask_b32_e32 v6, v6, v7, vcc
	v_cndmask_b32_e32 v1, v4, v1, vcc
	v_mov_b32_e32 v4, 0x3b800000
	v_lshlrev_b32_e32 v1, 20, v1
	v_and_b32_e32 v0, 0x80000000, v0
	v_lshl_add_u32 v4, v6, 23, v4
	v_or3_b32 v0, v0, v4, v1
	v_cvt_i32_f32_e32 v0, v0
.LBB30_81:
	s_or_b64 exec, exec, s[0:1]
.LBB30_82:
	s_mov_b64 s[0:1], -1
.LBB30_83:
	s_branch .LBB30_116
.LBB30_84:
	s_cmp_gt_i32 s19, 22
	s_cbranch_scc0 .LBB30_92
; %bb.85:
	s_cmp_lt_i32 s19, 24
	s_cbranch_scc1 .LBB30_95
; %bb.86:
	s_cmp_gt_i32 s19, 24
	s_cbranch_scc0 .LBB30_96
; %bb.87:
	global_load_ubyte v1, v[2:3], off
	s_movk_i32 s0, 0x7f
	s_mov_b64 s[16:17], 0
	s_waitcnt vmcnt(0)
	v_cmp_lt_i16_e32 vcc, s0, v1
	s_and_saveexec_b64 s[0:1], vcc
	s_xor_b64 s[0:1], exec, s[0:1]
	s_cbranch_execz .LBB30_108
; %bb.88:
	s_movk_i32 s16, 0x80
	v_cmp_ne_u16_e32 vcc, s16, v1
	s_and_b64 s[16:17], vcc, exec
	s_andn2_saveexec_b64 s[0:1], s[0:1]
	s_cbranch_execnz .LBB30_109
.LBB30_89:
	s_or_b64 exec, exec, s[0:1]
	v_mov_b32_e32 v0, 0
	s_and_saveexec_b64 s[0:1], s[16:17]
	s_cbranch_execz .LBB30_91
.LBB30_90:
	v_lshlrev_b32_e32 v0, 24, v1
	v_and_b32_e32 v1, 0xffff, v1
	v_and_b32_e32 v4, 3, v1
	v_ffbh_u32_e32 v7, v4
	v_min_u32_e32 v7, 32, v7
	v_subrev_u32_e32 v8, 29, v7
	v_bfe_u32 v6, v1, 2, 5
	v_lshlrev_b32_e32 v1, v8, v1
	v_sub_u32_e32 v7, 30, v7
	v_and_b32_e32 v1, 3, v1
	v_cmp_eq_u32_e32 vcc, 0, v6
	v_cndmask_b32_e32 v6, v6, v7, vcc
	v_cndmask_b32_e32 v1, v4, v1, vcc
	v_mov_b32_e32 v4, 0x37800000
	v_lshlrev_b32_e32 v1, 21, v1
	v_and_b32_e32 v0, 0x80000000, v0
	v_lshl_add_u32 v4, v6, 23, v4
	v_or3_b32 v0, v0, v4, v1
	v_cvt_i32_f32_e32 v0, v0
.LBB30_91:
	s_or_b64 exec, exec, s[0:1]
	s_mov_b64 s[0:1], 0
	s_branch .LBB30_97
.LBB30_92:
	s_mov_b64 s[16:17], -1
                                        ; implicit-def: $vgpr0
	s_branch .LBB30_103
.LBB30_93:
	s_andn2_saveexec_b64 s[0:1], s[0:1]
	s_cbranch_execz .LBB30_79
.LBB30_94:
	v_cmp_ne_u16_e32 vcc, 0, v1
	s_andn2_b64 s[16:17], s[16:17], exec
	s_and_b64 s[24:25], vcc, exec
	s_or_b64 s[16:17], s[16:17], s[24:25]
	s_or_b64 exec, exec, s[0:1]
	v_mov_b32_e32 v0, 0
	s_and_saveexec_b64 s[0:1], s[16:17]
	s_cbranch_execnz .LBB30_80
	s_branch .LBB30_81
.LBB30_95:
	s_mov_b64 s[0:1], -1
                                        ; implicit-def: $vgpr0
	s_branch .LBB30_100
.LBB30_96:
	s_mov_b64 s[0:1], -1
                                        ; implicit-def: $vgpr0
.LBB30_97:
	s_and_b64 vcc, exec, s[0:1]
	s_cbranch_vccz .LBB30_99
; %bb.98:
	global_load_ubyte v0, v[2:3], off
	s_mov_b32 s0, 0x7f800000
	s_waitcnt vmcnt(0)
	v_lshlrev_b32_e32 v0, 24, v0
	v_and_b32_e32 v1, 0x7f000000, v0
	v_ffbh_u32_e32 v4, v1
	v_min_u32_e32 v4, 32, v4
	v_sub_u32_e64 v4, v4, 4 clamp
	v_lshlrev_b32_e32 v7, v4, v1
	v_lshlrev_b32_e32 v4, 23, v4
	v_lshrrev_b32_e32 v7, 4, v7
	v_add_u32_e32 v6, 0x1000000, v1
	v_sub_u32_e32 v4, v7, v4
	v_ashrrev_i32_e32 v6, 8, v6
	v_add_u32_e32 v4, 0x3c000000, v4
	v_and_or_b32 v4, v6, s0, v4
	v_cmp_ne_u32_e32 vcc, 0, v1
	v_cndmask_b32_e32 v1, 0, v4, vcc
	s_brev_b32 s0, 1
	v_and_or_b32 v0, v0, s0, v1
	v_cvt_i32_f32_e32 v0, v0
.LBB30_99:
	s_mov_b64 s[0:1], 0
.LBB30_100:
	s_andn2_b64 vcc, exec, s[0:1]
	s_cbranch_vccnz .LBB30_102
; %bb.101:
	global_load_ubyte v0, v[2:3], off
	s_movk_i32 s0, 0x7f00
	s_brev_b32 s1, 16
	s_waitcnt vmcnt(0)
	v_lshlrev_b16_e32 v1, 8, v0
	v_lshlrev_b32_e32 v0, 25, v0
	v_lshrrev_b32_e32 v4, 4, v0
	v_and_or_b32 v6, v1, s0, 0.5
	v_or_b32_e32 v4, 0x70000000, v4
	v_add_f32_e32 v6, -0.5, v6
	v_mul_f32_e32 v4, 0x7800000, v4
	v_cmp_gt_u32_e32 vcc, s1, v0
	v_bfe_i32 v1, v1, 0, 16
	v_cndmask_b32_e32 v0, v4, v6, vcc
	s_brev_b32 s0, 1
	v_and_or_b32 v0, v1, s0, v0
	v_cvt_i32_f32_e32 v0, v0
.LBB30_102:
	s_mov_b64 s[16:17], 0
	s_mov_b64 s[0:1], -1
.LBB30_103:
	s_andn2_b64 vcc, exec, s[16:17]
	s_cbranch_vccnz .LBB30_116
; %bb.104:
	s_cmp_gt_i32 s19, 14
	s_cbranch_scc0 .LBB30_107
; %bb.105:
	s_cmp_eq_u32 s19, 15
	s_cbranch_scc0 .LBB30_110
; %bb.106:
	global_load_ushort v0, v[2:3], off
	s_mov_b64 s[0:1], -1
	s_mov_b64 s[20:21], 0
	s_waitcnt vmcnt(0)
	v_lshlrev_b32_e32 v0, 16, v0
	v_cvt_i32_f32_e32 v0, v0
	s_branch .LBB30_111
.LBB30_107:
	s_mov_b64 s[16:17], -1
                                        ; implicit-def: $vgpr0
	s_branch .LBB30_112
.LBB30_108:
	s_andn2_saveexec_b64 s[0:1], s[0:1]
	s_cbranch_execz .LBB30_89
.LBB30_109:
	v_cmp_ne_u16_e32 vcc, 0, v1
	s_andn2_b64 s[16:17], s[16:17], exec
	s_and_b64 s[24:25], vcc, exec
	s_or_b64 s[16:17], s[16:17], s[24:25]
	s_or_b64 exec, exec, s[0:1]
	v_mov_b32_e32 v0, 0
	s_and_saveexec_b64 s[0:1], s[16:17]
	s_cbranch_execnz .LBB30_90
	s_branch .LBB30_91
.LBB30_110:
	s_mov_b64 s[20:21], -1
                                        ; implicit-def: $vgpr0
.LBB30_111:
	s_mov_b64 s[16:17], 0
.LBB30_112:
	s_and_b64 vcc, exec, s[16:17]
	s_cbranch_vccz .LBB30_116
; %bb.113:
	s_cmp_eq_u32 s19, 11
	s_cbranch_scc0 .LBB30_115
; %bb.114:
	global_load_ubyte v0, v[2:3], off
	s_mov_b64 s[0:1], -1
	s_mov_b64 s[20:21], 0
	s_waitcnt vmcnt(0)
	v_cmp_ne_u16_e32 vcc, 0, v0
	v_cndmask_b32_e64 v0, 0, 1, vcc
	s_branch .LBB30_116
.LBB30_115:
	s_mov_b64 s[20:21], -1
                                        ; implicit-def: $vgpr0
.LBB30_116:
	s_branch .LBB30_10
.LBB30_117:
	s_and_b32 s16, 0xffff, s18
	s_cmp_lt_i32 s16, 5
	s_cbranch_scc1 .LBB30_122
; %bb.118:
	s_cmp_lt_i32 s16, 8
	s_cbranch_scc1 .LBB30_123
; %bb.119:
	;; [unrolled: 3-line block ×3, first 2 shown]
	s_cmp_gt_i32 s16, 9
	s_cbranch_scc0 .LBB30_125
; %bb.121:
	global_load_dwordx2 v[0:1], v[2:3], off
	s_mov_b64 s[0:1], 0
	s_waitcnt vmcnt(0)
	v_cvt_i32_f64_e32 v0, v[0:1]
	s_branch .LBB30_126
.LBB30_122:
                                        ; implicit-def: $vgpr0
	s_branch .LBB30_144
.LBB30_123:
	s_mov_b64 s[0:1], -1
                                        ; implicit-def: $vgpr0
	s_branch .LBB30_132
.LBB30_124:
	s_mov_b64 s[0:1], -1
                                        ; implicit-def: $vgpr0
	s_branch .LBB30_129
.LBB30_125:
	s_mov_b64 s[0:1], -1
                                        ; implicit-def: $vgpr0
.LBB30_126:
	s_andn2_b64 vcc, exec, s[0:1]
	s_cbranch_vccnz .LBB30_128
; %bb.127:
	global_load_dword v0, v[2:3], off
	s_waitcnt vmcnt(0)
	v_cvt_i32_f32_e32 v0, v0
.LBB30_128:
	s_mov_b64 s[0:1], 0
.LBB30_129:
	s_andn2_b64 vcc, exec, s[0:1]
	s_cbranch_vccnz .LBB30_131
; %bb.130:
	global_load_dword v0, v[2:3], off
	s_waitcnt vmcnt(0)
	v_cvt_i16_f16_e32 v0, v0
.LBB30_131:
	s_mov_b64 s[0:1], 0
.LBB30_132:
	s_andn2_b64 vcc, exec, s[0:1]
	s_cbranch_vccnz .LBB30_143
; %bb.133:
	s_cmp_lt_i32 s16, 6
	s_cbranch_scc1 .LBB30_136
; %bb.134:
	s_cmp_gt_i32 s16, 6
	s_cbranch_scc0 .LBB30_137
; %bb.135:
	global_load_dwordx2 v[0:1], v[2:3], off
	s_mov_b64 s[0:1], 0
	s_waitcnt vmcnt(0)
	v_cvt_i32_f64_e32 v0, v[0:1]
	s_branch .LBB30_138
.LBB30_136:
	s_mov_b64 s[0:1], -1
                                        ; implicit-def: $vgpr0
	s_branch .LBB30_141
.LBB30_137:
	s_mov_b64 s[0:1], -1
                                        ; implicit-def: $vgpr0
.LBB30_138:
	s_andn2_b64 vcc, exec, s[0:1]
	s_cbranch_vccnz .LBB30_140
; %bb.139:
	global_load_dword v0, v[2:3], off
	s_waitcnt vmcnt(0)
	v_cvt_i32_f32_e32 v0, v0
.LBB30_140:
	s_mov_b64 s[0:1], 0
.LBB30_141:
	s_andn2_b64 vcc, exec, s[0:1]
	s_cbranch_vccnz .LBB30_143
; %bb.142:
	global_load_ushort v0, v[2:3], off
	s_waitcnt vmcnt(0)
	v_cvt_i16_f16_e32 v0, v0
.LBB30_143:
	s_cbranch_execnz .LBB30_163
.LBB30_144:
	s_cmp_lt_i32 s16, 2
	s_cbranch_scc1 .LBB30_148
; %bb.145:
	s_cmp_lt_i32 s16, 3
	s_cbranch_scc1 .LBB30_149
; %bb.146:
	s_cmp_gt_i32 s16, 3
	s_cbranch_scc0 .LBB30_150
; %bb.147:
	global_load_dwordx2 v[0:1], v[2:3], off
	s_mov_b64 s[0:1], 0
	s_branch .LBB30_151
.LBB30_148:
	s_mov_b64 s[0:1], -1
                                        ; implicit-def: $vgpr0
	s_branch .LBB30_157
.LBB30_149:
	s_mov_b64 s[0:1], -1
                                        ; implicit-def: $vgpr0
	s_branch .LBB30_154
.LBB30_150:
	s_mov_b64 s[0:1], -1
                                        ; implicit-def: $vgpr0
.LBB30_151:
	s_andn2_b64 vcc, exec, s[0:1]
	s_cbranch_vccnz .LBB30_153
; %bb.152:
	global_load_dword v0, v[2:3], off
.LBB30_153:
	s_mov_b64 s[0:1], 0
.LBB30_154:
	s_andn2_b64 vcc, exec, s[0:1]
	s_cbranch_vccnz .LBB30_156
; %bb.155:
	global_load_ushort v0, v[2:3], off
.LBB30_156:
	s_mov_b64 s[0:1], 0
.LBB30_157:
	s_andn2_b64 vcc, exec, s[0:1]
	s_cbranch_vccnz .LBB30_163
; %bb.158:
	s_cmp_gt_i32 s16, 0
	s_cbranch_scc0 .LBB30_160
; %bb.159:
	global_load_ubyte v0, v[2:3], off
	s_mov_b64 s[0:1], 0
	s_branch .LBB30_161
.LBB30_160:
	s_mov_b64 s[0:1], -1
                                        ; implicit-def: $vgpr0
.LBB30_161:
	s_andn2_b64 vcc, exec, s[0:1]
	s_cbranch_vccnz .LBB30_163
; %bb.162:
	global_load_ubyte v0, v[2:3], off
.LBB30_163:
	s_branch .LBB30_11
.LBB30_164:
	s_mov_b64 s[0:1], 0
	s_mov_b64 s[18:19], 0
	s_branch .LBB30_389
.LBB30_165:
	s_mov_b64 s[18:19], -1
.LBB30_166:
	s_mov_b64 s[0:1], 0
                                        ; implicit-def: $vgpr3
.LBB30_167:
	s_and_b64 vcc, exec, s[16:17]
	s_cbranch_vccz .LBB30_283
; %bb.168:
	s_cmp_eq_u32 s25, 44
	s_cbranch_scc0 .LBB30_282
; %bb.169:
	global_load_ubyte v3, v[1:2], off
	s_mov_b64 s[0:1], -1
	s_mov_b64 s[18:19], 0
	s_waitcnt vmcnt(0)
	v_lshlrev_b32_e32 v4, 23, v3
	v_cvt_i32_f32_e32 v4, v4
	v_cmp_ne_u32_e32 vcc, 0, v3
	v_cndmask_b32_e32 v3, 0, v4, vcc
	s_branch .LBB30_283
.LBB30_170:
	s_mov_b64 s[28:29], -1
	s_mov_b64 s[0:1], 0
	s_mov_b64 s[24:25], 0
.LBB30_171:
	s_and_b64 vcc, exec, s[28:29]
	s_cbranch_vccz .LBB30_176
; %bb.172:
	s_cmp_eq_u32 s35, 44
	s_mov_b64 s[0:1], -1
	s_cbranch_scc0 .LBB30_176
; %bb.173:
	s_waitcnt vmcnt(0)
	v_cndmask_b32_e64 v3, 0, 1.0, s[16:17]
	v_lshrrev_b32_e32 v2, 23, v3
	s_movk_i32 s0, 0xff
	v_cmp_ne_u32_e32 vcc, s0, v2
	v_mov_b32_e32 v4, 0xff
	s_and_saveexec_b64 s[24:25], vcc
; %bb.174:
	s_mov_b32 s0, 0x3fffff
	v_and_b32_e32 v4, 0x400000, v3
	v_and_or_b32 v3, v3, s0, v2
	v_cmp_ne_u32_e32 vcc, 0, v4
	v_cmp_ne_u32_e64 s[0:1], 0, v3
	s_and_b64 s[0:1], vcc, s[0:1]
	v_cndmask_b32_e64 v3, 0, 1, s[0:1]
	v_add_u32_e32 v4, v2, v3
; %bb.175:
	s_or_b64 exec, exec, s[24:25]
	s_mov_b64 s[24:25], -1
	s_mov_b64 s[0:1], 0
	global_store_byte v[0:1], v4, off
.LBB30_176:
	s_mov_b64 s[28:29], 0
.LBB30_177:
	s_and_b64 vcc, exec, s[28:29]
	s_cbranch_vccz .LBB30_180
; %bb.178:
	s_cmp_eq_u32 s35, 29
	s_mov_b64 s[0:1], -1
	s_cbranch_scc0 .LBB30_180
; %bb.179:
	s_mov_b32 s0, 0
	v_cndmask_b32_e64 v2, 0, 1, s[16:17]
	s_waitcnt vmcnt(0)
	v_mov_b32_e32 v3, s0
	global_store_dwordx2 v[0:1], v[2:3], off
	s_mov_b64 s[24:25], -1
	s_mov_b64 s[0:1], 0
.LBB30_180:
	s_mov_b64 s[28:29], 0
.LBB30_181:
	s_and_b64 vcc, exec, s[28:29]
	s_cbranch_vccz .LBB30_197
; %bb.182:
	s_cmp_lt_i32 s35, 27
	s_mov_b64 s[24:25], -1
	s_cbranch_scc1 .LBB30_188
; %bb.183:
	s_cmp_gt_i32 s35, 27
	s_cbranch_scc0 .LBB30_185
; %bb.184:
	v_cndmask_b32_e64 v2, 0, 1, s[16:17]
	s_mov_b64 s[24:25], 0
	global_store_dword v[0:1], v2, off
.LBB30_185:
	s_andn2_b64 vcc, exec, s[24:25]
	s_cbranch_vccnz .LBB30_187
; %bb.186:
	v_cndmask_b32_e64 v2, 0, 1, s[16:17]
	global_store_short v[0:1], v2, off
.LBB30_187:
	s_mov_b64 s[24:25], 0
.LBB30_188:
	s_andn2_b64 vcc, exec, s[24:25]
	s_cbranch_vccnz .LBB30_196
; %bb.189:
	s_waitcnt vmcnt(0)
	v_cndmask_b32_e64 v3, 0, 1.0, s[16:17]
	s_mov_b32 s24, 0x43800000
	v_cmp_gt_u32_e32 vcc, s24, v3
	v_mov_b32_e32 v4, 0x80
	s_and_saveexec_b64 s[24:25], vcc
	s_cbranch_execz .LBB30_195
; %bb.190:
	s_mov_b32 s28, 0x3bffffff
	v_cmp_lt_u32_e32 vcc, s28, v3
	s_mov_b64 s[28:29], 0
                                        ; implicit-def: $vgpr2
	s_and_saveexec_b64 s[30:31], vcc
	s_xor_b64 s[30:31], exec, s[30:31]
	s_cbranch_execz .LBB30_420
; %bb.191:
	v_bfe_u32 v2, v3, 20, 1
	s_mov_b32 s36, 0x487ffff
	v_add3_u32 v2, v3, v2, s36
	s_mov_b64 s[28:29], exec
	v_lshrrev_b32_e32 v2, 20, v2
                                        ; implicit-def: $vgpr3
	s_andn2_saveexec_b64 s[30:31], s[30:31]
	s_cbranch_execnz .LBB30_421
.LBB30_192:
	s_or_b64 exec, exec, s[30:31]
	v_mov_b32_e32 v4, 0
	s_and_saveexec_b64 s[30:31], s[28:29]
.LBB30_193:
	v_mov_b32_e32 v4, v2
.LBB30_194:
	s_or_b64 exec, exec, s[30:31]
.LBB30_195:
	s_or_b64 exec, exec, s[24:25]
	global_store_byte v[0:1], v4, off
.LBB30_196:
	s_mov_b64 s[24:25], -1
.LBB30_197:
	s_mov_b64 s[28:29], 0
.LBB30_198:
	s_and_b64 vcc, exec, s[28:29]
	s_cbranch_vccz .LBB30_239
; %bb.199:
	s_cmp_gt_i32 s35, 22
	s_mov_b64 s[28:29], -1
	s_cbranch_scc0 .LBB30_231
; %bb.200:
	s_cmp_lt_i32 s35, 24
	s_mov_b64 s[24:25], -1
	s_cbranch_scc1 .LBB30_220
; %bb.201:
	s_cmp_gt_i32 s35, 24
	s_cbranch_scc0 .LBB30_209
; %bb.202:
	s_waitcnt vmcnt(0)
	v_cndmask_b32_e64 v3, 0, 1.0, s[16:17]
	s_mov_b32 s24, 0x47800000
	v_cmp_gt_u32_e32 vcc, s24, v3
	v_mov_b32_e32 v4, 0x80
	s_and_saveexec_b64 s[24:25], vcc
	s_cbranch_execz .LBB30_208
; %bb.203:
	s_mov_b32 s28, 0x37ffffff
	v_cmp_lt_u32_e32 vcc, s28, v3
	s_mov_b64 s[28:29], 0
                                        ; implicit-def: $vgpr2
	s_and_saveexec_b64 s[30:31], vcc
	s_xor_b64 s[30:31], exec, s[30:31]
	s_cbranch_execz .LBB30_535
; %bb.204:
	v_bfe_u32 v2, v3, 21, 1
	s_mov_b32 s36, 0x88fffff
	v_add3_u32 v2, v3, v2, s36
	s_mov_b64 s[28:29], exec
	v_lshrrev_b32_e32 v2, 21, v2
                                        ; implicit-def: $vgpr3
	s_andn2_saveexec_b64 s[30:31], s[30:31]
	s_cbranch_execnz .LBB30_536
.LBB30_205:
	s_or_b64 exec, exec, s[30:31]
	v_mov_b32_e32 v4, 0
	s_and_saveexec_b64 s[30:31], s[28:29]
.LBB30_206:
	v_mov_b32_e32 v4, v2
.LBB30_207:
	s_or_b64 exec, exec, s[30:31]
.LBB30_208:
	s_or_b64 exec, exec, s[24:25]
	s_mov_b64 s[24:25], 0
	global_store_byte v[0:1], v4, off
.LBB30_209:
	s_and_b64 vcc, exec, s[24:25]
	s_cbranch_vccz .LBB30_219
; %bb.210:
	v_cndmask_b32_e64 v2, 0, 1.0, s[16:17]
	s_mov_b32 s24, 0x43f00000
	v_cmp_gt_u32_e32 vcc, s24, v2
                                        ; implicit-def: $vgpr3
	s_and_saveexec_b64 s[24:25], vcc
	s_xor_b64 s[24:25], exec, s[24:25]
	s_cbranch_execz .LBB30_216
; %bb.211:
	s_mov_b32 s28, 0x3c7fffff
	v_cmp_lt_u32_e32 vcc, s28, v2
                                        ; implicit-def: $vgpr3
	s_and_saveexec_b64 s[28:29], vcc
	s_xor_b64 s[28:29], exec, s[28:29]
	s_cbranch_execz .LBB30_213
; %bb.212:
	s_waitcnt vmcnt(0)
	v_bfe_u32 v3, v2, 20, 1
	s_mov_b32 s30, 0x407ffff
	v_add3_u32 v2, v2, v3, s30
	v_lshrrev_b32_e32 v3, 20, v2
	v_and_b32_e32 v2, 0xff00000, v2
	s_mov_b32 s30, 0x7f00000
	v_mov_b32_e32 v4, 0x7e
	v_cmp_ne_u32_e32 vcc, s30, v2
	v_cndmask_b32_e32 v3, v4, v3, vcc
                                        ; implicit-def: $vgpr2
.LBB30_213:
	s_andn2_saveexec_b64 s[28:29], s[28:29]
	s_cbranch_execz .LBB30_215
; %bb.214:
	s_waitcnt vmcnt(0)
	v_add_f32_e32 v3, 0x46800000, v2
.LBB30_215:
	s_or_b64 exec, exec, s[28:29]
                                        ; implicit-def: $vgpr2
.LBB30_216:
	s_andn2_saveexec_b64 s[24:25], s[24:25]
	s_cbranch_execz .LBB30_218
; %bb.217:
	s_mov_b32 s28, 0x7f800000
	s_waitcnt vmcnt(0)
	v_mov_b32_e32 v3, 0x7e
	v_mov_b32_e32 v4, 0x7f
	v_cmp_lt_u32_e32 vcc, s28, v2
	v_cndmask_b32_e32 v3, v3, v4, vcc
.LBB30_218:
	s_or_b64 exec, exec, s[24:25]
	s_waitcnt vmcnt(0)
	global_store_byte v[0:1], v3, off
.LBB30_219:
	s_mov_b64 s[24:25], 0
.LBB30_220:
	s_andn2_b64 vcc, exec, s[24:25]
	s_cbranch_vccnz .LBB30_230
; %bb.221:
	v_cndmask_b32_e64 v2, 0, 1.0, s[16:17]
	s_mov_b32 s24, 0x47800000
	v_cmp_gt_u32_e32 vcc, s24, v2
                                        ; implicit-def: $vgpr3
	s_and_saveexec_b64 s[24:25], vcc
	s_xor_b64 s[24:25], exec, s[24:25]
	s_cbranch_execz .LBB30_227
; %bb.222:
	s_mov_b32 s28, 0x387fffff
	v_cmp_lt_u32_e32 vcc, s28, v2
                                        ; implicit-def: $vgpr3
	s_and_saveexec_b64 s[28:29], vcc
	s_xor_b64 s[28:29], exec, s[28:29]
	s_cbranch_execz .LBB30_224
; %bb.223:
	s_waitcnt vmcnt(0)
	v_bfe_u32 v3, v2, 21, 1
	s_mov_b32 s30, 0x80fffff
	v_add3_u32 v2, v2, v3, s30
	v_lshrrev_b32_e32 v3, 21, v2
                                        ; implicit-def: $vgpr2
.LBB30_224:
	s_andn2_saveexec_b64 s[28:29], s[28:29]
	s_cbranch_execz .LBB30_226
; %bb.225:
	s_waitcnt vmcnt(0)
	v_add_f32_e32 v3, 0x43000000, v2
.LBB30_226:
	s_or_b64 exec, exec, s[28:29]
                                        ; implicit-def: $vgpr2
.LBB30_227:
	s_andn2_saveexec_b64 s[24:25], s[24:25]
	s_cbranch_execz .LBB30_229
; %bb.228:
	s_mov_b32 s28, 0x7f800000
	s_waitcnt vmcnt(0)
	v_mov_b32_e32 v3, 0x7c
	v_mov_b32_e32 v4, 0x7f
	v_cmp_lt_u32_e32 vcc, s28, v2
	v_cndmask_b32_e32 v3, v3, v4, vcc
.LBB30_229:
	s_or_b64 exec, exec, s[24:25]
	s_waitcnt vmcnt(0)
	global_store_byte v[0:1], v3, off
.LBB30_230:
	s_mov_b64 s[28:29], 0
	s_mov_b64 s[24:25], -1
.LBB30_231:
	s_andn2_b64 vcc, exec, s[28:29]
	s_cbranch_vccnz .LBB30_239
; %bb.232:
	s_cmp_gt_i32 s35, 14
	s_mov_b64 s[28:29], -1
	s_cbranch_scc0 .LBB30_236
; %bb.233:
	s_cmp_eq_u32 s35, 15
	s_mov_b64 s[0:1], -1
	s_cbranch_scc0 .LBB30_235
; %bb.234:
	v_cndmask_b32_e64 v2, 0, 1.0, s[16:17]
	s_waitcnt vmcnt(0)
	v_bfe_u32 v3, v2, 16, 1
	s_movk_i32 s0, 0x7fff
	v_add3_u32 v2, v2, v3, s0
	global_store_short_d16_hi v[0:1], v2, off
	s_mov_b64 s[24:25], -1
	s_mov_b64 s[0:1], 0
.LBB30_235:
	s_mov_b64 s[28:29], 0
.LBB30_236:
	s_and_b64 vcc, exec, s[28:29]
	s_cbranch_vccz .LBB30_239
; %bb.237:
	s_cmp_eq_u32 s35, 11
	s_mov_b64 s[0:1], -1
	s_cbranch_scc0 .LBB30_239
; %bb.238:
	v_cndmask_b32_e64 v2, 0, 1, s[16:17]
	s_mov_b64 s[24:25], -1
	s_mov_b64 s[0:1], 0
	global_store_byte v[0:1], v2, off
.LBB30_239:
	s_mov_b64 s[28:29], 0
.LBB30_240:
	s_and_b64 vcc, exec, s[28:29]
	s_cbranch_vccz .LBB30_279
; %bb.241:
	s_and_b32 s28, 0xffff, s34
	s_cmp_lt_i32 s28, 5
	s_mov_b64 s[24:25], -1
	s_cbranch_scc1 .LBB30_262
; %bb.242:
	s_cmp_lt_i32 s28, 8
	s_cbranch_scc1 .LBB30_252
; %bb.243:
	s_cmp_lt_i32 s28, 9
	s_cbranch_scc1 .LBB30_249
; %bb.244:
	s_cmp_gt_i32 s28, 9
	s_cbranch_scc0 .LBB30_246
; %bb.245:
	v_cndmask_b32_e64 v2, 0, 1, s[16:17]
	v_cvt_f64_u32_e32 v[6:7], v2
	v_mov_b32_e32 v8, 0
	v_mov_b32_e32 v9, v8
	s_mov_b64 s[24:25], 0
	global_store_dwordx4 v[0:1], v[6:9], off
.LBB30_246:
	s_andn2_b64 vcc, exec, s[24:25]
	s_cbranch_vccnz .LBB30_248
; %bb.247:
	v_cndmask_b32_e64 v2, 0, 1.0, s[16:17]
	s_waitcnt vmcnt(0)
	v_mov_b32_e32 v3, 0
	global_store_dwordx2 v[0:1], v[2:3], off
.LBB30_248:
	s_mov_b64 s[24:25], 0
.LBB30_249:
	s_andn2_b64 vcc, exec, s[24:25]
	s_cbranch_vccnz .LBB30_251
; %bb.250:
	v_cndmask_b32_e64 v2, 0, 1.0, s[16:17]
	v_cvt_f16_f32_e32 v2, v2
	global_store_dword v[0:1], v2, off
.LBB30_251:
	s_mov_b64 s[24:25], 0
.LBB30_252:
	s_andn2_b64 vcc, exec, s[24:25]
	s_cbranch_vccnz .LBB30_261
; %bb.253:
	s_cmp_lt_i32 s28, 6
	s_mov_b64 s[24:25], -1
	s_cbranch_scc1 .LBB30_259
; %bb.254:
	s_cmp_gt_i32 s28, 6
	s_cbranch_scc0 .LBB30_256
; %bb.255:
	v_cndmask_b32_e64 v2, 0, 1, s[16:17]
	s_waitcnt vmcnt(0)
	v_cvt_f64_u32_e32 v[2:3], v2
	s_mov_b64 s[24:25], 0
	global_store_dwordx2 v[0:1], v[2:3], off
.LBB30_256:
	s_andn2_b64 vcc, exec, s[24:25]
	s_cbranch_vccnz .LBB30_258
; %bb.257:
	v_cndmask_b32_e64 v2, 0, 1.0, s[16:17]
	global_store_dword v[0:1], v2, off
.LBB30_258:
	s_mov_b64 s[24:25], 0
.LBB30_259:
	s_andn2_b64 vcc, exec, s[24:25]
	s_cbranch_vccnz .LBB30_261
; %bb.260:
	v_cndmask_b32_e64 v2, 0, 1.0, s[16:17]
	v_cvt_f16_f32_e32 v2, v2
	global_store_short v[0:1], v2, off
.LBB30_261:
	s_mov_b64 s[24:25], 0
.LBB30_262:
	s_andn2_b64 vcc, exec, s[24:25]
	s_cbranch_vccnz .LBB30_278
; %bb.263:
	s_cmp_lt_i32 s28, 2
	s_mov_b64 s[24:25], -1
	s_cbranch_scc1 .LBB30_273
; %bb.264:
	s_cmp_lt_i32 s28, 3
	s_cbranch_scc1 .LBB30_270
; %bb.265:
	s_cmp_gt_i32 s28, 3
	s_cbranch_scc0 .LBB30_267
; %bb.266:
	s_mov_b32 s24, 0
	v_cndmask_b32_e64 v2, 0, 1, s[16:17]
	s_waitcnt vmcnt(0)
	v_mov_b32_e32 v3, s24
	global_store_dwordx2 v[0:1], v[2:3], off
	s_mov_b64 s[24:25], 0
.LBB30_267:
	s_andn2_b64 vcc, exec, s[24:25]
	s_cbranch_vccnz .LBB30_269
; %bb.268:
	v_cndmask_b32_e64 v2, 0, 1, s[16:17]
	global_store_dword v[0:1], v2, off
.LBB30_269:
	s_mov_b64 s[24:25], 0
.LBB30_270:
	s_andn2_b64 vcc, exec, s[24:25]
	s_cbranch_vccnz .LBB30_272
; %bb.271:
	v_cndmask_b32_e64 v2, 0, 1, s[16:17]
	global_store_short v[0:1], v2, off
.LBB30_272:
	s_mov_b64 s[24:25], 0
.LBB30_273:
	s_andn2_b64 vcc, exec, s[24:25]
	s_cbranch_vccnz .LBB30_278
; %bb.274:
	s_mov_b64 s[24:25], -1
	s_cmp_gt_i32 s28, 0
	v_cndmask_b32_e64 v2, 0, 1, s[16:17]
	s_cbranch_scc0 .LBB30_276
; %bb.275:
	global_store_byte v[0:1], v2, off
	s_mov_b64 s[24:25], 0
.LBB30_276:
	s_andn2_b64 vcc, exec, s[24:25]
	s_cbranch_vccnz .LBB30_278
; %bb.277:
	global_store_byte v[0:1], v2, off
.LBB30_278:
	s_mov_b64 s[24:25], -1
.LBB30_279:
	s_andn2_b64 vcc, exec, s[24:25]
	s_cbranch_vccnz .LBB30_281
; %bb.280:
	v_add_u32_e32 v5, 0x80, v5
	s_mov_b64 s[24:25], -1
	s_branch .LBB30_390
.LBB30_281:
	s_mov_b64 s[24:25], 0
                                        ; implicit-def: $vgpr5
	s_branch .LBB30_390
.LBB30_282:
	s_mov_b64 s[18:19], -1
                                        ; implicit-def: $vgpr3
.LBB30_283:
	s_mov_b64 s[16:17], 0
.LBB30_284:
	s_and_b64 vcc, exec, s[16:17]
	s_cbranch_vccz .LBB30_288
; %bb.285:
	s_cmp_eq_u32 s25, 29
	s_cbranch_scc0 .LBB30_287
; %bb.286:
	global_load_dwordx2 v[3:4], v[1:2], off
	s_mov_b64 s[0:1], -1
	s_mov_b64 s[18:19], 0
	s_branch .LBB30_288
.LBB30_287:
	s_mov_b64 s[18:19], -1
                                        ; implicit-def: $vgpr3
.LBB30_288:
	s_mov_b64 s[16:17], 0
.LBB30_289:
	s_and_b64 vcc, exec, s[16:17]
	s_cbranch_vccz .LBB30_305
; %bb.290:
	s_cmp_lt_i32 s25, 27
	s_cbranch_scc1 .LBB30_293
; %bb.291:
	s_cmp_gt_i32 s25, 27
	s_cbranch_scc0 .LBB30_294
; %bb.292:
	global_load_dword v3, v[1:2], off
	s_mov_b64 s[0:1], 0
	s_branch .LBB30_295
.LBB30_293:
	s_mov_b64 s[0:1], -1
                                        ; implicit-def: $vgpr3
	s_branch .LBB30_298
.LBB30_294:
	s_mov_b64 s[0:1], -1
                                        ; implicit-def: $vgpr3
.LBB30_295:
	s_andn2_b64 vcc, exec, s[0:1]
	s_cbranch_vccnz .LBB30_297
; %bb.296:
	global_load_ushort v3, v[1:2], off
.LBB30_297:
	s_mov_b64 s[0:1], 0
.LBB30_298:
	s_andn2_b64 vcc, exec, s[0:1]
	s_cbranch_vccnz .LBB30_304
; %bb.299:
	global_load_ubyte v4, v[1:2], off
	s_movk_i32 s0, 0x7f
	s_mov_b64 s[16:17], 0
	s_waitcnt vmcnt(0)
	v_cmp_lt_i16_e32 vcc, s0, v4
	s_and_saveexec_b64 s[0:1], vcc
	s_xor_b64 s[0:1], exec, s[0:1]
	s_cbranch_execz .LBB30_316
; %bb.300:
	s_movk_i32 s16, 0x80
	v_cmp_ne_u16_e32 vcc, s16, v4
	s_and_b64 s[16:17], vcc, exec
	s_andn2_saveexec_b64 s[0:1], s[0:1]
	s_cbranch_execnz .LBB30_317
.LBB30_301:
	s_or_b64 exec, exec, s[0:1]
	v_mov_b32_e32 v3, 0
	s_and_saveexec_b64 s[0:1], s[16:17]
	s_cbranch_execz .LBB30_303
.LBB30_302:
	v_lshlrev_b32_e32 v3, 24, v4
	v_and_b32_e32 v4, 0xffff, v4
	v_and_b32_e32 v6, 7, v4
	v_ffbh_u32_e32 v8, v6
	v_min_u32_e32 v8, 32, v8
	v_subrev_u32_e32 v9, 28, v8
	v_bfe_u32 v7, v4, 3, 4
	v_lshlrev_b32_e32 v4, v9, v4
	v_sub_u32_e32 v8, 29, v8
	v_and_b32_e32 v4, 7, v4
	v_cmp_eq_u32_e32 vcc, 0, v7
	v_cndmask_b32_e32 v7, v7, v8, vcc
	v_cndmask_b32_e32 v4, v6, v4, vcc
	v_mov_b32_e32 v6, 0x3b800000
	v_lshlrev_b32_e32 v4, 20, v4
	v_and_b32_e32 v3, 0x80000000, v3
	v_lshl_add_u32 v6, v7, 23, v6
	v_or3_b32 v3, v3, v6, v4
	v_cvt_i32_f32_e32 v3, v3
.LBB30_303:
	s_or_b64 exec, exec, s[0:1]
.LBB30_304:
	s_mov_b64 s[0:1], -1
.LBB30_305:
	s_mov_b64 s[16:17], 0
.LBB30_306:
	s_and_b64 vcc, exec, s[16:17]
	s_cbranch_vccz .LBB30_339
; %bb.307:
	s_cmp_gt_i32 s25, 22
	s_cbranch_scc0 .LBB30_315
; %bb.308:
	s_cmp_lt_i32 s25, 24
	s_cbranch_scc1 .LBB30_318
; %bb.309:
	s_cmp_gt_i32 s25, 24
	s_cbranch_scc0 .LBB30_319
; %bb.310:
	global_load_ubyte v4, v[1:2], off
	s_movk_i32 s0, 0x7f
	s_mov_b64 s[16:17], 0
	s_waitcnt vmcnt(0)
	v_cmp_lt_i16_e32 vcc, s0, v4
	s_and_saveexec_b64 s[0:1], vcc
	s_xor_b64 s[0:1], exec, s[0:1]
	s_cbranch_execz .LBB30_331
; %bb.311:
	s_movk_i32 s16, 0x80
	v_cmp_ne_u16_e32 vcc, s16, v4
	s_and_b64 s[16:17], vcc, exec
	s_andn2_saveexec_b64 s[0:1], s[0:1]
	s_cbranch_execnz .LBB30_332
.LBB30_312:
	s_or_b64 exec, exec, s[0:1]
	v_mov_b32_e32 v3, 0
	s_and_saveexec_b64 s[0:1], s[16:17]
	s_cbranch_execz .LBB30_314
.LBB30_313:
	v_lshlrev_b32_e32 v3, 24, v4
	v_and_b32_e32 v4, 0xffff, v4
	v_and_b32_e32 v6, 3, v4
	v_ffbh_u32_e32 v8, v6
	v_min_u32_e32 v8, 32, v8
	v_subrev_u32_e32 v9, 29, v8
	v_bfe_u32 v7, v4, 2, 5
	v_lshlrev_b32_e32 v4, v9, v4
	v_sub_u32_e32 v8, 30, v8
	v_and_b32_e32 v4, 3, v4
	v_cmp_eq_u32_e32 vcc, 0, v7
	v_cndmask_b32_e32 v7, v7, v8, vcc
	v_cndmask_b32_e32 v4, v6, v4, vcc
	v_mov_b32_e32 v6, 0x37800000
	v_lshlrev_b32_e32 v4, 21, v4
	v_and_b32_e32 v3, 0x80000000, v3
	v_lshl_add_u32 v6, v7, 23, v6
	v_or3_b32 v3, v3, v6, v4
	v_cvt_i32_f32_e32 v3, v3
.LBB30_314:
	s_or_b64 exec, exec, s[0:1]
	s_mov_b64 s[0:1], 0
	s_branch .LBB30_320
.LBB30_315:
	s_mov_b64 s[16:17], -1
                                        ; implicit-def: $vgpr3
	s_branch .LBB30_326
.LBB30_316:
	s_andn2_saveexec_b64 s[0:1], s[0:1]
	s_cbranch_execz .LBB30_301
.LBB30_317:
	v_cmp_ne_u16_e32 vcc, 0, v4
	s_andn2_b64 s[16:17], s[16:17], exec
	s_and_b64 s[28:29], vcc, exec
	s_or_b64 s[16:17], s[16:17], s[28:29]
	s_or_b64 exec, exec, s[0:1]
	v_mov_b32_e32 v3, 0
	s_and_saveexec_b64 s[0:1], s[16:17]
	s_cbranch_execnz .LBB30_302
	s_branch .LBB30_303
.LBB30_318:
	s_mov_b64 s[0:1], -1
                                        ; implicit-def: $vgpr3
	s_branch .LBB30_323
.LBB30_319:
	s_mov_b64 s[0:1], -1
                                        ; implicit-def: $vgpr3
.LBB30_320:
	s_and_b64 vcc, exec, s[0:1]
	s_cbranch_vccz .LBB30_322
; %bb.321:
	global_load_ubyte v3, v[1:2], off
	s_mov_b32 s0, 0x7f800000
	s_waitcnt vmcnt(0)
	v_lshlrev_b32_e32 v3, 24, v3
	v_and_b32_e32 v4, 0x7f000000, v3
	v_ffbh_u32_e32 v6, v4
	v_min_u32_e32 v6, 32, v6
	v_sub_u32_e64 v6, v6, 4 clamp
	v_lshlrev_b32_e32 v8, v6, v4
	v_lshlrev_b32_e32 v6, 23, v6
	v_lshrrev_b32_e32 v8, 4, v8
	v_add_u32_e32 v7, 0x1000000, v4
	v_sub_u32_e32 v6, v8, v6
	v_ashrrev_i32_e32 v7, 8, v7
	v_add_u32_e32 v6, 0x3c000000, v6
	v_and_or_b32 v6, v7, s0, v6
	v_cmp_ne_u32_e32 vcc, 0, v4
	v_cndmask_b32_e32 v4, 0, v6, vcc
	s_brev_b32 s0, 1
	v_and_or_b32 v3, v3, s0, v4
	v_cvt_i32_f32_e32 v3, v3
.LBB30_322:
	s_mov_b64 s[0:1], 0
.LBB30_323:
	s_andn2_b64 vcc, exec, s[0:1]
	s_cbranch_vccnz .LBB30_325
; %bb.324:
	global_load_ubyte v3, v[1:2], off
	s_movk_i32 s0, 0x7f00
	s_brev_b32 s1, 16
	s_waitcnt vmcnt(0)
	v_lshlrev_b16_e32 v4, 8, v3
	v_lshlrev_b32_e32 v3, 25, v3
	v_lshrrev_b32_e32 v6, 4, v3
	v_and_or_b32 v7, v4, s0, 0.5
	v_or_b32_e32 v6, 0x70000000, v6
	v_add_f32_e32 v7, -0.5, v7
	v_mul_f32_e32 v6, 0x7800000, v6
	v_cmp_gt_u32_e32 vcc, s1, v3
	v_bfe_i32 v4, v4, 0, 16
	v_cndmask_b32_e32 v3, v6, v7, vcc
	s_brev_b32 s0, 1
	v_and_or_b32 v3, v4, s0, v3
	v_cvt_i32_f32_e32 v3, v3
.LBB30_325:
	s_mov_b64 s[16:17], 0
	s_mov_b64 s[0:1], -1
.LBB30_326:
	s_andn2_b64 vcc, exec, s[16:17]
	s_cbranch_vccnz .LBB30_339
; %bb.327:
	s_cmp_gt_i32 s25, 14
	s_cbranch_scc0 .LBB30_330
; %bb.328:
	s_cmp_eq_u32 s25, 15
	s_cbranch_scc0 .LBB30_333
; %bb.329:
	global_load_ushort v3, v[1:2], off
	s_mov_b64 s[0:1], -1
	s_mov_b64 s[18:19], 0
	s_waitcnt vmcnt(0)
	v_lshlrev_b32_e32 v3, 16, v3
	v_cvt_i32_f32_e32 v3, v3
	s_branch .LBB30_334
.LBB30_330:
	s_mov_b64 s[16:17], -1
                                        ; implicit-def: $vgpr3
	s_branch .LBB30_335
.LBB30_331:
	s_andn2_saveexec_b64 s[0:1], s[0:1]
	s_cbranch_execz .LBB30_312
.LBB30_332:
	v_cmp_ne_u16_e32 vcc, 0, v4
	s_andn2_b64 s[16:17], s[16:17], exec
	s_and_b64 s[28:29], vcc, exec
	s_or_b64 s[16:17], s[16:17], s[28:29]
	s_or_b64 exec, exec, s[0:1]
	v_mov_b32_e32 v3, 0
	s_and_saveexec_b64 s[0:1], s[16:17]
	s_cbranch_execnz .LBB30_313
	s_branch .LBB30_314
.LBB30_333:
	s_mov_b64 s[18:19], -1
                                        ; implicit-def: $vgpr3
.LBB30_334:
	s_mov_b64 s[16:17], 0
.LBB30_335:
	s_and_b64 vcc, exec, s[16:17]
	s_cbranch_vccz .LBB30_339
; %bb.336:
	s_cmp_eq_u32 s25, 11
	s_cbranch_scc0 .LBB30_338
; %bb.337:
	global_load_ubyte v3, v[1:2], off
	s_mov_b64 s[0:1], -1
	s_mov_b64 s[18:19], 0
	s_waitcnt vmcnt(0)
	v_cmp_ne_u16_e32 vcc, 0, v3
	v_cndmask_b32_e64 v3, 0, 1, vcc
	s_branch .LBB30_339
.LBB30_338:
	s_mov_b64 s[18:19], -1
                                        ; implicit-def: $vgpr3
.LBB30_339:
	s_branch .LBB30_20
.LBB30_340:
	s_and_b32 s16, 0xffff, s24
	s_cmp_lt_i32 s16, 5
	s_cbranch_scc1 .LBB30_345
; %bb.341:
	s_cmp_lt_i32 s16, 8
	s_cbranch_scc1 .LBB30_346
; %bb.342:
	;; [unrolled: 3-line block ×3, first 2 shown]
	s_cmp_gt_i32 s16, 9
	s_cbranch_scc0 .LBB30_348
; %bb.344:
	global_load_dwordx2 v[3:4], v[1:2], off
	s_mov_b64 s[0:1], 0
	s_waitcnt vmcnt(0)
	v_cvt_i32_f64_e32 v3, v[3:4]
	s_branch .LBB30_349
.LBB30_345:
	s_mov_b64 s[0:1], -1
                                        ; implicit-def: $vgpr3
	s_branch .LBB30_367
.LBB30_346:
	s_mov_b64 s[0:1], -1
                                        ; implicit-def: $vgpr3
	s_branch .LBB30_355
.LBB30_347:
	s_mov_b64 s[0:1], -1
                                        ; implicit-def: $vgpr3
	s_branch .LBB30_352
.LBB30_348:
	s_mov_b64 s[0:1], -1
                                        ; implicit-def: $vgpr3
.LBB30_349:
	s_andn2_b64 vcc, exec, s[0:1]
	s_cbranch_vccnz .LBB30_351
; %bb.350:
	global_load_dword v3, v[1:2], off
	s_waitcnt vmcnt(0)
	v_cvt_i32_f32_e32 v3, v3
.LBB30_351:
	s_mov_b64 s[0:1], 0
.LBB30_352:
	s_andn2_b64 vcc, exec, s[0:1]
	s_cbranch_vccnz .LBB30_354
; %bb.353:
	global_load_dword v3, v[1:2], off
	s_waitcnt vmcnt(0)
	v_cvt_i16_f16_e32 v3, v3
.LBB30_354:
	s_mov_b64 s[0:1], 0
.LBB30_355:
	s_andn2_b64 vcc, exec, s[0:1]
	s_cbranch_vccnz .LBB30_366
; %bb.356:
	s_cmp_lt_i32 s16, 6
	s_cbranch_scc1 .LBB30_359
; %bb.357:
	s_cmp_gt_i32 s16, 6
	s_cbranch_scc0 .LBB30_360
; %bb.358:
	global_load_dwordx2 v[3:4], v[1:2], off
	s_mov_b64 s[0:1], 0
	s_waitcnt vmcnt(0)
	v_cvt_i32_f64_e32 v3, v[3:4]
	s_branch .LBB30_361
.LBB30_359:
	s_mov_b64 s[0:1], -1
                                        ; implicit-def: $vgpr3
	s_branch .LBB30_364
.LBB30_360:
	s_mov_b64 s[0:1], -1
                                        ; implicit-def: $vgpr3
.LBB30_361:
	s_andn2_b64 vcc, exec, s[0:1]
	s_cbranch_vccnz .LBB30_363
; %bb.362:
	global_load_dword v3, v[1:2], off
	s_waitcnt vmcnt(0)
	v_cvt_i32_f32_e32 v3, v3
.LBB30_363:
	s_mov_b64 s[0:1], 0
.LBB30_364:
	s_andn2_b64 vcc, exec, s[0:1]
	s_cbranch_vccnz .LBB30_366
; %bb.365:
	global_load_ushort v3, v[1:2], off
	s_waitcnt vmcnt(0)
	v_cvt_i16_f16_e32 v3, v3
.LBB30_366:
	s_mov_b64 s[0:1], 0
.LBB30_367:
	s_andn2_b64 vcc, exec, s[0:1]
	s_cbranch_vccnz .LBB30_387
; %bb.368:
	s_cmp_lt_i32 s16, 2
	s_cbranch_scc1 .LBB30_372
; %bb.369:
	s_cmp_lt_i32 s16, 3
	s_cbranch_scc1 .LBB30_373
; %bb.370:
	s_cmp_gt_i32 s16, 3
	s_cbranch_scc0 .LBB30_374
; %bb.371:
	global_load_dwordx2 v[3:4], v[1:2], off
	s_mov_b64 s[0:1], 0
	s_branch .LBB30_375
.LBB30_372:
	s_mov_b64 s[0:1], -1
                                        ; implicit-def: $vgpr3
	s_branch .LBB30_381
.LBB30_373:
	s_mov_b64 s[0:1], -1
                                        ; implicit-def: $vgpr3
	s_branch .LBB30_378
.LBB30_374:
	s_mov_b64 s[0:1], -1
                                        ; implicit-def: $vgpr3
.LBB30_375:
	s_andn2_b64 vcc, exec, s[0:1]
	s_cbranch_vccnz .LBB30_377
; %bb.376:
	global_load_dword v3, v[1:2], off
.LBB30_377:
	s_mov_b64 s[0:1], 0
.LBB30_378:
	s_andn2_b64 vcc, exec, s[0:1]
	s_cbranch_vccnz .LBB30_380
; %bb.379:
	global_load_ushort v3, v[1:2], off
.LBB30_380:
	s_mov_b64 s[0:1], 0
.LBB30_381:
	s_andn2_b64 vcc, exec, s[0:1]
	s_cbranch_vccnz .LBB30_387
; %bb.382:
	s_cmp_gt_i32 s16, 0
	s_cbranch_scc0 .LBB30_384
; %bb.383:
	global_load_ubyte v3, v[1:2], off
	s_mov_b64 s[0:1], 0
	s_branch .LBB30_385
.LBB30_384:
	s_mov_b64 s[0:1], -1
                                        ; implicit-def: $vgpr3
.LBB30_385:
	s_andn2_b64 vcc, exec, s[0:1]
	s_cbranch_vccnz .LBB30_387
; %bb.386:
	global_load_ubyte v3, v[1:2], off
.LBB30_387:
	s_branch .LBB30_21
.LBB30_388:
	s_mov_b64 s[0:1], 0
.LBB30_389:
                                        ; implicit-def: $vgpr5
	s_mov_b64 s[24:25], 0
.LBB30_390:
	s_and_b64 s[16:17], s[0:1], exec
	s_and_b64 s[18:19], s[18:19], exec
	;; [unrolled: 1-line block ×3, first 2 shown]
	s_orn2_b64 s[0:1], s[24:25], exec
.LBB30_391:
	s_or_b64 exec, exec, s[22:23]
	s_mov_b64 s[30:31], 0
	s_mov_b64 s[28:29], 0
                                        ; implicit-def: $sgpr56
                                        ; implicit-def: $vgpr2_vgpr3
                                        ; implicit-def: $vgpr0
	s_and_saveexec_b64 s[22:23], s[0:1]
	s_cbranch_execz .LBB30_400
; %bb.392:
	v_cmp_gt_i32_e32 vcc, s48, v5
	s_mov_b64 s[0:1], -1
	s_mov_b64 s[24:25], s[20:21]
	s_mov_b64 s[26:27], s[18:19]
	;; [unrolled: 1-line block ×3, first 2 shown]
	s_and_saveexec_b64 s[30:31], vcc
	s_cbranch_execz .LBB30_790
; %bb.393:
	s_waitcnt vmcnt(0)
	v_mul_lo_u32 v0, v5, s13
	v_mov_b32_e32 v1, s11
	s_and_b32 s28, s55, 0xff
	s_cmp_lt_i32 s28, 11
	v_ashrrev_i32_e32 v3, 31, v0
	v_add_co_u32_e32 v2, vcc, s10, v0
	v_addc_co_u32_e32 v3, vcc, v1, v3, vcc
	s_cbranch_scc1 .LBB30_403
; %bb.394:
	s_and_b32 s29, 0xffff, s28
	s_cmp_gt_i32 s29, 25
	s_cbranch_scc0 .LBB30_412
; %bb.395:
	s_cmp_gt_i32 s29, 28
	s_cbranch_scc0 .LBB30_414
; %bb.396:
	;; [unrolled: 3-line block ×4, first 2 shown]
	s_cmp_eq_u32 s29, 46
	s_mov_b64 s[26:27], 0
	s_cbranch_scc0 .LBB30_422
; %bb.399:
	global_load_dword v0, v[2:3], off
	s_mov_b64 s[24:25], 0
	s_waitcnt vmcnt(0)
	v_lshlrev_b32_e32 v0, 16, v0
	v_cvt_i32_f32_e32 v0, v0
	s_branch .LBB30_423
.LBB30_400:
	s_or_b64 exec, exec, s[22:23]
	s_mov_b64 s[22:23], 0
	s_and_saveexec_b64 s[0:1], s[20:21]
	s_cbranch_execnz .LBB30_1270
.LBB30_401:
	s_or_b64 exec, exec, s[0:1]
	s_and_saveexec_b64 s[0:1], s[26:27]
	s_xor_b64 s[0:1], exec, s[0:1]
	s_cbranch_execz .LBB30_1271
.LBB30_402:
	s_waitcnt vmcnt(0)
	global_load_ubyte v0, v[2:3], off
	s_or_b64 s[28:29], s[28:29], exec
	s_waitcnt vmcnt(0)
	v_cmp_ne_u16_e32 vcc, 0, v0
	v_cndmask_b32_e64 v0, 0, 1, vcc
	s_or_b64 exec, exec, s[0:1]
	s_and_saveexec_b64 s[0:1], s[30:31]
	s_cbranch_execz .LBB30_1317
	s_branch .LBB30_1272
.LBB30_403:
	s_mov_b64 s[0:1], 0
                                        ; implicit-def: $vgpr0
	s_mov_b64 s[24:25], s[20:21]
	s_cbranch_execnz .LBB30_485
.LBB30_404:
	s_andn2_b64 vcc, exec, s[0:1]
	s_cbranch_vccnz .LBB30_533
.LBB30_405:
	s_waitcnt vmcnt(0)
	v_mul_lo_u32 v1, v5, s14
	v_mov_b32_e32 v2, s3
	s_and_b32 s34, s54, 0xff
	s_cmp_lt_i32 s34, 11
	v_ashrrev_i32_e32 v3, 31, v1
	v_add_co_u32_e32 v1, vcc, s2, v1
	v_addc_co_u32_e32 v2, vcc, v2, v3, vcc
	s_cbranch_scc1 .LBB30_413
; %bb.406:
	s_and_b32 s35, 0xffff, s34
	s_cmp_gt_i32 s35, 25
	s_cbranch_scc0 .LBB30_415
; %bb.407:
	s_cmp_gt_i32 s35, 28
	s_cbranch_scc0 .LBB30_417
; %bb.408:
	;; [unrolled: 3-line block ×4, first 2 shown]
	s_cmp_eq_u32 s35, 46
	s_mov_b64 s[28:29], 0
	s_cbranch_scc0 .LBB30_537
; %bb.411:
	global_load_dword v3, v[1:2], off
	s_mov_b64 s[0:1], -1
	s_mov_b64 s[26:27], 0
	s_waitcnt vmcnt(0)
	v_lshlrev_b32_e32 v3, 16, v3
	v_cvt_i32_f32_e32 v3, v3
	s_branch .LBB30_538
.LBB30_412:
	s_mov_b64 s[26:27], -1
	s_mov_b64 s[0:1], 0
	s_mov_b64 s[24:25], s[20:21]
                                        ; implicit-def: $vgpr0
	s_branch .LBB30_451
.LBB30_413:
	s_mov_b64 s[28:29], -1
	s_mov_b64 s[0:1], 0
                                        ; implicit-def: $vgpr3
	s_mov_b64 s[26:27], s[18:19]
	s_branch .LBB30_599
.LBB30_414:
	s_mov_b64 s[26:27], -1
	s_mov_b64 s[0:1], 0
	s_mov_b64 s[24:25], s[20:21]
                                        ; implicit-def: $vgpr0
	s_branch .LBB30_434
.LBB30_415:
	s_mov_b64 s[28:29], -1
	s_mov_b64 s[0:1], 0
	s_mov_b64 s[26:27], s[18:19]
                                        ; implicit-def: $vgpr3
	s_branch .LBB30_565
.LBB30_416:
	s_mov_b64 s[26:27], -1
	s_mov_b64 s[0:1], 0
	s_mov_b64 s[24:25], s[20:21]
                                        ; implicit-def: $vgpr0
	s_branch .LBB30_429
.LBB30_417:
	s_mov_b64 s[28:29], -1
	s_mov_b64 s[0:1], 0
	s_mov_b64 s[26:27], s[18:19]
                                        ; implicit-def: $vgpr3
	s_branch .LBB30_548
.LBB30_418:
	s_mov_b64 s[26:27], -1
	s_mov_b64 s[0:1], 0
	s_mov_b64 s[24:25], s[20:21]
                                        ; implicit-def: $vgpr0
	s_branch .LBB30_423
.LBB30_419:
	s_mov_b64 s[28:29], -1
	s_mov_b64 s[0:1], 0
	s_mov_b64 s[26:27], s[18:19]
                                        ; implicit-def: $vgpr3
	s_branch .LBB30_543
.LBB30_420:
	s_andn2_saveexec_b64 s[30:31], s[30:31]
	s_cbranch_execz .LBB30_192
.LBB30_421:
	v_add_f32_e32 v2, 0x46000000, v3
	v_and_b32_e32 v2, 0xff, v2
	v_cmp_ne_u32_e32 vcc, 0, v2
	s_andn2_b64 s[28:29], s[28:29], exec
	s_and_b64 s[36:37], vcc, exec
	s_or_b64 s[28:29], s[28:29], s[36:37]
	s_or_b64 exec, exec, s[30:31]
	v_mov_b32_e32 v4, 0
	s_and_saveexec_b64 s[30:31], s[28:29]
	s_cbranch_execnz .LBB30_193
	s_branch .LBB30_194
.LBB30_422:
	s_mov_b64 s[24:25], -1
                                        ; implicit-def: $vgpr0
	s_mov_b64 s[0:1], 0
.LBB30_423:
	s_and_b64 vcc, exec, s[26:27]
	s_cbranch_vccz .LBB30_428
; %bb.424:
	s_cmp_eq_u32 s29, 44
	s_cbranch_scc0 .LBB30_427
; %bb.425:
	global_load_ubyte v0, v[2:3], off
	s_mov_b64 s[0:1], -1
	s_mov_b64 s[24:25], 0
	s_waitcnt vmcnt(0)
	v_lshlrev_b32_e32 v1, 23, v0
	v_cvt_i32_f32_e32 v1, v1
	v_cmp_ne_u32_e32 vcc, 0, v0
	v_cndmask_b32_e32 v0, 0, v1, vcc
	s_branch .LBB30_428
.LBB30_426:
	s_mov_b64 s[28:29], -1
	s_mov_b64 s[0:1], 0
	s_mov_b64 s[26:27], s[18:19]
                                        ; implicit-def: $vgpr3
	s_branch .LBB30_538
.LBB30_427:
	s_mov_b64 s[24:25], -1
                                        ; implicit-def: $vgpr0
.LBB30_428:
	s_mov_b64 s[26:27], 0
.LBB30_429:
	s_and_b64 vcc, exec, s[26:27]
	s_cbranch_vccz .LBB30_433
; %bb.430:
	s_cmp_eq_u32 s29, 29
	s_cbranch_scc0 .LBB30_432
; %bb.431:
	global_load_dwordx2 v[0:1], v[2:3], off
	s_mov_b64 s[0:1], -1
	s_mov_b64 s[24:25], 0
	s_branch .LBB30_433
.LBB30_432:
	s_mov_b64 s[24:25], -1
                                        ; implicit-def: $vgpr0
.LBB30_433:
	s_mov_b64 s[26:27], 0
.LBB30_434:
	s_and_b64 vcc, exec, s[26:27]
	s_cbranch_vccz .LBB30_450
; %bb.435:
	s_cmp_lt_i32 s29, 27
	s_cbranch_scc1 .LBB30_438
; %bb.436:
	s_cmp_gt_i32 s29, 27
	s_cbranch_scc0 .LBB30_439
; %bb.437:
	global_load_dword v0, v[2:3], off
	s_mov_b64 s[0:1], 0
	s_branch .LBB30_440
.LBB30_438:
	s_mov_b64 s[0:1], -1
                                        ; implicit-def: $vgpr0
	s_branch .LBB30_443
.LBB30_439:
	s_mov_b64 s[0:1], -1
                                        ; implicit-def: $vgpr0
.LBB30_440:
	s_andn2_b64 vcc, exec, s[0:1]
	s_cbranch_vccnz .LBB30_442
; %bb.441:
	global_load_ushort v0, v[2:3], off
.LBB30_442:
	s_mov_b64 s[0:1], 0
.LBB30_443:
	s_andn2_b64 vcc, exec, s[0:1]
	s_cbranch_vccnz .LBB30_449
; %bb.444:
	global_load_ubyte v1, v[2:3], off
	s_movk_i32 s0, 0x7f
	s_mov_b64 s[26:27], 0
	s_waitcnt vmcnt(0)
	v_cmp_lt_i16_e32 vcc, s0, v1
	s_and_saveexec_b64 s[0:1], vcc
	s_xor_b64 s[0:1], exec, s[0:1]
	s_cbranch_execz .LBB30_461
; %bb.445:
	s_movk_i32 s26, 0x80
	v_cmp_ne_u16_e32 vcc, s26, v1
	s_and_b64 s[26:27], vcc, exec
	s_andn2_saveexec_b64 s[0:1], s[0:1]
	s_cbranch_execnz .LBB30_462
.LBB30_446:
	s_or_b64 exec, exec, s[0:1]
	v_mov_b32_e32 v0, 0
	s_and_saveexec_b64 s[0:1], s[26:27]
	s_cbranch_execz .LBB30_448
.LBB30_447:
	v_lshlrev_b32_e32 v0, 24, v1
	v_and_b32_e32 v1, 0xffff, v1
	v_and_b32_e32 v4, 7, v1
	v_ffbh_u32_e32 v7, v4
	v_min_u32_e32 v7, 32, v7
	v_subrev_u32_e32 v8, 28, v7
	v_bfe_u32 v6, v1, 3, 4
	v_lshlrev_b32_e32 v1, v8, v1
	v_sub_u32_e32 v7, 29, v7
	v_and_b32_e32 v1, 7, v1
	v_cmp_eq_u32_e32 vcc, 0, v6
	v_cndmask_b32_e32 v6, v6, v7, vcc
	v_cndmask_b32_e32 v1, v4, v1, vcc
	v_mov_b32_e32 v4, 0x3b800000
	v_lshlrev_b32_e32 v1, 20, v1
	v_and_b32_e32 v0, 0x80000000, v0
	v_lshl_add_u32 v4, v6, 23, v4
	v_or3_b32 v0, v0, v4, v1
	v_cvt_i32_f32_e32 v0, v0
.LBB30_448:
	s_or_b64 exec, exec, s[0:1]
.LBB30_449:
	s_mov_b64 s[0:1], -1
.LBB30_450:
	s_mov_b64 s[26:27], 0
.LBB30_451:
	s_and_b64 vcc, exec, s[26:27]
	s_cbranch_vccz .LBB30_484
; %bb.452:
	s_cmp_gt_i32 s29, 22
	s_cbranch_scc0 .LBB30_460
; %bb.453:
	s_cmp_lt_i32 s29, 24
	s_cbranch_scc1 .LBB30_463
; %bb.454:
	s_cmp_gt_i32 s29, 24
	s_cbranch_scc0 .LBB30_464
; %bb.455:
	global_load_ubyte v1, v[2:3], off
	s_movk_i32 s0, 0x7f
	s_mov_b64 s[26:27], 0
	s_waitcnt vmcnt(0)
	v_cmp_lt_i16_e32 vcc, s0, v1
	s_and_saveexec_b64 s[0:1], vcc
	s_xor_b64 s[0:1], exec, s[0:1]
	s_cbranch_execz .LBB30_476
; %bb.456:
	s_movk_i32 s26, 0x80
	v_cmp_ne_u16_e32 vcc, s26, v1
	s_and_b64 s[26:27], vcc, exec
	s_andn2_saveexec_b64 s[0:1], s[0:1]
	s_cbranch_execnz .LBB30_477
.LBB30_457:
	s_or_b64 exec, exec, s[0:1]
	v_mov_b32_e32 v0, 0
	s_and_saveexec_b64 s[0:1], s[26:27]
	s_cbranch_execz .LBB30_459
.LBB30_458:
	v_lshlrev_b32_e32 v0, 24, v1
	v_and_b32_e32 v1, 0xffff, v1
	v_and_b32_e32 v4, 3, v1
	v_ffbh_u32_e32 v7, v4
	v_min_u32_e32 v7, 32, v7
	v_subrev_u32_e32 v8, 29, v7
	v_bfe_u32 v6, v1, 2, 5
	v_lshlrev_b32_e32 v1, v8, v1
	v_sub_u32_e32 v7, 30, v7
	v_and_b32_e32 v1, 3, v1
	v_cmp_eq_u32_e32 vcc, 0, v6
	v_cndmask_b32_e32 v6, v6, v7, vcc
	v_cndmask_b32_e32 v1, v4, v1, vcc
	v_mov_b32_e32 v4, 0x37800000
	v_lshlrev_b32_e32 v1, 21, v1
	v_and_b32_e32 v0, 0x80000000, v0
	v_lshl_add_u32 v4, v6, 23, v4
	v_or3_b32 v0, v0, v4, v1
	v_cvt_i32_f32_e32 v0, v0
.LBB30_459:
	s_or_b64 exec, exec, s[0:1]
	s_mov_b64 s[0:1], 0
	s_branch .LBB30_465
.LBB30_460:
	s_mov_b64 s[26:27], -1
                                        ; implicit-def: $vgpr0
	s_branch .LBB30_471
.LBB30_461:
	s_andn2_saveexec_b64 s[0:1], s[0:1]
	s_cbranch_execz .LBB30_446
.LBB30_462:
	v_cmp_ne_u16_e32 vcc, 0, v1
	s_andn2_b64 s[26:27], s[26:27], exec
	s_and_b64 s[34:35], vcc, exec
	s_or_b64 s[26:27], s[26:27], s[34:35]
	s_or_b64 exec, exec, s[0:1]
	v_mov_b32_e32 v0, 0
	s_and_saveexec_b64 s[0:1], s[26:27]
	s_cbranch_execnz .LBB30_447
	s_branch .LBB30_448
.LBB30_463:
	s_mov_b64 s[0:1], -1
                                        ; implicit-def: $vgpr0
	s_branch .LBB30_468
.LBB30_464:
	s_mov_b64 s[0:1], -1
                                        ; implicit-def: $vgpr0
.LBB30_465:
	s_and_b64 vcc, exec, s[0:1]
	s_cbranch_vccz .LBB30_467
; %bb.466:
	global_load_ubyte v0, v[2:3], off
	s_mov_b32 s0, 0x7f800000
	s_waitcnt vmcnt(0)
	v_lshlrev_b32_e32 v0, 24, v0
	v_and_b32_e32 v1, 0x7f000000, v0
	v_ffbh_u32_e32 v4, v1
	v_min_u32_e32 v4, 32, v4
	v_sub_u32_e64 v4, v4, 4 clamp
	v_lshlrev_b32_e32 v7, v4, v1
	v_lshlrev_b32_e32 v4, 23, v4
	v_lshrrev_b32_e32 v7, 4, v7
	v_add_u32_e32 v6, 0x1000000, v1
	v_sub_u32_e32 v4, v7, v4
	v_ashrrev_i32_e32 v6, 8, v6
	v_add_u32_e32 v4, 0x3c000000, v4
	v_and_or_b32 v4, v6, s0, v4
	v_cmp_ne_u32_e32 vcc, 0, v1
	v_cndmask_b32_e32 v1, 0, v4, vcc
	s_brev_b32 s0, 1
	v_and_or_b32 v0, v0, s0, v1
	v_cvt_i32_f32_e32 v0, v0
.LBB30_467:
	s_mov_b64 s[0:1], 0
.LBB30_468:
	s_andn2_b64 vcc, exec, s[0:1]
	s_cbranch_vccnz .LBB30_470
; %bb.469:
	global_load_ubyte v0, v[2:3], off
	s_movk_i32 s0, 0x7f00
	s_brev_b32 s1, 16
	s_waitcnt vmcnt(0)
	v_lshlrev_b16_e32 v1, 8, v0
	v_lshlrev_b32_e32 v0, 25, v0
	v_lshrrev_b32_e32 v4, 4, v0
	v_and_or_b32 v6, v1, s0, 0.5
	v_or_b32_e32 v4, 0x70000000, v4
	v_add_f32_e32 v6, -0.5, v6
	v_mul_f32_e32 v4, 0x7800000, v4
	v_cmp_gt_u32_e32 vcc, s1, v0
	v_bfe_i32 v1, v1, 0, 16
	v_cndmask_b32_e32 v0, v4, v6, vcc
	s_brev_b32 s0, 1
	v_and_or_b32 v0, v1, s0, v0
	v_cvt_i32_f32_e32 v0, v0
.LBB30_470:
	s_mov_b64 s[26:27], 0
	s_mov_b64 s[0:1], -1
.LBB30_471:
	s_andn2_b64 vcc, exec, s[26:27]
	s_cbranch_vccnz .LBB30_484
; %bb.472:
	s_cmp_gt_i32 s29, 14
	s_cbranch_scc0 .LBB30_475
; %bb.473:
	s_cmp_eq_u32 s29, 15
	s_cbranch_scc0 .LBB30_478
; %bb.474:
	global_load_ushort v0, v[2:3], off
	s_mov_b64 s[0:1], -1
	s_mov_b64 s[24:25], 0
	s_waitcnt vmcnt(0)
	v_lshlrev_b32_e32 v0, 16, v0
	v_cvt_i32_f32_e32 v0, v0
	s_branch .LBB30_479
.LBB30_475:
	s_mov_b64 s[26:27], -1
                                        ; implicit-def: $vgpr0
	s_branch .LBB30_480
.LBB30_476:
	s_andn2_saveexec_b64 s[0:1], s[0:1]
	s_cbranch_execz .LBB30_457
.LBB30_477:
	v_cmp_ne_u16_e32 vcc, 0, v1
	s_andn2_b64 s[26:27], s[26:27], exec
	s_and_b64 s[34:35], vcc, exec
	s_or_b64 s[26:27], s[26:27], s[34:35]
	s_or_b64 exec, exec, s[0:1]
	v_mov_b32_e32 v0, 0
	s_and_saveexec_b64 s[0:1], s[26:27]
	s_cbranch_execnz .LBB30_458
	s_branch .LBB30_459
.LBB30_478:
	s_mov_b64 s[24:25], -1
                                        ; implicit-def: $vgpr0
.LBB30_479:
	s_mov_b64 s[26:27], 0
.LBB30_480:
	s_and_b64 vcc, exec, s[26:27]
	s_cbranch_vccz .LBB30_484
; %bb.481:
	s_cmp_eq_u32 s29, 11
	s_cbranch_scc0 .LBB30_483
; %bb.482:
	global_load_ubyte v0, v[2:3], off
	s_mov_b64 s[0:1], -1
	s_mov_b64 s[24:25], 0
	s_waitcnt vmcnt(0)
	v_cmp_ne_u16_e32 vcc, 0, v0
	v_cndmask_b32_e64 v0, 0, 1, vcc
	s_branch .LBB30_484
.LBB30_483:
	s_mov_b64 s[24:25], -1
                                        ; implicit-def: $vgpr0
.LBB30_484:
	s_branch .LBB30_404
.LBB30_485:
	s_and_b32 s26, 0xffff, s28
	s_cmp_lt_i32 s26, 5
	s_cbranch_scc1 .LBB30_490
; %bb.486:
	s_cmp_lt_i32 s26, 8
	s_cbranch_scc1 .LBB30_491
; %bb.487:
	;; [unrolled: 3-line block ×3, first 2 shown]
	s_cmp_gt_i32 s26, 9
	s_cbranch_scc0 .LBB30_493
; %bb.489:
	global_load_dwordx2 v[0:1], v[2:3], off
	s_mov_b64 s[0:1], 0
	s_waitcnt vmcnt(0)
	v_cvt_i32_f64_e32 v0, v[0:1]
	s_branch .LBB30_494
.LBB30_490:
	s_mov_b64 s[0:1], -1
                                        ; implicit-def: $vgpr0
	s_branch .LBB30_512
.LBB30_491:
	s_mov_b64 s[0:1], -1
                                        ; implicit-def: $vgpr0
	s_branch .LBB30_500
.LBB30_492:
	s_mov_b64 s[0:1], -1
                                        ; implicit-def: $vgpr0
	s_branch .LBB30_497
.LBB30_493:
	s_mov_b64 s[0:1], -1
                                        ; implicit-def: $vgpr0
.LBB30_494:
	s_andn2_b64 vcc, exec, s[0:1]
	s_cbranch_vccnz .LBB30_496
; %bb.495:
	global_load_dword v0, v[2:3], off
	s_waitcnt vmcnt(0)
	v_cvt_i32_f32_e32 v0, v0
.LBB30_496:
	s_mov_b64 s[0:1], 0
.LBB30_497:
	s_andn2_b64 vcc, exec, s[0:1]
	s_cbranch_vccnz .LBB30_499
; %bb.498:
	global_load_dword v0, v[2:3], off
	s_waitcnt vmcnt(0)
	v_cvt_i16_f16_e32 v0, v0
.LBB30_499:
	s_mov_b64 s[0:1], 0
.LBB30_500:
	s_andn2_b64 vcc, exec, s[0:1]
	s_cbranch_vccnz .LBB30_511
; %bb.501:
	s_cmp_lt_i32 s26, 6
	s_cbranch_scc1 .LBB30_504
; %bb.502:
	s_cmp_gt_i32 s26, 6
	s_cbranch_scc0 .LBB30_505
; %bb.503:
	global_load_dwordx2 v[0:1], v[2:3], off
	s_mov_b64 s[0:1], 0
	s_waitcnt vmcnt(0)
	v_cvt_i32_f64_e32 v0, v[0:1]
	s_branch .LBB30_506
.LBB30_504:
	s_mov_b64 s[0:1], -1
                                        ; implicit-def: $vgpr0
	s_branch .LBB30_509
.LBB30_505:
	s_mov_b64 s[0:1], -1
                                        ; implicit-def: $vgpr0
.LBB30_506:
	s_andn2_b64 vcc, exec, s[0:1]
	s_cbranch_vccnz .LBB30_508
; %bb.507:
	global_load_dword v0, v[2:3], off
	s_waitcnt vmcnt(0)
	v_cvt_i32_f32_e32 v0, v0
.LBB30_508:
	s_mov_b64 s[0:1], 0
.LBB30_509:
	s_andn2_b64 vcc, exec, s[0:1]
	s_cbranch_vccnz .LBB30_511
; %bb.510:
	global_load_ushort v0, v[2:3], off
	s_waitcnt vmcnt(0)
	v_cvt_i16_f16_e32 v0, v0
.LBB30_511:
	s_mov_b64 s[0:1], 0
.LBB30_512:
	s_andn2_b64 vcc, exec, s[0:1]
	s_cbranch_vccnz .LBB30_532
; %bb.513:
	s_cmp_lt_i32 s26, 2
	s_cbranch_scc1 .LBB30_517
; %bb.514:
	s_cmp_lt_i32 s26, 3
	s_cbranch_scc1 .LBB30_518
; %bb.515:
	s_cmp_gt_i32 s26, 3
	s_cbranch_scc0 .LBB30_519
; %bb.516:
	global_load_dwordx2 v[0:1], v[2:3], off
	s_mov_b64 s[0:1], 0
	s_branch .LBB30_520
.LBB30_517:
	s_mov_b64 s[0:1], -1
                                        ; implicit-def: $vgpr0
	s_branch .LBB30_526
.LBB30_518:
	s_mov_b64 s[0:1], -1
                                        ; implicit-def: $vgpr0
	s_branch .LBB30_523
.LBB30_519:
	s_mov_b64 s[0:1], -1
                                        ; implicit-def: $vgpr0
.LBB30_520:
	s_andn2_b64 vcc, exec, s[0:1]
	s_cbranch_vccnz .LBB30_522
; %bb.521:
	global_load_dword v0, v[2:3], off
.LBB30_522:
	s_mov_b64 s[0:1], 0
.LBB30_523:
	s_andn2_b64 vcc, exec, s[0:1]
	s_cbranch_vccnz .LBB30_525
; %bb.524:
	global_load_ushort v0, v[2:3], off
.LBB30_525:
	s_mov_b64 s[0:1], 0
.LBB30_526:
	s_andn2_b64 vcc, exec, s[0:1]
	s_cbranch_vccnz .LBB30_532
; %bb.527:
	s_cmp_gt_i32 s26, 0
	s_cbranch_scc0 .LBB30_529
; %bb.528:
	global_load_ubyte v0, v[2:3], off
	s_mov_b64 s[0:1], 0
	s_branch .LBB30_530
.LBB30_529:
	s_mov_b64 s[0:1], -1
                                        ; implicit-def: $vgpr0
.LBB30_530:
	s_andn2_b64 vcc, exec, s[0:1]
	s_cbranch_vccnz .LBB30_532
; %bb.531:
	global_load_ubyte v0, v[2:3], off
.LBB30_532:
	s_branch .LBB30_405
.LBB30_533:
	s_mov_b64 s[34:35], 0
	s_mov_b64 s[0:1], s[16:17]
	;; [unrolled: 1-line block ×3, first 2 shown]
.LBB30_534:
                                        ; implicit-def: $vgpr5
	s_branch .LBB30_789
.LBB30_535:
	s_andn2_saveexec_b64 s[30:31], s[30:31]
	s_cbranch_execz .LBB30_205
.LBB30_536:
	v_add_f32_e32 v2, 0x42800000, v3
	v_and_b32_e32 v2, 0xff, v2
	v_cmp_ne_u32_e32 vcc, 0, v2
	s_andn2_b64 s[28:29], s[28:29], exec
	s_and_b64 s[36:37], vcc, exec
	s_or_b64 s[28:29], s[28:29], s[36:37]
	s_or_b64 exec, exec, s[30:31]
	v_mov_b32_e32 v4, 0
	s_and_saveexec_b64 s[30:31], s[28:29]
	s_cbranch_execnz .LBB30_206
	s_branch .LBB30_207
.LBB30_537:
	s_mov_b64 s[26:27], -1
                                        ; implicit-def: $vgpr3
	s_mov_b64 s[0:1], 0
.LBB30_538:
	s_and_b64 vcc, exec, s[28:29]
	s_cbranch_vccz .LBB30_542
; %bb.539:
	s_cmp_eq_u32 s35, 44
	s_cbranch_scc0 .LBB30_541
; %bb.540:
	global_load_ubyte v3, v[1:2], off
	s_mov_b64 s[0:1], -1
	s_mov_b64 s[26:27], 0
	s_waitcnt vmcnt(0)
	v_lshlrev_b32_e32 v4, 23, v3
	v_cvt_i32_f32_e32 v4, v4
	v_cmp_ne_u32_e32 vcc, 0, v3
	v_cndmask_b32_e32 v3, 0, v4, vcc
	s_branch .LBB30_542
.LBB30_541:
	s_mov_b64 s[26:27], -1
                                        ; implicit-def: $vgpr3
.LBB30_542:
	s_mov_b64 s[28:29], 0
.LBB30_543:
	s_and_b64 vcc, exec, s[28:29]
	s_cbranch_vccz .LBB30_547
; %bb.544:
	s_cmp_eq_u32 s35, 29
	s_cbranch_scc0 .LBB30_546
; %bb.545:
	global_load_dwordx2 v[3:4], v[1:2], off
	s_mov_b64 s[0:1], -1
	s_mov_b64 s[26:27], 0
	s_branch .LBB30_547
.LBB30_546:
	s_mov_b64 s[26:27], -1
                                        ; implicit-def: $vgpr3
.LBB30_547:
	s_mov_b64 s[28:29], 0
.LBB30_548:
	s_and_b64 vcc, exec, s[28:29]
	s_cbranch_vccz .LBB30_564
; %bb.549:
	s_cmp_lt_i32 s35, 27
	s_cbranch_scc1 .LBB30_552
; %bb.550:
	s_cmp_gt_i32 s35, 27
	s_cbranch_scc0 .LBB30_553
; %bb.551:
	global_load_dword v3, v[1:2], off
	s_mov_b64 s[0:1], 0
	s_branch .LBB30_554
.LBB30_552:
	s_mov_b64 s[0:1], -1
                                        ; implicit-def: $vgpr3
	s_branch .LBB30_557
.LBB30_553:
	s_mov_b64 s[0:1], -1
                                        ; implicit-def: $vgpr3
.LBB30_554:
	s_andn2_b64 vcc, exec, s[0:1]
	s_cbranch_vccnz .LBB30_556
; %bb.555:
	global_load_ushort v3, v[1:2], off
.LBB30_556:
	s_mov_b64 s[0:1], 0
.LBB30_557:
	s_andn2_b64 vcc, exec, s[0:1]
	s_cbranch_vccnz .LBB30_563
; %bb.558:
	global_load_ubyte v4, v[1:2], off
	s_movk_i32 s0, 0x7f
	s_mov_b64 s[28:29], 0
	s_waitcnt vmcnt(0)
	v_cmp_lt_i16_e32 vcc, s0, v4
	s_and_saveexec_b64 s[0:1], vcc
	s_xor_b64 s[0:1], exec, s[0:1]
	s_cbranch_execz .LBB30_575
; %bb.559:
	s_movk_i32 s28, 0x80
	v_cmp_ne_u16_e32 vcc, s28, v4
	s_and_b64 s[28:29], vcc, exec
	s_andn2_saveexec_b64 s[0:1], s[0:1]
	s_cbranch_execnz .LBB30_576
.LBB30_560:
	s_or_b64 exec, exec, s[0:1]
	v_mov_b32_e32 v3, 0
	s_and_saveexec_b64 s[0:1], s[28:29]
	s_cbranch_execz .LBB30_562
.LBB30_561:
	v_lshlrev_b32_e32 v3, 24, v4
	v_and_b32_e32 v4, 0xffff, v4
	v_and_b32_e32 v6, 7, v4
	v_ffbh_u32_e32 v8, v6
	v_min_u32_e32 v8, 32, v8
	v_subrev_u32_e32 v9, 28, v8
	v_bfe_u32 v7, v4, 3, 4
	v_lshlrev_b32_e32 v4, v9, v4
	v_sub_u32_e32 v8, 29, v8
	v_and_b32_e32 v4, 7, v4
	v_cmp_eq_u32_e32 vcc, 0, v7
	v_cndmask_b32_e32 v7, v7, v8, vcc
	v_cndmask_b32_e32 v4, v6, v4, vcc
	v_mov_b32_e32 v6, 0x3b800000
	v_lshlrev_b32_e32 v4, 20, v4
	v_and_b32_e32 v3, 0x80000000, v3
	v_lshl_add_u32 v6, v7, 23, v6
	v_or3_b32 v3, v3, v6, v4
	v_cvt_i32_f32_e32 v3, v3
.LBB30_562:
	s_or_b64 exec, exec, s[0:1]
.LBB30_563:
	s_mov_b64 s[0:1], -1
.LBB30_564:
	s_mov_b64 s[28:29], 0
.LBB30_565:
	s_and_b64 vcc, exec, s[28:29]
	s_cbranch_vccz .LBB30_598
; %bb.566:
	s_cmp_gt_i32 s35, 22
	s_cbranch_scc0 .LBB30_574
; %bb.567:
	s_cmp_lt_i32 s35, 24
	s_cbranch_scc1 .LBB30_577
; %bb.568:
	s_cmp_gt_i32 s35, 24
	s_cbranch_scc0 .LBB30_578
; %bb.569:
	global_load_ubyte v4, v[1:2], off
	s_movk_i32 s0, 0x7f
	s_mov_b64 s[28:29], 0
	s_waitcnt vmcnt(0)
	v_cmp_lt_i16_e32 vcc, s0, v4
	s_and_saveexec_b64 s[0:1], vcc
	s_xor_b64 s[0:1], exec, s[0:1]
	s_cbranch_execz .LBB30_590
; %bb.570:
	s_movk_i32 s28, 0x80
	v_cmp_ne_u16_e32 vcc, s28, v4
	s_and_b64 s[28:29], vcc, exec
	s_andn2_saveexec_b64 s[0:1], s[0:1]
	s_cbranch_execnz .LBB30_591
.LBB30_571:
	s_or_b64 exec, exec, s[0:1]
	v_mov_b32_e32 v3, 0
	s_and_saveexec_b64 s[0:1], s[28:29]
	s_cbranch_execz .LBB30_573
.LBB30_572:
	v_lshlrev_b32_e32 v3, 24, v4
	v_and_b32_e32 v4, 0xffff, v4
	v_and_b32_e32 v6, 3, v4
	v_ffbh_u32_e32 v8, v6
	v_min_u32_e32 v8, 32, v8
	v_subrev_u32_e32 v9, 29, v8
	v_bfe_u32 v7, v4, 2, 5
	v_lshlrev_b32_e32 v4, v9, v4
	v_sub_u32_e32 v8, 30, v8
	v_and_b32_e32 v4, 3, v4
	v_cmp_eq_u32_e32 vcc, 0, v7
	v_cndmask_b32_e32 v7, v7, v8, vcc
	v_cndmask_b32_e32 v4, v6, v4, vcc
	v_mov_b32_e32 v6, 0x37800000
	v_lshlrev_b32_e32 v4, 21, v4
	v_and_b32_e32 v3, 0x80000000, v3
	v_lshl_add_u32 v6, v7, 23, v6
	v_or3_b32 v3, v3, v6, v4
	v_cvt_i32_f32_e32 v3, v3
.LBB30_573:
	s_or_b64 exec, exec, s[0:1]
	s_mov_b64 s[0:1], 0
	s_branch .LBB30_579
.LBB30_574:
	s_mov_b64 s[28:29], -1
                                        ; implicit-def: $vgpr3
	s_branch .LBB30_585
.LBB30_575:
	s_andn2_saveexec_b64 s[0:1], s[0:1]
	s_cbranch_execz .LBB30_560
.LBB30_576:
	v_cmp_ne_u16_e32 vcc, 0, v4
	s_andn2_b64 s[28:29], s[28:29], exec
	s_and_b64 s[36:37], vcc, exec
	s_or_b64 s[28:29], s[28:29], s[36:37]
	s_or_b64 exec, exec, s[0:1]
	v_mov_b32_e32 v3, 0
	s_and_saveexec_b64 s[0:1], s[28:29]
	s_cbranch_execnz .LBB30_561
	s_branch .LBB30_562
.LBB30_577:
	s_mov_b64 s[0:1], -1
                                        ; implicit-def: $vgpr3
	s_branch .LBB30_582
.LBB30_578:
	s_mov_b64 s[0:1], -1
                                        ; implicit-def: $vgpr3
.LBB30_579:
	s_and_b64 vcc, exec, s[0:1]
	s_cbranch_vccz .LBB30_581
; %bb.580:
	global_load_ubyte v3, v[1:2], off
	s_mov_b32 s0, 0x7f800000
	s_waitcnt vmcnt(0)
	v_lshlrev_b32_e32 v3, 24, v3
	v_and_b32_e32 v4, 0x7f000000, v3
	v_ffbh_u32_e32 v6, v4
	v_min_u32_e32 v6, 32, v6
	v_sub_u32_e64 v6, v6, 4 clamp
	v_lshlrev_b32_e32 v8, v6, v4
	v_lshlrev_b32_e32 v6, 23, v6
	v_lshrrev_b32_e32 v8, 4, v8
	v_add_u32_e32 v7, 0x1000000, v4
	v_sub_u32_e32 v6, v8, v6
	v_ashrrev_i32_e32 v7, 8, v7
	v_add_u32_e32 v6, 0x3c000000, v6
	v_and_or_b32 v6, v7, s0, v6
	v_cmp_ne_u32_e32 vcc, 0, v4
	v_cndmask_b32_e32 v4, 0, v6, vcc
	s_brev_b32 s0, 1
	v_and_or_b32 v3, v3, s0, v4
	v_cvt_i32_f32_e32 v3, v3
.LBB30_581:
	s_mov_b64 s[0:1], 0
.LBB30_582:
	s_andn2_b64 vcc, exec, s[0:1]
	s_cbranch_vccnz .LBB30_584
; %bb.583:
	global_load_ubyte v3, v[1:2], off
	s_movk_i32 s0, 0x7f00
	s_brev_b32 s1, 16
	s_waitcnt vmcnt(0)
	v_lshlrev_b16_e32 v4, 8, v3
	v_lshlrev_b32_e32 v3, 25, v3
	v_lshrrev_b32_e32 v6, 4, v3
	v_and_or_b32 v7, v4, s0, 0.5
	v_or_b32_e32 v6, 0x70000000, v6
	v_add_f32_e32 v7, -0.5, v7
	v_mul_f32_e32 v6, 0x7800000, v6
	v_cmp_gt_u32_e32 vcc, s1, v3
	v_bfe_i32 v4, v4, 0, 16
	v_cndmask_b32_e32 v3, v6, v7, vcc
	s_brev_b32 s0, 1
	v_and_or_b32 v3, v4, s0, v3
	v_cvt_i32_f32_e32 v3, v3
.LBB30_584:
	s_mov_b64 s[28:29], 0
	s_mov_b64 s[0:1], -1
.LBB30_585:
	s_andn2_b64 vcc, exec, s[28:29]
	s_cbranch_vccnz .LBB30_598
; %bb.586:
	s_cmp_gt_i32 s35, 14
	s_cbranch_scc0 .LBB30_589
; %bb.587:
	s_cmp_eq_u32 s35, 15
	s_cbranch_scc0 .LBB30_592
; %bb.588:
	global_load_ushort v3, v[1:2], off
	s_mov_b64 s[0:1], -1
	s_mov_b64 s[26:27], 0
	s_waitcnt vmcnt(0)
	v_lshlrev_b32_e32 v3, 16, v3
	v_cvt_i32_f32_e32 v3, v3
	s_branch .LBB30_593
.LBB30_589:
	s_mov_b64 s[28:29], -1
                                        ; implicit-def: $vgpr3
	s_branch .LBB30_594
.LBB30_590:
	s_andn2_saveexec_b64 s[0:1], s[0:1]
	s_cbranch_execz .LBB30_571
.LBB30_591:
	v_cmp_ne_u16_e32 vcc, 0, v4
	s_andn2_b64 s[28:29], s[28:29], exec
	s_and_b64 s[36:37], vcc, exec
	s_or_b64 s[28:29], s[28:29], s[36:37]
	s_or_b64 exec, exec, s[0:1]
	v_mov_b32_e32 v3, 0
	s_and_saveexec_b64 s[0:1], s[28:29]
	s_cbranch_execnz .LBB30_572
	s_branch .LBB30_573
.LBB30_592:
	s_mov_b64 s[26:27], -1
                                        ; implicit-def: $vgpr3
.LBB30_593:
	s_mov_b64 s[28:29], 0
.LBB30_594:
	s_and_b64 vcc, exec, s[28:29]
	s_cbranch_vccz .LBB30_598
; %bb.595:
	s_cmp_eq_u32 s35, 11
	s_cbranch_scc0 .LBB30_597
; %bb.596:
	global_load_ubyte v3, v[1:2], off
	s_mov_b64 s[0:1], -1
	s_mov_b64 s[26:27], 0
	s_waitcnt vmcnt(0)
	v_cmp_ne_u16_e32 vcc, 0, v3
	v_cndmask_b32_e64 v3, 0, 1, vcc
	s_branch .LBB30_598
.LBB30_597:
	s_mov_b64 s[26:27], -1
                                        ; implicit-def: $vgpr3
.LBB30_598:
	s_mov_b64 s[28:29], 0
.LBB30_599:
	s_and_b64 vcc, exec, s[28:29]
	s_cbranch_vccz .LBB30_648
; %bb.600:
	s_and_b32 s28, 0xffff, s34
	s_cmp_lt_i32 s28, 5
	s_cbranch_scc1 .LBB30_605
; %bb.601:
	s_cmp_lt_i32 s28, 8
	s_cbranch_scc1 .LBB30_606
; %bb.602:
	;; [unrolled: 3-line block ×3, first 2 shown]
	s_cmp_gt_i32 s28, 9
	s_cbranch_scc0 .LBB30_608
; %bb.604:
	global_load_dwordx2 v[3:4], v[1:2], off
	s_mov_b64 s[0:1], 0
	s_waitcnt vmcnt(0)
	v_cvt_i32_f64_e32 v3, v[3:4]
	s_branch .LBB30_609
.LBB30_605:
	s_mov_b64 s[0:1], -1
                                        ; implicit-def: $vgpr3
	s_branch .LBB30_627
.LBB30_606:
	s_mov_b64 s[0:1], -1
                                        ; implicit-def: $vgpr3
	s_branch .LBB30_615
.LBB30_607:
	s_mov_b64 s[0:1], -1
                                        ; implicit-def: $vgpr3
	s_branch .LBB30_612
.LBB30_608:
	s_mov_b64 s[0:1], -1
                                        ; implicit-def: $vgpr3
.LBB30_609:
	s_andn2_b64 vcc, exec, s[0:1]
	s_cbranch_vccnz .LBB30_611
; %bb.610:
	global_load_dword v3, v[1:2], off
	s_waitcnt vmcnt(0)
	v_cvt_i32_f32_e32 v3, v3
.LBB30_611:
	s_mov_b64 s[0:1], 0
.LBB30_612:
	s_andn2_b64 vcc, exec, s[0:1]
	s_cbranch_vccnz .LBB30_614
; %bb.613:
	global_load_dword v3, v[1:2], off
	s_waitcnt vmcnt(0)
	v_cvt_i16_f16_e32 v3, v3
.LBB30_614:
	s_mov_b64 s[0:1], 0
.LBB30_615:
	s_andn2_b64 vcc, exec, s[0:1]
	s_cbranch_vccnz .LBB30_626
; %bb.616:
	s_cmp_lt_i32 s28, 6
	s_cbranch_scc1 .LBB30_619
; %bb.617:
	s_cmp_gt_i32 s28, 6
	s_cbranch_scc0 .LBB30_620
; %bb.618:
	global_load_dwordx2 v[3:4], v[1:2], off
	s_mov_b64 s[0:1], 0
	s_waitcnt vmcnt(0)
	v_cvt_i32_f64_e32 v3, v[3:4]
	s_branch .LBB30_621
.LBB30_619:
	s_mov_b64 s[0:1], -1
                                        ; implicit-def: $vgpr3
	s_branch .LBB30_624
.LBB30_620:
	s_mov_b64 s[0:1], -1
                                        ; implicit-def: $vgpr3
.LBB30_621:
	s_andn2_b64 vcc, exec, s[0:1]
	s_cbranch_vccnz .LBB30_623
; %bb.622:
	global_load_dword v3, v[1:2], off
	s_waitcnt vmcnt(0)
	v_cvt_i32_f32_e32 v3, v3
.LBB30_623:
	s_mov_b64 s[0:1], 0
.LBB30_624:
	s_andn2_b64 vcc, exec, s[0:1]
	s_cbranch_vccnz .LBB30_626
; %bb.625:
	global_load_ushort v3, v[1:2], off
	s_waitcnt vmcnt(0)
	v_cvt_i16_f16_e32 v3, v3
.LBB30_626:
	s_mov_b64 s[0:1], 0
.LBB30_627:
	s_andn2_b64 vcc, exec, s[0:1]
	s_cbranch_vccnz .LBB30_647
; %bb.628:
	s_cmp_lt_i32 s28, 2
	s_cbranch_scc1 .LBB30_632
; %bb.629:
	s_cmp_lt_i32 s28, 3
	s_cbranch_scc1 .LBB30_633
; %bb.630:
	s_cmp_gt_i32 s28, 3
	s_cbranch_scc0 .LBB30_634
; %bb.631:
	global_load_dwordx2 v[3:4], v[1:2], off
	s_mov_b64 s[0:1], 0
	s_branch .LBB30_635
.LBB30_632:
	s_mov_b64 s[0:1], -1
                                        ; implicit-def: $vgpr3
	s_branch .LBB30_641
.LBB30_633:
	s_mov_b64 s[0:1], -1
                                        ; implicit-def: $vgpr3
	s_branch .LBB30_638
.LBB30_634:
	s_mov_b64 s[0:1], -1
                                        ; implicit-def: $vgpr3
.LBB30_635:
	s_andn2_b64 vcc, exec, s[0:1]
	s_cbranch_vccnz .LBB30_637
; %bb.636:
	global_load_dword v3, v[1:2], off
.LBB30_637:
	s_mov_b64 s[0:1], 0
.LBB30_638:
	s_andn2_b64 vcc, exec, s[0:1]
	s_cbranch_vccnz .LBB30_640
; %bb.639:
	global_load_ushort v3, v[1:2], off
.LBB30_640:
	s_mov_b64 s[0:1], 0
.LBB30_641:
	s_andn2_b64 vcc, exec, s[0:1]
	s_cbranch_vccnz .LBB30_647
; %bb.642:
	s_cmp_gt_i32 s28, 0
	s_cbranch_scc0 .LBB30_644
; %bb.643:
	global_load_ubyte v3, v[1:2], off
	s_mov_b64 s[0:1], 0
	s_branch .LBB30_645
.LBB30_644:
	s_mov_b64 s[0:1], -1
                                        ; implicit-def: $vgpr3
.LBB30_645:
	s_andn2_b64 vcc, exec, s[0:1]
	s_cbranch_vccnz .LBB30_647
; %bb.646:
	global_load_ubyte v3, v[1:2], off
.LBB30_647:
	s_mov_b64 s[0:1], -1
.LBB30_648:
	s_andn2_b64 vcc, exec, s[0:1]
	s_cbranch_vccnz .LBB30_653
; %bb.649:
	s_cmp_lt_i32 s15, 1
	s_mov_b64 s[0:1], 0
	s_cbranch_scc1 .LBB30_654
; %bb.650:
	s_cmp_gt_i32 s15, 1
	s_cbranch_scc0 .LBB30_655
; %bb.651:
	s_cmp_eq_u32 s15, 2
	s_cbranch_scc0 .LBB30_656
; %bb.652:
	s_waitcnt vmcnt(0)
	v_cmp_le_i16_sdwa s[28:29], sext(v0), sext(v3) src0_sel:BYTE_0 src1_sel:BYTE_0
	s_mov_b64 s[34:35], 0
	s_branch .LBB30_657
.LBB30_653:
	s_mov_b64 s[34:35], 0
                                        ; implicit-def: $vgpr5
	s_mov_b64 s[0:1], s[16:17]
	s_branch .LBB30_789
.LBB30_654:
	s_mov_b64 s[36:37], -1
                                        ; implicit-def: $sgpr28_sgpr29
	s_mov_b64 s[34:35], 0
	s_branch .LBB30_661
.LBB30_655:
	s_mov_b64 s[36:37], -1
	s_mov_b64 s[34:35], 0
                                        ; implicit-def: $sgpr28_sgpr29
	s_branch .LBB30_658
.LBB30_656:
	s_mov_b64 s[34:35], -1
                                        ; implicit-def: $sgpr28_sgpr29
.LBB30_657:
	s_mov_b64 s[36:37], 0
.LBB30_658:
	s_and_b64 vcc, exec, s[36:37]
	s_cbranch_vccz .LBB30_660
; %bb.659:
	s_waitcnt vmcnt(0)
	v_cmp_gt_i16_sdwa s[36:37], sext(v0), sext(v3) src0_sel:BYTE_0 src1_sel:BYTE_0
	s_andn2_b64 s[28:29], s[28:29], exec
	s_and_b64 s[36:37], s[36:37], exec
	s_or_b64 s[28:29], s[28:29], s[36:37]
.LBB30_660:
	s_mov_b64 s[36:37], 0
.LBB30_661:
	s_and_b64 vcc, exec, s[36:37]
	s_cbranch_vccz .LBB30_672
; %bb.662:
	s_cmp_lg_u32 s15, 0
	s_mov_b64 s[0:1], -1
	s_cselect_b64 s[34:35], -1, 0
	s_andn2_b64 vcc, exec, s[34:35]
	s_cbranch_vccz .LBB30_673
.LBB30_663:
	s_andn2_b64 vcc, exec, s[0:1]
	s_cbranch_vccnz .LBB30_665
.LBB30_664:
	s_waitcnt vmcnt(0)
	v_cmp_ge_i16_sdwa s[0:1], sext(v0), sext(v3) src0_sel:BYTE_0 src1_sel:BYTE_0
	s_andn2_b64 s[28:29], s[28:29], exec
	s_and_b64 s[0:1], s[0:1], exec
	s_or_b64 s[28:29], s[28:29], s[0:1]
.LBB30_665:
	v_mul_lo_u32 v0, v5, s12
	v_mov_b32_e32 v1, s9
	s_and_b32 s40, s33, 0xff
	s_cmp_lt_i32 s40, 11
	v_ashrrev_i32_e32 v2, 31, v0
	v_add_co_u32_e32 v0, vcc, s8, v0
	v_addc_co_u32_e32 v1, vcc, v1, v2, vcc
	s_cbranch_scc1 .LBB30_674
; %bb.666:
	s_and_b32 s41, 0xffff, s40
	s_cmp_gt_i32 s41, 25
	s_cbranch_scc0 .LBB30_675
; %bb.667:
	s_cmp_gt_i32 s41, 28
	s_cbranch_scc0 .LBB30_676
; %bb.668:
	;; [unrolled: 3-line block ×4, first 2 shown]
	s_mov_b64 s[36:37], 0
	s_mov_b64 s[0:1], -1
	s_cmp_eq_u32 s41, 46
	s_mov_b64 s[34:35], 0
	s_cbranch_scc0 .LBB30_679
; %bb.671:
	v_cndmask_b32_e64 v2, 0, 1.0, s[28:29]
	s_waitcnt vmcnt(0)
	v_bfe_u32 v3, v2, 16, 1
	s_movk_i32 s0, 0x7fff
	v_add3_u32 v2, v2, v3, s0
	v_lshrrev_b32_e32 v2, 16, v2
	global_store_dword v[0:1], v2, off
	s_mov_b64 s[34:35], -1
	s_mov_b64 s[0:1], 0
	s_branch .LBB30_679
.LBB30_672:
	s_andn2_b64 vcc, exec, s[34:35]
	s_cbranch_vccnz .LBB30_663
.LBB30_673:
	s_waitcnt vmcnt(0)
	v_cmp_lt_i16_sdwa s[34:35], sext(v0), sext(v3) src0_sel:BYTE_0 src1_sel:BYTE_0
	s_andn2_b64 s[28:29], s[28:29], exec
	s_and_b64 s[34:35], s[34:35], exec
	s_or_b64 s[28:29], s[28:29], s[34:35]
	s_cbranch_execz .LBB30_664
	s_branch .LBB30_665
.LBB30_674:
	s_mov_b64 s[36:37], -1
	s_mov_b64 s[34:35], 0
	s_mov_b64 s[0:1], s[16:17]
	s_branch .LBB30_748
.LBB30_675:
	s_mov_b64 s[36:37], -1
	s_mov_b64 s[34:35], 0
	s_mov_b64 s[0:1], s[16:17]
	s_branch .LBB30_706
.LBB30_676:
	s_mov_b64 s[36:37], -1
	s_mov_b64 s[34:35], 0
	s_mov_b64 s[0:1], s[16:17]
	s_branch .LBB30_689
.LBB30_677:
	s_mov_b64 s[36:37], -1
	s_mov_b64 s[34:35], 0
	s_mov_b64 s[0:1], s[16:17]
	s_branch .LBB30_685
.LBB30_678:
	s_mov_b64 s[36:37], -1
	s_mov_b64 s[34:35], 0
	s_mov_b64 s[0:1], s[16:17]
.LBB30_679:
	s_and_b64 vcc, exec, s[36:37]
	s_cbranch_vccz .LBB30_684
; %bb.680:
	s_cmp_eq_u32 s41, 44
	s_mov_b64 s[0:1], -1
	s_cbranch_scc0 .LBB30_684
; %bb.681:
	s_waitcnt vmcnt(0)
	v_cndmask_b32_e64 v3, 0, 1.0, s[28:29]
	v_lshrrev_b32_e32 v2, 23, v3
	s_movk_i32 s0, 0xff
	v_cmp_ne_u32_e32 vcc, s0, v2
	v_mov_b32_e32 v4, 0xff
	s_and_saveexec_b64 s[34:35], vcc
; %bb.682:
	s_mov_b32 s0, 0x3fffff
	v_and_b32_e32 v4, 0x400000, v3
	v_and_or_b32 v3, v3, s0, v2
	v_cmp_ne_u32_e32 vcc, 0, v4
	v_cmp_ne_u32_e64 s[0:1], 0, v3
	s_and_b64 s[0:1], vcc, s[0:1]
	v_cndmask_b32_e64 v3, 0, 1, s[0:1]
	v_add_u32_e32 v4, v2, v3
; %bb.683:
	s_or_b64 exec, exec, s[34:35]
	s_mov_b64 s[34:35], -1
	s_mov_b64 s[0:1], 0
	global_store_byte v[0:1], v4, off
.LBB30_684:
	s_mov_b64 s[36:37], 0
.LBB30_685:
	s_and_b64 vcc, exec, s[36:37]
	s_cbranch_vccz .LBB30_688
; %bb.686:
	s_cmp_eq_u32 s41, 29
	s_mov_b64 s[0:1], -1
	s_cbranch_scc0 .LBB30_688
; %bb.687:
	s_mov_b32 s0, 0
	v_cndmask_b32_e64 v2, 0, 1, s[28:29]
	s_waitcnt vmcnt(0)
	v_mov_b32_e32 v3, s0
	global_store_dwordx2 v[0:1], v[2:3], off
	s_mov_b64 s[34:35], -1
	s_mov_b64 s[0:1], 0
.LBB30_688:
	s_mov_b64 s[36:37], 0
.LBB30_689:
	s_and_b64 vcc, exec, s[36:37]
	s_cbranch_vccz .LBB30_705
; %bb.690:
	s_cmp_lt_i32 s41, 27
	s_mov_b64 s[34:35], -1
	s_cbranch_scc1 .LBB30_696
; %bb.691:
	s_cmp_gt_i32 s41, 27
	s_cbranch_scc0 .LBB30_693
; %bb.692:
	v_cndmask_b32_e64 v2, 0, 1, s[28:29]
	s_mov_b64 s[34:35], 0
	global_store_dword v[0:1], v2, off
.LBB30_693:
	s_andn2_b64 vcc, exec, s[34:35]
	s_cbranch_vccnz .LBB30_695
; %bb.694:
	v_cndmask_b32_e64 v2, 0, 1, s[28:29]
	global_store_short v[0:1], v2, off
.LBB30_695:
	s_mov_b64 s[34:35], 0
.LBB30_696:
	s_andn2_b64 vcc, exec, s[34:35]
	s_cbranch_vccnz .LBB30_704
; %bb.697:
	s_waitcnt vmcnt(0)
	v_cndmask_b32_e64 v3, 0, 1.0, s[28:29]
	s_mov_b32 s34, 0x43800000
	v_cmp_gt_u32_e32 vcc, s34, v3
	v_mov_b32_e32 v4, 0x80
	s_and_saveexec_b64 s[34:35], vcc
	s_cbranch_execz .LBB30_703
; %bb.698:
	s_mov_b32 s36, 0x3bffffff
	v_cmp_lt_u32_e32 vcc, s36, v3
	s_mov_b64 s[36:37], 0
                                        ; implicit-def: $vgpr2
	s_and_saveexec_b64 s[38:39], vcc
	s_xor_b64 s[38:39], exec, s[38:39]
	s_cbranch_execz .LBB30_805
; %bb.699:
	v_bfe_u32 v2, v3, 20, 1
	s_mov_b32 s42, 0x487ffff
	v_add3_u32 v2, v3, v2, s42
	s_mov_b64 s[36:37], exec
	v_lshrrev_b32_e32 v2, 20, v2
                                        ; implicit-def: $vgpr3
	s_andn2_saveexec_b64 s[38:39], s[38:39]
	s_cbranch_execnz .LBB30_806
.LBB30_700:
	s_or_b64 exec, exec, s[38:39]
	v_mov_b32_e32 v4, 0
	s_and_saveexec_b64 s[38:39], s[36:37]
.LBB30_701:
	v_mov_b32_e32 v4, v2
.LBB30_702:
	s_or_b64 exec, exec, s[38:39]
.LBB30_703:
	s_or_b64 exec, exec, s[34:35]
	global_store_byte v[0:1], v4, off
.LBB30_704:
	s_mov_b64 s[34:35], -1
.LBB30_705:
	s_mov_b64 s[36:37], 0
.LBB30_706:
	s_and_b64 vcc, exec, s[36:37]
	s_cbranch_vccz .LBB30_747
; %bb.707:
	s_cmp_gt_i32 s41, 22
	s_mov_b64 s[36:37], -1
	s_cbranch_scc0 .LBB30_739
; %bb.708:
	s_cmp_lt_i32 s41, 24
	s_mov_b64 s[34:35], -1
	s_cbranch_scc1 .LBB30_728
; %bb.709:
	s_cmp_gt_i32 s41, 24
	s_cbranch_scc0 .LBB30_717
; %bb.710:
	s_waitcnt vmcnt(0)
	v_cndmask_b32_e64 v3, 0, 1.0, s[28:29]
	s_mov_b32 s34, 0x47800000
	v_cmp_gt_u32_e32 vcc, s34, v3
	v_mov_b32_e32 v4, 0x80
	s_and_saveexec_b64 s[34:35], vcc
	s_cbranch_execz .LBB30_716
; %bb.711:
	s_mov_b32 s36, 0x37ffffff
	v_cmp_lt_u32_e32 vcc, s36, v3
	s_mov_b64 s[36:37], 0
                                        ; implicit-def: $vgpr2
	s_and_saveexec_b64 s[38:39], vcc
	s_xor_b64 s[38:39], exec, s[38:39]
	s_cbranch_execz .LBB30_933
; %bb.712:
	v_bfe_u32 v2, v3, 21, 1
	s_mov_b32 s42, 0x88fffff
	v_add3_u32 v2, v3, v2, s42
	s_mov_b64 s[36:37], exec
	v_lshrrev_b32_e32 v2, 21, v2
                                        ; implicit-def: $vgpr3
	s_andn2_saveexec_b64 s[38:39], s[38:39]
	s_cbranch_execnz .LBB30_934
.LBB30_713:
	s_or_b64 exec, exec, s[38:39]
	v_mov_b32_e32 v4, 0
	s_and_saveexec_b64 s[38:39], s[36:37]
.LBB30_714:
	v_mov_b32_e32 v4, v2
.LBB30_715:
	s_or_b64 exec, exec, s[38:39]
.LBB30_716:
	s_or_b64 exec, exec, s[34:35]
	s_mov_b64 s[34:35], 0
	global_store_byte v[0:1], v4, off
.LBB30_717:
	s_and_b64 vcc, exec, s[34:35]
	s_cbranch_vccz .LBB30_727
; %bb.718:
	v_cndmask_b32_e64 v2, 0, 1.0, s[28:29]
	s_mov_b32 s34, 0x43f00000
	v_cmp_gt_u32_e32 vcc, s34, v2
                                        ; implicit-def: $vgpr3
	s_and_saveexec_b64 s[34:35], vcc
	s_xor_b64 s[34:35], exec, s[34:35]
	s_cbranch_execz .LBB30_724
; %bb.719:
	s_mov_b32 s36, 0x3c7fffff
	v_cmp_lt_u32_e32 vcc, s36, v2
                                        ; implicit-def: $vgpr3
	s_and_saveexec_b64 s[36:37], vcc
	s_xor_b64 s[36:37], exec, s[36:37]
	s_cbranch_execz .LBB30_721
; %bb.720:
	s_waitcnt vmcnt(0)
	v_bfe_u32 v3, v2, 20, 1
	s_mov_b32 s38, 0x407ffff
	v_add3_u32 v2, v2, v3, s38
	v_lshrrev_b32_e32 v3, 20, v2
	v_and_b32_e32 v2, 0xff00000, v2
	s_mov_b32 s38, 0x7f00000
	v_mov_b32_e32 v4, 0x7e
	v_cmp_ne_u32_e32 vcc, s38, v2
	v_cndmask_b32_e32 v3, v4, v3, vcc
                                        ; implicit-def: $vgpr2
.LBB30_721:
	s_andn2_saveexec_b64 s[36:37], s[36:37]
	s_cbranch_execz .LBB30_723
; %bb.722:
	s_waitcnt vmcnt(0)
	v_add_f32_e32 v3, 0x46800000, v2
.LBB30_723:
	s_or_b64 exec, exec, s[36:37]
                                        ; implicit-def: $vgpr2
.LBB30_724:
	s_andn2_saveexec_b64 s[34:35], s[34:35]
	s_cbranch_execz .LBB30_726
; %bb.725:
	s_mov_b32 s36, 0x7f800000
	s_waitcnt vmcnt(0)
	v_mov_b32_e32 v3, 0x7e
	v_mov_b32_e32 v4, 0x7f
	v_cmp_lt_u32_e32 vcc, s36, v2
	v_cndmask_b32_e32 v3, v3, v4, vcc
.LBB30_726:
	s_or_b64 exec, exec, s[34:35]
	s_waitcnt vmcnt(0)
	global_store_byte v[0:1], v3, off
.LBB30_727:
	s_mov_b64 s[34:35], 0
.LBB30_728:
	s_andn2_b64 vcc, exec, s[34:35]
	s_cbranch_vccnz .LBB30_738
; %bb.729:
	v_cndmask_b32_e64 v2, 0, 1.0, s[28:29]
	s_mov_b32 s34, 0x47800000
	v_cmp_gt_u32_e32 vcc, s34, v2
                                        ; implicit-def: $vgpr3
	s_and_saveexec_b64 s[34:35], vcc
	s_xor_b64 s[34:35], exec, s[34:35]
	s_cbranch_execz .LBB30_735
; %bb.730:
	s_mov_b32 s36, 0x387fffff
	v_cmp_lt_u32_e32 vcc, s36, v2
                                        ; implicit-def: $vgpr3
	s_and_saveexec_b64 s[36:37], vcc
	s_xor_b64 s[36:37], exec, s[36:37]
	s_cbranch_execz .LBB30_732
; %bb.731:
	s_waitcnt vmcnt(0)
	v_bfe_u32 v3, v2, 21, 1
	s_mov_b32 s38, 0x80fffff
	v_add3_u32 v2, v2, v3, s38
	v_lshrrev_b32_e32 v3, 21, v2
                                        ; implicit-def: $vgpr2
.LBB30_732:
	s_andn2_saveexec_b64 s[36:37], s[36:37]
	s_cbranch_execz .LBB30_734
; %bb.733:
	s_waitcnt vmcnt(0)
	v_add_f32_e32 v3, 0x43000000, v2
.LBB30_734:
	s_or_b64 exec, exec, s[36:37]
                                        ; implicit-def: $vgpr2
.LBB30_735:
	s_andn2_saveexec_b64 s[34:35], s[34:35]
	s_cbranch_execz .LBB30_737
; %bb.736:
	s_mov_b32 s36, 0x7f800000
	s_waitcnt vmcnt(0)
	v_mov_b32_e32 v3, 0x7c
	v_mov_b32_e32 v4, 0x7f
	v_cmp_lt_u32_e32 vcc, s36, v2
	v_cndmask_b32_e32 v3, v3, v4, vcc
.LBB30_737:
	s_or_b64 exec, exec, s[34:35]
	s_waitcnt vmcnt(0)
	global_store_byte v[0:1], v3, off
.LBB30_738:
	s_mov_b64 s[36:37], 0
	s_mov_b64 s[34:35], -1
.LBB30_739:
	s_andn2_b64 vcc, exec, s[36:37]
	s_cbranch_vccnz .LBB30_747
; %bb.740:
	s_cmp_gt_i32 s41, 14
	s_mov_b64 s[36:37], -1
	s_cbranch_scc0 .LBB30_744
; %bb.741:
	s_cmp_eq_u32 s41, 15
	s_mov_b64 s[0:1], -1
	s_cbranch_scc0 .LBB30_743
; %bb.742:
	v_cndmask_b32_e64 v2, 0, 1.0, s[28:29]
	s_waitcnt vmcnt(0)
	v_bfe_u32 v3, v2, 16, 1
	s_movk_i32 s0, 0x7fff
	v_add3_u32 v2, v2, v3, s0
	global_store_short_d16_hi v[0:1], v2, off
	s_mov_b64 s[34:35], -1
	s_mov_b64 s[0:1], 0
.LBB30_743:
	s_mov_b64 s[36:37], 0
.LBB30_744:
	s_and_b64 vcc, exec, s[36:37]
	s_cbranch_vccz .LBB30_747
; %bb.745:
	s_cmp_eq_u32 s41, 11
	s_mov_b64 s[0:1], -1
	s_cbranch_scc0 .LBB30_747
; %bb.746:
	v_cndmask_b32_e64 v2, 0, 1, s[28:29]
	s_mov_b64 s[34:35], -1
	s_mov_b64 s[0:1], 0
	global_store_byte v[0:1], v2, off
.LBB30_747:
	s_mov_b64 s[36:37], 0
.LBB30_748:
	s_and_b64 vcc, exec, s[36:37]
	s_cbranch_vccz .LBB30_787
; %bb.749:
	s_and_b32 s36, 0xffff, s40
	s_cmp_lt_i32 s36, 5
	s_mov_b64 s[34:35], -1
	s_cbranch_scc1 .LBB30_770
; %bb.750:
	s_cmp_lt_i32 s36, 8
	s_cbranch_scc1 .LBB30_760
; %bb.751:
	s_cmp_lt_i32 s36, 9
	s_cbranch_scc1 .LBB30_757
; %bb.752:
	s_cmp_gt_i32 s36, 9
	s_cbranch_scc0 .LBB30_754
; %bb.753:
	v_cndmask_b32_e64 v2, 0, 1, s[28:29]
	v_cvt_f64_u32_e32 v[6:7], v2
	v_mov_b32_e32 v8, 0
	v_mov_b32_e32 v9, v8
	s_mov_b64 s[34:35], 0
	global_store_dwordx4 v[0:1], v[6:9], off
.LBB30_754:
	s_andn2_b64 vcc, exec, s[34:35]
	s_cbranch_vccnz .LBB30_756
; %bb.755:
	v_cndmask_b32_e64 v2, 0, 1.0, s[28:29]
	s_waitcnt vmcnt(0)
	v_mov_b32_e32 v3, 0
	global_store_dwordx2 v[0:1], v[2:3], off
.LBB30_756:
	s_mov_b64 s[34:35], 0
.LBB30_757:
	s_andn2_b64 vcc, exec, s[34:35]
	s_cbranch_vccnz .LBB30_759
; %bb.758:
	v_cndmask_b32_e64 v2, 0, 1.0, s[28:29]
	v_cvt_f16_f32_e32 v2, v2
	global_store_dword v[0:1], v2, off
.LBB30_759:
	s_mov_b64 s[34:35], 0
.LBB30_760:
	s_andn2_b64 vcc, exec, s[34:35]
	s_cbranch_vccnz .LBB30_769
; %bb.761:
	s_cmp_lt_i32 s36, 6
	s_mov_b64 s[34:35], -1
	s_cbranch_scc1 .LBB30_767
; %bb.762:
	s_cmp_gt_i32 s36, 6
	s_cbranch_scc0 .LBB30_764
; %bb.763:
	v_cndmask_b32_e64 v2, 0, 1, s[28:29]
	s_waitcnt vmcnt(0)
	v_cvt_f64_u32_e32 v[2:3], v2
	s_mov_b64 s[34:35], 0
	global_store_dwordx2 v[0:1], v[2:3], off
.LBB30_764:
	s_andn2_b64 vcc, exec, s[34:35]
	s_cbranch_vccnz .LBB30_766
; %bb.765:
	v_cndmask_b32_e64 v2, 0, 1.0, s[28:29]
	global_store_dword v[0:1], v2, off
.LBB30_766:
	s_mov_b64 s[34:35], 0
.LBB30_767:
	s_andn2_b64 vcc, exec, s[34:35]
	s_cbranch_vccnz .LBB30_769
; %bb.768:
	v_cndmask_b32_e64 v2, 0, 1.0, s[28:29]
	v_cvt_f16_f32_e32 v2, v2
	global_store_short v[0:1], v2, off
.LBB30_769:
	s_mov_b64 s[34:35], 0
.LBB30_770:
	s_andn2_b64 vcc, exec, s[34:35]
	s_cbranch_vccnz .LBB30_786
; %bb.771:
	s_cmp_lt_i32 s36, 2
	s_mov_b64 s[34:35], -1
	s_cbranch_scc1 .LBB30_781
; %bb.772:
	s_cmp_lt_i32 s36, 3
	s_cbranch_scc1 .LBB30_778
; %bb.773:
	s_cmp_gt_i32 s36, 3
	s_cbranch_scc0 .LBB30_775
; %bb.774:
	s_mov_b32 s34, 0
	v_cndmask_b32_e64 v2, 0, 1, s[28:29]
	s_waitcnt vmcnt(0)
	v_mov_b32_e32 v3, s34
	s_mov_b64 s[34:35], 0
	global_store_dwordx2 v[0:1], v[2:3], off
.LBB30_775:
	s_andn2_b64 vcc, exec, s[34:35]
	s_cbranch_vccnz .LBB30_777
; %bb.776:
	v_cndmask_b32_e64 v2, 0, 1, s[28:29]
	global_store_dword v[0:1], v2, off
.LBB30_777:
	s_mov_b64 s[34:35], 0
.LBB30_778:
	s_andn2_b64 vcc, exec, s[34:35]
	s_cbranch_vccnz .LBB30_780
; %bb.779:
	v_cndmask_b32_e64 v2, 0, 1, s[28:29]
	global_store_short v[0:1], v2, off
.LBB30_780:
	s_mov_b64 s[34:35], 0
.LBB30_781:
	s_andn2_b64 vcc, exec, s[34:35]
	s_cbranch_vccnz .LBB30_786
; %bb.782:
	s_mov_b64 s[34:35], -1
	s_cmp_gt_i32 s36, 0
	v_cndmask_b32_e64 v2, 0, 1, s[28:29]
	s_cbranch_scc0 .LBB30_784
; %bb.783:
	s_mov_b64 s[34:35], 0
	global_store_byte v[0:1], v2, off
.LBB30_784:
	s_andn2_b64 vcc, exec, s[34:35]
	s_cbranch_vccnz .LBB30_786
; %bb.785:
	global_store_byte v[0:1], v2, off
.LBB30_786:
	s_mov_b64 s[34:35], -1
.LBB30_787:
	s_andn2_b64 vcc, exec, s[34:35]
	s_cbranch_vccnz .LBB30_800
; %bb.788:
	v_add_u32_e32 v5, 0x80, v5
	s_mov_b64 s[34:35], -1
.LBB30_789:
	s_andn2_b64 s[28:29], s[16:17], exec
	s_and_b64 s[0:1], s[0:1], exec
	s_or_b64 s[28:29], s[28:29], s[0:1]
	s_andn2_b64 s[0:1], s[18:19], exec
	s_and_b64 s[26:27], s[26:27], exec
	s_or_b64 s[26:27], s[0:1], s[26:27]
	;; [unrolled: 3-line block ×3, first 2 shown]
	s_orn2_b64 s[0:1], s[34:35], exec
.LBB30_790:
	s_or_b64 exec, exec, s[30:31]
	s_mov_b64 s[34:35], 0
	s_mov_b64 s[36:37], 0
	;; [unrolled: 1-line block ×3, first 2 shown]
                                        ; implicit-def: $sgpr56
                                        ; implicit-def: $vgpr2_vgpr3
                                        ; implicit-def: $vgpr0
	s_and_saveexec_b64 s[30:31], s[0:1]
	s_cbranch_execz .LBB30_1269
; %bb.791:
	v_cmp_gt_i32_e32 vcc, s48, v5
	s_mov_b64 s[46:47], -1
	s_mov_b64 s[0:1], s[24:25]
	s_mov_b64 s[38:39], s[26:27]
	;; [unrolled: 1-line block ×3, first 2 shown]
	s_and_saveexec_b64 s[34:35], vcc
	s_cbranch_execz .LBB30_1188
; %bb.792:
	s_waitcnt vmcnt(0)
	v_mul_lo_u32 v0, v5, s13
	v_mov_b32_e32 v1, s11
	s_and_b32 s40, s55, 0xff
	s_cmp_lt_i32 s40, 11
	v_ashrrev_i32_e32 v3, 31, v0
	v_add_co_u32_e32 v2, vcc, s10, v0
	v_addc_co_u32_e32 v3, vcc, v1, v3, vcc
	s_cbranch_scc1 .LBB30_799
; %bb.793:
	s_and_b32 s41, 0xffff, s40
	s_cmp_gt_i32 s41, 25
	s_cbranch_scc0 .LBB30_801
; %bb.794:
	s_cmp_gt_i32 s41, 28
	s_cbranch_scc0 .LBB30_802
; %bb.795:
	;; [unrolled: 3-line block ×4, first 2 shown]
	s_cmp_eq_u32 s41, 46
	s_mov_b64 s[38:39], 0
	s_cbranch_scc0 .LBB30_807
; %bb.798:
	global_load_dword v0, v[2:3], off
	s_mov_b64 s[0:1], -1
	s_waitcnt vmcnt(0)
	v_lshlrev_b32_e32 v0, 16, v0
	v_cvt_i32_f32_e32 v0, v0
	s_branch .LBB30_808
.LBB30_799:
	s_mov_b64 s[38:39], -1
	s_mov_b64 s[0:1], 0
                                        ; implicit-def: $vgpr0
	s_mov_b64 s[36:37], s[24:25]
	s_branch .LBB30_869
.LBB30_800:
	s_mov_b64 s[34:35], 0
	s_branch .LBB30_534
.LBB30_801:
	s_mov_b64 s[38:39], -1
	s_mov_b64 s[0:1], 0
	s_mov_b64 s[36:37], s[24:25]
                                        ; implicit-def: $vgpr0
	s_branch .LBB30_835
.LBB30_802:
	s_mov_b64 s[38:39], -1
	s_mov_b64 s[0:1], 0
	s_mov_b64 s[36:37], s[24:25]
                                        ; implicit-def: $vgpr0
	s_branch .LBB30_818
.LBB30_803:
	s_mov_b64 s[38:39], -1
	s_mov_b64 s[0:1], 0
	s_mov_b64 s[36:37], s[24:25]
                                        ; implicit-def: $vgpr0
	s_branch .LBB30_813
.LBB30_804:
	s_mov_b64 s[38:39], -1
	s_mov_b64 s[0:1], 0
	s_mov_b64 s[36:37], s[24:25]
                                        ; implicit-def: $vgpr0
	s_branch .LBB30_808
.LBB30_805:
	s_andn2_saveexec_b64 s[38:39], s[38:39]
	s_cbranch_execz .LBB30_700
.LBB30_806:
	v_add_f32_e32 v2, 0x46000000, v3
	v_and_b32_e32 v2, 0xff, v2
	v_cmp_ne_u32_e32 vcc, 0, v2
	s_andn2_b64 s[36:37], s[36:37], exec
	s_and_b64 s[42:43], vcc, exec
	s_or_b64 s[36:37], s[36:37], s[42:43]
	s_or_b64 exec, exec, s[38:39]
	v_mov_b32_e32 v4, 0
	s_and_saveexec_b64 s[38:39], s[36:37]
	s_cbranch_execnz .LBB30_701
	s_branch .LBB30_702
.LBB30_807:
	s_mov_b64 s[36:37], -1
                                        ; implicit-def: $vgpr0
	s_mov_b64 s[0:1], 0
.LBB30_808:
	s_and_b64 vcc, exec, s[38:39]
	s_cbranch_vccz .LBB30_812
; %bb.809:
	s_cmp_eq_u32 s41, 44
	s_cbranch_scc0 .LBB30_811
; %bb.810:
	global_load_ubyte v0, v[2:3], off
	s_mov_b64 s[0:1], -1
	s_mov_b64 s[36:37], 0
	s_waitcnt vmcnt(0)
	v_lshlrev_b32_e32 v1, 23, v0
	v_cvt_i32_f32_e32 v1, v1
	v_cmp_ne_u32_e32 vcc, 0, v0
	v_cndmask_b32_e32 v0, 0, v1, vcc
	s_branch .LBB30_812
.LBB30_811:
	s_mov_b64 s[36:37], -1
                                        ; implicit-def: $vgpr0
.LBB30_812:
	s_mov_b64 s[38:39], 0
.LBB30_813:
	s_and_b64 vcc, exec, s[38:39]
	s_cbranch_vccz .LBB30_817
; %bb.814:
	s_cmp_eq_u32 s41, 29
	s_cbranch_scc0 .LBB30_816
; %bb.815:
	global_load_dwordx2 v[0:1], v[2:3], off
	s_mov_b64 s[0:1], -1
	s_mov_b64 s[36:37], 0
	s_branch .LBB30_817
.LBB30_816:
	s_mov_b64 s[36:37], -1
                                        ; implicit-def: $vgpr0
.LBB30_817:
	s_mov_b64 s[38:39], 0
.LBB30_818:
	s_and_b64 vcc, exec, s[38:39]
	s_cbranch_vccz .LBB30_834
; %bb.819:
	s_cmp_lt_i32 s41, 27
	s_cbranch_scc1 .LBB30_822
; %bb.820:
	s_cmp_gt_i32 s41, 27
	s_cbranch_scc0 .LBB30_823
; %bb.821:
	global_load_dword v0, v[2:3], off
	s_mov_b64 s[0:1], 0
	s_branch .LBB30_824
.LBB30_822:
	s_mov_b64 s[0:1], -1
                                        ; implicit-def: $vgpr0
	s_branch .LBB30_827
.LBB30_823:
	s_mov_b64 s[0:1], -1
                                        ; implicit-def: $vgpr0
.LBB30_824:
	s_andn2_b64 vcc, exec, s[0:1]
	s_cbranch_vccnz .LBB30_826
; %bb.825:
	global_load_ushort v0, v[2:3], off
.LBB30_826:
	s_mov_b64 s[0:1], 0
.LBB30_827:
	s_andn2_b64 vcc, exec, s[0:1]
	s_cbranch_vccnz .LBB30_833
; %bb.828:
	global_load_ubyte v1, v[2:3], off
	s_movk_i32 s0, 0x7f
	s_mov_b64 s[38:39], 0
	s_waitcnt vmcnt(0)
	v_cmp_lt_i16_e32 vcc, s0, v1
	s_and_saveexec_b64 s[0:1], vcc
	s_xor_b64 s[0:1], exec, s[0:1]
	s_cbranch_execz .LBB30_845
; %bb.829:
	s_movk_i32 s38, 0x80
	v_cmp_ne_u16_e32 vcc, s38, v1
	s_and_b64 s[38:39], vcc, exec
	s_andn2_saveexec_b64 s[0:1], s[0:1]
	s_cbranch_execnz .LBB30_846
.LBB30_830:
	s_or_b64 exec, exec, s[0:1]
	v_mov_b32_e32 v0, 0
	s_and_saveexec_b64 s[0:1], s[38:39]
	s_cbranch_execz .LBB30_832
.LBB30_831:
	v_lshlrev_b32_e32 v0, 24, v1
	v_and_b32_e32 v1, 0xffff, v1
	v_and_b32_e32 v4, 7, v1
	v_ffbh_u32_e32 v7, v4
	v_min_u32_e32 v7, 32, v7
	v_subrev_u32_e32 v8, 28, v7
	v_bfe_u32 v6, v1, 3, 4
	v_lshlrev_b32_e32 v1, v8, v1
	v_sub_u32_e32 v7, 29, v7
	v_and_b32_e32 v1, 7, v1
	v_cmp_eq_u32_e32 vcc, 0, v6
	v_cndmask_b32_e32 v6, v6, v7, vcc
	v_cndmask_b32_e32 v1, v4, v1, vcc
	v_mov_b32_e32 v4, 0x3b800000
	v_lshlrev_b32_e32 v1, 20, v1
	v_and_b32_e32 v0, 0x80000000, v0
	v_lshl_add_u32 v4, v6, 23, v4
	v_or3_b32 v0, v0, v4, v1
	v_cvt_i32_f32_e32 v0, v0
.LBB30_832:
	s_or_b64 exec, exec, s[0:1]
.LBB30_833:
	s_mov_b64 s[0:1], -1
.LBB30_834:
	s_mov_b64 s[38:39], 0
.LBB30_835:
	s_and_b64 vcc, exec, s[38:39]
	s_cbranch_vccz .LBB30_868
; %bb.836:
	s_cmp_gt_i32 s41, 22
	s_cbranch_scc0 .LBB30_844
; %bb.837:
	s_cmp_lt_i32 s41, 24
	s_cbranch_scc1 .LBB30_847
; %bb.838:
	s_cmp_gt_i32 s41, 24
	s_cbranch_scc0 .LBB30_848
; %bb.839:
	global_load_ubyte v1, v[2:3], off
	s_movk_i32 s0, 0x7f
	s_mov_b64 s[38:39], 0
	s_waitcnt vmcnt(0)
	v_cmp_lt_i16_e32 vcc, s0, v1
	s_and_saveexec_b64 s[0:1], vcc
	s_xor_b64 s[0:1], exec, s[0:1]
	s_cbranch_execz .LBB30_860
; %bb.840:
	s_movk_i32 s38, 0x80
	v_cmp_ne_u16_e32 vcc, s38, v1
	s_and_b64 s[38:39], vcc, exec
	s_andn2_saveexec_b64 s[0:1], s[0:1]
	s_cbranch_execnz .LBB30_861
.LBB30_841:
	s_or_b64 exec, exec, s[0:1]
	v_mov_b32_e32 v0, 0
	s_and_saveexec_b64 s[0:1], s[38:39]
	s_cbranch_execz .LBB30_843
.LBB30_842:
	v_lshlrev_b32_e32 v0, 24, v1
	v_and_b32_e32 v1, 0xffff, v1
	v_and_b32_e32 v4, 3, v1
	v_ffbh_u32_e32 v7, v4
	v_min_u32_e32 v7, 32, v7
	v_subrev_u32_e32 v8, 29, v7
	v_bfe_u32 v6, v1, 2, 5
	v_lshlrev_b32_e32 v1, v8, v1
	v_sub_u32_e32 v7, 30, v7
	v_and_b32_e32 v1, 3, v1
	v_cmp_eq_u32_e32 vcc, 0, v6
	v_cndmask_b32_e32 v6, v6, v7, vcc
	v_cndmask_b32_e32 v1, v4, v1, vcc
	v_mov_b32_e32 v4, 0x37800000
	v_lshlrev_b32_e32 v1, 21, v1
	v_and_b32_e32 v0, 0x80000000, v0
	v_lshl_add_u32 v4, v6, 23, v4
	v_or3_b32 v0, v0, v4, v1
	v_cvt_i32_f32_e32 v0, v0
.LBB30_843:
	s_or_b64 exec, exec, s[0:1]
	s_mov_b64 s[0:1], 0
	s_branch .LBB30_849
.LBB30_844:
	s_mov_b64 s[38:39], -1
                                        ; implicit-def: $vgpr0
	s_branch .LBB30_855
.LBB30_845:
	s_andn2_saveexec_b64 s[0:1], s[0:1]
	s_cbranch_execz .LBB30_830
.LBB30_846:
	v_cmp_ne_u16_e32 vcc, 0, v1
	s_andn2_b64 s[38:39], s[38:39], exec
	s_and_b64 s[42:43], vcc, exec
	s_or_b64 s[38:39], s[38:39], s[42:43]
	s_or_b64 exec, exec, s[0:1]
	v_mov_b32_e32 v0, 0
	s_and_saveexec_b64 s[0:1], s[38:39]
	s_cbranch_execnz .LBB30_831
	s_branch .LBB30_832
.LBB30_847:
	s_mov_b64 s[0:1], -1
                                        ; implicit-def: $vgpr0
	s_branch .LBB30_852
.LBB30_848:
	s_mov_b64 s[0:1], -1
                                        ; implicit-def: $vgpr0
.LBB30_849:
	s_and_b64 vcc, exec, s[0:1]
	s_cbranch_vccz .LBB30_851
; %bb.850:
	global_load_ubyte v0, v[2:3], off
	s_mov_b32 s0, 0x7f800000
	s_waitcnt vmcnt(0)
	v_lshlrev_b32_e32 v0, 24, v0
	v_and_b32_e32 v1, 0x7f000000, v0
	v_ffbh_u32_e32 v4, v1
	v_min_u32_e32 v4, 32, v4
	v_sub_u32_e64 v4, v4, 4 clamp
	v_lshlrev_b32_e32 v7, v4, v1
	v_lshlrev_b32_e32 v4, 23, v4
	v_lshrrev_b32_e32 v7, 4, v7
	v_add_u32_e32 v6, 0x1000000, v1
	v_sub_u32_e32 v4, v7, v4
	v_ashrrev_i32_e32 v6, 8, v6
	v_add_u32_e32 v4, 0x3c000000, v4
	v_and_or_b32 v4, v6, s0, v4
	v_cmp_ne_u32_e32 vcc, 0, v1
	v_cndmask_b32_e32 v1, 0, v4, vcc
	s_brev_b32 s0, 1
	v_and_or_b32 v0, v0, s0, v1
	v_cvt_i32_f32_e32 v0, v0
.LBB30_851:
	s_mov_b64 s[0:1], 0
.LBB30_852:
	s_andn2_b64 vcc, exec, s[0:1]
	s_cbranch_vccnz .LBB30_854
; %bb.853:
	global_load_ubyte v0, v[2:3], off
	s_movk_i32 s0, 0x7f00
	s_brev_b32 s1, 16
	s_waitcnt vmcnt(0)
	v_lshlrev_b16_e32 v1, 8, v0
	v_lshlrev_b32_e32 v0, 25, v0
	v_lshrrev_b32_e32 v4, 4, v0
	v_and_or_b32 v6, v1, s0, 0.5
	v_or_b32_e32 v4, 0x70000000, v4
	v_add_f32_e32 v6, -0.5, v6
	v_mul_f32_e32 v4, 0x7800000, v4
	v_cmp_gt_u32_e32 vcc, s1, v0
	v_bfe_i32 v1, v1, 0, 16
	v_cndmask_b32_e32 v0, v4, v6, vcc
	s_brev_b32 s0, 1
	v_and_or_b32 v0, v1, s0, v0
	v_cvt_i32_f32_e32 v0, v0
.LBB30_854:
	s_mov_b64 s[38:39], 0
	s_mov_b64 s[0:1], -1
.LBB30_855:
	s_andn2_b64 vcc, exec, s[38:39]
	s_cbranch_vccnz .LBB30_868
; %bb.856:
	s_cmp_gt_i32 s41, 14
	s_cbranch_scc0 .LBB30_859
; %bb.857:
	s_cmp_eq_u32 s41, 15
	s_cbranch_scc0 .LBB30_862
; %bb.858:
	global_load_ushort v0, v[2:3], off
	s_mov_b64 s[0:1], -1
	s_mov_b64 s[36:37], 0
	s_waitcnt vmcnt(0)
	v_lshlrev_b32_e32 v0, 16, v0
	v_cvt_i32_f32_e32 v0, v0
	s_branch .LBB30_863
.LBB30_859:
	s_mov_b64 s[38:39], -1
                                        ; implicit-def: $vgpr0
	s_branch .LBB30_864
.LBB30_860:
	s_andn2_saveexec_b64 s[0:1], s[0:1]
	s_cbranch_execz .LBB30_841
.LBB30_861:
	v_cmp_ne_u16_e32 vcc, 0, v1
	s_andn2_b64 s[38:39], s[38:39], exec
	s_and_b64 s[42:43], vcc, exec
	s_or_b64 s[38:39], s[38:39], s[42:43]
	s_or_b64 exec, exec, s[0:1]
	v_mov_b32_e32 v0, 0
	s_and_saveexec_b64 s[0:1], s[38:39]
	s_cbranch_execnz .LBB30_842
	s_branch .LBB30_843
.LBB30_862:
	s_mov_b64 s[36:37], -1
                                        ; implicit-def: $vgpr0
.LBB30_863:
	s_mov_b64 s[38:39], 0
.LBB30_864:
	s_and_b64 vcc, exec, s[38:39]
	s_cbranch_vccz .LBB30_868
; %bb.865:
	s_cmp_eq_u32 s41, 11
	s_cbranch_scc0 .LBB30_867
; %bb.866:
	global_load_ubyte v0, v[2:3], off
	s_mov_b64 s[0:1], -1
	s_mov_b64 s[36:37], 0
	s_waitcnt vmcnt(0)
	v_cmp_ne_u16_e32 vcc, 0, v0
	v_cndmask_b32_e64 v0, 0, 1, vcc
	s_branch .LBB30_868
.LBB30_867:
	s_mov_b64 s[36:37], -1
                                        ; implicit-def: $vgpr0
.LBB30_868:
	s_mov_b64 s[38:39], 0
.LBB30_869:
	s_and_b64 vcc, exec, s[38:39]
	s_cbranch_vccz .LBB30_918
; %bb.870:
	s_and_b32 s38, 0xffff, s40
	s_cmp_lt_i32 s38, 5
	s_cbranch_scc1 .LBB30_875
; %bb.871:
	s_cmp_lt_i32 s38, 8
	s_cbranch_scc1 .LBB30_876
; %bb.872:
	;; [unrolled: 3-line block ×3, first 2 shown]
	s_cmp_gt_i32 s38, 9
	s_cbranch_scc0 .LBB30_878
; %bb.874:
	global_load_dwordx2 v[0:1], v[2:3], off
	s_mov_b64 s[0:1], 0
	s_waitcnt vmcnt(0)
	v_cvt_i32_f64_e32 v0, v[0:1]
	s_branch .LBB30_879
.LBB30_875:
	s_mov_b64 s[0:1], -1
                                        ; implicit-def: $vgpr0
	s_branch .LBB30_897
.LBB30_876:
	s_mov_b64 s[0:1], -1
                                        ; implicit-def: $vgpr0
	s_branch .LBB30_885
.LBB30_877:
	s_mov_b64 s[0:1], -1
                                        ; implicit-def: $vgpr0
	s_branch .LBB30_882
.LBB30_878:
	s_mov_b64 s[0:1], -1
                                        ; implicit-def: $vgpr0
.LBB30_879:
	s_andn2_b64 vcc, exec, s[0:1]
	s_cbranch_vccnz .LBB30_881
; %bb.880:
	global_load_dword v0, v[2:3], off
	s_waitcnt vmcnt(0)
	v_cvt_i32_f32_e32 v0, v0
.LBB30_881:
	s_mov_b64 s[0:1], 0
.LBB30_882:
	s_andn2_b64 vcc, exec, s[0:1]
	s_cbranch_vccnz .LBB30_884
; %bb.883:
	global_load_dword v0, v[2:3], off
	s_waitcnt vmcnt(0)
	v_cvt_i16_f16_e32 v0, v0
.LBB30_884:
	s_mov_b64 s[0:1], 0
.LBB30_885:
	s_andn2_b64 vcc, exec, s[0:1]
	s_cbranch_vccnz .LBB30_896
; %bb.886:
	s_cmp_lt_i32 s38, 6
	s_cbranch_scc1 .LBB30_889
; %bb.887:
	s_cmp_gt_i32 s38, 6
	s_cbranch_scc0 .LBB30_890
; %bb.888:
	global_load_dwordx2 v[0:1], v[2:3], off
	s_mov_b64 s[0:1], 0
	s_waitcnt vmcnt(0)
	v_cvt_i32_f64_e32 v0, v[0:1]
	s_branch .LBB30_891
.LBB30_889:
	s_mov_b64 s[0:1], -1
                                        ; implicit-def: $vgpr0
	s_branch .LBB30_894
.LBB30_890:
	s_mov_b64 s[0:1], -1
                                        ; implicit-def: $vgpr0
.LBB30_891:
	s_andn2_b64 vcc, exec, s[0:1]
	s_cbranch_vccnz .LBB30_893
; %bb.892:
	global_load_dword v0, v[2:3], off
	s_waitcnt vmcnt(0)
	v_cvt_i32_f32_e32 v0, v0
.LBB30_893:
	s_mov_b64 s[0:1], 0
.LBB30_894:
	s_andn2_b64 vcc, exec, s[0:1]
	s_cbranch_vccnz .LBB30_896
; %bb.895:
	global_load_ushort v0, v[2:3], off
	s_waitcnt vmcnt(0)
	v_cvt_i16_f16_e32 v0, v0
.LBB30_896:
	s_mov_b64 s[0:1], 0
.LBB30_897:
	s_andn2_b64 vcc, exec, s[0:1]
	s_cbranch_vccnz .LBB30_917
; %bb.898:
	s_cmp_lt_i32 s38, 2
	s_cbranch_scc1 .LBB30_902
; %bb.899:
	s_cmp_lt_i32 s38, 3
	s_cbranch_scc1 .LBB30_903
; %bb.900:
	s_cmp_gt_i32 s38, 3
	s_cbranch_scc0 .LBB30_904
; %bb.901:
	global_load_dwordx2 v[0:1], v[2:3], off
	s_mov_b64 s[0:1], 0
	s_branch .LBB30_905
.LBB30_902:
	s_mov_b64 s[0:1], -1
                                        ; implicit-def: $vgpr0
	s_branch .LBB30_911
.LBB30_903:
	s_mov_b64 s[0:1], -1
                                        ; implicit-def: $vgpr0
	s_branch .LBB30_908
.LBB30_904:
	s_mov_b64 s[0:1], -1
                                        ; implicit-def: $vgpr0
.LBB30_905:
	s_andn2_b64 vcc, exec, s[0:1]
	s_cbranch_vccnz .LBB30_907
; %bb.906:
	global_load_dword v0, v[2:3], off
.LBB30_907:
	s_mov_b64 s[0:1], 0
.LBB30_908:
	s_andn2_b64 vcc, exec, s[0:1]
	s_cbranch_vccnz .LBB30_910
; %bb.909:
	global_load_ushort v0, v[2:3], off
.LBB30_910:
	s_mov_b64 s[0:1], 0
.LBB30_911:
	s_andn2_b64 vcc, exec, s[0:1]
	s_cbranch_vccnz .LBB30_917
; %bb.912:
	s_cmp_gt_i32 s38, 0
	s_cbranch_scc0 .LBB30_914
; %bb.913:
	global_load_ubyte v0, v[2:3], off
	s_mov_b64 s[0:1], 0
	s_branch .LBB30_915
.LBB30_914:
	s_mov_b64 s[0:1], -1
                                        ; implicit-def: $vgpr0
.LBB30_915:
	s_andn2_b64 vcc, exec, s[0:1]
	s_cbranch_vccnz .LBB30_917
; %bb.916:
	global_load_ubyte v0, v[2:3], off
.LBB30_917:
	s_mov_b64 s[0:1], -1
.LBB30_918:
	s_andn2_b64 vcc, exec, s[0:1]
	s_cbranch_vccnz .LBB30_926
; %bb.919:
	s_waitcnt vmcnt(0)
	v_mul_lo_u32 v1, v5, s14
	v_mov_b32_e32 v2, s3
	s_and_b32 s42, s54, 0xff
	s_cmp_lt_i32 s42, 11
	v_ashrrev_i32_e32 v3, 31, v1
	v_add_co_u32_e32 v1, vcc, s2, v1
	v_addc_co_u32_e32 v2, vcc, v2, v3, vcc
	s_cbranch_scc1 .LBB30_928
; %bb.920:
	s_and_b32 s43, 0xffff, s42
	s_cmp_gt_i32 s43, 25
	s_cbranch_scc0 .LBB30_929
; %bb.921:
	s_cmp_gt_i32 s43, 28
	s_cbranch_scc0 .LBB30_930
; %bb.922:
	;; [unrolled: 3-line block ×4, first 2 shown]
	s_cmp_eq_u32 s43, 46
	s_mov_b64 s[40:41], 0
	s_cbranch_scc0 .LBB30_935
; %bb.925:
	global_load_dword v3, v[1:2], off
	s_mov_b64 s[0:1], -1
	s_mov_b64 s[38:39], 0
	s_waitcnt vmcnt(0)
	v_lshlrev_b32_e32 v3, 16, v3
	v_cvt_i32_f32_e32 v3, v3
	s_branch .LBB30_936
.LBB30_926:
	s_mov_b64 s[42:43], 0
	s_mov_b64 s[0:1], s[28:29]
	;; [unrolled: 1-line block ×3, first 2 shown]
.LBB30_927:
                                        ; implicit-def: $vgpr5
	s_branch .LBB30_1187
.LBB30_928:
	s_mov_b64 s[40:41], -1
	s_mov_b64 s[0:1], 0
                                        ; implicit-def: $vgpr3
	s_mov_b64 s[38:39], s[26:27]
	s_branch .LBB30_997
.LBB30_929:
	s_mov_b64 s[40:41], -1
	s_mov_b64 s[0:1], 0
	s_mov_b64 s[38:39], s[26:27]
                                        ; implicit-def: $vgpr3
	s_branch .LBB30_963
.LBB30_930:
	s_mov_b64 s[40:41], -1
	s_mov_b64 s[0:1], 0
	s_mov_b64 s[38:39], s[26:27]
                                        ; implicit-def: $vgpr3
	s_branch .LBB30_946
.LBB30_931:
	s_mov_b64 s[40:41], -1
	s_mov_b64 s[0:1], 0
	s_mov_b64 s[38:39], s[26:27]
                                        ; implicit-def: $vgpr3
	s_branch .LBB30_941
.LBB30_932:
	s_mov_b64 s[40:41], -1
	s_mov_b64 s[0:1], 0
	s_mov_b64 s[38:39], s[26:27]
                                        ; implicit-def: $vgpr3
	s_branch .LBB30_936
.LBB30_933:
	s_andn2_saveexec_b64 s[38:39], s[38:39]
	s_cbranch_execz .LBB30_713
.LBB30_934:
	v_add_f32_e32 v2, 0x42800000, v3
	v_and_b32_e32 v2, 0xff, v2
	v_cmp_ne_u32_e32 vcc, 0, v2
	s_andn2_b64 s[36:37], s[36:37], exec
	s_and_b64 s[42:43], vcc, exec
	s_or_b64 s[36:37], s[36:37], s[42:43]
	s_or_b64 exec, exec, s[38:39]
	v_mov_b32_e32 v4, 0
	s_and_saveexec_b64 s[38:39], s[36:37]
	s_cbranch_execnz .LBB30_714
	s_branch .LBB30_715
.LBB30_935:
	s_mov_b64 s[38:39], -1
                                        ; implicit-def: $vgpr3
	s_mov_b64 s[0:1], 0
.LBB30_936:
	s_and_b64 vcc, exec, s[40:41]
	s_cbranch_vccz .LBB30_940
; %bb.937:
	s_cmp_eq_u32 s43, 44
	s_cbranch_scc0 .LBB30_939
; %bb.938:
	global_load_ubyte v3, v[1:2], off
	s_mov_b64 s[0:1], -1
	s_mov_b64 s[38:39], 0
	s_waitcnt vmcnt(0)
	v_lshlrev_b32_e32 v4, 23, v3
	v_cvt_i32_f32_e32 v4, v4
	v_cmp_ne_u32_e32 vcc, 0, v3
	v_cndmask_b32_e32 v3, 0, v4, vcc
	s_branch .LBB30_940
.LBB30_939:
	s_mov_b64 s[38:39], -1
                                        ; implicit-def: $vgpr3
.LBB30_940:
	s_mov_b64 s[40:41], 0
.LBB30_941:
	s_and_b64 vcc, exec, s[40:41]
	s_cbranch_vccz .LBB30_945
; %bb.942:
	s_cmp_eq_u32 s43, 29
	s_cbranch_scc0 .LBB30_944
; %bb.943:
	global_load_dwordx2 v[3:4], v[1:2], off
	s_mov_b64 s[0:1], -1
	s_mov_b64 s[38:39], 0
	s_branch .LBB30_945
.LBB30_944:
	s_mov_b64 s[38:39], -1
                                        ; implicit-def: $vgpr3
.LBB30_945:
	s_mov_b64 s[40:41], 0
.LBB30_946:
	s_and_b64 vcc, exec, s[40:41]
	s_cbranch_vccz .LBB30_962
; %bb.947:
	s_cmp_lt_i32 s43, 27
	s_cbranch_scc1 .LBB30_950
; %bb.948:
	s_cmp_gt_i32 s43, 27
	s_cbranch_scc0 .LBB30_951
; %bb.949:
	global_load_dword v3, v[1:2], off
	s_mov_b64 s[0:1], 0
	s_branch .LBB30_952
.LBB30_950:
	s_mov_b64 s[0:1], -1
                                        ; implicit-def: $vgpr3
	s_branch .LBB30_955
.LBB30_951:
	s_mov_b64 s[0:1], -1
                                        ; implicit-def: $vgpr3
.LBB30_952:
	s_andn2_b64 vcc, exec, s[0:1]
	s_cbranch_vccnz .LBB30_954
; %bb.953:
	global_load_ushort v3, v[1:2], off
.LBB30_954:
	s_mov_b64 s[0:1], 0
.LBB30_955:
	s_andn2_b64 vcc, exec, s[0:1]
	s_cbranch_vccnz .LBB30_961
; %bb.956:
	global_load_ubyte v4, v[1:2], off
	s_movk_i32 s0, 0x7f
	s_mov_b64 s[40:41], 0
	s_waitcnt vmcnt(0)
	v_cmp_lt_i16_e32 vcc, s0, v4
	s_and_saveexec_b64 s[0:1], vcc
	s_xor_b64 s[0:1], exec, s[0:1]
	s_cbranch_execz .LBB30_973
; %bb.957:
	s_movk_i32 s40, 0x80
	v_cmp_ne_u16_e32 vcc, s40, v4
	s_and_b64 s[40:41], vcc, exec
	s_andn2_saveexec_b64 s[0:1], s[0:1]
	s_cbranch_execnz .LBB30_974
.LBB30_958:
	s_or_b64 exec, exec, s[0:1]
	v_mov_b32_e32 v3, 0
	s_and_saveexec_b64 s[0:1], s[40:41]
	s_cbranch_execz .LBB30_960
.LBB30_959:
	v_lshlrev_b32_e32 v3, 24, v4
	v_and_b32_e32 v4, 0xffff, v4
	v_and_b32_e32 v6, 7, v4
	v_ffbh_u32_e32 v8, v6
	v_min_u32_e32 v8, 32, v8
	v_subrev_u32_e32 v9, 28, v8
	v_bfe_u32 v7, v4, 3, 4
	v_lshlrev_b32_e32 v4, v9, v4
	v_sub_u32_e32 v8, 29, v8
	v_and_b32_e32 v4, 7, v4
	v_cmp_eq_u32_e32 vcc, 0, v7
	v_cndmask_b32_e32 v7, v7, v8, vcc
	v_cndmask_b32_e32 v4, v6, v4, vcc
	v_mov_b32_e32 v6, 0x3b800000
	v_lshlrev_b32_e32 v4, 20, v4
	v_and_b32_e32 v3, 0x80000000, v3
	v_lshl_add_u32 v6, v7, 23, v6
	v_or3_b32 v3, v3, v6, v4
	v_cvt_i32_f32_e32 v3, v3
.LBB30_960:
	s_or_b64 exec, exec, s[0:1]
.LBB30_961:
	s_mov_b64 s[0:1], -1
.LBB30_962:
	s_mov_b64 s[40:41], 0
.LBB30_963:
	s_and_b64 vcc, exec, s[40:41]
	s_cbranch_vccz .LBB30_996
; %bb.964:
	s_cmp_gt_i32 s43, 22
	s_cbranch_scc0 .LBB30_972
; %bb.965:
	s_cmp_lt_i32 s43, 24
	s_cbranch_scc1 .LBB30_975
; %bb.966:
	s_cmp_gt_i32 s43, 24
	s_cbranch_scc0 .LBB30_976
; %bb.967:
	global_load_ubyte v4, v[1:2], off
	s_movk_i32 s0, 0x7f
	s_mov_b64 s[40:41], 0
	s_waitcnt vmcnt(0)
	v_cmp_lt_i16_e32 vcc, s0, v4
	s_and_saveexec_b64 s[0:1], vcc
	s_xor_b64 s[0:1], exec, s[0:1]
	s_cbranch_execz .LBB30_988
; %bb.968:
	s_movk_i32 s40, 0x80
	v_cmp_ne_u16_e32 vcc, s40, v4
	s_and_b64 s[40:41], vcc, exec
	s_andn2_saveexec_b64 s[0:1], s[0:1]
	s_cbranch_execnz .LBB30_989
.LBB30_969:
	s_or_b64 exec, exec, s[0:1]
	v_mov_b32_e32 v3, 0
	s_and_saveexec_b64 s[0:1], s[40:41]
	s_cbranch_execz .LBB30_971
.LBB30_970:
	v_lshlrev_b32_e32 v3, 24, v4
	v_and_b32_e32 v4, 0xffff, v4
	v_and_b32_e32 v6, 3, v4
	v_ffbh_u32_e32 v8, v6
	v_min_u32_e32 v8, 32, v8
	v_subrev_u32_e32 v9, 29, v8
	v_bfe_u32 v7, v4, 2, 5
	v_lshlrev_b32_e32 v4, v9, v4
	v_sub_u32_e32 v8, 30, v8
	v_and_b32_e32 v4, 3, v4
	v_cmp_eq_u32_e32 vcc, 0, v7
	v_cndmask_b32_e32 v7, v7, v8, vcc
	v_cndmask_b32_e32 v4, v6, v4, vcc
	v_mov_b32_e32 v6, 0x37800000
	v_lshlrev_b32_e32 v4, 21, v4
	v_and_b32_e32 v3, 0x80000000, v3
	v_lshl_add_u32 v6, v7, 23, v6
	v_or3_b32 v3, v3, v6, v4
	v_cvt_i32_f32_e32 v3, v3
.LBB30_971:
	s_or_b64 exec, exec, s[0:1]
	s_mov_b64 s[0:1], 0
	s_branch .LBB30_977
.LBB30_972:
	s_mov_b64 s[40:41], -1
                                        ; implicit-def: $vgpr3
	s_branch .LBB30_983
.LBB30_973:
	s_andn2_saveexec_b64 s[0:1], s[0:1]
	s_cbranch_execz .LBB30_958
.LBB30_974:
	v_cmp_ne_u16_e32 vcc, 0, v4
	s_andn2_b64 s[40:41], s[40:41], exec
	s_and_b64 s[44:45], vcc, exec
	s_or_b64 s[40:41], s[40:41], s[44:45]
	s_or_b64 exec, exec, s[0:1]
	v_mov_b32_e32 v3, 0
	s_and_saveexec_b64 s[0:1], s[40:41]
	s_cbranch_execnz .LBB30_959
	s_branch .LBB30_960
.LBB30_975:
	s_mov_b64 s[0:1], -1
                                        ; implicit-def: $vgpr3
	s_branch .LBB30_980
.LBB30_976:
	s_mov_b64 s[0:1], -1
                                        ; implicit-def: $vgpr3
.LBB30_977:
	s_and_b64 vcc, exec, s[0:1]
	s_cbranch_vccz .LBB30_979
; %bb.978:
	global_load_ubyte v3, v[1:2], off
	s_mov_b32 s0, 0x7f800000
	s_waitcnt vmcnt(0)
	v_lshlrev_b32_e32 v3, 24, v3
	v_and_b32_e32 v4, 0x7f000000, v3
	v_ffbh_u32_e32 v6, v4
	v_min_u32_e32 v6, 32, v6
	v_sub_u32_e64 v6, v6, 4 clamp
	v_lshlrev_b32_e32 v8, v6, v4
	v_lshlrev_b32_e32 v6, 23, v6
	v_lshrrev_b32_e32 v8, 4, v8
	v_add_u32_e32 v7, 0x1000000, v4
	v_sub_u32_e32 v6, v8, v6
	v_ashrrev_i32_e32 v7, 8, v7
	v_add_u32_e32 v6, 0x3c000000, v6
	v_and_or_b32 v6, v7, s0, v6
	v_cmp_ne_u32_e32 vcc, 0, v4
	v_cndmask_b32_e32 v4, 0, v6, vcc
	s_brev_b32 s0, 1
	v_and_or_b32 v3, v3, s0, v4
	v_cvt_i32_f32_e32 v3, v3
.LBB30_979:
	s_mov_b64 s[0:1], 0
.LBB30_980:
	s_andn2_b64 vcc, exec, s[0:1]
	s_cbranch_vccnz .LBB30_982
; %bb.981:
	global_load_ubyte v3, v[1:2], off
	s_movk_i32 s0, 0x7f00
	s_brev_b32 s1, 16
	s_waitcnt vmcnt(0)
	v_lshlrev_b16_e32 v4, 8, v3
	v_lshlrev_b32_e32 v3, 25, v3
	v_lshrrev_b32_e32 v6, 4, v3
	v_and_or_b32 v7, v4, s0, 0.5
	v_or_b32_e32 v6, 0x70000000, v6
	v_add_f32_e32 v7, -0.5, v7
	v_mul_f32_e32 v6, 0x7800000, v6
	v_cmp_gt_u32_e32 vcc, s1, v3
	v_bfe_i32 v4, v4, 0, 16
	v_cndmask_b32_e32 v3, v6, v7, vcc
	s_brev_b32 s0, 1
	v_and_or_b32 v3, v4, s0, v3
	v_cvt_i32_f32_e32 v3, v3
.LBB30_982:
	s_mov_b64 s[40:41], 0
	s_mov_b64 s[0:1], -1
.LBB30_983:
	s_andn2_b64 vcc, exec, s[40:41]
	s_cbranch_vccnz .LBB30_996
; %bb.984:
	s_cmp_gt_i32 s43, 14
	s_cbranch_scc0 .LBB30_987
; %bb.985:
	s_cmp_eq_u32 s43, 15
	s_cbranch_scc0 .LBB30_990
; %bb.986:
	global_load_ushort v3, v[1:2], off
	s_mov_b64 s[0:1], -1
	s_mov_b64 s[38:39], 0
	s_waitcnt vmcnt(0)
	v_lshlrev_b32_e32 v3, 16, v3
	v_cvt_i32_f32_e32 v3, v3
	s_branch .LBB30_991
.LBB30_987:
	s_mov_b64 s[40:41], -1
                                        ; implicit-def: $vgpr3
	s_branch .LBB30_992
.LBB30_988:
	s_andn2_saveexec_b64 s[0:1], s[0:1]
	s_cbranch_execz .LBB30_969
.LBB30_989:
	v_cmp_ne_u16_e32 vcc, 0, v4
	s_andn2_b64 s[40:41], s[40:41], exec
	s_and_b64 s[44:45], vcc, exec
	s_or_b64 s[40:41], s[40:41], s[44:45]
	s_or_b64 exec, exec, s[0:1]
	v_mov_b32_e32 v3, 0
	s_and_saveexec_b64 s[0:1], s[40:41]
	s_cbranch_execnz .LBB30_970
	s_branch .LBB30_971
.LBB30_990:
	s_mov_b64 s[38:39], -1
                                        ; implicit-def: $vgpr3
.LBB30_991:
	s_mov_b64 s[40:41], 0
.LBB30_992:
	s_and_b64 vcc, exec, s[40:41]
	s_cbranch_vccz .LBB30_996
; %bb.993:
	s_cmp_eq_u32 s43, 11
	s_cbranch_scc0 .LBB30_995
; %bb.994:
	global_load_ubyte v3, v[1:2], off
	s_mov_b64 s[0:1], -1
	s_mov_b64 s[38:39], 0
	s_waitcnt vmcnt(0)
	v_cmp_ne_u16_e32 vcc, 0, v3
	v_cndmask_b32_e64 v3, 0, 1, vcc
	s_branch .LBB30_996
.LBB30_995:
	s_mov_b64 s[38:39], -1
                                        ; implicit-def: $vgpr3
.LBB30_996:
	s_mov_b64 s[40:41], 0
.LBB30_997:
	s_and_b64 vcc, exec, s[40:41]
	s_cbranch_vccz .LBB30_1046
; %bb.998:
	s_and_b32 s40, 0xffff, s42
	s_cmp_lt_i32 s40, 5
	s_cbranch_scc1 .LBB30_1003
; %bb.999:
	s_cmp_lt_i32 s40, 8
	s_cbranch_scc1 .LBB30_1004
; %bb.1000:
	;; [unrolled: 3-line block ×3, first 2 shown]
	s_cmp_gt_i32 s40, 9
	s_cbranch_scc0 .LBB30_1006
; %bb.1002:
	global_load_dwordx2 v[3:4], v[1:2], off
	s_mov_b64 s[0:1], 0
	s_waitcnt vmcnt(0)
	v_cvt_i32_f64_e32 v3, v[3:4]
	s_branch .LBB30_1007
.LBB30_1003:
	s_mov_b64 s[0:1], -1
                                        ; implicit-def: $vgpr3
	s_branch .LBB30_1025
.LBB30_1004:
	s_mov_b64 s[0:1], -1
                                        ; implicit-def: $vgpr3
	s_branch .LBB30_1013
.LBB30_1005:
	s_mov_b64 s[0:1], -1
                                        ; implicit-def: $vgpr3
	s_branch .LBB30_1010
.LBB30_1006:
	s_mov_b64 s[0:1], -1
                                        ; implicit-def: $vgpr3
.LBB30_1007:
	s_andn2_b64 vcc, exec, s[0:1]
	s_cbranch_vccnz .LBB30_1009
; %bb.1008:
	global_load_dword v3, v[1:2], off
	s_waitcnt vmcnt(0)
	v_cvt_i32_f32_e32 v3, v3
.LBB30_1009:
	s_mov_b64 s[0:1], 0
.LBB30_1010:
	s_andn2_b64 vcc, exec, s[0:1]
	s_cbranch_vccnz .LBB30_1012
; %bb.1011:
	global_load_dword v3, v[1:2], off
	s_waitcnt vmcnt(0)
	v_cvt_i16_f16_e32 v3, v3
.LBB30_1012:
	s_mov_b64 s[0:1], 0
.LBB30_1013:
	s_andn2_b64 vcc, exec, s[0:1]
	s_cbranch_vccnz .LBB30_1024
; %bb.1014:
	s_cmp_lt_i32 s40, 6
	s_cbranch_scc1 .LBB30_1017
; %bb.1015:
	s_cmp_gt_i32 s40, 6
	s_cbranch_scc0 .LBB30_1018
; %bb.1016:
	global_load_dwordx2 v[3:4], v[1:2], off
	s_mov_b64 s[0:1], 0
	s_waitcnt vmcnt(0)
	v_cvt_i32_f64_e32 v3, v[3:4]
	s_branch .LBB30_1019
.LBB30_1017:
	s_mov_b64 s[0:1], -1
                                        ; implicit-def: $vgpr3
	s_branch .LBB30_1022
.LBB30_1018:
	s_mov_b64 s[0:1], -1
                                        ; implicit-def: $vgpr3
.LBB30_1019:
	s_andn2_b64 vcc, exec, s[0:1]
	s_cbranch_vccnz .LBB30_1021
; %bb.1020:
	global_load_dword v3, v[1:2], off
	s_waitcnt vmcnt(0)
	v_cvt_i32_f32_e32 v3, v3
.LBB30_1021:
	s_mov_b64 s[0:1], 0
.LBB30_1022:
	s_andn2_b64 vcc, exec, s[0:1]
	s_cbranch_vccnz .LBB30_1024
; %bb.1023:
	global_load_ushort v3, v[1:2], off
	s_waitcnt vmcnt(0)
	v_cvt_i16_f16_e32 v3, v3
.LBB30_1024:
	s_mov_b64 s[0:1], 0
.LBB30_1025:
	s_andn2_b64 vcc, exec, s[0:1]
	s_cbranch_vccnz .LBB30_1045
; %bb.1026:
	s_cmp_lt_i32 s40, 2
	s_cbranch_scc1 .LBB30_1030
; %bb.1027:
	s_cmp_lt_i32 s40, 3
	s_cbranch_scc1 .LBB30_1031
; %bb.1028:
	s_cmp_gt_i32 s40, 3
	s_cbranch_scc0 .LBB30_1032
; %bb.1029:
	global_load_dwordx2 v[3:4], v[1:2], off
	s_mov_b64 s[0:1], 0
	s_branch .LBB30_1033
.LBB30_1030:
	s_mov_b64 s[0:1], -1
                                        ; implicit-def: $vgpr3
	s_branch .LBB30_1039
.LBB30_1031:
	s_mov_b64 s[0:1], -1
                                        ; implicit-def: $vgpr3
	s_branch .LBB30_1036
.LBB30_1032:
	s_mov_b64 s[0:1], -1
                                        ; implicit-def: $vgpr3
.LBB30_1033:
	s_andn2_b64 vcc, exec, s[0:1]
	s_cbranch_vccnz .LBB30_1035
; %bb.1034:
	global_load_dword v3, v[1:2], off
.LBB30_1035:
	s_mov_b64 s[0:1], 0
.LBB30_1036:
	s_andn2_b64 vcc, exec, s[0:1]
	s_cbranch_vccnz .LBB30_1038
; %bb.1037:
	global_load_ushort v3, v[1:2], off
.LBB30_1038:
	s_mov_b64 s[0:1], 0
.LBB30_1039:
	s_andn2_b64 vcc, exec, s[0:1]
	s_cbranch_vccnz .LBB30_1045
; %bb.1040:
	s_cmp_gt_i32 s40, 0
	s_cbranch_scc0 .LBB30_1042
; %bb.1041:
	global_load_ubyte v3, v[1:2], off
	s_mov_b64 s[0:1], 0
	s_branch .LBB30_1043
.LBB30_1042:
	s_mov_b64 s[0:1], -1
                                        ; implicit-def: $vgpr3
.LBB30_1043:
	s_andn2_b64 vcc, exec, s[0:1]
	s_cbranch_vccnz .LBB30_1045
; %bb.1044:
	global_load_ubyte v3, v[1:2], off
.LBB30_1045:
	s_mov_b64 s[0:1], -1
.LBB30_1046:
	s_andn2_b64 vcc, exec, s[0:1]
	s_cbranch_vccnz .LBB30_1051
; %bb.1047:
	s_cmp_lt_i32 s15, 1
	s_mov_b64 s[0:1], 0
	s_cbranch_scc1 .LBB30_1052
; %bb.1048:
	s_cmp_gt_i32 s15, 1
	s_cbranch_scc0 .LBB30_1053
; %bb.1049:
	s_cmp_eq_u32 s15, 2
	s_cbranch_scc0 .LBB30_1054
; %bb.1050:
	s_waitcnt vmcnt(0)
	v_cmp_le_i16_sdwa s[40:41], sext(v0), sext(v3) src0_sel:BYTE_0 src1_sel:BYTE_0
	s_mov_b64 s[42:43], 0
	s_branch .LBB30_1055
.LBB30_1051:
	s_mov_b64 s[42:43], 0
                                        ; implicit-def: $vgpr5
	s_mov_b64 s[0:1], s[28:29]
	s_branch .LBB30_1187
.LBB30_1052:
	s_mov_b64 s[44:45], -1
                                        ; implicit-def: $sgpr40_sgpr41
	s_mov_b64 s[42:43], 0
	s_branch .LBB30_1059
.LBB30_1053:
	s_mov_b64 s[44:45], -1
	s_mov_b64 s[42:43], 0
                                        ; implicit-def: $sgpr40_sgpr41
	s_branch .LBB30_1056
.LBB30_1054:
	s_mov_b64 s[42:43], -1
                                        ; implicit-def: $sgpr40_sgpr41
.LBB30_1055:
	s_mov_b64 s[44:45], 0
.LBB30_1056:
	s_and_b64 vcc, exec, s[44:45]
	s_cbranch_vccz .LBB30_1058
; %bb.1057:
	s_waitcnt vmcnt(0)
	v_cmp_gt_i16_sdwa s[44:45], sext(v0), sext(v3) src0_sel:BYTE_0 src1_sel:BYTE_0
	s_andn2_b64 s[40:41], s[40:41], exec
	s_and_b64 s[44:45], s[44:45], exec
	s_or_b64 s[40:41], s[40:41], s[44:45]
.LBB30_1058:
	s_mov_b64 s[44:45], 0
.LBB30_1059:
	s_and_b64 vcc, exec, s[44:45]
	s_cbranch_vccz .LBB30_1070
; %bb.1060:
	s_cmp_lg_u32 s15, 0
	s_mov_b64 s[0:1], -1
	s_cselect_b64 s[42:43], -1, 0
	s_andn2_b64 vcc, exec, s[42:43]
	s_cbranch_vccz .LBB30_1071
.LBB30_1061:
	s_andn2_b64 vcc, exec, s[0:1]
	s_cbranch_vccnz .LBB30_1063
.LBB30_1062:
	s_waitcnt vmcnt(0)
	v_cmp_ge_i16_sdwa s[0:1], sext(v0), sext(v3) src0_sel:BYTE_0 src1_sel:BYTE_0
	s_andn2_b64 s[40:41], s[40:41], exec
	s_and_b64 s[0:1], s[0:1], exec
	s_or_b64 s[40:41], s[40:41], s[0:1]
.LBB30_1063:
	v_mul_lo_u32 v0, v5, s12
	v_mov_b32_e32 v1, s9
	s_and_b32 s49, s33, 0xff
	s_cmp_lt_i32 s49, 11
	v_ashrrev_i32_e32 v2, 31, v0
	v_add_co_u32_e32 v0, vcc, s8, v0
	v_addc_co_u32_e32 v1, vcc, v1, v2, vcc
	s_cbranch_scc1 .LBB30_1072
; %bb.1064:
	s_and_b32 s50, 0xffff, s49
	s_cmp_gt_i32 s50, 25
	s_cbranch_scc0 .LBB30_1073
; %bb.1065:
	s_cmp_gt_i32 s50, 28
	s_cbranch_scc0 .LBB30_1074
; %bb.1066:
	;; [unrolled: 3-line block ×4, first 2 shown]
	s_mov_b64 s[44:45], 0
	s_mov_b64 s[0:1], -1
	s_cmp_eq_u32 s50, 46
	s_mov_b64 s[42:43], 0
	s_cbranch_scc0 .LBB30_1077
; %bb.1069:
	v_cndmask_b32_e64 v2, 0, 1.0, s[40:41]
	s_waitcnt vmcnt(0)
	v_bfe_u32 v3, v2, 16, 1
	s_movk_i32 s0, 0x7fff
	v_add3_u32 v2, v2, v3, s0
	v_lshrrev_b32_e32 v2, 16, v2
	global_store_dword v[0:1], v2, off
	s_mov_b64 s[42:43], -1
	s_mov_b64 s[0:1], 0
	s_branch .LBB30_1077
.LBB30_1070:
	s_andn2_b64 vcc, exec, s[42:43]
	s_cbranch_vccnz .LBB30_1061
.LBB30_1071:
	s_waitcnt vmcnt(0)
	v_cmp_lt_i16_sdwa s[42:43], sext(v0), sext(v3) src0_sel:BYTE_0 src1_sel:BYTE_0
	s_andn2_b64 s[40:41], s[40:41], exec
	s_and_b64 s[42:43], s[42:43], exec
	s_or_b64 s[40:41], s[40:41], s[42:43]
	s_cbranch_execz .LBB30_1062
	s_branch .LBB30_1063
.LBB30_1072:
	s_mov_b64 s[44:45], -1
	s_mov_b64 s[42:43], 0
	s_mov_b64 s[0:1], s[28:29]
	s_branch .LBB30_1146
.LBB30_1073:
	s_mov_b64 s[44:45], -1
	s_mov_b64 s[42:43], 0
	s_mov_b64 s[0:1], s[28:29]
	s_branch .LBB30_1104
.LBB30_1074:
	s_mov_b64 s[44:45], -1
	s_mov_b64 s[42:43], 0
	s_mov_b64 s[0:1], s[28:29]
	s_branch .LBB30_1087
.LBB30_1075:
	s_mov_b64 s[44:45], -1
	s_mov_b64 s[42:43], 0
	s_mov_b64 s[0:1], s[28:29]
	s_branch .LBB30_1083
.LBB30_1076:
	s_mov_b64 s[44:45], -1
	s_mov_b64 s[42:43], 0
	s_mov_b64 s[0:1], s[28:29]
.LBB30_1077:
	s_and_b64 vcc, exec, s[44:45]
	s_cbranch_vccz .LBB30_1082
; %bb.1078:
	s_cmp_eq_u32 s50, 44
	s_mov_b64 s[0:1], -1
	s_cbranch_scc0 .LBB30_1082
; %bb.1079:
	s_waitcnt vmcnt(0)
	v_cndmask_b32_e64 v3, 0, 1.0, s[40:41]
	v_lshrrev_b32_e32 v2, 23, v3
	s_movk_i32 s0, 0xff
	v_cmp_ne_u32_e32 vcc, s0, v2
	v_mov_b32_e32 v4, 0xff
	s_and_saveexec_b64 s[42:43], vcc
; %bb.1080:
	s_mov_b32 s0, 0x3fffff
	v_and_b32_e32 v4, 0x400000, v3
	v_and_or_b32 v3, v3, s0, v2
	v_cmp_ne_u32_e32 vcc, 0, v4
	v_cmp_ne_u32_e64 s[0:1], 0, v3
	s_and_b64 s[0:1], vcc, s[0:1]
	v_cndmask_b32_e64 v3, 0, 1, s[0:1]
	v_add_u32_e32 v4, v2, v3
; %bb.1081:
	s_or_b64 exec, exec, s[42:43]
	s_mov_b64 s[42:43], -1
	s_mov_b64 s[0:1], 0
	global_store_byte v[0:1], v4, off
.LBB30_1082:
	s_mov_b64 s[44:45], 0
.LBB30_1083:
	s_and_b64 vcc, exec, s[44:45]
	s_cbranch_vccz .LBB30_1086
; %bb.1084:
	s_cmp_eq_u32 s50, 29
	s_mov_b64 s[0:1], -1
	s_cbranch_scc0 .LBB30_1086
; %bb.1085:
	s_mov_b32 s0, 0
	v_cndmask_b32_e64 v2, 0, 1, s[40:41]
	s_waitcnt vmcnt(0)
	v_mov_b32_e32 v3, s0
	global_store_dwordx2 v[0:1], v[2:3], off
	s_mov_b64 s[42:43], -1
	s_mov_b64 s[0:1], 0
.LBB30_1086:
	s_mov_b64 s[44:45], 0
.LBB30_1087:
	s_and_b64 vcc, exec, s[44:45]
	s_cbranch_vccz .LBB30_1103
; %bb.1088:
	s_cmp_lt_i32 s50, 27
	s_mov_b64 s[42:43], -1
	s_cbranch_scc1 .LBB30_1094
; %bb.1089:
	s_cmp_gt_i32 s50, 27
	s_cbranch_scc0 .LBB30_1091
; %bb.1090:
	v_cndmask_b32_e64 v2, 0, 1, s[40:41]
	s_mov_b64 s[42:43], 0
	global_store_dword v[0:1], v2, off
.LBB30_1091:
	s_andn2_b64 vcc, exec, s[42:43]
	s_cbranch_vccnz .LBB30_1093
; %bb.1092:
	v_cndmask_b32_e64 v2, 0, 1, s[40:41]
	global_store_short v[0:1], v2, off
.LBB30_1093:
	s_mov_b64 s[42:43], 0
.LBB30_1094:
	s_andn2_b64 vcc, exec, s[42:43]
	s_cbranch_vccnz .LBB30_1102
; %bb.1095:
	s_waitcnt vmcnt(0)
	v_cndmask_b32_e64 v3, 0, 1.0, s[40:41]
	s_mov_b32 s42, 0x43800000
	v_cmp_gt_u32_e32 vcc, s42, v3
	v_mov_b32_e32 v4, 0x80
	s_and_saveexec_b64 s[42:43], vcc
	s_cbranch_execz .LBB30_1101
; %bb.1096:
	s_mov_b32 s44, 0x3bffffff
	v_cmp_lt_u32_e32 vcc, s44, v3
	s_mov_b64 s[44:45], 0
                                        ; implicit-def: $vgpr2
	s_and_saveexec_b64 s[46:47], vcc
	s_xor_b64 s[46:47], exec, s[46:47]
	s_cbranch_execz .LBB30_1203
; %bb.1097:
	v_bfe_u32 v2, v3, 20, 1
	s_mov_b32 s51, 0x487ffff
	v_add3_u32 v2, v3, v2, s51
	s_mov_b64 s[44:45], exec
	v_lshrrev_b32_e32 v2, 20, v2
                                        ; implicit-def: $vgpr3
	s_andn2_saveexec_b64 s[46:47], s[46:47]
	s_cbranch_execnz .LBB30_1204
.LBB30_1098:
	s_or_b64 exec, exec, s[46:47]
	v_mov_b32_e32 v4, 0
	s_and_saveexec_b64 s[46:47], s[44:45]
.LBB30_1099:
	v_mov_b32_e32 v4, v2
.LBB30_1100:
	s_or_b64 exec, exec, s[46:47]
.LBB30_1101:
	s_or_b64 exec, exec, s[42:43]
	global_store_byte v[0:1], v4, off
.LBB30_1102:
	s_mov_b64 s[42:43], -1
.LBB30_1103:
	s_mov_b64 s[44:45], 0
.LBB30_1104:
	s_and_b64 vcc, exec, s[44:45]
	s_cbranch_vccz .LBB30_1145
; %bb.1105:
	s_cmp_gt_i32 s50, 22
	s_mov_b64 s[44:45], -1
	s_cbranch_scc0 .LBB30_1137
; %bb.1106:
	s_cmp_lt_i32 s50, 24
	s_mov_b64 s[42:43], -1
	s_cbranch_scc1 .LBB30_1126
; %bb.1107:
	s_cmp_gt_i32 s50, 24
	s_cbranch_scc0 .LBB30_1115
; %bb.1108:
	s_waitcnt vmcnt(0)
	v_cndmask_b32_e64 v3, 0, 1.0, s[40:41]
	s_mov_b32 s42, 0x47800000
	v_cmp_gt_u32_e32 vcc, s42, v3
	v_mov_b32_e32 v4, 0x80
	s_and_saveexec_b64 s[42:43], vcc
	s_cbranch_execz .LBB30_1114
; %bb.1109:
	s_mov_b32 s44, 0x37ffffff
	v_cmp_lt_u32_e32 vcc, s44, v3
	s_mov_b64 s[44:45], 0
                                        ; implicit-def: $vgpr2
	s_and_saveexec_b64 s[46:47], vcc
	s_xor_b64 s[46:47], exec, s[46:47]
	s_cbranch_execz .LBB30_2246
; %bb.1110:
	v_bfe_u32 v2, v3, 21, 1
	s_mov_b32 s51, 0x88fffff
	v_add3_u32 v2, v3, v2, s51
	s_mov_b64 s[44:45], exec
	v_lshrrev_b32_e32 v2, 21, v2
                                        ; implicit-def: $vgpr3
	s_andn2_saveexec_b64 s[46:47], s[46:47]
	s_cbranch_execnz .LBB30_2247
.LBB30_1111:
	s_or_b64 exec, exec, s[46:47]
	v_mov_b32_e32 v4, 0
	s_and_saveexec_b64 s[46:47], s[44:45]
.LBB30_1112:
	v_mov_b32_e32 v4, v2
.LBB30_1113:
	s_or_b64 exec, exec, s[46:47]
.LBB30_1114:
	s_or_b64 exec, exec, s[42:43]
	s_mov_b64 s[42:43], 0
	global_store_byte v[0:1], v4, off
.LBB30_1115:
	s_and_b64 vcc, exec, s[42:43]
	s_cbranch_vccz .LBB30_1125
; %bb.1116:
	v_cndmask_b32_e64 v2, 0, 1.0, s[40:41]
	s_mov_b32 s42, 0x43f00000
	v_cmp_gt_u32_e32 vcc, s42, v2
                                        ; implicit-def: $vgpr3
	s_and_saveexec_b64 s[42:43], vcc
	s_xor_b64 s[42:43], exec, s[42:43]
	s_cbranch_execz .LBB30_1122
; %bb.1117:
	s_mov_b32 s44, 0x3c7fffff
	v_cmp_lt_u32_e32 vcc, s44, v2
                                        ; implicit-def: $vgpr3
	s_and_saveexec_b64 s[44:45], vcc
	s_xor_b64 s[44:45], exec, s[44:45]
	s_cbranch_execz .LBB30_1119
; %bb.1118:
	s_waitcnt vmcnt(0)
	v_bfe_u32 v3, v2, 20, 1
	s_mov_b32 s46, 0x407ffff
	v_add3_u32 v2, v2, v3, s46
	v_lshrrev_b32_e32 v3, 20, v2
	v_and_b32_e32 v2, 0xff00000, v2
	s_mov_b32 s46, 0x7f00000
	v_mov_b32_e32 v4, 0x7e
	v_cmp_ne_u32_e32 vcc, s46, v2
	v_cndmask_b32_e32 v3, v4, v3, vcc
                                        ; implicit-def: $vgpr2
.LBB30_1119:
	s_andn2_saveexec_b64 s[44:45], s[44:45]
	s_cbranch_execz .LBB30_1121
; %bb.1120:
	s_waitcnt vmcnt(0)
	v_add_f32_e32 v3, 0x46800000, v2
.LBB30_1121:
	s_or_b64 exec, exec, s[44:45]
                                        ; implicit-def: $vgpr2
.LBB30_1122:
	s_andn2_saveexec_b64 s[42:43], s[42:43]
	s_cbranch_execz .LBB30_1124
; %bb.1123:
	s_mov_b32 s44, 0x7f800000
	s_waitcnt vmcnt(0)
	v_mov_b32_e32 v3, 0x7e
	v_mov_b32_e32 v4, 0x7f
	v_cmp_lt_u32_e32 vcc, s44, v2
	v_cndmask_b32_e32 v3, v3, v4, vcc
.LBB30_1124:
	s_or_b64 exec, exec, s[42:43]
	s_waitcnt vmcnt(0)
	global_store_byte v[0:1], v3, off
.LBB30_1125:
	s_mov_b64 s[42:43], 0
.LBB30_1126:
	s_andn2_b64 vcc, exec, s[42:43]
	s_cbranch_vccnz .LBB30_1136
; %bb.1127:
	v_cndmask_b32_e64 v2, 0, 1.0, s[40:41]
	s_mov_b32 s42, 0x47800000
	v_cmp_gt_u32_e32 vcc, s42, v2
                                        ; implicit-def: $vgpr3
	s_and_saveexec_b64 s[42:43], vcc
	s_xor_b64 s[42:43], exec, s[42:43]
	s_cbranch_execz .LBB30_1133
; %bb.1128:
	s_mov_b32 s44, 0x387fffff
	v_cmp_lt_u32_e32 vcc, s44, v2
                                        ; implicit-def: $vgpr3
	s_and_saveexec_b64 s[44:45], vcc
	s_xor_b64 s[44:45], exec, s[44:45]
	s_cbranch_execz .LBB30_1130
; %bb.1129:
	s_waitcnt vmcnt(0)
	v_bfe_u32 v3, v2, 21, 1
	s_mov_b32 s46, 0x80fffff
	v_add3_u32 v2, v2, v3, s46
	v_lshrrev_b32_e32 v3, 21, v2
                                        ; implicit-def: $vgpr2
.LBB30_1130:
	s_andn2_saveexec_b64 s[44:45], s[44:45]
	s_cbranch_execz .LBB30_1132
; %bb.1131:
	s_waitcnt vmcnt(0)
	v_add_f32_e32 v3, 0x43000000, v2
.LBB30_1132:
	s_or_b64 exec, exec, s[44:45]
                                        ; implicit-def: $vgpr2
.LBB30_1133:
	s_andn2_saveexec_b64 s[42:43], s[42:43]
	s_cbranch_execz .LBB30_1135
; %bb.1134:
	s_mov_b32 s44, 0x7f800000
	s_waitcnt vmcnt(0)
	v_mov_b32_e32 v3, 0x7c
	v_mov_b32_e32 v4, 0x7f
	v_cmp_lt_u32_e32 vcc, s44, v2
	v_cndmask_b32_e32 v3, v3, v4, vcc
.LBB30_1135:
	s_or_b64 exec, exec, s[42:43]
	s_waitcnt vmcnt(0)
	global_store_byte v[0:1], v3, off
.LBB30_1136:
	s_mov_b64 s[44:45], 0
	s_mov_b64 s[42:43], -1
.LBB30_1137:
	s_andn2_b64 vcc, exec, s[44:45]
	s_cbranch_vccnz .LBB30_1145
; %bb.1138:
	s_cmp_gt_i32 s50, 14
	s_mov_b64 s[44:45], -1
	s_cbranch_scc0 .LBB30_1142
; %bb.1139:
	s_cmp_eq_u32 s50, 15
	s_mov_b64 s[0:1], -1
	s_cbranch_scc0 .LBB30_1141
; %bb.1140:
	v_cndmask_b32_e64 v2, 0, 1.0, s[40:41]
	s_waitcnt vmcnt(0)
	v_bfe_u32 v3, v2, 16, 1
	s_movk_i32 s0, 0x7fff
	v_add3_u32 v2, v2, v3, s0
	global_store_short_d16_hi v[0:1], v2, off
	s_mov_b64 s[42:43], -1
	s_mov_b64 s[0:1], 0
.LBB30_1141:
	s_mov_b64 s[44:45], 0
.LBB30_1142:
	s_and_b64 vcc, exec, s[44:45]
	s_cbranch_vccz .LBB30_1145
; %bb.1143:
	s_cmp_eq_u32 s50, 11
	s_mov_b64 s[0:1], -1
	s_cbranch_scc0 .LBB30_1145
; %bb.1144:
	v_cndmask_b32_e64 v2, 0, 1, s[40:41]
	s_mov_b64 s[42:43], -1
	s_mov_b64 s[0:1], 0
	global_store_byte v[0:1], v2, off
.LBB30_1145:
	s_mov_b64 s[44:45], 0
.LBB30_1146:
	s_and_b64 vcc, exec, s[44:45]
	s_cbranch_vccz .LBB30_1185
; %bb.1147:
	s_and_b32 s44, 0xffff, s49
	s_cmp_lt_i32 s44, 5
	s_mov_b64 s[42:43], -1
	s_cbranch_scc1 .LBB30_1168
; %bb.1148:
	s_cmp_lt_i32 s44, 8
	s_cbranch_scc1 .LBB30_1158
; %bb.1149:
	s_cmp_lt_i32 s44, 9
	s_cbranch_scc1 .LBB30_1155
; %bb.1150:
	s_cmp_gt_i32 s44, 9
	s_cbranch_scc0 .LBB30_1152
; %bb.1151:
	v_cndmask_b32_e64 v2, 0, 1, s[40:41]
	v_cvt_f64_u32_e32 v[6:7], v2
	v_mov_b32_e32 v8, 0
	v_mov_b32_e32 v9, v8
	s_mov_b64 s[42:43], 0
	global_store_dwordx4 v[0:1], v[6:9], off
.LBB30_1152:
	s_andn2_b64 vcc, exec, s[42:43]
	s_cbranch_vccnz .LBB30_1154
; %bb.1153:
	v_cndmask_b32_e64 v2, 0, 1.0, s[40:41]
	s_waitcnt vmcnt(0)
	v_mov_b32_e32 v3, 0
	global_store_dwordx2 v[0:1], v[2:3], off
.LBB30_1154:
	s_mov_b64 s[42:43], 0
.LBB30_1155:
	s_andn2_b64 vcc, exec, s[42:43]
	s_cbranch_vccnz .LBB30_1157
; %bb.1156:
	v_cndmask_b32_e64 v2, 0, 1.0, s[40:41]
	v_cvt_f16_f32_e32 v2, v2
	global_store_dword v[0:1], v2, off
.LBB30_1157:
	s_mov_b64 s[42:43], 0
.LBB30_1158:
	s_andn2_b64 vcc, exec, s[42:43]
	s_cbranch_vccnz .LBB30_1167
; %bb.1159:
	s_cmp_lt_i32 s44, 6
	s_mov_b64 s[42:43], -1
	s_cbranch_scc1 .LBB30_1165
; %bb.1160:
	s_cmp_gt_i32 s44, 6
	s_cbranch_scc0 .LBB30_1162
; %bb.1161:
	v_cndmask_b32_e64 v2, 0, 1, s[40:41]
	s_waitcnt vmcnt(0)
	v_cvt_f64_u32_e32 v[2:3], v2
	s_mov_b64 s[42:43], 0
	global_store_dwordx2 v[0:1], v[2:3], off
.LBB30_1162:
	s_andn2_b64 vcc, exec, s[42:43]
	s_cbranch_vccnz .LBB30_1164
; %bb.1163:
	v_cndmask_b32_e64 v2, 0, 1.0, s[40:41]
	global_store_dword v[0:1], v2, off
.LBB30_1164:
	s_mov_b64 s[42:43], 0
.LBB30_1165:
	s_andn2_b64 vcc, exec, s[42:43]
	s_cbranch_vccnz .LBB30_1167
; %bb.1166:
	v_cndmask_b32_e64 v2, 0, 1.0, s[40:41]
	v_cvt_f16_f32_e32 v2, v2
	global_store_short v[0:1], v2, off
.LBB30_1167:
	s_mov_b64 s[42:43], 0
.LBB30_1168:
	s_andn2_b64 vcc, exec, s[42:43]
	s_cbranch_vccnz .LBB30_1184
; %bb.1169:
	s_cmp_lt_i32 s44, 2
	s_mov_b64 s[42:43], -1
	s_cbranch_scc1 .LBB30_1179
; %bb.1170:
	s_cmp_lt_i32 s44, 3
	s_cbranch_scc1 .LBB30_1176
; %bb.1171:
	s_cmp_gt_i32 s44, 3
	s_cbranch_scc0 .LBB30_1173
; %bb.1172:
	s_mov_b32 s42, 0
	v_cndmask_b32_e64 v2, 0, 1, s[40:41]
	s_waitcnt vmcnt(0)
	v_mov_b32_e32 v3, s42
	s_mov_b64 s[42:43], 0
	global_store_dwordx2 v[0:1], v[2:3], off
.LBB30_1173:
	s_andn2_b64 vcc, exec, s[42:43]
	s_cbranch_vccnz .LBB30_1175
; %bb.1174:
	v_cndmask_b32_e64 v2, 0, 1, s[40:41]
	global_store_dword v[0:1], v2, off
.LBB30_1175:
	s_mov_b64 s[42:43], 0
.LBB30_1176:
	s_andn2_b64 vcc, exec, s[42:43]
	s_cbranch_vccnz .LBB30_1178
; %bb.1177:
	v_cndmask_b32_e64 v2, 0, 1, s[40:41]
	global_store_short v[0:1], v2, off
.LBB30_1178:
	s_mov_b64 s[42:43], 0
.LBB30_1179:
	s_andn2_b64 vcc, exec, s[42:43]
	s_cbranch_vccnz .LBB30_1184
; %bb.1180:
	s_mov_b64 s[42:43], -1
	s_cmp_gt_i32 s44, 0
	v_cndmask_b32_e64 v2, 0, 1, s[40:41]
	s_cbranch_scc0 .LBB30_1182
; %bb.1181:
	s_mov_b64 s[42:43], 0
	global_store_byte v[0:1], v2, off
.LBB30_1182:
	s_andn2_b64 vcc, exec, s[42:43]
	s_cbranch_vccnz .LBB30_1184
; %bb.1183:
	global_store_byte v[0:1], v2, off
.LBB30_1184:
	s_mov_b64 s[42:43], -1
.LBB30_1185:
	s_andn2_b64 vcc, exec, s[42:43]
	s_cbranch_vccnz .LBB30_1198
; %bb.1186:
	v_add_u32_e32 v5, 0x80, v5
	s_mov_b64 s[42:43], -1
.LBB30_1187:
	s_andn2_b64 s[40:41], s[28:29], exec
	s_and_b64 s[0:1], s[0:1], exec
	s_or_b64 s[40:41], s[40:41], s[0:1]
	s_andn2_b64 s[0:1], s[26:27], exec
	s_and_b64 s[38:39], s[38:39], exec
	s_or_b64 s[38:39], s[0:1], s[38:39]
	;; [unrolled: 3-line block ×3, first 2 shown]
	s_orn2_b64 s[46:47], s[42:43], exec
.LBB30_1188:
	s_or_b64 exec, exec, s[34:35]
	s_mov_b64 s[42:43], 0
	s_mov_b64 s[36:37], 0
	;; [unrolled: 1-line block ×3, first 2 shown]
                                        ; implicit-def: $sgpr56
                                        ; implicit-def: $vgpr2_vgpr3
                                        ; implicit-def: $vgpr0
	s_and_saveexec_b64 s[34:35], s[46:47]
	s_cbranch_execz .LBB30_1268
; %bb.1189:
	v_cmp_gt_i32_e32 vcc, s48, v5
	s_mov_b64 s[46:47], 0
	s_mov_b64 s[48:49], s[0:1]
	;; [unrolled: 1-line block ×4, first 2 shown]
                                        ; implicit-def: $sgpr56
                                        ; implicit-def: $vgpr2_vgpr3
                                        ; implicit-def: $vgpr0
	s_and_saveexec_b64 s[36:37], vcc
	s_cbranch_execz .LBB30_1267
; %bb.1190:
	s_waitcnt vmcnt(0)
	v_mul_lo_u32 v0, v5, s13
	v_mov_b32_e32 v1, s11
	s_and_b32 s56, s55, 0xff
	s_cmp_lt_i32 s56, 11
	v_ashrrev_i32_e32 v3, 31, v0
	v_add_co_u32_e32 v2, vcc, s10, v0
	v_addc_co_u32_e32 v3, vcc, v1, v3, vcc
	s_cbranch_scc1 .LBB30_1197
; %bb.1191:
	s_and_b32 s50, 0xffff, s56
	s_cmp_gt_i32 s50, 25
	s_cbranch_scc0 .LBB30_1199
; %bb.1192:
	s_cmp_gt_i32 s50, 28
	s_cbranch_scc0 .LBB30_1200
; %bb.1193:
	;; [unrolled: 3-line block ×4, first 2 shown]
	s_cmp_eq_u32 s50, 46
	s_mov_b64 s[48:49], 0
	s_cbranch_scc0 .LBB30_1205
; %bb.1196:
	global_load_dword v0, v[2:3], off
	s_mov_b64 s[46:47], -1
	s_waitcnt vmcnt(0)
	v_lshlrev_b32_e32 v0, 16, v0
	v_cvt_i32_f32_e32 v0, v0
	s_branch .LBB30_1207
.LBB30_1197:
	s_mov_b64 s[48:49], -1
                                        ; implicit-def: $vgpr0
	s_mov_b64 s[42:43], s[0:1]
	s_branch .LBB30_1266
.LBB30_1198:
	s_mov_b64 s[42:43], 0
	s_branch .LBB30_927
.LBB30_1199:
	s_mov_b64 s[48:49], -1
	s_mov_b64 s[42:43], s[0:1]
                                        ; implicit-def: $vgpr0
	s_branch .LBB30_1234
.LBB30_1200:
	s_mov_b64 s[48:49], -1
	s_mov_b64 s[42:43], s[0:1]
                                        ; implicit-def: $vgpr0
	s_branch .LBB30_1217
.LBB30_1201:
	s_mov_b64 s[48:49], -1
	s_mov_b64 s[42:43], s[0:1]
                                        ; implicit-def: $vgpr0
	s_branch .LBB30_1212
.LBB30_1202:
	s_mov_b64 s[48:49], -1
	s_mov_b64 s[42:43], s[0:1]
	s_branch .LBB30_1206
.LBB30_1203:
	s_andn2_saveexec_b64 s[46:47], s[46:47]
	s_cbranch_execz .LBB30_1098
.LBB30_1204:
	v_add_f32_e32 v2, 0x46000000, v3
	v_and_b32_e32 v2, 0xff, v2
	v_cmp_ne_u32_e32 vcc, 0, v2
	s_andn2_b64 s[44:45], s[44:45], exec
	s_and_b64 s[52:53], vcc, exec
	s_or_b64 s[44:45], s[44:45], s[52:53]
	s_or_b64 exec, exec, s[46:47]
	v_mov_b32_e32 v4, 0
	s_and_saveexec_b64 s[46:47], s[44:45]
	s_cbranch_execnz .LBB30_1099
	s_branch .LBB30_1100
.LBB30_1205:
	s_mov_b64 s[42:43], -1
.LBB30_1206:
                                        ; implicit-def: $vgpr0
.LBB30_1207:
	s_and_b64 vcc, exec, s[48:49]
	s_cbranch_vccz .LBB30_1211
; %bb.1208:
	s_cmp_eq_u32 s50, 44
	s_cbranch_scc0 .LBB30_1210
; %bb.1209:
	global_load_ubyte v0, v[2:3], off
	s_mov_b64 s[42:43], 0
	s_mov_b64 s[46:47], -1
	s_waitcnt vmcnt(0)
	v_lshlrev_b32_e32 v1, 23, v0
	v_cvt_i32_f32_e32 v1, v1
	v_cmp_ne_u32_e32 vcc, 0, v0
	v_cndmask_b32_e32 v0, 0, v1, vcc
	s_branch .LBB30_1211
.LBB30_1210:
	s_mov_b64 s[42:43], -1
                                        ; implicit-def: $vgpr0
.LBB30_1211:
	s_mov_b64 s[48:49], 0
.LBB30_1212:
	s_and_b64 vcc, exec, s[48:49]
	s_cbranch_vccz .LBB30_1216
; %bb.1213:
	s_cmp_eq_u32 s50, 29
	s_cbranch_scc0 .LBB30_1215
; %bb.1214:
	global_load_dwordx2 v[0:1], v[2:3], off
	s_mov_b64 s[42:43], 0
	s_mov_b64 s[46:47], -1
	s_branch .LBB30_1216
.LBB30_1215:
	s_mov_b64 s[42:43], -1
                                        ; implicit-def: $vgpr0
.LBB30_1216:
	s_mov_b64 s[48:49], 0
.LBB30_1217:
	s_and_b64 vcc, exec, s[48:49]
	s_cbranch_vccz .LBB30_1233
; %bb.1218:
	s_cmp_lt_i32 s50, 27
	s_cbranch_scc1 .LBB30_1221
; %bb.1219:
	s_cmp_gt_i32 s50, 27
	s_cbranch_scc0 .LBB30_1222
; %bb.1220:
	global_load_dword v0, v[2:3], off
	s_mov_b64 s[46:47], 0
	s_branch .LBB30_1223
.LBB30_1221:
	s_mov_b64 s[46:47], -1
                                        ; implicit-def: $vgpr0
	s_branch .LBB30_1226
.LBB30_1222:
	s_mov_b64 s[46:47], -1
                                        ; implicit-def: $vgpr0
.LBB30_1223:
	s_andn2_b64 vcc, exec, s[46:47]
	s_cbranch_vccnz .LBB30_1225
; %bb.1224:
	global_load_ushort v0, v[2:3], off
.LBB30_1225:
	s_mov_b64 s[46:47], 0
.LBB30_1226:
	s_andn2_b64 vcc, exec, s[46:47]
	s_cbranch_vccnz .LBB30_1232
; %bb.1227:
	global_load_ubyte v1, v[2:3], off
	s_movk_i32 s46, 0x7f
	s_mov_b64 s[48:49], 0
	s_waitcnt vmcnt(0)
	v_cmp_lt_i16_e32 vcc, s46, v1
	s_and_saveexec_b64 s[46:47], vcc
	s_xor_b64 s[46:47], exec, s[46:47]
	s_cbranch_execz .LBB30_1244
; %bb.1228:
	s_movk_i32 s48, 0x80
	v_cmp_ne_u16_e32 vcc, s48, v1
	s_and_b64 s[48:49], vcc, exec
	s_andn2_saveexec_b64 s[46:47], s[46:47]
	s_cbranch_execnz .LBB30_1245
.LBB30_1229:
	s_or_b64 exec, exec, s[46:47]
	v_mov_b32_e32 v0, 0
	s_and_saveexec_b64 s[46:47], s[48:49]
	s_cbranch_execz .LBB30_1231
.LBB30_1230:
	v_lshlrev_b32_e32 v0, 24, v1
	v_and_b32_e32 v1, 0xffff, v1
	v_and_b32_e32 v4, 7, v1
	v_ffbh_u32_e32 v7, v4
	v_min_u32_e32 v7, 32, v7
	v_subrev_u32_e32 v8, 28, v7
	v_bfe_u32 v6, v1, 3, 4
	v_lshlrev_b32_e32 v1, v8, v1
	v_sub_u32_e32 v7, 29, v7
	v_and_b32_e32 v1, 7, v1
	v_cmp_eq_u32_e32 vcc, 0, v6
	v_cndmask_b32_e32 v6, v6, v7, vcc
	v_cndmask_b32_e32 v1, v4, v1, vcc
	v_mov_b32_e32 v4, 0x3b800000
	v_lshlrev_b32_e32 v1, 20, v1
	v_and_b32_e32 v0, 0x80000000, v0
	v_lshl_add_u32 v4, v6, 23, v4
	v_or3_b32 v0, v0, v4, v1
	v_cvt_i32_f32_e32 v0, v0
.LBB30_1231:
	s_or_b64 exec, exec, s[46:47]
.LBB30_1232:
	s_mov_b64 s[46:47], -1
.LBB30_1233:
	s_mov_b64 s[48:49], 0
.LBB30_1234:
	s_and_b64 vcc, exec, s[48:49]
	s_cbranch_vccz .LBB30_1265
; %bb.1235:
	s_cmp_gt_i32 s50, 22
	s_cbranch_scc0 .LBB30_1243
; %bb.1236:
	s_cmp_lt_i32 s50, 24
	s_cbranch_scc1 .LBB30_1246
; %bb.1237:
	s_cmp_gt_i32 s50, 24
	s_cbranch_scc0 .LBB30_1247
; %bb.1238:
	global_load_ubyte v1, v[2:3], off
	s_movk_i32 s44, 0x7f
	s_mov_b64 s[46:47], 0
	s_waitcnt vmcnt(0)
	v_cmp_lt_i16_e32 vcc, s44, v1
	s_and_saveexec_b64 s[44:45], vcc
	s_xor_b64 s[44:45], exec, s[44:45]
	s_cbranch_execz .LBB30_1259
; %bb.1239:
	s_movk_i32 s46, 0x80
	v_cmp_ne_u16_e32 vcc, s46, v1
	s_and_b64 s[46:47], vcc, exec
	s_andn2_saveexec_b64 s[44:45], s[44:45]
	s_cbranch_execnz .LBB30_1260
.LBB30_1240:
	s_or_b64 exec, exec, s[44:45]
	v_mov_b32_e32 v0, 0
	s_and_saveexec_b64 s[44:45], s[46:47]
	s_cbranch_execz .LBB30_1242
.LBB30_1241:
	v_lshlrev_b32_e32 v0, 24, v1
	v_and_b32_e32 v1, 0xffff, v1
	v_and_b32_e32 v4, 3, v1
	v_ffbh_u32_e32 v7, v4
	v_min_u32_e32 v7, 32, v7
	v_subrev_u32_e32 v8, 29, v7
	v_bfe_u32 v6, v1, 2, 5
	v_lshlrev_b32_e32 v1, v8, v1
	v_sub_u32_e32 v7, 30, v7
	v_and_b32_e32 v1, 3, v1
	v_cmp_eq_u32_e32 vcc, 0, v6
	v_cndmask_b32_e32 v6, v6, v7, vcc
	v_cndmask_b32_e32 v1, v4, v1, vcc
	v_mov_b32_e32 v4, 0x37800000
	v_lshlrev_b32_e32 v1, 21, v1
	v_and_b32_e32 v0, 0x80000000, v0
	v_lshl_add_u32 v4, v6, 23, v4
	v_or3_b32 v0, v0, v4, v1
	v_cvt_i32_f32_e32 v0, v0
.LBB30_1242:
	s_or_b64 exec, exec, s[44:45]
	s_mov_b64 s[44:45], 0
	s_branch .LBB30_1248
.LBB30_1243:
	s_mov_b64 s[44:45], -1
                                        ; implicit-def: $vgpr0
	s_branch .LBB30_1254
.LBB30_1244:
	s_andn2_saveexec_b64 s[46:47], s[46:47]
	s_cbranch_execz .LBB30_1229
.LBB30_1245:
	v_cmp_ne_u16_e32 vcc, 0, v1
	s_andn2_b64 s[48:49], s[48:49], exec
	s_and_b64 s[52:53], vcc, exec
	s_or_b64 s[48:49], s[48:49], s[52:53]
	s_or_b64 exec, exec, s[46:47]
	v_mov_b32_e32 v0, 0
	s_and_saveexec_b64 s[46:47], s[48:49]
	s_cbranch_execnz .LBB30_1230
	s_branch .LBB30_1231
.LBB30_1246:
	s_mov_b64 s[44:45], -1
                                        ; implicit-def: $vgpr0
	s_branch .LBB30_1251
.LBB30_1247:
	s_mov_b64 s[44:45], -1
                                        ; implicit-def: $vgpr0
.LBB30_1248:
	s_and_b64 vcc, exec, s[44:45]
	s_cbranch_vccz .LBB30_1250
; %bb.1249:
	global_load_ubyte v0, v[2:3], off
	s_mov_b32 s44, 0x7f800000
	s_waitcnt vmcnt(0)
	v_lshlrev_b32_e32 v0, 24, v0
	v_and_b32_e32 v1, 0x7f000000, v0
	v_ffbh_u32_e32 v4, v1
	v_min_u32_e32 v4, 32, v4
	v_sub_u32_e64 v4, v4, 4 clamp
	v_lshlrev_b32_e32 v7, v4, v1
	v_lshlrev_b32_e32 v4, 23, v4
	v_lshrrev_b32_e32 v7, 4, v7
	v_add_u32_e32 v6, 0x1000000, v1
	v_sub_u32_e32 v4, v7, v4
	v_ashrrev_i32_e32 v6, 8, v6
	v_add_u32_e32 v4, 0x3c000000, v4
	v_and_or_b32 v4, v6, s44, v4
	v_cmp_ne_u32_e32 vcc, 0, v1
	v_cndmask_b32_e32 v1, 0, v4, vcc
	s_brev_b32 s44, 1
	v_and_or_b32 v0, v0, s44, v1
	v_cvt_i32_f32_e32 v0, v0
.LBB30_1250:
	s_mov_b64 s[44:45], 0
.LBB30_1251:
	s_andn2_b64 vcc, exec, s[44:45]
	s_cbranch_vccnz .LBB30_1253
; %bb.1252:
	global_load_ubyte v0, v[2:3], off
	s_movk_i32 s44, 0x7f00
	s_brev_b32 s45, 16
	s_waitcnt vmcnt(0)
	v_lshlrev_b16_e32 v1, 8, v0
	v_lshlrev_b32_e32 v0, 25, v0
	v_lshrrev_b32_e32 v4, 4, v0
	v_and_or_b32 v6, v1, s44, 0.5
	v_or_b32_e32 v4, 0x70000000, v4
	v_add_f32_e32 v6, -0.5, v6
	v_mul_f32_e32 v4, 0x7800000, v4
	v_cmp_gt_u32_e32 vcc, s45, v0
	v_bfe_i32 v1, v1, 0, 16
	v_cndmask_b32_e32 v0, v4, v6, vcc
	s_brev_b32 s44, 1
	v_and_or_b32 v0, v1, s44, v0
	v_cvt_i32_f32_e32 v0, v0
.LBB30_1253:
	s_mov_b64 s[44:45], 0
	s_mov_b64 s[46:47], -1
.LBB30_1254:
	s_andn2_b64 vcc, exec, s[44:45]
	s_mov_b64 s[44:45], 0
	s_cbranch_vccnz .LBB30_1265
; %bb.1255:
	s_cmp_gt_i32 s50, 14
	s_cbranch_scc0 .LBB30_1258
; %bb.1256:
	s_cmp_eq_u32 s50, 15
	s_cbranch_scc0 .LBB30_1261
; %bb.1257:
	global_load_ushort v0, v[2:3], off
	s_mov_b64 s[42:43], 0
	s_mov_b64 s[46:47], -1
	s_waitcnt vmcnt(0)
	v_lshlrev_b32_e32 v0, 16, v0
	v_cvt_i32_f32_e32 v0, v0
	s_branch .LBB30_1262
.LBB30_1258:
	s_mov_b64 s[48:49], -1
                                        ; implicit-def: $vgpr0
	s_branch .LBB30_1263
.LBB30_1259:
	s_andn2_saveexec_b64 s[44:45], s[44:45]
	s_cbranch_execz .LBB30_1240
.LBB30_1260:
	v_cmp_ne_u16_e32 vcc, 0, v1
	s_andn2_b64 s[46:47], s[46:47], exec
	s_and_b64 s[48:49], vcc, exec
	s_or_b64 s[46:47], s[46:47], s[48:49]
	s_or_b64 exec, exec, s[44:45]
	v_mov_b32_e32 v0, 0
	s_and_saveexec_b64 s[44:45], s[46:47]
	s_cbranch_execnz .LBB30_1241
	s_branch .LBB30_1242
.LBB30_1261:
	s_mov_b64 s[42:43], -1
                                        ; implicit-def: $vgpr0
.LBB30_1262:
	s_mov_b64 s[48:49], 0
.LBB30_1263:
	s_and_b64 vcc, exec, s[48:49]
	s_cbranch_vccz .LBB30_1265
; %bb.1264:
	s_cmp_lg_u32 s50, 11
	s_cselect_b64 s[48:49], -1, 0
	s_andn2_b64 s[42:43], s[42:43], exec
	s_and_b64 s[48:49], s[48:49], exec
	s_mov_b64 s[44:45], -1
	s_or_b64 s[42:43], s[42:43], s[48:49]
.LBB30_1265:
	s_mov_b64 s[48:49], 0
.LBB30_1266:
	s_and_b64 s[52:53], s[46:47], exec
	s_and_b64 s[46:47], s[44:45], exec
	s_andn2_b64 s[44:45], s[0:1], exec
	s_and_b64 s[42:43], s[42:43], exec
	s_and_b64 s[50:51], s[48:49], exec
	s_or_b64 s[48:49], s[44:45], s[42:43]
.LBB30_1267:
	s_or_b64 exec, exec, s[36:37]
	s_and_b64 s[42:43], s[46:47], exec
	s_andn2_b64 s[0:1], s[0:1], exec
	s_and_b64 s[46:47], s[48:49], exec
	s_and_b64 s[44:45], s[52:53], exec
	;; [unrolled: 1-line block ×3, first 2 shown]
	s_or_b64 s[0:1], s[0:1], s[46:47]
.LBB30_1268:
	s_or_b64 exec, exec, s[34:35]
	s_andn2_b64 s[28:29], s[28:29], exec
	s_and_b64 s[34:35], s[40:41], exec
	s_or_b64 s[28:29], s[28:29], s[34:35]
	s_andn2_b64 s[26:27], s[26:27], exec
	s_and_b64 s[34:35], s[38:39], exec
	s_andn2_b64 s[24:25], s[24:25], exec
	s_and_b64 s[0:1], s[0:1], exec
	s_or_b64 s[26:27], s[26:27], s[34:35]
	s_and_b64 s[38:39], s[44:45], exec
	s_and_b64 s[36:37], s[36:37], exec
	;; [unrolled: 1-line block ×3, first 2 shown]
	s_or_b64 s[24:25], s[24:25], s[0:1]
.LBB30_1269:
	s_or_b64 exec, exec, s[30:31]
	s_andn2_b64 s[0:1], s[16:17], exec
	s_and_b64 s[16:17], s[28:29], exec
	s_or_b64 s[16:17], s[0:1], s[16:17]
	s_andn2_b64 s[0:1], s[18:19], exec
	s_and_b64 s[18:19], s[26:27], exec
	s_or_b64 s[18:19], s[0:1], s[18:19]
	s_andn2_b64 s[0:1], s[20:21], exec
	s_and_b64 s[20:21], s[24:25], exec
	s_and_b64 s[28:29], s[38:39], exec
	;; [unrolled: 1-line block ×4, first 2 shown]
	s_or_b64 s[20:21], s[0:1], s[20:21]
	s_or_b64 exec, exec, s[22:23]
	s_mov_b64 s[22:23], 0
	s_and_saveexec_b64 s[0:1], s[20:21]
	s_cbranch_execz .LBB30_401
.LBB30_1270:
	s_mov_b64 s[22:23], exec
	s_andn2_b64 s[26:27], s[26:27], exec
	s_trap 2
	s_or_b64 exec, exec, s[0:1]
	s_and_saveexec_b64 s[0:1], s[26:27]
	s_xor_b64 s[0:1], exec, s[0:1]
	s_cbranch_execnz .LBB30_402
.LBB30_1271:
	s_or_b64 exec, exec, s[0:1]
	s_and_saveexec_b64 s[0:1], s[30:31]
	s_cbranch_execz .LBB30_1317
.LBB30_1272:
	s_sext_i32_i16 s20, s56
	s_cmp_lt_i32 s20, 5
	s_cbranch_scc1 .LBB30_1277
; %bb.1273:
	s_cmp_lt_i32 s20, 8
	s_cbranch_scc1 .LBB30_1278
; %bb.1274:
	;; [unrolled: 3-line block ×3, first 2 shown]
	s_cmp_gt_i32 s20, 9
	s_cbranch_scc0 .LBB30_1280
; %bb.1276:
	s_waitcnt vmcnt(0)
	global_load_dwordx2 v[0:1], v[2:3], off
	s_mov_b64 s[20:21], 0
	s_waitcnt vmcnt(0)
	v_cvt_i32_f64_e32 v0, v[0:1]
	s_branch .LBB30_1281
.LBB30_1277:
                                        ; implicit-def: $vgpr0
	s_branch .LBB30_1298
.LBB30_1278:
                                        ; implicit-def: $vgpr0
	s_branch .LBB30_1287
.LBB30_1279:
	s_mov_b64 s[20:21], -1
                                        ; implicit-def: $vgpr0
	s_branch .LBB30_1284
.LBB30_1280:
	s_mov_b64 s[20:21], -1
                                        ; implicit-def: $vgpr0
.LBB30_1281:
	s_andn2_b64 vcc, exec, s[20:21]
	s_cbranch_vccnz .LBB30_1283
; %bb.1282:
	s_waitcnt vmcnt(0)
	global_load_dword v0, v[2:3], off
	s_waitcnt vmcnt(0)
	v_cvt_i32_f32_e32 v0, v0
.LBB30_1283:
	s_mov_b64 s[20:21], 0
.LBB30_1284:
	s_andn2_b64 vcc, exec, s[20:21]
	s_cbranch_vccnz .LBB30_1286
; %bb.1285:
	s_waitcnt vmcnt(0)
	global_load_dword v0, v[2:3], off
	s_waitcnt vmcnt(0)
	v_cvt_i16_f16_e32 v0, v0
.LBB30_1286:
	s_cbranch_execnz .LBB30_1297
.LBB30_1287:
	s_sext_i32_i16 s20, s56
	s_cmp_lt_i32 s20, 6
	s_cbranch_scc1 .LBB30_1290
; %bb.1288:
	s_cmp_gt_i32 s20, 6
	s_cbranch_scc0 .LBB30_1291
; %bb.1289:
	s_waitcnt vmcnt(0)
	global_load_dwordx2 v[0:1], v[2:3], off
	s_mov_b64 s[20:21], 0
	s_waitcnt vmcnt(0)
	v_cvt_i32_f64_e32 v0, v[0:1]
	s_branch .LBB30_1292
.LBB30_1290:
	s_mov_b64 s[20:21], -1
                                        ; implicit-def: $vgpr0
	s_branch .LBB30_1295
.LBB30_1291:
	s_mov_b64 s[20:21], -1
                                        ; implicit-def: $vgpr0
.LBB30_1292:
	s_andn2_b64 vcc, exec, s[20:21]
	s_cbranch_vccnz .LBB30_1294
; %bb.1293:
	s_waitcnt vmcnt(0)
	global_load_dword v0, v[2:3], off
	s_waitcnt vmcnt(0)
	v_cvt_i32_f32_e32 v0, v0
.LBB30_1294:
	s_mov_b64 s[20:21], 0
.LBB30_1295:
	s_andn2_b64 vcc, exec, s[20:21]
	s_cbranch_vccnz .LBB30_1297
; %bb.1296:
	s_waitcnt vmcnt(0)
	global_load_ushort v0, v[2:3], off
	s_waitcnt vmcnt(0)
	v_cvt_i16_f16_e32 v0, v0
.LBB30_1297:
	s_cbranch_execnz .LBB30_1316
.LBB30_1298:
	s_sext_i32_i16 s20, s56
	s_cmp_lt_i32 s20, 2
	s_cbranch_scc1 .LBB30_1302
; %bb.1299:
	s_cmp_lt_i32 s20, 3
	s_cbranch_scc1 .LBB30_1303
; %bb.1300:
	s_cmp_gt_i32 s20, 3
	s_cbranch_scc0 .LBB30_1304
; %bb.1301:
	s_waitcnt vmcnt(0)
	global_load_dwordx2 v[0:1], v[2:3], off
	s_mov_b64 s[20:21], 0
	s_branch .LBB30_1305
.LBB30_1302:
                                        ; implicit-def: $vgpr0
	s_branch .LBB30_1311
.LBB30_1303:
	s_mov_b64 s[20:21], -1
                                        ; implicit-def: $vgpr0
	s_branch .LBB30_1308
.LBB30_1304:
	s_mov_b64 s[20:21], -1
                                        ; implicit-def: $vgpr0
.LBB30_1305:
	s_andn2_b64 vcc, exec, s[20:21]
	s_cbranch_vccnz .LBB30_1307
; %bb.1306:
	s_waitcnt vmcnt(0)
	global_load_dword v0, v[2:3], off
.LBB30_1307:
	s_mov_b64 s[20:21], 0
.LBB30_1308:
	s_andn2_b64 vcc, exec, s[20:21]
	s_cbranch_vccnz .LBB30_1310
; %bb.1309:
	s_waitcnt vmcnt(0)
	global_load_ushort v0, v[2:3], off
.LBB30_1310:
	s_cbranch_execnz .LBB30_1316
.LBB30_1311:
	s_sext_i32_i16 s20, s56
	s_cmp_gt_i32 s20, 0
	s_cbranch_scc0 .LBB30_1313
; %bb.1312:
	s_waitcnt vmcnt(0)
	global_load_ubyte v0, v[2:3], off
	s_mov_b64 s[20:21], 0
	s_branch .LBB30_1314
.LBB30_1313:
	s_mov_b64 s[20:21], -1
                                        ; implicit-def: $vgpr0
.LBB30_1314:
	s_andn2_b64 vcc, exec, s[20:21]
	s_cbranch_vccnz .LBB30_1316
; %bb.1315:
	s_waitcnt vmcnt(0)
	global_load_ubyte v0, v[2:3], off
.LBB30_1316:
	s_or_b64 s[28:29], s[28:29], exec
.LBB30_1317:
	s_or_b64 exec, exec, s[0:1]
	s_mov_b64 s[26:27], 0
	s_mov_b64 s[30:31], 0
	;; [unrolled: 1-line block ×3, first 2 shown]
                                        ; implicit-def: $sgpr34
                                        ; implicit-def: $vgpr1_vgpr2
                                        ; implicit-def: $vgpr3
	s_and_saveexec_b64 s[0:1], s[28:29]
	s_cbranch_execz .LBB30_1325
; %bb.1318:
	s_waitcnt vmcnt(0)
	v_mul_lo_u32 v1, v5, s14
	v_mov_b32_e32 v2, s3
	s_and_b32 s34, s54, 0xff
	s_cmp_lt_i32 s34, 11
	v_ashrrev_i32_e32 v3, 31, v1
	v_add_co_u32_e32 v1, vcc, s2, v1
	v_addc_co_u32_e32 v2, vcc, v2, v3, vcc
	s_cbranch_scc1 .LBB30_1328
; %bb.1319:
	s_and_b32 s30, 0xffff, s34
	s_cmp_gt_i32 s30, 25
	s_cbranch_scc0 .LBB30_1329
; %bb.1320:
	s_cmp_gt_i32 s30, 28
	s_cbranch_scc0 .LBB30_1330
; %bb.1321:
	;; [unrolled: 3-line block ×4, first 2 shown]
	s_cmp_eq_u32 s30, 46
	s_mov_b64 s[28:29], 0
	s_cbranch_scc0 .LBB30_1333
; %bb.1324:
	global_load_dword v3, v[1:2], off
	s_mov_b64 s[20:21], 0
	s_mov_b64 s[24:25], -1
	s_waitcnt vmcnt(0)
	v_lshlrev_b32_e32 v3, 16, v3
	v_cvt_i32_f32_e32 v3, v3
	s_branch .LBB30_1335
.LBB30_1325:
	s_or_b64 exec, exec, s[0:1]
	s_and_saveexec_b64 s[0:1], s[18:19]
	s_cbranch_execnz .LBB30_1394
.LBB30_1326:
	s_or_b64 exec, exec, s[0:1]
	s_and_saveexec_b64 s[0:1], s[26:27]
	s_xor_b64 s[0:1], exec, s[0:1]
	s_cbranch_execz .LBB30_1395
.LBB30_1327:
	s_waitcnt vmcnt(0)
	global_load_ubyte v3, v[1:2], off
	s_or_b64 s[24:25], s[24:25], exec
	s_waitcnt vmcnt(0)
	v_cmp_ne_u16_e32 vcc, 0, v3
	v_cndmask_b32_e64 v3, 0, 1, vcc
	s_or_b64 exec, exec, s[0:1]
	s_and_saveexec_b64 s[0:1], s[30:31]
	s_cbranch_execz .LBB30_1441
	s_branch .LBB30_1396
.LBB30_1328:
	s_mov_b64 s[28:29], -1
                                        ; implicit-def: $vgpr3
	s_mov_b64 s[20:21], s[18:19]
	s_branch .LBB30_1393
.LBB30_1329:
	s_mov_b64 s[20:21], s[18:19]
                                        ; implicit-def: $vgpr3
	s_cbranch_execnz .LBB30_1362
	s_branch .LBB30_1392
.LBB30_1330:
	s_mov_b64 s[28:29], -1
	s_mov_b64 s[20:21], s[18:19]
                                        ; implicit-def: $vgpr3
	s_branch .LBB30_1345
.LBB30_1331:
	s_mov_b64 s[28:29], -1
	s_mov_b64 s[20:21], s[18:19]
                                        ; implicit-def: $vgpr3
	s_branch .LBB30_1340
.LBB30_1332:
	s_mov_b64 s[28:29], -1
	s_mov_b64 s[20:21], s[18:19]
	s_branch .LBB30_1334
.LBB30_1333:
	s_mov_b64 s[20:21], -1
.LBB30_1334:
                                        ; implicit-def: $vgpr3
.LBB30_1335:
	s_and_b64 vcc, exec, s[28:29]
	s_cbranch_vccz .LBB30_1339
; %bb.1336:
	s_cmp_eq_u32 s30, 44
	s_cbranch_scc0 .LBB30_1338
; %bb.1337:
	global_load_ubyte v3, v[1:2], off
	s_mov_b64 s[20:21], 0
	s_mov_b64 s[24:25], -1
	s_waitcnt vmcnt(0)
	v_lshlrev_b32_e32 v4, 23, v3
	v_cvt_i32_f32_e32 v4, v4
	v_cmp_ne_u32_e32 vcc, 0, v3
	v_cndmask_b32_e32 v3, 0, v4, vcc
	s_branch .LBB30_1339
.LBB30_1338:
	s_mov_b64 s[20:21], -1
                                        ; implicit-def: $vgpr3
.LBB30_1339:
	s_mov_b64 s[28:29], 0
.LBB30_1340:
	s_and_b64 vcc, exec, s[28:29]
	s_cbranch_vccz .LBB30_1344
; %bb.1341:
	s_cmp_eq_u32 s30, 29
	s_cbranch_scc0 .LBB30_1343
; %bb.1342:
	global_load_dwordx2 v[3:4], v[1:2], off
	s_mov_b64 s[20:21], 0
	s_mov_b64 s[24:25], -1
	s_branch .LBB30_1344
.LBB30_1343:
	s_mov_b64 s[20:21], -1
                                        ; implicit-def: $vgpr3
.LBB30_1344:
	s_mov_b64 s[28:29], 0
.LBB30_1345:
	s_and_b64 vcc, exec, s[28:29]
	s_cbranch_vccz .LBB30_1361
; %bb.1346:
	s_cmp_lt_i32 s30, 27
	s_cbranch_scc1 .LBB30_1349
; %bb.1347:
	s_cmp_gt_i32 s30, 27
	s_cbranch_scc0 .LBB30_1350
; %bb.1348:
	global_load_dword v3, v[1:2], off
	s_mov_b64 s[24:25], 0
	s_branch .LBB30_1351
.LBB30_1349:
	s_mov_b64 s[24:25], -1
                                        ; implicit-def: $vgpr3
	s_branch .LBB30_1354
.LBB30_1350:
	s_mov_b64 s[24:25], -1
                                        ; implicit-def: $vgpr3
.LBB30_1351:
	s_andn2_b64 vcc, exec, s[24:25]
	s_cbranch_vccnz .LBB30_1353
; %bb.1352:
	global_load_ushort v3, v[1:2], off
.LBB30_1353:
	s_mov_b64 s[24:25], 0
.LBB30_1354:
	s_andn2_b64 vcc, exec, s[24:25]
	s_cbranch_vccnz .LBB30_1360
; %bb.1355:
	global_load_ubyte v4, v[1:2], off
	s_movk_i32 s24, 0x7f
	s_mov_b64 s[28:29], 0
	s_waitcnt vmcnt(0)
	v_cmp_lt_i16_e32 vcc, s24, v4
	s_and_saveexec_b64 s[24:25], vcc
	s_xor_b64 s[24:25], exec, s[24:25]
	s_cbranch_execz .LBB30_1371
; %bb.1356:
	s_movk_i32 s28, 0x80
	v_cmp_ne_u16_e32 vcc, s28, v4
	s_and_b64 s[28:29], vcc, exec
	s_andn2_saveexec_b64 s[24:25], s[24:25]
	s_cbranch_execnz .LBB30_1372
.LBB30_1357:
	s_or_b64 exec, exec, s[24:25]
	v_mov_b32_e32 v3, 0
	s_and_saveexec_b64 s[24:25], s[28:29]
	s_cbranch_execz .LBB30_1359
.LBB30_1358:
	v_lshlrev_b32_e32 v3, 24, v4
	v_and_b32_e32 v4, 0xffff, v4
	v_and_b32_e32 v6, 7, v4
	v_ffbh_u32_e32 v8, v6
	v_min_u32_e32 v8, 32, v8
	v_subrev_u32_e32 v9, 28, v8
	v_bfe_u32 v7, v4, 3, 4
	v_lshlrev_b32_e32 v4, v9, v4
	v_sub_u32_e32 v8, 29, v8
	v_and_b32_e32 v4, 7, v4
	v_cmp_eq_u32_e32 vcc, 0, v7
	v_cndmask_b32_e32 v7, v7, v8, vcc
	v_cndmask_b32_e32 v4, v6, v4, vcc
	v_mov_b32_e32 v6, 0x3b800000
	v_lshlrev_b32_e32 v4, 20, v4
	v_and_b32_e32 v3, 0x80000000, v3
	v_lshl_add_u32 v6, v7, 23, v6
	v_or3_b32 v3, v3, v6, v4
	v_cvt_i32_f32_e32 v3, v3
.LBB30_1359:
	s_or_b64 exec, exec, s[24:25]
.LBB30_1360:
	s_mov_b64 s[24:25], -1
.LBB30_1361:
	s_branch .LBB30_1392
.LBB30_1362:
	s_cmp_gt_i32 s30, 22
	s_cbranch_scc0 .LBB30_1370
; %bb.1363:
	s_cmp_lt_i32 s30, 24
	s_cbranch_scc1 .LBB30_1373
; %bb.1364:
	s_cmp_gt_i32 s30, 24
	s_cbranch_scc0 .LBB30_1374
; %bb.1365:
	global_load_ubyte v4, v[1:2], off
	s_movk_i32 s24, 0x7f
	s_waitcnt vmcnt(0)
	v_cmp_lt_i16_e32 vcc, s24, v4
	s_and_saveexec_b64 s[24:25], vcc
	s_xor_b64 s[24:25], exec, s[24:25]
	s_cbranch_execz .LBB30_1386
; %bb.1366:
	s_movk_i32 s26, 0x80
	v_cmp_ne_u16_e32 vcc, s26, v4
	s_and_b64 s[26:27], vcc, exec
	s_andn2_saveexec_b64 s[24:25], s[24:25]
	s_cbranch_execnz .LBB30_1387
.LBB30_1367:
	s_or_b64 exec, exec, s[24:25]
	v_mov_b32_e32 v3, 0
	s_and_saveexec_b64 s[24:25], s[26:27]
	s_cbranch_execz .LBB30_1369
.LBB30_1368:
	v_lshlrev_b32_e32 v3, 24, v4
	v_and_b32_e32 v4, 0xffff, v4
	v_and_b32_e32 v6, 3, v4
	v_ffbh_u32_e32 v8, v6
	v_min_u32_e32 v8, 32, v8
	v_subrev_u32_e32 v9, 29, v8
	v_bfe_u32 v7, v4, 2, 5
	v_lshlrev_b32_e32 v4, v9, v4
	v_sub_u32_e32 v8, 30, v8
	v_and_b32_e32 v4, 3, v4
	v_cmp_eq_u32_e32 vcc, 0, v7
	v_cndmask_b32_e32 v7, v7, v8, vcc
	v_cndmask_b32_e32 v4, v6, v4, vcc
	v_mov_b32_e32 v6, 0x37800000
	v_lshlrev_b32_e32 v4, 21, v4
	v_and_b32_e32 v3, 0x80000000, v3
	v_lshl_add_u32 v6, v7, 23, v6
	v_or3_b32 v3, v3, v6, v4
	v_cvt_i32_f32_e32 v3, v3
.LBB30_1369:
	s_or_b64 exec, exec, s[24:25]
	s_mov_b64 s[24:25], 0
	s_branch .LBB30_1375
.LBB30_1370:
	s_mov_b64 s[26:27], -1
                                        ; implicit-def: $vgpr3
	s_branch .LBB30_1381
.LBB30_1371:
	s_andn2_saveexec_b64 s[24:25], s[24:25]
	s_cbranch_execz .LBB30_1357
.LBB30_1372:
	v_cmp_ne_u16_e32 vcc, 0, v4
	s_andn2_b64 s[28:29], s[28:29], exec
	s_and_b64 s[36:37], vcc, exec
	s_or_b64 s[28:29], s[28:29], s[36:37]
	s_or_b64 exec, exec, s[24:25]
	v_mov_b32_e32 v3, 0
	s_and_saveexec_b64 s[24:25], s[28:29]
	s_cbranch_execnz .LBB30_1358
	s_branch .LBB30_1359
.LBB30_1373:
	s_mov_b64 s[24:25], -1
                                        ; implicit-def: $vgpr3
	s_branch .LBB30_1378
.LBB30_1374:
	s_mov_b64 s[24:25], -1
                                        ; implicit-def: $vgpr3
.LBB30_1375:
	s_and_b64 vcc, exec, s[24:25]
	s_cbranch_vccz .LBB30_1377
; %bb.1376:
	global_load_ubyte v3, v[1:2], off
	s_mov_b32 s24, 0x7f800000
	s_waitcnt vmcnt(0)
	v_lshlrev_b32_e32 v3, 24, v3
	v_and_b32_e32 v4, 0x7f000000, v3
	v_ffbh_u32_e32 v6, v4
	v_min_u32_e32 v6, 32, v6
	v_sub_u32_e64 v6, v6, 4 clamp
	v_lshlrev_b32_e32 v8, v6, v4
	v_lshlrev_b32_e32 v6, 23, v6
	v_lshrrev_b32_e32 v8, 4, v8
	v_add_u32_e32 v7, 0x1000000, v4
	v_sub_u32_e32 v6, v8, v6
	v_ashrrev_i32_e32 v7, 8, v7
	v_add_u32_e32 v6, 0x3c000000, v6
	v_and_or_b32 v6, v7, s24, v6
	v_cmp_ne_u32_e32 vcc, 0, v4
	v_cndmask_b32_e32 v4, 0, v6, vcc
	s_brev_b32 s24, 1
	v_and_or_b32 v3, v3, s24, v4
	v_cvt_i32_f32_e32 v3, v3
.LBB30_1377:
	s_mov_b64 s[24:25], 0
.LBB30_1378:
	s_andn2_b64 vcc, exec, s[24:25]
	s_cbranch_vccnz .LBB30_1380
; %bb.1379:
	global_load_ubyte v3, v[1:2], off
	s_movk_i32 s24, 0x7f00
	s_brev_b32 s25, 16
	s_waitcnt vmcnt(0)
	v_lshlrev_b16_e32 v4, 8, v3
	v_lshlrev_b32_e32 v3, 25, v3
	v_lshrrev_b32_e32 v6, 4, v3
	v_and_or_b32 v7, v4, s24, 0.5
	v_or_b32_e32 v6, 0x70000000, v6
	v_add_f32_e32 v7, -0.5, v7
	v_mul_f32_e32 v6, 0x7800000, v6
	v_cmp_gt_u32_e32 vcc, s25, v3
	v_bfe_i32 v4, v4, 0, 16
	v_cndmask_b32_e32 v3, v6, v7, vcc
	s_brev_b32 s24, 1
	v_and_or_b32 v3, v4, s24, v3
	v_cvt_i32_f32_e32 v3, v3
.LBB30_1380:
	s_mov_b64 s[26:27], 0
	s_mov_b64 s[24:25], -1
.LBB30_1381:
	s_andn2_b64 vcc, exec, s[26:27]
	s_mov_b64 s[26:27], 0
	s_cbranch_vccnz .LBB30_1392
; %bb.1382:
	s_cmp_gt_i32 s30, 14
	s_cbranch_scc0 .LBB30_1385
; %bb.1383:
	s_cmp_eq_u32 s30, 15
	s_cbranch_scc0 .LBB30_1388
; %bb.1384:
	global_load_ushort v3, v[1:2], off
	s_mov_b64 s[20:21], 0
	s_mov_b64 s[24:25], -1
	s_waitcnt vmcnt(0)
	v_lshlrev_b32_e32 v3, 16, v3
	v_cvt_i32_f32_e32 v3, v3
	s_branch .LBB30_1389
.LBB30_1385:
	s_mov_b64 s[28:29], -1
                                        ; implicit-def: $vgpr3
	s_branch .LBB30_1390
.LBB30_1386:
	s_andn2_saveexec_b64 s[24:25], s[24:25]
	s_cbranch_execz .LBB30_1367
.LBB30_1387:
	v_cmp_ne_u16_e32 vcc, 0, v4
	s_andn2_b64 s[26:27], s[26:27], exec
	s_and_b64 s[28:29], vcc, exec
	s_or_b64 s[26:27], s[26:27], s[28:29]
	s_or_b64 exec, exec, s[24:25]
	v_mov_b32_e32 v3, 0
	s_and_saveexec_b64 s[24:25], s[26:27]
	s_cbranch_execnz .LBB30_1368
	s_branch .LBB30_1369
.LBB30_1388:
	s_mov_b64 s[20:21], -1
                                        ; implicit-def: $vgpr3
.LBB30_1389:
	s_mov_b64 s[28:29], 0
.LBB30_1390:
	s_and_b64 vcc, exec, s[28:29]
	s_cbranch_vccz .LBB30_1392
; %bb.1391:
	s_cmp_lg_u32 s30, 11
	s_cselect_b64 s[28:29], -1, 0
	s_andn2_b64 s[20:21], s[20:21], exec
	s_and_b64 s[28:29], s[28:29], exec
	s_mov_b64 s[26:27], -1
	s_or_b64 s[20:21], s[20:21], s[28:29]
.LBB30_1392:
	s_mov_b64 s[28:29], 0
.LBB30_1393:
	s_andn2_b64 s[18:19], s[18:19], exec
	s_and_b64 s[20:21], s[20:21], exec
	s_and_b64 s[24:25], s[24:25], exec
	;; [unrolled: 1-line block ×4, first 2 shown]
	s_or_b64 s[18:19], s[18:19], s[20:21]
	s_or_b64 exec, exec, s[0:1]
	s_and_saveexec_b64 s[0:1], s[18:19]
	s_cbranch_execz .LBB30_1326
.LBB30_1394:
	s_or_b64 s[22:23], s[22:23], exec
	s_andn2_b64 s[26:27], s[26:27], exec
	s_trap 2
	s_or_b64 exec, exec, s[0:1]
	s_and_saveexec_b64 s[0:1], s[26:27]
	s_xor_b64 s[0:1], exec, s[0:1]
	s_cbranch_execnz .LBB30_1327
.LBB30_1395:
	s_or_b64 exec, exec, s[0:1]
	s_and_saveexec_b64 s[0:1], s[30:31]
	s_cbranch_execz .LBB30_1441
.LBB30_1396:
	s_sext_i32_i16 s18, s34
	s_cmp_lt_i32 s18, 5
	s_cbranch_scc1 .LBB30_1401
; %bb.1397:
	s_cmp_lt_i32 s18, 8
	s_cbranch_scc1 .LBB30_1402
; %bb.1398:
	;; [unrolled: 3-line block ×3, first 2 shown]
	s_cmp_gt_i32 s18, 9
	s_cbranch_scc0 .LBB30_1404
; %bb.1400:
	s_waitcnt vmcnt(0)
	global_load_dwordx2 v[3:4], v[1:2], off
	s_mov_b64 s[18:19], 0
	s_waitcnt vmcnt(0)
	v_cvt_i32_f64_e32 v3, v[3:4]
	s_branch .LBB30_1405
.LBB30_1401:
                                        ; implicit-def: $vgpr3
	s_branch .LBB30_1422
.LBB30_1402:
                                        ; implicit-def: $vgpr3
	s_branch .LBB30_1411
.LBB30_1403:
	s_mov_b64 s[18:19], -1
                                        ; implicit-def: $vgpr3
	s_branch .LBB30_1408
.LBB30_1404:
	s_mov_b64 s[18:19], -1
                                        ; implicit-def: $vgpr3
.LBB30_1405:
	s_andn2_b64 vcc, exec, s[18:19]
	s_cbranch_vccnz .LBB30_1407
; %bb.1406:
	s_waitcnt vmcnt(0)
	global_load_dword v3, v[1:2], off
	s_waitcnt vmcnt(0)
	v_cvt_i32_f32_e32 v3, v3
.LBB30_1407:
	s_mov_b64 s[18:19], 0
.LBB30_1408:
	s_andn2_b64 vcc, exec, s[18:19]
	s_cbranch_vccnz .LBB30_1410
; %bb.1409:
	s_waitcnt vmcnt(0)
	global_load_dword v3, v[1:2], off
	s_waitcnt vmcnt(0)
	v_cvt_i16_f16_e32 v3, v3
.LBB30_1410:
	s_cbranch_execnz .LBB30_1421
.LBB30_1411:
	s_sext_i32_i16 s18, s34
	s_cmp_lt_i32 s18, 6
	s_cbranch_scc1 .LBB30_1414
; %bb.1412:
	s_cmp_gt_i32 s18, 6
	s_cbranch_scc0 .LBB30_1415
; %bb.1413:
	s_waitcnt vmcnt(0)
	global_load_dwordx2 v[3:4], v[1:2], off
	s_mov_b64 s[18:19], 0
	s_waitcnt vmcnt(0)
	v_cvt_i32_f64_e32 v3, v[3:4]
	s_branch .LBB30_1416
.LBB30_1414:
	s_mov_b64 s[18:19], -1
                                        ; implicit-def: $vgpr3
	s_branch .LBB30_1419
.LBB30_1415:
	s_mov_b64 s[18:19], -1
                                        ; implicit-def: $vgpr3
.LBB30_1416:
	s_andn2_b64 vcc, exec, s[18:19]
	s_cbranch_vccnz .LBB30_1418
; %bb.1417:
	s_waitcnt vmcnt(0)
	global_load_dword v3, v[1:2], off
	s_waitcnt vmcnt(0)
	v_cvt_i32_f32_e32 v3, v3
.LBB30_1418:
	s_mov_b64 s[18:19], 0
.LBB30_1419:
	s_andn2_b64 vcc, exec, s[18:19]
	s_cbranch_vccnz .LBB30_1421
; %bb.1420:
	s_waitcnt vmcnt(0)
	global_load_ushort v3, v[1:2], off
	s_waitcnt vmcnt(0)
	v_cvt_i16_f16_e32 v3, v3
.LBB30_1421:
	s_cbranch_execnz .LBB30_1440
.LBB30_1422:
	s_sext_i32_i16 s18, s34
	s_cmp_lt_i32 s18, 2
	s_cbranch_scc1 .LBB30_1426
; %bb.1423:
	s_cmp_lt_i32 s18, 3
	s_cbranch_scc1 .LBB30_1427
; %bb.1424:
	s_cmp_gt_i32 s18, 3
	s_cbranch_scc0 .LBB30_1428
; %bb.1425:
	s_waitcnt vmcnt(0)
	global_load_dwordx2 v[3:4], v[1:2], off
	s_mov_b64 s[18:19], 0
	s_branch .LBB30_1429
.LBB30_1426:
                                        ; implicit-def: $vgpr3
	s_branch .LBB30_1435
.LBB30_1427:
	s_mov_b64 s[18:19], -1
                                        ; implicit-def: $vgpr3
	s_branch .LBB30_1432
.LBB30_1428:
	s_mov_b64 s[18:19], -1
                                        ; implicit-def: $vgpr3
.LBB30_1429:
	s_andn2_b64 vcc, exec, s[18:19]
	s_cbranch_vccnz .LBB30_1431
; %bb.1430:
	s_waitcnt vmcnt(0)
	global_load_dword v3, v[1:2], off
.LBB30_1431:
	s_mov_b64 s[18:19], 0
.LBB30_1432:
	s_andn2_b64 vcc, exec, s[18:19]
	s_cbranch_vccnz .LBB30_1434
; %bb.1433:
	s_waitcnt vmcnt(0)
	global_load_ushort v3, v[1:2], off
.LBB30_1434:
	s_cbranch_execnz .LBB30_1440
.LBB30_1435:
	s_sext_i32_i16 s18, s34
	s_cmp_gt_i32 s18, 0
	s_cbranch_scc0 .LBB30_1437
; %bb.1436:
	s_waitcnt vmcnt(0)
	global_load_ubyte v3, v[1:2], off
	s_mov_b64 s[18:19], 0
	s_branch .LBB30_1438
.LBB30_1437:
	s_mov_b64 s[18:19], -1
                                        ; implicit-def: $vgpr3
.LBB30_1438:
	s_andn2_b64 vcc, exec, s[18:19]
	s_cbranch_vccnz .LBB30_1440
; %bb.1439:
	s_waitcnt vmcnt(0)
	global_load_ubyte v3, v[1:2], off
.LBB30_1440:
	s_or_b64 s[24:25], s[24:25], exec
.LBB30_1441:
	s_or_b64 exec, exec, s[0:1]
	s_mov_b64 s[28:29], 0
	s_mov_b64 s[26:27], 0
                                        ; implicit-def: $sgpr18_sgpr19
                                        ; implicit-def: $sgpr34
                                        ; implicit-def: $vgpr1_vgpr2
	s_and_saveexec_b64 s[20:21], s[24:25]
	s_cbranch_execz .LBB30_1446
; %bb.1442:
	s_cmp_lt_i32 s15, 1
	s_mov_b64 s[0:1], 0
	s_cbranch_scc1 .LBB30_1449
; %bb.1443:
	s_cmp_gt_i32 s15, 1
	s_cbranch_scc0 .LBB30_1450
; %bb.1444:
	s_cmp_eq_u32 s15, 2
	s_cbranch_scc0 .LBB30_1451
; %bb.1445:
	s_waitcnt vmcnt(0)
	v_cmp_le_i16_sdwa s[18:19], sext(v0), sext(v3) src0_sel:BYTE_0 src1_sel:BYTE_0
	s_mov_b64 s[24:25], 0
	s_branch .LBB30_1453
.LBB30_1446:
	s_or_b64 exec, exec, s[20:21]
	s_and_saveexec_b64 s[0:1], s[16:17]
	s_cbranch_execnz .LBB30_1538
.LBB30_1447:
	s_or_b64 exec, exec, s[0:1]
	s_and_saveexec_b64 s[0:1], s[28:29]
	s_xor_b64 s[0:1], exec, s[0:1]
	s_cbranch_execz .LBB30_1539
.LBB30_1448:
	s_waitcnt vmcnt(0)
	v_cndmask_b32_e64 v0, 0, 1, s[18:19]
	global_store_byte v[1:2], v0, off
	s_or_b64 exec, exec, s[0:1]
	s_and_saveexec_b64 s[0:1], s[26:27]
	s_xor_b64 s[0:1], exec, s[0:1]
	s_cbranch_execz .LBB30_1577
	s_branch .LBB30_1540
.LBB30_1449:
                                        ; implicit-def: $sgpr18_sgpr19
	s_mov_b64 s[24:25], 0
	s_cbranch_execnz .LBB30_1456
	s_branch .LBB30_1457
.LBB30_1450:
	s_mov_b64 s[26:27], -1
	s_mov_b64 s[24:25], 0
	s_branch .LBB30_1452
.LBB30_1451:
	s_mov_b64 s[24:25], -1
.LBB30_1452:
                                        ; implicit-def: $sgpr18_sgpr19
.LBB30_1453:
	s_and_b64 vcc, exec, s[26:27]
	s_cbranch_vccz .LBB30_1455
; %bb.1454:
	s_waitcnt vmcnt(0)
	v_cmp_gt_i16_sdwa s[26:27], sext(v0), sext(v3) src0_sel:BYTE_0 src1_sel:BYTE_0
	s_andn2_b64 s[18:19], s[18:19], exec
	s_and_b64 s[26:27], s[26:27], exec
	s_or_b64 s[18:19], s[18:19], s[26:27]
.LBB30_1455:
	s_branch .LBB30_1457
.LBB30_1456:
	s_cmp_lg_u32 s15, 0
	s_mov_b64 s[0:1], -1
	s_cselect_b64 s[24:25], -1, 0
.LBB30_1457:
	s_andn2_b64 vcc, exec, s[24:25]
	s_cbranch_vccnz .LBB30_1459
; %bb.1458:
	s_waitcnt vmcnt(0)
	v_cmp_lt_i16_sdwa s[24:25], sext(v0), sext(v3) src0_sel:BYTE_0 src1_sel:BYTE_0
	s_andn2_b64 s[18:19], s[18:19], exec
	s_and_b64 s[24:25], s[24:25], exec
	s_or_b64 s[18:19], s[18:19], s[24:25]
	s_cbranch_execz .LBB30_1460
	s_branch .LBB30_1461
.LBB30_1459:
	s_andn2_b64 vcc, exec, s[0:1]
	s_cbranch_vccnz .LBB30_1461
.LBB30_1460:
	s_waitcnt vmcnt(0)
	v_cmp_ge_i16_sdwa s[0:1], sext(v0), sext(v3) src0_sel:BYTE_0 src1_sel:BYTE_0
	s_andn2_b64 s[18:19], s[18:19], exec
	s_and_b64 s[0:1], s[0:1], exec
	s_or_b64 s[18:19], s[18:19], s[0:1]
.LBB30_1461:
	s_waitcnt vmcnt(0)
	v_mul_lo_u32 v0, v5, s12
	v_mov_b32_e32 v2, s9
	s_and_b32 s34, s33, 0xff
	s_cmp_lt_i32 s34, 11
	v_ashrrev_i32_e32 v3, 31, v0
	v_add_co_u32_e32 v1, vcc, s8, v0
	v_addc_co_u32_e32 v2, vcc, v2, v3, vcc
	s_cbranch_scc1 .LBB30_1535
; %bb.1462:
	s_and_b32 s35, 0xffff, s34
	s_mov_b64 s[26:27], -1
	s_cmp_gt_i32 s35, 25
	s_mov_b64 s[0:1], s[16:17]
	s_cbranch_scc0 .LBB30_1495
; %bb.1463:
	s_mov_b64 s[24:25], -1
	s_cmp_gt_i32 s35, 28
	s_mov_b64 s[0:1], s[16:17]
	s_cbranch_scc0 .LBB30_1479
; %bb.1464:
	s_cmp_gt_i32 s35, 43
	s_mov_b64 s[0:1], s[16:17]
	s_cbranch_scc0 .LBB30_1475
; %bb.1465:
	;; [unrolled: 4-line block ×3, first 2 shown]
	s_cmp_eq_u32 s35, 46
	s_mov_b64 s[0:1], -1
	s_cbranch_scc0 .LBB30_1468
; %bb.1467:
	v_cndmask_b32_e64 v0, 0, 1.0, s[18:19]
	v_bfe_u32 v3, v0, 16, 1
	s_movk_i32 s0, 0x7fff
	v_add3_u32 v0, v0, v3, s0
	v_lshrrev_b32_e32 v0, 16, v0
	global_store_dword v[1:2], v0, off
	s_mov_b64 s[0:1], 0
.LBB30_1468:
	s_mov_b64 s[24:25], 0
.LBB30_1469:
	s_and_b64 vcc, exec, s[24:25]
	s_cbranch_vccz .LBB30_1474
; %bb.1470:
	s_cmp_eq_u32 s35, 44
	s_mov_b64 s[0:1], -1
	s_cbranch_scc0 .LBB30_1474
; %bb.1471:
	v_cndmask_b32_e64 v3, 0, 1.0, s[18:19]
	v_lshrrev_b32_e32 v0, 23, v3
	s_movk_i32 s0, 0xff
	v_cmp_ne_u32_e32 vcc, s0, v0
	v_mov_b32_e32 v4, 0xff
	s_and_saveexec_b64 s[24:25], vcc
; %bb.1472:
	s_mov_b32 s0, 0x3fffff
	v_and_b32_e32 v4, 0x400000, v3
	v_and_or_b32 v3, v3, s0, v0
	v_cmp_ne_u32_e32 vcc, 0, v4
	v_cmp_ne_u32_e64 s[0:1], 0, v3
	s_and_b64 s[0:1], vcc, s[0:1]
	v_cndmask_b32_e64 v3, 0, 1, s[0:1]
	v_add_u32_e32 v4, v0, v3
; %bb.1473:
	s_or_b64 exec, exec, s[24:25]
	s_mov_b64 s[0:1], 0
	global_store_byte v[1:2], v4, off
.LBB30_1474:
	s_mov_b64 s[24:25], 0
.LBB30_1475:
	s_and_b64 vcc, exec, s[24:25]
	s_cbranch_vccz .LBB30_1478
; %bb.1476:
	s_cmp_eq_u32 s35, 29
	s_mov_b64 s[0:1], -1
	s_cbranch_scc0 .LBB30_1478
; %bb.1477:
	s_mov_b32 s0, 0
	v_cndmask_b32_e64 v3, 0, 1, s[18:19]
	v_mov_b32_e32 v4, s0
	global_store_dwordx2 v[1:2], v[3:4], off
	s_mov_b64 s[0:1], 0
.LBB30_1478:
	s_mov_b64 s[24:25], 0
.LBB30_1479:
	s_and_b64 vcc, exec, s[24:25]
	s_cbranch_vccz .LBB30_1494
; %bb.1480:
	s_cmp_lt_i32 s35, 27
	s_mov_b64 s[24:25], -1
	s_cbranch_scc1 .LBB30_1486
; %bb.1481:
	s_cmp_gt_i32 s35, 27
	v_cndmask_b32_e64 v0, 0, 1, s[18:19]
	s_cbranch_scc0 .LBB30_1483
; %bb.1482:
	s_mov_b64 s[24:25], 0
	global_store_dword v[1:2], v0, off
.LBB30_1483:
	s_andn2_b64 vcc, exec, s[24:25]
	s_cbranch_vccnz .LBB30_1485
; %bb.1484:
	global_store_short v[1:2], v0, off
.LBB30_1485:
	s_mov_b64 s[24:25], 0
.LBB30_1486:
	s_andn2_b64 vcc, exec, s[24:25]
	s_cbranch_vccnz .LBB30_1494
; %bb.1487:
	v_cndmask_b32_e64 v3, 0, 1.0, s[18:19]
	s_mov_b32 s24, 0x43800000
	v_cmp_gt_u32_e32 vcc, s24, v3
	v_mov_b32_e32 v4, 0x80
	s_and_saveexec_b64 s[24:25], vcc
	s_cbranch_execz .LBB30_1493
; %bb.1488:
	s_mov_b32 s26, 0x3bffffff
	v_cmp_lt_u32_e32 vcc, s26, v3
	s_mov_b64 s[26:27], 0
                                        ; implicit-def: $vgpr0
	s_and_saveexec_b64 s[28:29], vcc
	s_xor_b64 s[28:29], exec, s[28:29]
	s_cbranch_execz .LBB30_1592
; %bb.1489:
	v_bfe_u32 v0, v3, 20, 1
	s_mov_b32 s30, 0x487ffff
	v_add3_u32 v0, v3, v0, s30
	s_mov_b64 s[26:27], exec
	v_lshrrev_b32_e32 v0, 20, v0
                                        ; implicit-def: $vgpr3
	s_andn2_saveexec_b64 s[28:29], s[28:29]
	s_cbranch_execnz .LBB30_1593
.LBB30_1490:
	s_or_b64 exec, exec, s[28:29]
	v_mov_b32_e32 v4, 0
	s_and_saveexec_b64 s[28:29], s[26:27]
.LBB30_1491:
	v_mov_b32_e32 v4, v0
.LBB30_1492:
	s_or_b64 exec, exec, s[28:29]
.LBB30_1493:
	s_or_b64 exec, exec, s[24:25]
	global_store_byte v[1:2], v4, off
.LBB30_1494:
	s_mov_b64 s[26:27], 0
.LBB30_1495:
	s_mov_b64 s[24:25], 0
	s_and_b64 vcc, exec, s[26:27]
	s_cbranch_vccz .LBB30_1536
; %bb.1496:
	s_cmp_gt_i32 s35, 22
	s_mov_b64 s[26:27], -1
	s_cbranch_scc0 .LBB30_1528
; %bb.1497:
	s_cmp_lt_i32 s35, 24
	s_cbranch_scc1 .LBB30_1517
; %bb.1498:
	s_cmp_gt_i32 s35, 24
	s_cbranch_scc0 .LBB30_1506
; %bb.1499:
	v_cndmask_b32_e64 v3, 0, 1.0, s[18:19]
	s_mov_b32 s26, 0x47800000
	v_cmp_gt_u32_e32 vcc, s26, v3
	v_mov_b32_e32 v4, 0x80
	s_and_saveexec_b64 s[26:27], vcc
	s_cbranch_execz .LBB30_1505
; %bb.1500:
	s_mov_b32 s28, 0x37ffffff
	v_cmp_lt_u32_e32 vcc, s28, v3
	s_mov_b64 s[28:29], 0
                                        ; implicit-def: $vgpr0
	s_and_saveexec_b64 s[30:31], vcc
	s_xor_b64 s[30:31], exec, s[30:31]
	s_cbranch_execz .LBB30_1712
; %bb.1501:
	v_bfe_u32 v0, v3, 21, 1
	s_mov_b32 s36, 0x88fffff
	v_add3_u32 v0, v3, v0, s36
	s_mov_b64 s[28:29], exec
	v_lshrrev_b32_e32 v0, 21, v0
                                        ; implicit-def: $vgpr3
	s_andn2_saveexec_b64 s[30:31], s[30:31]
	s_cbranch_execnz .LBB30_1713
.LBB30_1502:
	s_or_b64 exec, exec, s[30:31]
	v_mov_b32_e32 v4, 0
	s_and_saveexec_b64 s[30:31], s[28:29]
.LBB30_1503:
	v_mov_b32_e32 v4, v0
.LBB30_1504:
	s_or_b64 exec, exec, s[30:31]
.LBB30_1505:
	s_or_b64 exec, exec, s[26:27]
	s_mov_b64 s[26:27], 0
	global_store_byte v[1:2], v4, off
.LBB30_1506:
	s_and_b64 vcc, exec, s[26:27]
	s_cbranch_vccz .LBB30_1516
; %bb.1507:
	v_cndmask_b32_e64 v0, 0, 1.0, s[18:19]
	s_mov_b32 s26, 0x43f00000
	v_cmp_gt_u32_e32 vcc, s26, v0
                                        ; implicit-def: $vgpr3
	s_and_saveexec_b64 s[26:27], vcc
	s_xor_b64 s[26:27], exec, s[26:27]
	s_cbranch_execz .LBB30_1513
; %bb.1508:
	s_mov_b32 s28, 0x3c7fffff
	v_cmp_lt_u32_e32 vcc, s28, v0
                                        ; implicit-def: $vgpr3
	s_and_saveexec_b64 s[28:29], vcc
	s_xor_b64 s[28:29], exec, s[28:29]
; %bb.1509:
	v_bfe_u32 v3, v0, 20, 1
	s_mov_b32 s30, 0x407ffff
	v_add3_u32 v0, v0, v3, s30
	v_lshrrev_b32_e32 v3, 20, v0
	v_and_b32_e32 v0, 0xff00000, v0
	s_mov_b32 s30, 0x7f00000
	v_mov_b32_e32 v4, 0x7e
	v_cmp_ne_u32_e32 vcc, s30, v0
	v_cndmask_b32_e32 v3, v4, v3, vcc
                                        ; implicit-def: $vgpr0
; %bb.1510:
	s_andn2_saveexec_b64 s[28:29], s[28:29]
; %bb.1511:
	v_add_f32_e32 v3, 0x46800000, v0
; %bb.1512:
	s_or_b64 exec, exec, s[28:29]
                                        ; implicit-def: $vgpr0
.LBB30_1513:
	s_andn2_saveexec_b64 s[26:27], s[26:27]
; %bb.1514:
	s_mov_b32 s28, 0x7f800000
	v_mov_b32_e32 v3, 0x7e
	v_mov_b32_e32 v4, 0x7f
	v_cmp_lt_u32_e32 vcc, s28, v0
	v_cndmask_b32_e32 v3, v3, v4, vcc
; %bb.1515:
	s_or_b64 exec, exec, s[26:27]
	global_store_byte v[1:2], v3, off
.LBB30_1516:
	s_mov_b64 s[26:27], 0
.LBB30_1517:
	s_andn2_b64 vcc, exec, s[26:27]
	s_cbranch_vccnz .LBB30_1527
; %bb.1518:
	v_cndmask_b32_e64 v0, 0, 1.0, s[18:19]
	s_mov_b32 s26, 0x47800000
	v_cmp_gt_u32_e32 vcc, s26, v0
                                        ; implicit-def: $vgpr3
	s_and_saveexec_b64 s[26:27], vcc
	s_xor_b64 s[26:27], exec, s[26:27]
	s_cbranch_execz .LBB30_1524
; %bb.1519:
	s_mov_b32 s28, 0x387fffff
	v_cmp_lt_u32_e32 vcc, s28, v0
                                        ; implicit-def: $vgpr3
	s_and_saveexec_b64 s[28:29], vcc
	s_xor_b64 s[28:29], exec, s[28:29]
; %bb.1520:
	v_bfe_u32 v3, v0, 21, 1
	s_mov_b32 s30, 0x80fffff
	v_add3_u32 v0, v0, v3, s30
	v_lshrrev_b32_e32 v3, 21, v0
                                        ; implicit-def: $vgpr0
; %bb.1521:
	s_andn2_saveexec_b64 s[28:29], s[28:29]
; %bb.1522:
	v_add_f32_e32 v3, 0x43000000, v0
; %bb.1523:
	s_or_b64 exec, exec, s[28:29]
                                        ; implicit-def: $vgpr0
.LBB30_1524:
	s_andn2_saveexec_b64 s[26:27], s[26:27]
; %bb.1525:
	s_mov_b32 s28, 0x7f800000
	v_mov_b32_e32 v3, 0x7c
	v_mov_b32_e32 v4, 0x7f
	v_cmp_lt_u32_e32 vcc, s28, v0
	v_cndmask_b32_e32 v3, v3, v4, vcc
; %bb.1526:
	s_or_b64 exec, exec, s[26:27]
	global_store_byte v[1:2], v3, off
.LBB30_1527:
	s_mov_b64 s[26:27], 0
.LBB30_1528:
	s_andn2_b64 vcc, exec, s[26:27]
	s_mov_b64 s[28:29], 0
	s_cbranch_vccnz .LBB30_1537
; %bb.1529:
	s_cmp_gt_i32 s35, 14
	s_mov_b64 s[26:27], -1
	s_cbranch_scc0 .LBB30_1533
; %bb.1530:
	s_cmp_eq_u32 s35, 15
	s_mov_b64 s[0:1], -1
	s_cbranch_scc0 .LBB30_1532
; %bb.1531:
	v_cndmask_b32_e64 v0, 0, 1.0, s[18:19]
	v_bfe_u32 v3, v0, 16, 1
	s_movk_i32 s0, 0x7fff
	v_add3_u32 v0, v0, v3, s0
	global_store_short_d16_hi v[1:2], v0, off
	s_mov_b64 s[0:1], 0
.LBB30_1532:
	s_mov_b64 s[26:27], 0
.LBB30_1533:
	s_and_b64 vcc, exec, s[26:27]
	s_cbranch_vccz .LBB30_1537
; %bb.1534:
	s_cmp_lg_u32 s35, 11
	s_cselect_b64 s[26:27], -1, 0
	s_andn2_b64 s[0:1], s[0:1], exec
	s_and_b64 s[26:27], s[26:27], exec
	s_mov_b64 s[28:29], -1
	s_or_b64 s[0:1], s[0:1], s[26:27]
	s_branch .LBB30_1537
.LBB30_1535:
	s_mov_b64 s[24:25], -1
	s_mov_b64 s[0:1], s[16:17]
	s_branch .LBB30_1537
.LBB30_1536:
	s_mov_b64 s[28:29], 0
.LBB30_1537:
	s_andn2_b64 s[16:17], s[16:17], exec
	s_and_b64 s[0:1], s[0:1], exec
	s_and_b64 s[26:27], s[24:25], exec
	;; [unrolled: 1-line block ×3, first 2 shown]
	s_or_b64 s[16:17], s[16:17], s[0:1]
	s_or_b64 exec, exec, s[20:21]
	s_and_saveexec_b64 s[0:1], s[16:17]
	s_cbranch_execz .LBB30_1447
.LBB30_1538:
	s_or_b64 s[22:23], s[22:23], exec
	s_andn2_b64 s[28:29], s[28:29], exec
	s_trap 2
	s_or_b64 exec, exec, s[0:1]
	s_and_saveexec_b64 s[0:1], s[28:29]
	s_xor_b64 s[0:1], exec, s[0:1]
	s_cbranch_execnz .LBB30_1448
.LBB30_1539:
	s_or_b64 exec, exec, s[0:1]
	s_and_saveexec_b64 s[0:1], s[26:27]
	s_xor_b64 s[0:1], exec, s[0:1]
	s_cbranch_execz .LBB30_1577
.LBB30_1540:
	s_sext_i32_i16 s20, s34
	s_cmp_lt_i32 s20, 5
	s_mov_b64 s[16:17], -1
	s_cbranch_scc1 .LBB30_1561
; %bb.1541:
	s_cmp_lt_i32 s20, 8
	s_cbranch_scc1 .LBB30_1551
; %bb.1542:
	s_cmp_lt_i32 s20, 9
	s_cbranch_scc1 .LBB30_1548
; %bb.1543:
	s_cmp_gt_i32 s20, 9
	s_cbranch_scc0 .LBB30_1545
; %bb.1544:
	s_waitcnt vmcnt(0)
	v_cndmask_b32_e64 v0, 0, 1, s[18:19]
	v_cvt_f64_u32_e32 v[3:4], v0
	v_mov_b32_e32 v5, 0
	v_mov_b32_e32 v6, v5
	s_mov_b64 s[16:17], 0
	global_store_dwordx4 v[1:2], v[3:6], off
.LBB30_1545:
	s_andn2_b64 vcc, exec, s[16:17]
	s_cbranch_vccnz .LBB30_1547
; %bb.1546:
	s_waitcnt vmcnt(0)
	v_cndmask_b32_e64 v3, 0, 1.0, s[18:19]
	v_mov_b32_e32 v4, 0
	global_store_dwordx2 v[1:2], v[3:4], off
.LBB30_1547:
	s_mov_b64 s[16:17], 0
.LBB30_1548:
	s_andn2_b64 vcc, exec, s[16:17]
	s_cbranch_vccnz .LBB30_1550
; %bb.1549:
	s_waitcnt vmcnt(0)
	v_cndmask_b32_e64 v0, 0, 1.0, s[18:19]
	v_cvt_f16_f32_e32 v0, v0
	global_store_dword v[1:2], v0, off
.LBB30_1550:
	s_mov_b64 s[16:17], 0
.LBB30_1551:
	s_andn2_b64 vcc, exec, s[16:17]
	s_cbranch_vccnz .LBB30_1560
; %bb.1552:
	s_sext_i32_i16 s20, s34
	s_cmp_lt_i32 s20, 6
	s_mov_b64 s[16:17], -1
	s_cbranch_scc1 .LBB30_1558
; %bb.1553:
	s_cmp_gt_i32 s20, 6
	s_cbranch_scc0 .LBB30_1555
; %bb.1554:
	s_waitcnt vmcnt(0)
	v_cndmask_b32_e64 v0, 0, 1, s[18:19]
	v_cvt_f64_u32_e32 v[3:4], v0
	s_mov_b64 s[16:17], 0
	global_store_dwordx2 v[1:2], v[3:4], off
.LBB30_1555:
	s_andn2_b64 vcc, exec, s[16:17]
	s_cbranch_vccnz .LBB30_1557
; %bb.1556:
	s_waitcnt vmcnt(0)
	v_cndmask_b32_e64 v0, 0, 1.0, s[18:19]
	global_store_dword v[1:2], v0, off
.LBB30_1557:
	s_mov_b64 s[16:17], 0
.LBB30_1558:
	s_andn2_b64 vcc, exec, s[16:17]
	s_cbranch_vccnz .LBB30_1560
; %bb.1559:
	s_waitcnt vmcnt(0)
	v_cndmask_b32_e64 v0, 0, 1.0, s[18:19]
	v_cvt_f16_f32_e32 v0, v0
	global_store_short v[1:2], v0, off
.LBB30_1560:
	s_mov_b64 s[16:17], 0
.LBB30_1561:
	s_andn2_b64 vcc, exec, s[16:17]
	s_cbranch_vccnz .LBB30_1577
; %bb.1562:
	s_sext_i32_i16 s20, s34
	s_cmp_lt_i32 s20, 2
	s_mov_b64 s[16:17], -1
	s_cbranch_scc1 .LBB30_1572
; %bb.1563:
	s_cmp_lt_i32 s20, 3
	s_cbranch_scc1 .LBB30_1569
; %bb.1564:
	s_cmp_gt_i32 s20, 3
	s_cbranch_scc0 .LBB30_1566
; %bb.1565:
	s_mov_b32 s16, 0
	s_waitcnt vmcnt(0)
	v_cndmask_b32_e64 v3, 0, 1, s[18:19]
	v_mov_b32_e32 v4, s16
	s_mov_b64 s[16:17], 0
	global_store_dwordx2 v[1:2], v[3:4], off
.LBB30_1566:
	s_andn2_b64 vcc, exec, s[16:17]
	s_cbranch_vccnz .LBB30_1568
; %bb.1567:
	s_waitcnt vmcnt(0)
	v_cndmask_b32_e64 v0, 0, 1, s[18:19]
	global_store_dword v[1:2], v0, off
.LBB30_1568:
	s_mov_b64 s[16:17], 0
.LBB30_1569:
	s_andn2_b64 vcc, exec, s[16:17]
	s_cbranch_vccnz .LBB30_1571
; %bb.1570:
	s_waitcnt vmcnt(0)
	v_cndmask_b32_e64 v0, 0, 1, s[18:19]
	global_store_short v[1:2], v0, off
.LBB30_1571:
	s_mov_b64 s[16:17], 0
.LBB30_1572:
	s_andn2_b64 vcc, exec, s[16:17]
	s_cbranch_vccnz .LBB30_1577
; %bb.1573:
	s_sext_i32_i16 s20, s34
	s_mov_b64 s[16:17], -1
	s_cmp_gt_i32 s20, 0
	s_waitcnt vmcnt(0)
	v_cndmask_b32_e64 v0, 0, 1, s[18:19]
	s_cbranch_scc0 .LBB30_1575
; %bb.1574:
	s_mov_b64 s[16:17], 0
	global_store_byte v[1:2], v0, off
.LBB30_1575:
	s_andn2_b64 vcc, exec, s[16:17]
	s_cbranch_vccnz .LBB30_1577
; %bb.1576:
	global_store_byte v[1:2], v0, off
.LBB30_1577:
	s_or_b64 exec, exec, s[0:1]
	s_and_b64 s[16:17], s[22:23], exec
                                        ; implicit-def: $vgpr5
.LBB30_1578:
	s_or_saveexec_b64 s[6:7], s[6:7]
	s_mov_b64 s[0:1], 0
                                        ; implicit-def: $sgpr24_sgpr25
                                        ; implicit-def: $sgpr28
                                        ; implicit-def: $vgpr0_vgpr1
	s_xor_b64 exec, exec, s[6:7]
	s_cbranch_execz .LBB30_2637
; %bb.1579:
	v_mul_lo_u32 v6, s13, v5
	s_waitcnt vmcnt(0)
	v_mov_b32_e32 v0, s11
	s_and_b32 s28, s55, 0xff
	s_cmp_lt_i32 s28, 11
	v_ashrrev_i32_e32 v1, 31, v6
	v_add_co_u32_e32 v2, vcc, s10, v6
	v_addc_co_u32_e32 v3, vcc, v0, v1, vcc
	s_cbranch_scc1 .LBB30_1586
; %bb.1580:
	s_and_b32 s22, 0xffff, s28
	s_cmp_gt_i32 s22, 25
	s_cbranch_scc0 .LBB30_1588
; %bb.1581:
	s_cmp_gt_i32 s22, 28
	s_cbranch_scc0 .LBB30_1589
; %bb.1582:
	;; [unrolled: 3-line block ×4, first 2 shown]
	s_cmp_eq_u32 s22, 46
	s_mov_b64 s[18:19], 0
	s_cbranch_scc0 .LBB30_1594
; %bb.1585:
	global_load_dword v0, v[2:3], off
	s_mov_b64 s[20:21], -1
	s_waitcnt vmcnt(0)
	v_lshlrev_b32_e32 v0, 16, v0
	v_cvt_i32_f32_e32 v0, v0
	s_branch .LBB30_1595
.LBB30_1586:
	s_mov_b64 s[20:21], 0
                                        ; implicit-def: $vgpr0
	s_mov_b64 s[18:19], s[16:17]
	s_cbranch_execnz .LBB30_1653
.LBB30_1587:
	s_andn2_b64 vcc, exec, s[20:21]
	s_cbranch_vccz .LBB30_1698
	s_branch .LBB30_2634
.LBB30_1588:
	s_mov_b64 s[20:21], 0
                                        ; implicit-def: $vgpr0
	s_cbranch_execnz .LBB30_1620
	s_branch .LBB30_1649
.LBB30_1589:
	s_mov_b64 s[20:21], 0
                                        ; implicit-def: $vgpr0
	s_cbranch_execz .LBB30_1619
	s_branch .LBB30_1604
.LBB30_1590:
	s_mov_b64 s[20:21], 0
                                        ; implicit-def: $vgpr0
	s_cbranch_execnz .LBB30_1600
	s_branch .LBB30_1603
.LBB30_1591:
	s_mov_b64 s[18:19], -1
	s_mov_b64 s[20:21], 0
                                        ; implicit-def: $vgpr0
	s_branch .LBB30_1595
.LBB30_1592:
	s_andn2_saveexec_b64 s[28:29], s[28:29]
	s_cbranch_execz .LBB30_1490
.LBB30_1593:
	v_add_f32_e32 v0, 0x46000000, v3
	v_and_b32_e32 v0, 0xff, v0
	v_cmp_ne_u32_e32 vcc, 0, v0
	s_andn2_b64 s[26:27], s[26:27], exec
	s_and_b64 s[30:31], vcc, exec
	s_or_b64 s[26:27], s[26:27], s[30:31]
	s_or_b64 exec, exec, s[28:29]
	v_mov_b32_e32 v4, 0
	s_and_saveexec_b64 s[28:29], s[26:27]
	s_cbranch_execnz .LBB30_1491
	s_branch .LBB30_1492
.LBB30_1594:
	s_mov_b64 s[0:1], -1
                                        ; implicit-def: $vgpr0
	s_mov_b64 s[20:21], 0
.LBB30_1595:
	s_and_b64 vcc, exec, s[18:19]
	s_cbranch_vccz .LBB30_1598
; %bb.1596:
	s_cmp_eq_u32 s22, 44
	s_cbranch_scc0 .LBB30_1599
; %bb.1597:
	global_load_ubyte v0, v[2:3], off
	s_mov_b64 s[0:1], 0
	s_mov_b64 s[20:21], -1
	s_waitcnt vmcnt(0)
	v_lshlrev_b32_e32 v1, 23, v0
	v_cvt_i32_f32_e32 v1, v1
	v_cmp_ne_u32_e32 vcc, 0, v0
	v_cndmask_b32_e32 v0, 0, v1, vcc
.LBB30_1598:
	s_branch .LBB30_1603
.LBB30_1599:
	s_mov_b64 s[0:1], -1
                                        ; implicit-def: $vgpr0
	s_branch .LBB30_1603
.LBB30_1600:
	s_cmp_eq_u32 s22, 29
	s_cbranch_scc0 .LBB30_1602
; %bb.1601:
	global_load_dwordx2 v[0:1], v[2:3], off
	s_mov_b64 s[0:1], 0
	s_mov_b64 s[20:21], -1
	s_branch .LBB30_1603
.LBB30_1602:
	s_mov_b64 s[0:1], -1
                                        ; implicit-def: $vgpr0
.LBB30_1603:
	s_branch .LBB30_1619
.LBB30_1604:
	s_cmp_lt_i32 s22, 27
	s_cbranch_scc1 .LBB30_1607
; %bb.1605:
	s_cmp_gt_i32 s22, 27
	s_cbranch_scc0 .LBB30_1608
; %bb.1606:
	global_load_dword v0, v[2:3], off
	s_mov_b64 s[18:19], 0
	s_branch .LBB30_1609
.LBB30_1607:
	s_mov_b64 s[18:19], -1
                                        ; implicit-def: $vgpr0
	s_branch .LBB30_1612
.LBB30_1608:
	s_mov_b64 s[18:19], -1
                                        ; implicit-def: $vgpr0
.LBB30_1609:
	s_andn2_b64 vcc, exec, s[18:19]
	s_cbranch_vccnz .LBB30_1611
; %bb.1610:
	global_load_ushort v0, v[2:3], off
.LBB30_1611:
	s_mov_b64 s[18:19], 0
.LBB30_1612:
	s_andn2_b64 vcc, exec, s[18:19]
	s_cbranch_vccnz .LBB30_1618
; %bb.1613:
	global_load_ubyte v1, v[2:3], off
	s_movk_i32 s18, 0x7f
	s_mov_b64 s[20:21], 0
	s_waitcnt vmcnt(0)
	v_cmp_lt_i16_e32 vcc, s18, v1
	s_and_saveexec_b64 s[18:19], vcc
	s_xor_b64 s[18:19], exec, s[18:19]
	s_cbranch_execz .LBB30_1629
; %bb.1614:
	s_movk_i32 s20, 0x80
	v_cmp_ne_u16_e32 vcc, s20, v1
	s_and_b64 s[20:21], vcc, exec
	s_andn2_saveexec_b64 s[18:19], s[18:19]
	s_cbranch_execnz .LBB30_1630
.LBB30_1615:
	s_or_b64 exec, exec, s[18:19]
	v_mov_b32_e32 v0, 0
	s_and_saveexec_b64 s[18:19], s[20:21]
	s_cbranch_execz .LBB30_1617
.LBB30_1616:
	v_lshlrev_b32_e32 v0, 24, v1
	v_and_b32_e32 v1, 0xffff, v1
	v_and_b32_e32 v4, 7, v1
	v_ffbh_u32_e32 v8, v4
	v_min_u32_e32 v8, 32, v8
	v_subrev_u32_e32 v9, 28, v8
	v_bfe_u32 v7, v1, 3, 4
	v_lshlrev_b32_e32 v1, v9, v1
	v_sub_u32_e32 v8, 29, v8
	v_and_b32_e32 v1, 7, v1
	v_cmp_eq_u32_e32 vcc, 0, v7
	v_cndmask_b32_e32 v7, v7, v8, vcc
	v_cndmask_b32_e32 v1, v4, v1, vcc
	v_mov_b32_e32 v4, 0x3b800000
	v_lshlrev_b32_e32 v1, 20, v1
	v_and_b32_e32 v0, 0x80000000, v0
	v_lshl_add_u32 v4, v7, 23, v4
	v_or3_b32 v0, v0, v4, v1
	v_cvt_i32_f32_e32 v0, v0
.LBB30_1617:
	s_or_b64 exec, exec, s[18:19]
.LBB30_1618:
	s_mov_b64 s[20:21], -1
.LBB30_1619:
	s_branch .LBB30_1649
.LBB30_1620:
	s_cmp_gt_i32 s22, 22
	s_cbranch_scc0 .LBB30_1628
; %bb.1621:
	s_cmp_lt_i32 s22, 24
	s_cbranch_scc1 .LBB30_1631
; %bb.1622:
	s_cmp_gt_i32 s22, 24
	s_cbranch_scc0 .LBB30_1632
; %bb.1623:
	global_load_ubyte v1, v[2:3], off
	s_movk_i32 s4, 0x7f
	s_mov_b64 s[18:19], 0
	s_waitcnt vmcnt(0)
	v_cmp_lt_i16_e32 vcc, s4, v1
	s_and_saveexec_b64 s[4:5], vcc
	s_xor_b64 s[4:5], exec, s[4:5]
	s_cbranch_execz .LBB30_1643
; %bb.1624:
	s_movk_i32 s18, 0x80
	v_cmp_ne_u16_e32 vcc, s18, v1
	s_and_b64 s[18:19], vcc, exec
	s_andn2_saveexec_b64 s[4:5], s[4:5]
	s_cbranch_execnz .LBB30_1644
.LBB30_1625:
	s_or_b64 exec, exec, s[4:5]
	v_mov_b32_e32 v0, 0
	s_and_saveexec_b64 s[4:5], s[18:19]
	s_cbranch_execz .LBB30_1627
.LBB30_1626:
	v_lshlrev_b32_e32 v0, 24, v1
	v_and_b32_e32 v1, 0xffff, v1
	v_and_b32_e32 v4, 3, v1
	v_ffbh_u32_e32 v8, v4
	v_min_u32_e32 v8, 32, v8
	v_subrev_u32_e32 v9, 29, v8
	v_bfe_u32 v7, v1, 2, 5
	v_lshlrev_b32_e32 v1, v9, v1
	v_sub_u32_e32 v8, 30, v8
	v_and_b32_e32 v1, 3, v1
	v_cmp_eq_u32_e32 vcc, 0, v7
	v_cndmask_b32_e32 v7, v7, v8, vcc
	v_cndmask_b32_e32 v1, v4, v1, vcc
	v_mov_b32_e32 v4, 0x37800000
	v_lshlrev_b32_e32 v1, 21, v1
	v_and_b32_e32 v0, 0x80000000, v0
	v_lshl_add_u32 v4, v7, 23, v4
	v_or3_b32 v0, v0, v4, v1
	v_cvt_i32_f32_e32 v0, v0
.LBB30_1627:
	s_or_b64 exec, exec, s[4:5]
	s_mov_b64 s[4:5], 0
	s_branch .LBB30_1633
.LBB30_1628:
                                        ; implicit-def: $vgpr0
	s_mov_b64 s[4:5], 0
	s_branch .LBB30_1639
.LBB30_1629:
	s_andn2_saveexec_b64 s[18:19], s[18:19]
	s_cbranch_execz .LBB30_1615
.LBB30_1630:
	v_cmp_ne_u16_e32 vcc, 0, v1
	s_andn2_b64 s[20:21], s[20:21], exec
	s_and_b64 s[24:25], vcc, exec
	s_or_b64 s[20:21], s[20:21], s[24:25]
	s_or_b64 exec, exec, s[18:19]
	v_mov_b32_e32 v0, 0
	s_and_saveexec_b64 s[18:19], s[20:21]
	s_cbranch_execnz .LBB30_1616
	s_branch .LBB30_1617
.LBB30_1631:
	s_mov_b64 s[4:5], -1
                                        ; implicit-def: $vgpr0
	s_branch .LBB30_1636
.LBB30_1632:
	s_mov_b64 s[4:5], -1
                                        ; implicit-def: $vgpr0
.LBB30_1633:
	s_and_b64 vcc, exec, s[4:5]
	s_cbranch_vccz .LBB30_1635
; %bb.1634:
	global_load_ubyte v0, v[2:3], off
	s_mov_b32 s4, 0x7f800000
	s_waitcnt vmcnt(0)
	v_lshlrev_b32_e32 v0, 24, v0
	v_and_b32_e32 v1, 0x7f000000, v0
	v_ffbh_u32_e32 v4, v1
	v_min_u32_e32 v4, 32, v4
	v_sub_u32_e64 v4, v4, 4 clamp
	v_lshlrev_b32_e32 v8, v4, v1
	v_lshlrev_b32_e32 v4, 23, v4
	v_lshrrev_b32_e32 v8, 4, v8
	v_add_u32_e32 v7, 0x1000000, v1
	v_sub_u32_e32 v4, v8, v4
	v_ashrrev_i32_e32 v7, 8, v7
	v_add_u32_e32 v4, 0x3c000000, v4
	v_and_or_b32 v4, v7, s4, v4
	v_cmp_ne_u32_e32 vcc, 0, v1
	v_cndmask_b32_e32 v1, 0, v4, vcc
	s_brev_b32 s4, 1
	v_and_or_b32 v0, v0, s4, v1
	v_cvt_i32_f32_e32 v0, v0
.LBB30_1635:
	s_mov_b64 s[4:5], 0
.LBB30_1636:
	s_andn2_b64 vcc, exec, s[4:5]
	s_cbranch_vccnz .LBB30_1638
; %bb.1637:
	global_load_ubyte v0, v[2:3], off
	s_movk_i32 s4, 0x7f00
	s_brev_b32 s5, 16
	s_waitcnt vmcnt(0)
	v_lshlrev_b16_e32 v1, 8, v0
	v_lshlrev_b32_e32 v0, 25, v0
	v_lshrrev_b32_e32 v4, 4, v0
	v_and_or_b32 v7, v1, s4, 0.5
	v_or_b32_e32 v4, 0x70000000, v4
	v_add_f32_e32 v7, -0.5, v7
	v_mul_f32_e32 v4, 0x7800000, v4
	v_cmp_gt_u32_e32 vcc, s5, v0
	v_bfe_i32 v1, v1, 0, 16
	v_cndmask_b32_e32 v0, v4, v7, vcc
	s_brev_b32 s4, 1
	v_and_or_b32 v0, v1, s4, v0
	v_cvt_i32_f32_e32 v0, v0
.LBB30_1638:
	s_mov_b64 s[20:21], -1
	s_mov_b64 s[4:5], 0
	s_cbranch_execnz .LBB30_1649
.LBB30_1639:
	s_cmp_gt_i32 s22, 14
	s_cbranch_scc0 .LBB30_1642
; %bb.1640:
	s_cmp_eq_u32 s22, 15
	s_cbranch_scc0 .LBB30_1645
; %bb.1641:
	global_load_ushort v0, v[2:3], off
	s_mov_b64 s[0:1], 0
	s_mov_b64 s[20:21], -1
	s_waitcnt vmcnt(0)
	v_lshlrev_b32_e32 v0, 16, v0
	v_cvt_i32_f32_e32 v0, v0
	s_branch .LBB30_1646
.LBB30_1642:
	s_mov_b64 s[18:19], -1
                                        ; implicit-def: $vgpr0
	s_branch .LBB30_1647
.LBB30_1643:
	s_andn2_saveexec_b64 s[4:5], s[4:5]
	s_cbranch_execz .LBB30_1625
.LBB30_1644:
	v_cmp_ne_u16_e32 vcc, 0, v1
	s_andn2_b64 s[18:19], s[18:19], exec
	s_and_b64 s[20:21], vcc, exec
	s_or_b64 s[18:19], s[18:19], s[20:21]
	s_or_b64 exec, exec, s[4:5]
	v_mov_b32_e32 v0, 0
	s_and_saveexec_b64 s[4:5], s[18:19]
	s_cbranch_execnz .LBB30_1626
	s_branch .LBB30_1627
.LBB30_1645:
	s_mov_b64 s[0:1], -1
                                        ; implicit-def: $vgpr0
.LBB30_1646:
	s_mov_b64 s[18:19], 0
.LBB30_1647:
	s_and_b64 vcc, exec, s[18:19]
	s_cbranch_vccz .LBB30_1649
; %bb.1648:
	s_cmp_lg_u32 s22, 11
	s_mov_b64 s[4:5], -1
	s_cselect_b64 s[0:1], -1, 0
.LBB30_1649:
	s_and_b64 vcc, exec, s[0:1]
	s_mov_b64 s[18:19], s[16:17]
	s_cbranch_vccnz .LBB30_1710
; %bb.1650:
	s_andn2_b64 vcc, exec, s[4:5]
	s_cbranch_vccnz .LBB30_1652
.LBB30_1651:
	global_load_ubyte v0, v[2:3], off
	s_mov_b64 s[20:21], -1
	s_waitcnt vmcnt(0)
	v_cmp_ne_u16_e32 vcc, 0, v0
	v_cndmask_b32_e64 v0, 0, 1, vcc
.LBB30_1652:
	s_branch .LBB30_1587
.LBB30_1653:
	s_and_b32 s4, 0xffff, s28
	s_cmp_lt_i32 s4, 5
	s_cbranch_scc1 .LBB30_1658
; %bb.1654:
	s_cmp_lt_i32 s4, 8
	s_cbranch_scc1 .LBB30_1659
; %bb.1655:
	;; [unrolled: 3-line block ×3, first 2 shown]
	s_cmp_gt_i32 s4, 9
	s_cbranch_scc0 .LBB30_1661
; %bb.1657:
	global_load_dwordx2 v[0:1], v[2:3], off
	s_mov_b64 s[0:1], 0
	s_waitcnt vmcnt(0)
	v_cvt_i32_f64_e32 v0, v[0:1]
	s_branch .LBB30_1662
.LBB30_1658:
                                        ; implicit-def: $vgpr0
	s_branch .LBB30_1679
.LBB30_1659:
                                        ; implicit-def: $vgpr0
	s_branch .LBB30_1668
.LBB30_1660:
	s_mov_b64 s[0:1], -1
                                        ; implicit-def: $vgpr0
	s_branch .LBB30_1665
.LBB30_1661:
	s_mov_b64 s[0:1], -1
                                        ; implicit-def: $vgpr0
.LBB30_1662:
	s_andn2_b64 vcc, exec, s[0:1]
	s_cbranch_vccnz .LBB30_1664
; %bb.1663:
	global_load_dword v0, v[2:3], off
	s_waitcnt vmcnt(0)
	v_cvt_i32_f32_e32 v0, v0
.LBB30_1664:
	s_mov_b64 s[0:1], 0
.LBB30_1665:
	s_andn2_b64 vcc, exec, s[0:1]
	s_cbranch_vccnz .LBB30_1667
; %bb.1666:
	global_load_dword v0, v[2:3], off
	s_waitcnt vmcnt(0)
	v_cvt_i16_f16_e32 v0, v0
.LBB30_1667:
	s_cbranch_execnz .LBB30_1678
.LBB30_1668:
	s_cmp_lt_i32 s4, 6
	s_cbranch_scc1 .LBB30_1671
; %bb.1669:
	s_cmp_gt_i32 s4, 6
	s_cbranch_scc0 .LBB30_1672
; %bb.1670:
	global_load_dwordx2 v[0:1], v[2:3], off
	s_mov_b64 s[0:1], 0
	s_waitcnt vmcnt(0)
	v_cvt_i32_f64_e32 v0, v[0:1]
	s_branch .LBB30_1673
.LBB30_1671:
	s_mov_b64 s[0:1], -1
                                        ; implicit-def: $vgpr0
	s_branch .LBB30_1676
.LBB30_1672:
	s_mov_b64 s[0:1], -1
                                        ; implicit-def: $vgpr0
.LBB30_1673:
	s_andn2_b64 vcc, exec, s[0:1]
	s_cbranch_vccnz .LBB30_1675
; %bb.1674:
	global_load_dword v0, v[2:3], off
	s_waitcnt vmcnt(0)
	v_cvt_i32_f32_e32 v0, v0
.LBB30_1675:
	s_mov_b64 s[0:1], 0
.LBB30_1676:
	s_andn2_b64 vcc, exec, s[0:1]
	s_cbranch_vccnz .LBB30_1678
; %bb.1677:
	global_load_ushort v0, v[2:3], off
	s_waitcnt vmcnt(0)
	v_cvt_i16_f16_e32 v0, v0
.LBB30_1678:
	s_cbranch_execnz .LBB30_1697
.LBB30_1679:
	s_cmp_lt_i32 s4, 2
	s_cbranch_scc1 .LBB30_1683
; %bb.1680:
	s_cmp_lt_i32 s4, 3
	s_cbranch_scc1 .LBB30_1684
; %bb.1681:
	s_cmp_gt_i32 s4, 3
	s_cbranch_scc0 .LBB30_1685
; %bb.1682:
	global_load_dwordx2 v[0:1], v[2:3], off
	s_mov_b64 s[0:1], 0
	s_branch .LBB30_1686
.LBB30_1683:
                                        ; implicit-def: $vgpr0
	s_branch .LBB30_1692
.LBB30_1684:
	s_mov_b64 s[0:1], -1
                                        ; implicit-def: $vgpr0
	s_branch .LBB30_1689
.LBB30_1685:
	s_mov_b64 s[0:1], -1
                                        ; implicit-def: $vgpr0
.LBB30_1686:
	s_andn2_b64 vcc, exec, s[0:1]
	s_cbranch_vccnz .LBB30_1688
; %bb.1687:
	global_load_dword v0, v[2:3], off
.LBB30_1688:
	s_mov_b64 s[0:1], 0
.LBB30_1689:
	s_andn2_b64 vcc, exec, s[0:1]
	s_cbranch_vccnz .LBB30_1691
; %bb.1690:
	global_load_ushort v0, v[2:3], off
.LBB30_1691:
	s_cbranch_execnz .LBB30_1697
.LBB30_1692:
	s_cmp_gt_i32 s4, 0
	s_cbranch_scc0 .LBB30_1694
; %bb.1693:
	global_load_ubyte v0, v[2:3], off
	s_mov_b64 s[0:1], 0
	s_branch .LBB30_1695
.LBB30_1694:
	s_mov_b64 s[0:1], -1
                                        ; implicit-def: $vgpr0
.LBB30_1695:
	s_andn2_b64 vcc, exec, s[0:1]
	s_cbranch_vccnz .LBB30_1697
; %bb.1696:
	global_load_ubyte v0, v[2:3], off
.LBB30_1697:
.LBB30_1698:
	v_mul_lo_u32 v7, s14, v5
	v_mov_b32_e32 v2, s3
	s_and_b32 s29, s54, 0xff
	s_cmp_lt_i32 s29, 11
	v_ashrrev_i32_e32 v3, 31, v7
	s_waitcnt vmcnt(0)
	v_add_co_u32_e32 v1, vcc, s2, v7
	v_addc_co_u32_e32 v2, vcc, v2, v3, vcc
	s_cbranch_scc1 .LBB30_1705
; %bb.1699:
	s_and_b32 s24, 0xffff, s29
	s_cmp_gt_i32 s24, 25
	s_mov_b64 s[4:5], 0
	s_cbranch_scc0 .LBB30_1707
; %bb.1700:
	s_cmp_gt_i32 s24, 28
	s_cbranch_scc0 .LBB30_1708
; %bb.1701:
	s_cmp_gt_i32 s24, 43
	;; [unrolled: 3-line block ×3, first 2 shown]
	s_cbranch_scc0 .LBB30_1711
; %bb.1703:
	s_cmp_eq_u32 s24, 46
	s_mov_b64 s[22:23], 0
	s_cbranch_scc0 .LBB30_1714
; %bb.1704:
	global_load_dword v3, v[1:2], off
	s_mov_b64 s[0:1], 0
	s_mov_b64 s[20:21], -1
	s_waitcnt vmcnt(0)
	v_lshlrev_b32_e32 v3, 16, v3
	v_cvt_i32_f32_e32 v3, v3
	s_branch .LBB30_1715
.LBB30_1705:
	s_mov_b64 s[20:21], 0
                                        ; implicit-def: $vgpr3
	s_cbranch_execnz .LBB30_1776
.LBB30_1706:
	s_andn2_b64 vcc, exec, s[20:21]
	s_cbranch_vccnz .LBB30_2634
	s_branch .LBB30_1823
.LBB30_1707:
	s_mov_b64 s[20:21], 0
	s_mov_b64 s[0:1], 0
                                        ; implicit-def: $vgpr3
	s_cbranch_execnz .LBB30_1742
	s_branch .LBB30_1772
.LBB30_1708:
	s_mov_b64 s[22:23], -1
	s_mov_b64 s[20:21], 0
	s_mov_b64 s[0:1], 0
                                        ; implicit-def: $vgpr3
	s_branch .LBB30_1725
.LBB30_1709:
	s_mov_b64 s[22:23], -1
	s_mov_b64 s[20:21], 0
	s_mov_b64 s[0:1], 0
                                        ; implicit-def: $vgpr3
	s_branch .LBB30_1720
.LBB30_1710:
	s_or_b64 s[18:19], s[16:17], exec
	s_trap 2
	s_cbranch_execz .LBB30_1651
	s_branch .LBB30_1652
.LBB30_1711:
	s_mov_b64 s[22:23], -1
	s_mov_b64 s[20:21], 0
	s_mov_b64 s[0:1], 0
                                        ; implicit-def: $vgpr3
	s_branch .LBB30_1715
.LBB30_1712:
	s_andn2_saveexec_b64 s[30:31], s[30:31]
	s_cbranch_execz .LBB30_1502
.LBB30_1713:
	v_add_f32_e32 v0, 0x42800000, v3
	v_and_b32_e32 v0, 0xff, v0
	v_cmp_ne_u32_e32 vcc, 0, v0
	s_andn2_b64 s[28:29], s[28:29], exec
	s_and_b64 s[36:37], vcc, exec
	s_or_b64 s[28:29], s[28:29], s[36:37]
	s_or_b64 exec, exec, s[30:31]
	v_mov_b32_e32 v4, 0
	s_and_saveexec_b64 s[30:31], s[28:29]
	s_cbranch_execnz .LBB30_1503
	s_branch .LBB30_1504
.LBB30_1714:
	s_mov_b64 s[0:1], -1
                                        ; implicit-def: $vgpr3
	s_mov_b64 s[20:21], 0
.LBB30_1715:
	s_and_b64 vcc, exec, s[22:23]
	s_cbranch_vccz .LBB30_1719
; %bb.1716:
	s_cmp_eq_u32 s24, 44
	s_cbranch_scc0 .LBB30_1718
; %bb.1717:
	global_load_ubyte v3, v[1:2], off
	s_mov_b64 s[0:1], 0
	s_mov_b64 s[20:21], -1
	s_waitcnt vmcnt(0)
	v_lshlrev_b32_e32 v4, 23, v3
	v_cvt_i32_f32_e32 v4, v4
	v_cmp_ne_u32_e32 vcc, 0, v3
	v_cndmask_b32_e32 v3, 0, v4, vcc
	s_branch .LBB30_1719
.LBB30_1718:
	s_mov_b64 s[0:1], -1
                                        ; implicit-def: $vgpr3
.LBB30_1719:
	s_mov_b64 s[22:23], 0
.LBB30_1720:
	s_and_b64 vcc, exec, s[22:23]
	s_cbranch_vccz .LBB30_1724
; %bb.1721:
	s_cmp_eq_u32 s24, 29
	s_cbranch_scc0 .LBB30_1723
; %bb.1722:
	global_load_dwordx2 v[3:4], v[1:2], off
	s_mov_b64 s[0:1], 0
	s_mov_b64 s[20:21], -1
	s_branch .LBB30_1724
.LBB30_1723:
	s_mov_b64 s[0:1], -1
                                        ; implicit-def: $vgpr3
.LBB30_1724:
	s_mov_b64 s[22:23], 0
.LBB30_1725:
	s_and_b64 vcc, exec, s[22:23]
	s_cbranch_vccz .LBB30_1741
; %bb.1726:
	s_cmp_lt_i32 s24, 27
	s_cbranch_scc1 .LBB30_1729
; %bb.1727:
	s_cmp_gt_i32 s24, 27
	s_cbranch_scc0 .LBB30_1730
; %bb.1728:
	global_load_dword v3, v[1:2], off
	s_mov_b64 s[20:21], 0
	s_branch .LBB30_1731
.LBB30_1729:
	s_mov_b64 s[20:21], -1
                                        ; implicit-def: $vgpr3
	s_branch .LBB30_1734
.LBB30_1730:
	s_mov_b64 s[20:21], -1
                                        ; implicit-def: $vgpr3
.LBB30_1731:
	s_andn2_b64 vcc, exec, s[20:21]
	s_cbranch_vccnz .LBB30_1733
; %bb.1732:
	global_load_ushort v3, v[1:2], off
.LBB30_1733:
	s_mov_b64 s[20:21], 0
.LBB30_1734:
	s_andn2_b64 vcc, exec, s[20:21]
	s_cbranch_vccnz .LBB30_1740
; %bb.1735:
	global_load_ubyte v4, v[1:2], off
	s_movk_i32 s20, 0x7f
	s_mov_b64 s[22:23], 0
	s_waitcnt vmcnt(0)
	v_cmp_lt_i16_e32 vcc, s20, v4
	s_and_saveexec_b64 s[20:21], vcc
	s_xor_b64 s[20:21], exec, s[20:21]
	s_cbranch_execz .LBB30_1751
; %bb.1736:
	s_movk_i32 s22, 0x80
	v_cmp_ne_u16_e32 vcc, s22, v4
	s_and_b64 s[22:23], vcc, exec
	s_andn2_saveexec_b64 s[20:21], s[20:21]
	s_cbranch_execnz .LBB30_1752
.LBB30_1737:
	s_or_b64 exec, exec, s[20:21]
	v_mov_b32_e32 v3, 0
	s_and_saveexec_b64 s[20:21], s[22:23]
	s_cbranch_execz .LBB30_1739
.LBB30_1738:
	v_lshlrev_b32_e32 v3, 24, v4
	v_and_b32_e32 v4, 0xffff, v4
	v_and_b32_e32 v8, 7, v4
	v_ffbh_u32_e32 v10, v8
	v_min_u32_e32 v10, 32, v10
	v_subrev_u32_e32 v11, 28, v10
	v_bfe_u32 v9, v4, 3, 4
	v_lshlrev_b32_e32 v4, v11, v4
	v_sub_u32_e32 v10, 29, v10
	v_and_b32_e32 v4, 7, v4
	v_cmp_eq_u32_e32 vcc, 0, v9
	v_cndmask_b32_e32 v9, v9, v10, vcc
	v_cndmask_b32_e32 v4, v8, v4, vcc
	v_mov_b32_e32 v8, 0x3b800000
	v_lshlrev_b32_e32 v4, 20, v4
	v_and_b32_e32 v3, 0x80000000, v3
	v_lshl_add_u32 v8, v9, 23, v8
	v_or3_b32 v3, v3, v8, v4
	v_cvt_i32_f32_e32 v3, v3
.LBB30_1739:
	s_or_b64 exec, exec, s[20:21]
.LBB30_1740:
	s_mov_b64 s[20:21], -1
.LBB30_1741:
	s_branch .LBB30_1772
.LBB30_1742:
	s_cmp_gt_i32 s24, 22
	s_cbranch_scc0 .LBB30_1750
; %bb.1743:
	s_cmp_lt_i32 s24, 24
	s_cbranch_scc1 .LBB30_1753
; %bb.1744:
	s_cmp_gt_i32 s24, 24
	s_cbranch_scc0 .LBB30_1754
; %bb.1745:
	global_load_ubyte v4, v[1:2], off
	s_movk_i32 s4, 0x7f
	s_mov_b64 s[20:21], 0
	s_waitcnt vmcnt(0)
	v_cmp_lt_i16_e32 vcc, s4, v4
	s_and_saveexec_b64 s[4:5], vcc
	s_xor_b64 s[4:5], exec, s[4:5]
	s_cbranch_execz .LBB30_1766
; %bb.1746:
	s_movk_i32 s20, 0x80
	v_cmp_ne_u16_e32 vcc, s20, v4
	s_and_b64 s[20:21], vcc, exec
	s_andn2_saveexec_b64 s[4:5], s[4:5]
	s_cbranch_execnz .LBB30_1767
.LBB30_1747:
	s_or_b64 exec, exec, s[4:5]
	v_mov_b32_e32 v3, 0
	s_and_saveexec_b64 s[4:5], s[20:21]
	s_cbranch_execz .LBB30_1749
.LBB30_1748:
	v_lshlrev_b32_e32 v3, 24, v4
	v_and_b32_e32 v4, 0xffff, v4
	v_and_b32_e32 v8, 3, v4
	v_ffbh_u32_e32 v10, v8
	v_min_u32_e32 v10, 32, v10
	v_subrev_u32_e32 v11, 29, v10
	v_bfe_u32 v9, v4, 2, 5
	v_lshlrev_b32_e32 v4, v11, v4
	v_sub_u32_e32 v10, 30, v10
	v_and_b32_e32 v4, 3, v4
	v_cmp_eq_u32_e32 vcc, 0, v9
	v_cndmask_b32_e32 v9, v9, v10, vcc
	v_cndmask_b32_e32 v4, v8, v4, vcc
	v_mov_b32_e32 v8, 0x37800000
	v_lshlrev_b32_e32 v4, 21, v4
	v_and_b32_e32 v3, 0x80000000, v3
	v_lshl_add_u32 v8, v9, 23, v8
	v_or3_b32 v3, v3, v8, v4
	v_cvt_i32_f32_e32 v3, v3
.LBB30_1749:
	s_or_b64 exec, exec, s[4:5]
	s_mov_b64 s[4:5], 0
	s_branch .LBB30_1755
.LBB30_1750:
	s_mov_b64 s[4:5], -1
                                        ; implicit-def: $vgpr3
	s_branch .LBB30_1761
.LBB30_1751:
	s_andn2_saveexec_b64 s[20:21], s[20:21]
	s_cbranch_execz .LBB30_1737
.LBB30_1752:
	v_cmp_ne_u16_e32 vcc, 0, v4
	s_andn2_b64 s[22:23], s[22:23], exec
	s_and_b64 s[26:27], vcc, exec
	s_or_b64 s[22:23], s[22:23], s[26:27]
	s_or_b64 exec, exec, s[20:21]
	v_mov_b32_e32 v3, 0
	s_and_saveexec_b64 s[20:21], s[22:23]
	s_cbranch_execnz .LBB30_1738
	s_branch .LBB30_1739
.LBB30_1753:
	s_mov_b64 s[4:5], -1
                                        ; implicit-def: $vgpr3
	s_branch .LBB30_1758
.LBB30_1754:
	s_mov_b64 s[4:5], -1
                                        ; implicit-def: $vgpr3
.LBB30_1755:
	s_and_b64 vcc, exec, s[4:5]
	s_cbranch_vccz .LBB30_1757
; %bb.1756:
	global_load_ubyte v3, v[1:2], off
	s_mov_b32 s4, 0x7f800000
	s_waitcnt vmcnt(0)
	v_lshlrev_b32_e32 v3, 24, v3
	v_and_b32_e32 v4, 0x7f000000, v3
	v_ffbh_u32_e32 v8, v4
	v_min_u32_e32 v8, 32, v8
	v_sub_u32_e64 v8, v8, 4 clamp
	v_lshlrev_b32_e32 v10, v8, v4
	v_lshlrev_b32_e32 v8, 23, v8
	v_lshrrev_b32_e32 v10, 4, v10
	v_add_u32_e32 v9, 0x1000000, v4
	v_sub_u32_e32 v8, v10, v8
	v_ashrrev_i32_e32 v9, 8, v9
	v_add_u32_e32 v8, 0x3c000000, v8
	v_and_or_b32 v8, v9, s4, v8
	v_cmp_ne_u32_e32 vcc, 0, v4
	v_cndmask_b32_e32 v4, 0, v8, vcc
	s_brev_b32 s4, 1
	v_and_or_b32 v3, v3, s4, v4
	v_cvt_i32_f32_e32 v3, v3
.LBB30_1757:
	s_mov_b64 s[4:5], 0
.LBB30_1758:
	s_andn2_b64 vcc, exec, s[4:5]
	s_cbranch_vccnz .LBB30_1760
; %bb.1759:
	global_load_ubyte v3, v[1:2], off
	s_movk_i32 s4, 0x7f00
	s_brev_b32 s5, 16
	s_waitcnt vmcnt(0)
	v_lshlrev_b16_e32 v4, 8, v3
	v_lshlrev_b32_e32 v3, 25, v3
	v_lshrrev_b32_e32 v8, 4, v3
	v_and_or_b32 v9, v4, s4, 0.5
	v_or_b32_e32 v8, 0x70000000, v8
	v_add_f32_e32 v9, -0.5, v9
	v_mul_f32_e32 v8, 0x7800000, v8
	v_cmp_gt_u32_e32 vcc, s5, v3
	v_bfe_i32 v4, v4, 0, 16
	v_cndmask_b32_e32 v3, v8, v9, vcc
	s_brev_b32 s4, 1
	v_and_or_b32 v3, v4, s4, v3
	v_cvt_i32_f32_e32 v3, v3
.LBB30_1760:
	s_mov_b64 s[4:5], 0
	s_mov_b64 s[20:21], -1
.LBB30_1761:
	s_andn2_b64 vcc, exec, s[4:5]
	s_mov_b64 s[4:5], 0
	s_cbranch_vccnz .LBB30_1772
; %bb.1762:
	s_cmp_gt_i32 s24, 14
	s_cbranch_scc0 .LBB30_1765
; %bb.1763:
	s_cmp_eq_u32 s24, 15
	s_cbranch_scc0 .LBB30_1768
; %bb.1764:
	global_load_ushort v3, v[1:2], off
	s_mov_b64 s[0:1], 0
	s_mov_b64 s[20:21], -1
	s_waitcnt vmcnt(0)
	v_lshlrev_b32_e32 v3, 16, v3
	v_cvt_i32_f32_e32 v3, v3
	s_branch .LBB30_1769
.LBB30_1765:
	s_mov_b64 s[22:23], -1
                                        ; implicit-def: $vgpr3
	s_branch .LBB30_1770
.LBB30_1766:
	s_andn2_saveexec_b64 s[4:5], s[4:5]
	s_cbranch_execz .LBB30_1747
.LBB30_1767:
	v_cmp_ne_u16_e32 vcc, 0, v4
	s_andn2_b64 s[20:21], s[20:21], exec
	s_and_b64 s[22:23], vcc, exec
	s_or_b64 s[20:21], s[20:21], s[22:23]
	s_or_b64 exec, exec, s[4:5]
	v_mov_b32_e32 v3, 0
	s_and_saveexec_b64 s[4:5], s[20:21]
	s_cbranch_execnz .LBB30_1748
	s_branch .LBB30_1749
.LBB30_1768:
	s_mov_b64 s[0:1], -1
                                        ; implicit-def: $vgpr3
.LBB30_1769:
	s_mov_b64 s[22:23], 0
.LBB30_1770:
	s_and_b64 vcc, exec, s[22:23]
	s_cbranch_vccz .LBB30_1772
; %bb.1771:
	s_cmp_lg_u32 s24, 11
	s_mov_b64 s[4:5], -1
	s_cselect_b64 s[0:1], -1, 0
.LBB30_1772:
	s_and_b64 vcc, exec, s[0:1]
	s_cbranch_vccnz .LBB30_1851
; %bb.1773:
	s_andn2_b64 vcc, exec, s[4:5]
	s_cbranch_vccnz .LBB30_1775
.LBB30_1774:
	global_load_ubyte v3, v[1:2], off
	s_mov_b64 s[20:21], -1
	s_waitcnt vmcnt(0)
	v_cmp_ne_u16_e32 vcc, 0, v3
	v_cndmask_b32_e64 v3, 0, 1, vcc
.LBB30_1775:
	s_branch .LBB30_1706
.LBB30_1776:
	s_and_b32 s4, 0xffff, s29
	s_cmp_lt_i32 s4, 5
	s_cbranch_scc1 .LBB30_1781
; %bb.1777:
	s_cmp_lt_i32 s4, 8
	s_cbranch_scc1 .LBB30_1782
; %bb.1778:
	;; [unrolled: 3-line block ×3, first 2 shown]
	s_cmp_gt_i32 s4, 9
	s_cbranch_scc0 .LBB30_1784
; %bb.1780:
	global_load_dwordx2 v[3:4], v[1:2], off
	s_mov_b64 s[0:1], 0
	s_waitcnt vmcnt(0)
	v_cvt_i32_f64_e32 v3, v[3:4]
	s_branch .LBB30_1785
.LBB30_1781:
                                        ; implicit-def: $vgpr3
	s_branch .LBB30_1803
.LBB30_1782:
	s_mov_b64 s[0:1], -1
                                        ; implicit-def: $vgpr3
	s_branch .LBB30_1791
.LBB30_1783:
	s_mov_b64 s[0:1], -1
                                        ; implicit-def: $vgpr3
	s_branch .LBB30_1788
.LBB30_1784:
	s_mov_b64 s[0:1], -1
                                        ; implicit-def: $vgpr3
.LBB30_1785:
	s_andn2_b64 vcc, exec, s[0:1]
	s_cbranch_vccnz .LBB30_1787
; %bb.1786:
	global_load_dword v3, v[1:2], off
	s_waitcnt vmcnt(0)
	v_cvt_i32_f32_e32 v3, v3
.LBB30_1787:
	s_mov_b64 s[0:1], 0
.LBB30_1788:
	s_andn2_b64 vcc, exec, s[0:1]
	s_cbranch_vccnz .LBB30_1790
; %bb.1789:
	global_load_dword v3, v[1:2], off
	s_waitcnt vmcnt(0)
	v_cvt_i16_f16_e32 v3, v3
.LBB30_1790:
	s_mov_b64 s[0:1], 0
.LBB30_1791:
	s_andn2_b64 vcc, exec, s[0:1]
	s_cbranch_vccnz .LBB30_1802
; %bb.1792:
	s_cmp_lt_i32 s4, 6
	s_cbranch_scc1 .LBB30_1795
; %bb.1793:
	s_cmp_gt_i32 s4, 6
	s_cbranch_scc0 .LBB30_1796
; %bb.1794:
	global_load_dwordx2 v[3:4], v[1:2], off
	s_mov_b64 s[0:1], 0
	s_waitcnt vmcnt(0)
	v_cvt_i32_f64_e32 v3, v[3:4]
	s_branch .LBB30_1797
.LBB30_1795:
	s_mov_b64 s[0:1], -1
                                        ; implicit-def: $vgpr3
	s_branch .LBB30_1800
.LBB30_1796:
	s_mov_b64 s[0:1], -1
                                        ; implicit-def: $vgpr3
.LBB30_1797:
	s_andn2_b64 vcc, exec, s[0:1]
	s_cbranch_vccnz .LBB30_1799
; %bb.1798:
	global_load_dword v3, v[1:2], off
	s_waitcnt vmcnt(0)
	v_cvt_i32_f32_e32 v3, v3
.LBB30_1799:
	s_mov_b64 s[0:1], 0
.LBB30_1800:
	s_andn2_b64 vcc, exec, s[0:1]
	s_cbranch_vccnz .LBB30_1802
; %bb.1801:
	global_load_ushort v3, v[1:2], off
	s_waitcnt vmcnt(0)
	v_cvt_i16_f16_e32 v3, v3
.LBB30_1802:
	s_cbranch_execnz .LBB30_1822
.LBB30_1803:
	s_cmp_lt_i32 s4, 2
	s_cbranch_scc1 .LBB30_1807
; %bb.1804:
	s_cmp_lt_i32 s4, 3
	s_cbranch_scc1 .LBB30_1808
; %bb.1805:
	s_cmp_gt_i32 s4, 3
	s_cbranch_scc0 .LBB30_1809
; %bb.1806:
	global_load_dwordx2 v[3:4], v[1:2], off
	s_mov_b64 s[0:1], 0
	s_branch .LBB30_1810
.LBB30_1807:
	s_mov_b64 s[0:1], -1
                                        ; implicit-def: $vgpr3
	s_branch .LBB30_1816
.LBB30_1808:
	s_mov_b64 s[0:1], -1
                                        ; implicit-def: $vgpr3
	s_branch .LBB30_1813
.LBB30_1809:
	s_mov_b64 s[0:1], -1
                                        ; implicit-def: $vgpr3
.LBB30_1810:
	s_andn2_b64 vcc, exec, s[0:1]
	s_cbranch_vccnz .LBB30_1812
; %bb.1811:
	global_load_dword v3, v[1:2], off
.LBB30_1812:
	s_mov_b64 s[0:1], 0
.LBB30_1813:
	s_andn2_b64 vcc, exec, s[0:1]
	s_cbranch_vccnz .LBB30_1815
; %bb.1814:
	global_load_ushort v3, v[1:2], off
.LBB30_1815:
	s_mov_b64 s[0:1], 0
.LBB30_1816:
	s_andn2_b64 vcc, exec, s[0:1]
	s_cbranch_vccnz .LBB30_1822
; %bb.1817:
	s_cmp_gt_i32 s4, 0
	s_cbranch_scc0 .LBB30_1819
; %bb.1818:
	global_load_ubyte v3, v[1:2], off
	s_mov_b64 s[0:1], 0
	s_branch .LBB30_1820
.LBB30_1819:
	s_mov_b64 s[0:1], -1
                                        ; implicit-def: $vgpr3
.LBB30_1820:
	s_andn2_b64 vcc, exec, s[0:1]
	s_cbranch_vccnz .LBB30_1822
; %bb.1821:
	global_load_ubyte v3, v[1:2], off
.LBB30_1822:
.LBB30_1823:
	s_cmp_lt_i32 s15, 1
	s_mov_b64 s[0:1], 0
	s_cbranch_scc1 .LBB30_1827
; %bb.1824:
	s_cmp_gt_i32 s15, 1
	s_cbranch_scc0 .LBB30_1828
; %bb.1825:
	s_cmp_eq_u32 s15, 2
	s_cbranch_scc0 .LBB30_1829
; %bb.1826:
	s_waitcnt vmcnt(0)
	v_cmp_le_i16_sdwa s[4:5], sext(v0), sext(v3) src0_sel:BYTE_0 src1_sel:BYTE_0
	s_mov_b64 s[20:21], 0
	s_branch .LBB30_1830
.LBB30_1827:
                                        ; implicit-def: $sgpr4_sgpr5
	s_mov_b64 s[20:21], 0
	s_cbranch_execnz .LBB30_1834
	s_branch .LBB30_1835
.LBB30_1828:
	s_mov_b64 s[22:23], -1
	s_mov_b64 s[20:21], 0
                                        ; implicit-def: $sgpr4_sgpr5
	s_branch .LBB30_1831
.LBB30_1829:
	s_mov_b64 s[20:21], -1
                                        ; implicit-def: $sgpr4_sgpr5
.LBB30_1830:
	s_mov_b64 s[22:23], 0
.LBB30_1831:
	s_and_b64 vcc, exec, s[22:23]
	s_cbranch_vccz .LBB30_1833
; %bb.1832:
	s_waitcnt vmcnt(0)
	v_cmp_gt_i16_sdwa s[22:23], sext(v0), sext(v3) src0_sel:BYTE_0 src1_sel:BYTE_0
	s_andn2_b64 s[4:5], s[4:5], exec
	s_and_b64 s[22:23], s[22:23], exec
	s_or_b64 s[4:5], s[4:5], s[22:23]
.LBB30_1833:
	s_branch .LBB30_1835
.LBB30_1834:
	s_cmp_lg_u32 s15, 0
	s_mov_b64 s[0:1], -1
	s_cselect_b64 s[20:21], -1, 0
.LBB30_1835:
	s_andn2_b64 vcc, exec, s[20:21]
	s_cbranch_vccnz .LBB30_1837
; %bb.1836:
	s_waitcnt vmcnt(0)
	v_cmp_lt_i16_sdwa s[20:21], sext(v0), sext(v3) src0_sel:BYTE_0 src1_sel:BYTE_0
	s_andn2_b64 s[4:5], s[4:5], exec
	s_and_b64 s[20:21], s[20:21], exec
	s_or_b64 s[4:5], s[4:5], s[20:21]
	s_cbranch_execz .LBB30_1838
	s_branch .LBB30_1839
.LBB30_1837:
	s_andn2_b64 vcc, exec, s[0:1]
	s_cbranch_vccnz .LBB30_1839
.LBB30_1838:
	s_waitcnt vmcnt(0)
	v_cmp_ge_i16_sdwa s[0:1], sext(v0), sext(v3) src0_sel:BYTE_0 src1_sel:BYTE_0
	s_andn2_b64 s[4:5], s[4:5], exec
	s_and_b64 s[0:1], s[0:1], exec
	s_or_b64 s[4:5], s[4:5], s[0:1]
.LBB30_1839:
	s_lshl_b32 s13, s13, 7
	v_add_u32_e32 v6, s13, v6
	v_ashrrev_i32_e32 v0, 31, v6
	v_mov_b32_e32 v1, s11
	v_add_co_u32_e32 v2, vcc, s10, v6
	s_cmp_lt_i32 s28, 11
	s_waitcnt vmcnt(0)
	v_addc_co_u32_e32 v3, vcc, v1, v0, vcc
	s_cbranch_scc1 .LBB30_1846
; %bb.1840:
	s_and_b32 s26, 0xffff, s28
	s_cmp_gt_i32 s26, 25
	s_mov_b64 s[20:21], 0
	s_cbranch_scc0 .LBB30_1848
; %bb.1841:
	s_cmp_gt_i32 s26, 28
	s_cbranch_scc0 .LBB30_1849
; %bb.1842:
	s_cmp_gt_i32 s26, 43
	;; [unrolled: 3-line block ×3, first 2 shown]
	s_cbranch_scc0 .LBB30_1852
; %bb.1844:
	s_cmp_eq_u32 s26, 46
	s_mov_b64 s[24:25], 0
	s_cbranch_scc0 .LBB30_1853
; %bb.1845:
	global_load_dword v0, v[2:3], off
	s_mov_b64 s[0:1], 0
	s_mov_b64 s[22:23], -1
	s_waitcnt vmcnt(0)
	v_lshlrev_b32_e32 v0, 16, v0
	v_cvt_i32_f32_e32 v0, v0
	s_branch .LBB30_1854
.LBB30_1846:
	s_mov_b64 s[22:23], 0
                                        ; implicit-def: $vgpr0
	s_cbranch_execnz .LBB30_1916
.LBB30_1847:
	s_andn2_b64 vcc, exec, s[22:23]
	s_cbranch_vccnz .LBB30_2634
	s_branch .LBB30_1964
.LBB30_1848:
	s_mov_b64 s[24:25], -1
	s_mov_b64 s[22:23], 0
	s_mov_b64 s[0:1], 0
                                        ; implicit-def: $vgpr0
	s_branch .LBB30_1881
.LBB30_1849:
	s_mov_b64 s[24:25], -1
	s_mov_b64 s[22:23], 0
	s_mov_b64 s[0:1], 0
                                        ; implicit-def: $vgpr0
	s_branch .LBB30_1864
.LBB30_1850:
	s_mov_b64 s[24:25], -1
	s_mov_b64 s[22:23], 0
	s_mov_b64 s[0:1], 0
                                        ; implicit-def: $vgpr0
	s_branch .LBB30_1859
.LBB30_1851:
	s_trap 2
	s_or_b64 s[18:19], s[18:19], exec
	s_cbranch_execz .LBB30_1774
	s_branch .LBB30_1775
.LBB30_1852:
	s_mov_b64 s[24:25], -1
	s_mov_b64 s[22:23], 0
	s_mov_b64 s[0:1], 0
                                        ; implicit-def: $vgpr0
	s_branch .LBB30_1854
.LBB30_1853:
	s_mov_b64 s[0:1], -1
                                        ; implicit-def: $vgpr0
	s_mov_b64 s[22:23], 0
.LBB30_1854:
	s_and_b64 vcc, exec, s[24:25]
	s_cbranch_vccz .LBB30_1858
; %bb.1855:
	s_cmp_eq_u32 s26, 44
	s_cbranch_scc0 .LBB30_1857
; %bb.1856:
	global_load_ubyte v0, v[2:3], off
	s_mov_b64 s[0:1], 0
	s_mov_b64 s[22:23], -1
	s_waitcnt vmcnt(0)
	v_lshlrev_b32_e32 v1, 23, v0
	v_cvt_i32_f32_e32 v1, v1
	v_cmp_ne_u32_e32 vcc, 0, v0
	v_cndmask_b32_e32 v0, 0, v1, vcc
	s_branch .LBB30_1858
.LBB30_1857:
	s_mov_b64 s[0:1], -1
                                        ; implicit-def: $vgpr0
.LBB30_1858:
	s_mov_b64 s[24:25], 0
.LBB30_1859:
	s_and_b64 vcc, exec, s[24:25]
	s_cbranch_vccz .LBB30_1863
; %bb.1860:
	s_cmp_eq_u32 s26, 29
	s_cbranch_scc0 .LBB30_1862
; %bb.1861:
	global_load_dwordx2 v[0:1], v[2:3], off
	s_mov_b64 s[0:1], 0
	s_mov_b64 s[22:23], -1
	s_branch .LBB30_1863
.LBB30_1862:
	s_mov_b64 s[0:1], -1
                                        ; implicit-def: $vgpr0
.LBB30_1863:
	s_mov_b64 s[24:25], 0
.LBB30_1864:
	s_and_b64 vcc, exec, s[24:25]
	s_cbranch_vccz .LBB30_1880
; %bb.1865:
	s_cmp_lt_i32 s26, 27
	s_cbranch_scc1 .LBB30_1868
; %bb.1866:
	s_cmp_gt_i32 s26, 27
	s_cbranch_scc0 .LBB30_1869
; %bb.1867:
	global_load_dword v0, v[2:3], off
	s_mov_b64 s[22:23], 0
	s_branch .LBB30_1870
.LBB30_1868:
	s_mov_b64 s[22:23], -1
                                        ; implicit-def: $vgpr0
	s_branch .LBB30_1873
.LBB30_1869:
	s_mov_b64 s[22:23], -1
                                        ; implicit-def: $vgpr0
.LBB30_1870:
	s_andn2_b64 vcc, exec, s[22:23]
	s_cbranch_vccnz .LBB30_1872
; %bb.1871:
	global_load_ushort v0, v[2:3], off
.LBB30_1872:
	s_mov_b64 s[22:23], 0
.LBB30_1873:
	s_andn2_b64 vcc, exec, s[22:23]
	s_cbranch_vccnz .LBB30_1879
; %bb.1874:
	global_load_ubyte v1, v[2:3], off
	s_movk_i32 s22, 0x7f
	s_mov_b64 s[24:25], 0
	s_waitcnt vmcnt(0)
	v_cmp_lt_i16_e32 vcc, s22, v1
	s_and_saveexec_b64 s[22:23], vcc
	s_xor_b64 s[22:23], exec, s[22:23]
	s_cbranch_execz .LBB30_1891
; %bb.1875:
	s_movk_i32 s24, 0x80
	v_cmp_ne_u16_e32 vcc, s24, v1
	s_and_b64 s[24:25], vcc, exec
	s_andn2_saveexec_b64 s[22:23], s[22:23]
	s_cbranch_execnz .LBB30_1892
.LBB30_1876:
	s_or_b64 exec, exec, s[22:23]
	v_mov_b32_e32 v0, 0
	s_and_saveexec_b64 s[22:23], s[24:25]
	s_cbranch_execz .LBB30_1878
.LBB30_1877:
	v_lshlrev_b32_e32 v0, 24, v1
	v_and_b32_e32 v1, 0xffff, v1
	v_and_b32_e32 v4, 7, v1
	v_ffbh_u32_e32 v9, v4
	v_min_u32_e32 v9, 32, v9
	v_subrev_u32_e32 v10, 28, v9
	v_bfe_u32 v8, v1, 3, 4
	v_lshlrev_b32_e32 v1, v10, v1
	v_sub_u32_e32 v9, 29, v9
	v_and_b32_e32 v1, 7, v1
	v_cmp_eq_u32_e32 vcc, 0, v8
	v_cndmask_b32_e32 v8, v8, v9, vcc
	v_cndmask_b32_e32 v1, v4, v1, vcc
	v_mov_b32_e32 v4, 0x3b800000
	v_lshlrev_b32_e32 v1, 20, v1
	v_and_b32_e32 v0, 0x80000000, v0
	v_lshl_add_u32 v4, v8, 23, v4
	v_or3_b32 v0, v0, v4, v1
	v_cvt_i32_f32_e32 v0, v0
.LBB30_1878:
	s_or_b64 exec, exec, s[22:23]
.LBB30_1879:
	s_mov_b64 s[22:23], -1
.LBB30_1880:
	s_mov_b64 s[24:25], 0
.LBB30_1881:
	s_and_b64 vcc, exec, s[24:25]
	s_cbranch_vccz .LBB30_1912
; %bb.1882:
	s_cmp_gt_i32 s26, 22
	s_cbranch_scc0 .LBB30_1890
; %bb.1883:
	s_cmp_lt_i32 s26, 24
	s_cbranch_scc1 .LBB30_1893
; %bb.1884:
	s_cmp_gt_i32 s26, 24
	s_cbranch_scc0 .LBB30_1894
; %bb.1885:
	global_load_ubyte v1, v[2:3], off
	s_movk_i32 s20, 0x7f
	s_mov_b64 s[22:23], 0
	s_waitcnt vmcnt(0)
	v_cmp_lt_i16_e32 vcc, s20, v1
	s_and_saveexec_b64 s[20:21], vcc
	s_xor_b64 s[20:21], exec, s[20:21]
	s_cbranch_execz .LBB30_1906
; %bb.1886:
	s_movk_i32 s22, 0x80
	v_cmp_ne_u16_e32 vcc, s22, v1
	s_and_b64 s[22:23], vcc, exec
	s_andn2_saveexec_b64 s[20:21], s[20:21]
	s_cbranch_execnz .LBB30_1907
.LBB30_1887:
	s_or_b64 exec, exec, s[20:21]
	v_mov_b32_e32 v0, 0
	s_and_saveexec_b64 s[20:21], s[22:23]
	s_cbranch_execz .LBB30_1889
.LBB30_1888:
	v_lshlrev_b32_e32 v0, 24, v1
	v_and_b32_e32 v1, 0xffff, v1
	v_and_b32_e32 v4, 3, v1
	v_ffbh_u32_e32 v9, v4
	v_min_u32_e32 v9, 32, v9
	v_subrev_u32_e32 v10, 29, v9
	v_bfe_u32 v8, v1, 2, 5
	v_lshlrev_b32_e32 v1, v10, v1
	v_sub_u32_e32 v9, 30, v9
	v_and_b32_e32 v1, 3, v1
	v_cmp_eq_u32_e32 vcc, 0, v8
	v_cndmask_b32_e32 v8, v8, v9, vcc
	v_cndmask_b32_e32 v1, v4, v1, vcc
	v_mov_b32_e32 v4, 0x37800000
	v_lshlrev_b32_e32 v1, 21, v1
	v_and_b32_e32 v0, 0x80000000, v0
	v_lshl_add_u32 v4, v8, 23, v4
	v_or3_b32 v0, v0, v4, v1
	v_cvt_i32_f32_e32 v0, v0
.LBB30_1889:
	s_or_b64 exec, exec, s[20:21]
	s_mov_b64 s[20:21], 0
	s_branch .LBB30_1895
.LBB30_1890:
	s_mov_b64 s[20:21], -1
                                        ; implicit-def: $vgpr0
	s_branch .LBB30_1901
.LBB30_1891:
	s_andn2_saveexec_b64 s[22:23], s[22:23]
	s_cbranch_execz .LBB30_1876
.LBB30_1892:
	v_cmp_ne_u16_e32 vcc, 0, v1
	s_andn2_b64 s[24:25], s[24:25], exec
	s_and_b64 s[30:31], vcc, exec
	s_or_b64 s[24:25], s[24:25], s[30:31]
	s_or_b64 exec, exec, s[22:23]
	v_mov_b32_e32 v0, 0
	s_and_saveexec_b64 s[22:23], s[24:25]
	s_cbranch_execnz .LBB30_1877
	s_branch .LBB30_1878
.LBB30_1893:
	s_mov_b64 s[20:21], -1
                                        ; implicit-def: $vgpr0
	s_branch .LBB30_1898
.LBB30_1894:
	s_mov_b64 s[20:21], -1
                                        ; implicit-def: $vgpr0
.LBB30_1895:
	s_and_b64 vcc, exec, s[20:21]
	s_cbranch_vccz .LBB30_1897
; %bb.1896:
	global_load_ubyte v0, v[2:3], off
	s_mov_b32 s20, 0x7f800000
	s_waitcnt vmcnt(0)
	v_lshlrev_b32_e32 v0, 24, v0
	v_and_b32_e32 v1, 0x7f000000, v0
	v_ffbh_u32_e32 v4, v1
	v_min_u32_e32 v4, 32, v4
	v_sub_u32_e64 v4, v4, 4 clamp
	v_lshlrev_b32_e32 v9, v4, v1
	v_lshlrev_b32_e32 v4, 23, v4
	v_lshrrev_b32_e32 v9, 4, v9
	v_add_u32_e32 v8, 0x1000000, v1
	v_sub_u32_e32 v4, v9, v4
	v_ashrrev_i32_e32 v8, 8, v8
	v_add_u32_e32 v4, 0x3c000000, v4
	v_and_or_b32 v4, v8, s20, v4
	v_cmp_ne_u32_e32 vcc, 0, v1
	v_cndmask_b32_e32 v1, 0, v4, vcc
	s_brev_b32 s20, 1
	v_and_or_b32 v0, v0, s20, v1
	v_cvt_i32_f32_e32 v0, v0
.LBB30_1897:
	s_mov_b64 s[20:21], 0
.LBB30_1898:
	s_andn2_b64 vcc, exec, s[20:21]
	s_cbranch_vccnz .LBB30_1900
; %bb.1899:
	global_load_ubyte v0, v[2:3], off
	s_movk_i32 s20, 0x7f00
	s_brev_b32 s21, 16
	s_waitcnt vmcnt(0)
	v_lshlrev_b16_e32 v1, 8, v0
	v_lshlrev_b32_e32 v0, 25, v0
	v_lshrrev_b32_e32 v4, 4, v0
	v_and_or_b32 v8, v1, s20, 0.5
	v_or_b32_e32 v4, 0x70000000, v4
	v_add_f32_e32 v8, -0.5, v8
	v_mul_f32_e32 v4, 0x7800000, v4
	v_cmp_gt_u32_e32 vcc, s21, v0
	v_bfe_i32 v1, v1, 0, 16
	v_cndmask_b32_e32 v0, v4, v8, vcc
	s_brev_b32 s20, 1
	v_and_or_b32 v0, v1, s20, v0
	v_cvt_i32_f32_e32 v0, v0
.LBB30_1900:
	s_mov_b64 s[20:21], 0
	s_mov_b64 s[22:23], -1
.LBB30_1901:
	s_andn2_b64 vcc, exec, s[20:21]
	s_mov_b64 s[20:21], 0
	s_cbranch_vccnz .LBB30_1912
; %bb.1902:
	s_cmp_gt_i32 s26, 14
	s_cbranch_scc0 .LBB30_1905
; %bb.1903:
	s_cmp_eq_u32 s26, 15
	s_cbranch_scc0 .LBB30_1908
; %bb.1904:
	global_load_ushort v0, v[2:3], off
	s_mov_b64 s[0:1], 0
	s_mov_b64 s[22:23], -1
	s_waitcnt vmcnt(0)
	v_lshlrev_b32_e32 v0, 16, v0
	v_cvt_i32_f32_e32 v0, v0
	s_branch .LBB30_1909
.LBB30_1905:
	s_mov_b64 s[24:25], -1
                                        ; implicit-def: $vgpr0
	s_branch .LBB30_1910
.LBB30_1906:
	s_andn2_saveexec_b64 s[20:21], s[20:21]
	s_cbranch_execz .LBB30_1887
.LBB30_1907:
	v_cmp_ne_u16_e32 vcc, 0, v1
	s_andn2_b64 s[22:23], s[22:23], exec
	s_and_b64 s[24:25], vcc, exec
	s_or_b64 s[22:23], s[22:23], s[24:25]
	s_or_b64 exec, exec, s[20:21]
	v_mov_b32_e32 v0, 0
	s_and_saveexec_b64 s[20:21], s[22:23]
	s_cbranch_execnz .LBB30_1888
	s_branch .LBB30_1889
.LBB30_1908:
	s_mov_b64 s[0:1], -1
                                        ; implicit-def: $vgpr0
.LBB30_1909:
	s_mov_b64 s[24:25], 0
.LBB30_1910:
	s_and_b64 vcc, exec, s[24:25]
	s_cbranch_vccz .LBB30_1912
; %bb.1911:
	s_cmp_lg_u32 s26, 11
	s_mov_b64 s[20:21], -1
	s_cselect_b64 s[0:1], -1, 0
.LBB30_1912:
	s_and_b64 vcc, exec, s[0:1]
	s_cbranch_vccnz .LBB30_1975
; %bb.1913:
	s_andn2_b64 vcc, exec, s[20:21]
	s_cbranch_vccnz .LBB30_1915
.LBB30_1914:
	global_load_ubyte v0, v[2:3], off
	s_mov_b64 s[22:23], -1
	s_waitcnt vmcnt(0)
	v_cmp_ne_u16_e32 vcc, 0, v0
	v_cndmask_b32_e64 v0, 0, 1, vcc
.LBB30_1915:
	s_branch .LBB30_1847
.LBB30_1916:
	s_and_b32 s20, 0xffff, s28
	s_cmp_lt_i32 s20, 5
	s_cbranch_scc1 .LBB30_1921
; %bb.1917:
	s_cmp_lt_i32 s20, 8
	s_cbranch_scc1 .LBB30_1922
; %bb.1918:
	;; [unrolled: 3-line block ×3, first 2 shown]
	s_cmp_gt_i32 s20, 9
	s_cbranch_scc0 .LBB30_1924
; %bb.1920:
	global_load_dwordx2 v[0:1], v[2:3], off
	s_mov_b64 s[0:1], 0
	s_waitcnt vmcnt(0)
	v_cvt_i32_f64_e32 v0, v[0:1]
	s_branch .LBB30_1925
.LBB30_1921:
	s_mov_b64 s[0:1], -1
                                        ; implicit-def: $vgpr0
	s_branch .LBB30_1943
.LBB30_1922:
	s_mov_b64 s[0:1], -1
                                        ; implicit-def: $vgpr0
	s_branch .LBB30_1931
.LBB30_1923:
	s_mov_b64 s[0:1], -1
                                        ; implicit-def: $vgpr0
	s_branch .LBB30_1928
.LBB30_1924:
	s_mov_b64 s[0:1], -1
                                        ; implicit-def: $vgpr0
.LBB30_1925:
	s_andn2_b64 vcc, exec, s[0:1]
	s_cbranch_vccnz .LBB30_1927
; %bb.1926:
	global_load_dword v0, v[2:3], off
	s_waitcnt vmcnt(0)
	v_cvt_i32_f32_e32 v0, v0
.LBB30_1927:
	s_mov_b64 s[0:1], 0
.LBB30_1928:
	s_andn2_b64 vcc, exec, s[0:1]
	s_cbranch_vccnz .LBB30_1930
; %bb.1929:
	global_load_dword v0, v[2:3], off
	s_waitcnt vmcnt(0)
	v_cvt_i16_f16_e32 v0, v0
.LBB30_1930:
	s_mov_b64 s[0:1], 0
.LBB30_1931:
	s_andn2_b64 vcc, exec, s[0:1]
	s_cbranch_vccnz .LBB30_1942
; %bb.1932:
	s_cmp_lt_i32 s20, 6
	s_cbranch_scc1 .LBB30_1935
; %bb.1933:
	s_cmp_gt_i32 s20, 6
	s_cbranch_scc0 .LBB30_1936
; %bb.1934:
	global_load_dwordx2 v[0:1], v[2:3], off
	s_mov_b64 s[0:1], 0
	s_waitcnt vmcnt(0)
	v_cvt_i32_f64_e32 v0, v[0:1]
	s_branch .LBB30_1937
.LBB30_1935:
	s_mov_b64 s[0:1], -1
                                        ; implicit-def: $vgpr0
	s_branch .LBB30_1940
.LBB30_1936:
	s_mov_b64 s[0:1], -1
                                        ; implicit-def: $vgpr0
.LBB30_1937:
	s_andn2_b64 vcc, exec, s[0:1]
	s_cbranch_vccnz .LBB30_1939
; %bb.1938:
	global_load_dword v0, v[2:3], off
	s_waitcnt vmcnt(0)
	v_cvt_i32_f32_e32 v0, v0
.LBB30_1939:
	s_mov_b64 s[0:1], 0
.LBB30_1940:
	s_andn2_b64 vcc, exec, s[0:1]
	s_cbranch_vccnz .LBB30_1942
; %bb.1941:
	global_load_ushort v0, v[2:3], off
	s_waitcnt vmcnt(0)
	v_cvt_i16_f16_e32 v0, v0
.LBB30_1942:
	s_mov_b64 s[0:1], 0
.LBB30_1943:
	s_andn2_b64 vcc, exec, s[0:1]
	s_cbranch_vccnz .LBB30_1963
; %bb.1944:
	s_cmp_lt_i32 s20, 2
	s_cbranch_scc1 .LBB30_1948
; %bb.1945:
	s_cmp_lt_i32 s20, 3
	s_cbranch_scc1 .LBB30_1949
; %bb.1946:
	s_cmp_gt_i32 s20, 3
	s_cbranch_scc0 .LBB30_1950
; %bb.1947:
	global_load_dwordx2 v[0:1], v[2:3], off
	s_mov_b64 s[0:1], 0
	s_branch .LBB30_1951
.LBB30_1948:
	s_mov_b64 s[0:1], -1
                                        ; implicit-def: $vgpr0
	s_branch .LBB30_1957
.LBB30_1949:
	s_mov_b64 s[0:1], -1
                                        ; implicit-def: $vgpr0
	s_branch .LBB30_1954
.LBB30_1950:
	s_mov_b64 s[0:1], -1
                                        ; implicit-def: $vgpr0
.LBB30_1951:
	s_andn2_b64 vcc, exec, s[0:1]
	s_cbranch_vccnz .LBB30_1953
; %bb.1952:
	global_load_dword v0, v[2:3], off
.LBB30_1953:
	s_mov_b64 s[0:1], 0
.LBB30_1954:
	s_andn2_b64 vcc, exec, s[0:1]
	s_cbranch_vccnz .LBB30_1956
; %bb.1955:
	global_load_ushort v0, v[2:3], off
.LBB30_1956:
	s_mov_b64 s[0:1], 0
.LBB30_1957:
	s_andn2_b64 vcc, exec, s[0:1]
	s_cbranch_vccnz .LBB30_1963
; %bb.1958:
	s_cmp_gt_i32 s20, 0
	s_cbranch_scc0 .LBB30_1960
; %bb.1959:
	global_load_ubyte v0, v[2:3], off
	s_mov_b64 s[0:1], 0
	s_branch .LBB30_1961
.LBB30_1960:
	s_mov_b64 s[0:1], -1
                                        ; implicit-def: $vgpr0
.LBB30_1961:
	s_andn2_b64 vcc, exec, s[0:1]
	s_cbranch_vccnz .LBB30_1963
; %bb.1962:
	global_load_ubyte v0, v[2:3], off
.LBB30_1963:
.LBB30_1964:
	s_lshl_b32 s14, s14, 7
	v_add_u32_e32 v7, s14, v7
	v_ashrrev_i32_e32 v2, 31, v7
	v_mov_b32_e32 v3, s3
	s_waitcnt vmcnt(0)
	v_add_co_u32_e32 v1, vcc, s2, v7
	s_cmp_lt_i32 s29, 11
	v_addc_co_u32_e32 v2, vcc, v3, v2, vcc
	s_cbranch_scc1 .LBB30_1971
; %bb.1965:
	s_and_b32 s26, 0xffff, s29
	s_cmp_gt_i32 s26, 25
	s_mov_b64 s[20:21], 0
	s_cbranch_scc0 .LBB30_1972
; %bb.1966:
	s_cmp_gt_i32 s26, 28
	s_cbranch_scc0 .LBB30_1973
; %bb.1967:
	s_cmp_gt_i32 s26, 43
	;; [unrolled: 3-line block ×3, first 2 shown]
	s_cbranch_scc0 .LBB30_1976
; %bb.1969:
	s_cmp_eq_u32 s26, 46
	s_mov_b64 s[24:25], 0
	s_cbranch_scc0 .LBB30_1977
; %bb.1970:
	global_load_dword v3, v[1:2], off
	s_mov_b64 s[0:1], 0
	s_mov_b64 s[22:23], -1
	s_waitcnt vmcnt(0)
	v_lshlrev_b32_e32 v3, 16, v3
	v_cvt_i32_f32_e32 v3, v3
	s_branch .LBB30_1978
.LBB30_1971:
	s_mov_b64 s[0:1], -1
	s_mov_b64 s[22:23], 0
                                        ; implicit-def: $vgpr3
	s_branch .LBB30_2040
.LBB30_1972:
	s_mov_b64 s[24:25], -1
	s_mov_b64 s[22:23], 0
	s_mov_b64 s[0:1], 0
                                        ; implicit-def: $vgpr3
	s_branch .LBB30_2005
.LBB30_1973:
	s_mov_b64 s[24:25], -1
	s_mov_b64 s[22:23], 0
	s_mov_b64 s[0:1], 0
                                        ; implicit-def: $vgpr3
	s_branch .LBB30_1988
.LBB30_1974:
	s_mov_b64 s[24:25], -1
	s_mov_b64 s[22:23], 0
	s_mov_b64 s[0:1], 0
                                        ; implicit-def: $vgpr3
	s_branch .LBB30_1983
.LBB30_1975:
	s_trap 2
	s_or_b64 s[18:19], s[18:19], exec
	s_cbranch_execz .LBB30_1914
	s_branch .LBB30_1915
.LBB30_1976:
	s_mov_b64 s[24:25], -1
	s_mov_b64 s[22:23], 0
	s_mov_b64 s[0:1], 0
                                        ; implicit-def: $vgpr3
	s_branch .LBB30_1978
.LBB30_1977:
	s_mov_b64 s[0:1], -1
                                        ; implicit-def: $vgpr3
	s_mov_b64 s[22:23], 0
.LBB30_1978:
	s_and_b64 vcc, exec, s[24:25]
	s_cbranch_vccz .LBB30_1982
; %bb.1979:
	s_cmp_eq_u32 s26, 44
	s_cbranch_scc0 .LBB30_1981
; %bb.1980:
	global_load_ubyte v3, v[1:2], off
	s_mov_b64 s[0:1], 0
	s_mov_b64 s[22:23], -1
	s_waitcnt vmcnt(0)
	v_lshlrev_b32_e32 v4, 23, v3
	v_cvt_i32_f32_e32 v4, v4
	v_cmp_ne_u32_e32 vcc, 0, v3
	v_cndmask_b32_e32 v3, 0, v4, vcc
	s_branch .LBB30_1982
.LBB30_1981:
	s_mov_b64 s[0:1], -1
                                        ; implicit-def: $vgpr3
.LBB30_1982:
	s_mov_b64 s[24:25], 0
.LBB30_1983:
	s_and_b64 vcc, exec, s[24:25]
	s_cbranch_vccz .LBB30_1987
; %bb.1984:
	s_cmp_eq_u32 s26, 29
	s_cbranch_scc0 .LBB30_1986
; %bb.1985:
	global_load_dwordx2 v[3:4], v[1:2], off
	s_mov_b64 s[0:1], 0
	s_mov_b64 s[22:23], -1
	s_branch .LBB30_1987
.LBB30_1986:
	s_mov_b64 s[0:1], -1
                                        ; implicit-def: $vgpr3
.LBB30_1987:
	s_mov_b64 s[24:25], 0
.LBB30_1988:
	s_and_b64 vcc, exec, s[24:25]
	s_cbranch_vccz .LBB30_2004
; %bb.1989:
	s_cmp_lt_i32 s26, 27
	s_cbranch_scc1 .LBB30_1992
; %bb.1990:
	s_cmp_gt_i32 s26, 27
	s_cbranch_scc0 .LBB30_1993
; %bb.1991:
	global_load_dword v3, v[1:2], off
	s_mov_b64 s[22:23], 0
	s_branch .LBB30_1994
.LBB30_1992:
	s_mov_b64 s[22:23], -1
                                        ; implicit-def: $vgpr3
	s_branch .LBB30_1997
.LBB30_1993:
	s_mov_b64 s[22:23], -1
                                        ; implicit-def: $vgpr3
.LBB30_1994:
	s_andn2_b64 vcc, exec, s[22:23]
	s_cbranch_vccnz .LBB30_1996
; %bb.1995:
	global_load_ushort v3, v[1:2], off
.LBB30_1996:
	s_mov_b64 s[22:23], 0
.LBB30_1997:
	s_andn2_b64 vcc, exec, s[22:23]
	s_cbranch_vccnz .LBB30_2003
; %bb.1998:
	global_load_ubyte v4, v[1:2], off
	s_movk_i32 s22, 0x7f
	s_mov_b64 s[24:25], 0
	s_waitcnt vmcnt(0)
	v_cmp_lt_i16_e32 vcc, s22, v4
	s_and_saveexec_b64 s[22:23], vcc
	s_xor_b64 s[22:23], exec, s[22:23]
	s_cbranch_execz .LBB30_2015
; %bb.1999:
	s_movk_i32 s24, 0x80
	v_cmp_ne_u16_e32 vcc, s24, v4
	s_and_b64 s[24:25], vcc, exec
	s_andn2_saveexec_b64 s[22:23], s[22:23]
	s_cbranch_execnz .LBB30_2016
.LBB30_2000:
	s_or_b64 exec, exec, s[22:23]
	v_mov_b32_e32 v3, 0
	s_and_saveexec_b64 s[22:23], s[24:25]
	s_cbranch_execz .LBB30_2002
.LBB30_2001:
	v_lshlrev_b32_e32 v3, 24, v4
	v_and_b32_e32 v4, 0xffff, v4
	v_and_b32_e32 v8, 7, v4
	v_ffbh_u32_e32 v10, v8
	v_min_u32_e32 v10, 32, v10
	v_subrev_u32_e32 v11, 28, v10
	v_bfe_u32 v9, v4, 3, 4
	v_lshlrev_b32_e32 v4, v11, v4
	v_sub_u32_e32 v10, 29, v10
	v_and_b32_e32 v4, 7, v4
	v_cmp_eq_u32_e32 vcc, 0, v9
	v_cndmask_b32_e32 v9, v9, v10, vcc
	v_cndmask_b32_e32 v4, v8, v4, vcc
	v_mov_b32_e32 v8, 0x3b800000
	v_lshlrev_b32_e32 v4, 20, v4
	v_and_b32_e32 v3, 0x80000000, v3
	v_lshl_add_u32 v8, v9, 23, v8
	v_or3_b32 v3, v3, v8, v4
	v_cvt_i32_f32_e32 v3, v3
.LBB30_2002:
	s_or_b64 exec, exec, s[22:23]
.LBB30_2003:
	s_mov_b64 s[22:23], -1
.LBB30_2004:
	s_mov_b64 s[24:25], 0
.LBB30_2005:
	s_and_b64 vcc, exec, s[24:25]
	s_cbranch_vccz .LBB30_2036
; %bb.2006:
	s_cmp_gt_i32 s26, 22
	s_cbranch_scc0 .LBB30_2014
; %bb.2007:
	s_cmp_lt_i32 s26, 24
	s_cbranch_scc1 .LBB30_2017
; %bb.2008:
	s_cmp_gt_i32 s26, 24
	s_cbranch_scc0 .LBB30_2018
; %bb.2009:
	global_load_ubyte v4, v[1:2], off
	s_movk_i32 s20, 0x7f
	s_mov_b64 s[22:23], 0
	s_waitcnt vmcnt(0)
	v_cmp_lt_i16_e32 vcc, s20, v4
	s_and_saveexec_b64 s[20:21], vcc
	s_xor_b64 s[20:21], exec, s[20:21]
	s_cbranch_execz .LBB30_2030
; %bb.2010:
	s_movk_i32 s22, 0x80
	v_cmp_ne_u16_e32 vcc, s22, v4
	s_and_b64 s[22:23], vcc, exec
	s_andn2_saveexec_b64 s[20:21], s[20:21]
	s_cbranch_execnz .LBB30_2031
.LBB30_2011:
	s_or_b64 exec, exec, s[20:21]
	v_mov_b32_e32 v3, 0
	s_and_saveexec_b64 s[20:21], s[22:23]
	s_cbranch_execz .LBB30_2013
.LBB30_2012:
	v_lshlrev_b32_e32 v3, 24, v4
	v_and_b32_e32 v4, 0xffff, v4
	v_and_b32_e32 v8, 3, v4
	v_ffbh_u32_e32 v10, v8
	v_min_u32_e32 v10, 32, v10
	v_subrev_u32_e32 v11, 29, v10
	v_bfe_u32 v9, v4, 2, 5
	v_lshlrev_b32_e32 v4, v11, v4
	v_sub_u32_e32 v10, 30, v10
	v_and_b32_e32 v4, 3, v4
	v_cmp_eq_u32_e32 vcc, 0, v9
	v_cndmask_b32_e32 v9, v9, v10, vcc
	v_cndmask_b32_e32 v4, v8, v4, vcc
	v_mov_b32_e32 v8, 0x37800000
	v_lshlrev_b32_e32 v4, 21, v4
	v_and_b32_e32 v3, 0x80000000, v3
	v_lshl_add_u32 v8, v9, 23, v8
	v_or3_b32 v3, v3, v8, v4
	v_cvt_i32_f32_e32 v3, v3
.LBB30_2013:
	s_or_b64 exec, exec, s[20:21]
	s_mov_b64 s[20:21], 0
	s_branch .LBB30_2019
.LBB30_2014:
	s_mov_b64 s[20:21], -1
                                        ; implicit-def: $vgpr3
	s_branch .LBB30_2025
.LBB30_2015:
	s_andn2_saveexec_b64 s[22:23], s[22:23]
	s_cbranch_execz .LBB30_2000
.LBB30_2016:
	v_cmp_ne_u16_e32 vcc, 0, v4
	s_andn2_b64 s[24:25], s[24:25], exec
	s_and_b64 s[30:31], vcc, exec
	s_or_b64 s[24:25], s[24:25], s[30:31]
	s_or_b64 exec, exec, s[22:23]
	v_mov_b32_e32 v3, 0
	s_and_saveexec_b64 s[22:23], s[24:25]
	s_cbranch_execnz .LBB30_2001
	s_branch .LBB30_2002
.LBB30_2017:
	s_mov_b64 s[20:21], -1
                                        ; implicit-def: $vgpr3
	s_branch .LBB30_2022
.LBB30_2018:
	s_mov_b64 s[20:21], -1
                                        ; implicit-def: $vgpr3
.LBB30_2019:
	s_and_b64 vcc, exec, s[20:21]
	s_cbranch_vccz .LBB30_2021
; %bb.2020:
	global_load_ubyte v3, v[1:2], off
	s_mov_b32 s20, 0x7f800000
	s_waitcnt vmcnt(0)
	v_lshlrev_b32_e32 v3, 24, v3
	v_and_b32_e32 v4, 0x7f000000, v3
	v_ffbh_u32_e32 v8, v4
	v_min_u32_e32 v8, 32, v8
	v_sub_u32_e64 v8, v8, 4 clamp
	v_lshlrev_b32_e32 v10, v8, v4
	v_lshlrev_b32_e32 v8, 23, v8
	v_lshrrev_b32_e32 v10, 4, v10
	v_add_u32_e32 v9, 0x1000000, v4
	v_sub_u32_e32 v8, v10, v8
	v_ashrrev_i32_e32 v9, 8, v9
	v_add_u32_e32 v8, 0x3c000000, v8
	v_and_or_b32 v8, v9, s20, v8
	v_cmp_ne_u32_e32 vcc, 0, v4
	v_cndmask_b32_e32 v4, 0, v8, vcc
	s_brev_b32 s20, 1
	v_and_or_b32 v3, v3, s20, v4
	v_cvt_i32_f32_e32 v3, v3
.LBB30_2021:
	s_mov_b64 s[20:21], 0
.LBB30_2022:
	s_andn2_b64 vcc, exec, s[20:21]
	s_cbranch_vccnz .LBB30_2024
; %bb.2023:
	global_load_ubyte v3, v[1:2], off
	s_movk_i32 s20, 0x7f00
	s_brev_b32 s21, 16
	s_waitcnt vmcnt(0)
	v_lshlrev_b16_e32 v4, 8, v3
	v_lshlrev_b32_e32 v3, 25, v3
	v_lshrrev_b32_e32 v8, 4, v3
	v_and_or_b32 v9, v4, s20, 0.5
	v_or_b32_e32 v8, 0x70000000, v8
	v_add_f32_e32 v9, -0.5, v9
	v_mul_f32_e32 v8, 0x7800000, v8
	v_cmp_gt_u32_e32 vcc, s21, v3
	v_bfe_i32 v4, v4, 0, 16
	v_cndmask_b32_e32 v3, v8, v9, vcc
	s_brev_b32 s20, 1
	v_and_or_b32 v3, v4, s20, v3
	v_cvt_i32_f32_e32 v3, v3
.LBB30_2024:
	s_mov_b64 s[20:21], 0
	s_mov_b64 s[22:23], -1
.LBB30_2025:
	s_andn2_b64 vcc, exec, s[20:21]
	s_mov_b64 s[20:21], 0
	s_cbranch_vccnz .LBB30_2036
; %bb.2026:
	s_cmp_gt_i32 s26, 14
	s_cbranch_scc0 .LBB30_2029
; %bb.2027:
	s_cmp_eq_u32 s26, 15
	s_cbranch_scc0 .LBB30_2032
; %bb.2028:
	global_load_ushort v3, v[1:2], off
	s_mov_b64 s[0:1], 0
	s_mov_b64 s[22:23], -1
	s_waitcnt vmcnt(0)
	v_lshlrev_b32_e32 v3, 16, v3
	v_cvt_i32_f32_e32 v3, v3
	s_branch .LBB30_2033
.LBB30_2029:
	s_mov_b64 s[24:25], -1
                                        ; implicit-def: $vgpr3
	s_branch .LBB30_2034
.LBB30_2030:
	s_andn2_saveexec_b64 s[20:21], s[20:21]
	s_cbranch_execz .LBB30_2011
.LBB30_2031:
	v_cmp_ne_u16_e32 vcc, 0, v4
	s_andn2_b64 s[22:23], s[22:23], exec
	s_and_b64 s[24:25], vcc, exec
	s_or_b64 s[22:23], s[22:23], s[24:25]
	s_or_b64 exec, exec, s[20:21]
	v_mov_b32_e32 v3, 0
	s_and_saveexec_b64 s[20:21], s[22:23]
	s_cbranch_execnz .LBB30_2012
	s_branch .LBB30_2013
.LBB30_2032:
	s_mov_b64 s[0:1], -1
                                        ; implicit-def: $vgpr3
.LBB30_2033:
	s_mov_b64 s[24:25], 0
.LBB30_2034:
	s_and_b64 vcc, exec, s[24:25]
	s_cbranch_vccz .LBB30_2036
; %bb.2035:
	s_cmp_lg_u32 s26, 11
	s_mov_b64 s[20:21], -1
	s_cselect_b64 s[0:1], -1, 0
.LBB30_2036:
	s_and_b64 vcc, exec, s[0:1]
	s_cbranch_vccnz .LBB30_2118
; %bb.2037:
	s_andn2_b64 vcc, exec, s[20:21]
	s_cbranch_vccnz .LBB30_2039
.LBB30_2038:
	global_load_ubyte v3, v[1:2], off
	s_mov_b64 s[22:23], -1
	s_waitcnt vmcnt(0)
	v_cmp_ne_u16_e32 vcc, 0, v3
	v_cndmask_b32_e64 v3, 0, 1, vcc
.LBB30_2039:
	s_mov_b64 s[0:1], 0
.LBB30_2040:
	s_and_b64 vcc, exec, s[0:1]
	s_cbranch_vccz .LBB30_2089
; %bb.2041:
	s_and_b32 s20, 0xffff, s29
	s_cmp_lt_i32 s20, 5
	s_cbranch_scc1 .LBB30_2046
; %bb.2042:
	s_cmp_lt_i32 s20, 8
	s_cbranch_scc1 .LBB30_2047
; %bb.2043:
	;; [unrolled: 3-line block ×3, first 2 shown]
	s_cmp_gt_i32 s20, 9
	s_cbranch_scc0 .LBB30_2049
; %bb.2045:
	global_load_dwordx2 v[3:4], v[1:2], off
	s_mov_b64 s[0:1], 0
	s_waitcnt vmcnt(0)
	v_cvt_i32_f64_e32 v3, v[3:4]
	s_branch .LBB30_2050
.LBB30_2046:
	s_mov_b64 s[0:1], -1
                                        ; implicit-def: $vgpr3
	s_branch .LBB30_2068
.LBB30_2047:
	s_mov_b64 s[0:1], -1
                                        ; implicit-def: $vgpr3
	s_branch .LBB30_2056
.LBB30_2048:
	s_mov_b64 s[0:1], -1
                                        ; implicit-def: $vgpr3
	s_branch .LBB30_2053
.LBB30_2049:
	s_mov_b64 s[0:1], -1
                                        ; implicit-def: $vgpr3
.LBB30_2050:
	s_andn2_b64 vcc, exec, s[0:1]
	s_cbranch_vccnz .LBB30_2052
; %bb.2051:
	global_load_dword v3, v[1:2], off
	s_waitcnt vmcnt(0)
	v_cvt_i32_f32_e32 v3, v3
.LBB30_2052:
	s_mov_b64 s[0:1], 0
.LBB30_2053:
	s_andn2_b64 vcc, exec, s[0:1]
	s_cbranch_vccnz .LBB30_2055
; %bb.2054:
	global_load_dword v3, v[1:2], off
	s_waitcnt vmcnt(0)
	v_cvt_i16_f16_e32 v3, v3
.LBB30_2055:
	s_mov_b64 s[0:1], 0
.LBB30_2056:
	s_andn2_b64 vcc, exec, s[0:1]
	s_cbranch_vccnz .LBB30_2067
; %bb.2057:
	s_cmp_lt_i32 s20, 6
	s_cbranch_scc1 .LBB30_2060
; %bb.2058:
	s_cmp_gt_i32 s20, 6
	s_cbranch_scc0 .LBB30_2061
; %bb.2059:
	global_load_dwordx2 v[3:4], v[1:2], off
	s_mov_b64 s[0:1], 0
	s_waitcnt vmcnt(0)
	v_cvt_i32_f64_e32 v3, v[3:4]
	s_branch .LBB30_2062
.LBB30_2060:
	s_mov_b64 s[0:1], -1
                                        ; implicit-def: $vgpr3
	s_branch .LBB30_2065
.LBB30_2061:
	s_mov_b64 s[0:1], -1
                                        ; implicit-def: $vgpr3
.LBB30_2062:
	s_andn2_b64 vcc, exec, s[0:1]
	s_cbranch_vccnz .LBB30_2064
; %bb.2063:
	global_load_dword v3, v[1:2], off
	s_waitcnt vmcnt(0)
	v_cvt_i32_f32_e32 v3, v3
.LBB30_2064:
	s_mov_b64 s[0:1], 0
.LBB30_2065:
	s_andn2_b64 vcc, exec, s[0:1]
	s_cbranch_vccnz .LBB30_2067
; %bb.2066:
	global_load_ushort v3, v[1:2], off
	s_waitcnt vmcnt(0)
	v_cvt_i16_f16_e32 v3, v3
.LBB30_2067:
	s_mov_b64 s[0:1], 0
.LBB30_2068:
	s_andn2_b64 vcc, exec, s[0:1]
	s_cbranch_vccnz .LBB30_2088
; %bb.2069:
	s_cmp_lt_i32 s20, 2
	s_cbranch_scc1 .LBB30_2073
; %bb.2070:
	s_cmp_lt_i32 s20, 3
	s_cbranch_scc1 .LBB30_2074
; %bb.2071:
	s_cmp_gt_i32 s20, 3
	s_cbranch_scc0 .LBB30_2075
; %bb.2072:
	global_load_dwordx2 v[3:4], v[1:2], off
	s_mov_b64 s[0:1], 0
	s_branch .LBB30_2076
.LBB30_2073:
	s_mov_b64 s[0:1], -1
                                        ; implicit-def: $vgpr3
	s_branch .LBB30_2082
.LBB30_2074:
	s_mov_b64 s[0:1], -1
                                        ; implicit-def: $vgpr3
	s_branch .LBB30_2079
.LBB30_2075:
	s_mov_b64 s[0:1], -1
                                        ; implicit-def: $vgpr3
.LBB30_2076:
	s_andn2_b64 vcc, exec, s[0:1]
	s_cbranch_vccnz .LBB30_2078
; %bb.2077:
	global_load_dword v3, v[1:2], off
.LBB30_2078:
	s_mov_b64 s[0:1], 0
.LBB30_2079:
	s_andn2_b64 vcc, exec, s[0:1]
	s_cbranch_vccnz .LBB30_2081
; %bb.2080:
	global_load_ushort v3, v[1:2], off
.LBB30_2081:
	s_mov_b64 s[0:1], 0
.LBB30_2082:
	s_andn2_b64 vcc, exec, s[0:1]
	s_cbranch_vccnz .LBB30_2088
; %bb.2083:
	s_cmp_gt_i32 s20, 0
	s_cbranch_scc0 .LBB30_2085
; %bb.2084:
	global_load_ubyte v3, v[1:2], off
	s_mov_b64 s[0:1], 0
	s_branch .LBB30_2086
.LBB30_2085:
	s_mov_b64 s[0:1], -1
                                        ; implicit-def: $vgpr3
.LBB30_2086:
	s_andn2_b64 vcc, exec, s[0:1]
	s_cbranch_vccnz .LBB30_2088
; %bb.2087:
	global_load_ubyte v3, v[1:2], off
.LBB30_2088:
	s_mov_b64 s[22:23], -1
.LBB30_2089:
	s_andn2_b64 vcc, exec, s[22:23]
	s_cbranch_vccnz .LBB30_2634
; %bb.2090:
	s_cmp_lt_i32 s15, 1
	s_mov_b64 s[0:1], 0
	s_cbranch_scc1 .LBB30_2094
; %bb.2091:
	s_cmp_gt_i32 s15, 1
	s_cbranch_scc0 .LBB30_2095
; %bb.2092:
	s_cmp_eq_u32 s15, 2
	s_cbranch_scc0 .LBB30_2096
; %bb.2093:
	s_waitcnt vmcnt(0)
	v_cmp_le_i16_sdwa s[20:21], sext(v0), sext(v3) src0_sel:BYTE_0 src1_sel:BYTE_0
	s_mov_b64 s[22:23], 0
	s_branch .LBB30_2097
.LBB30_2094:
	s_mov_b64 s[24:25], -1
                                        ; implicit-def: $sgpr20_sgpr21
	s_mov_b64 s[22:23], 0
	s_branch .LBB30_2101
.LBB30_2095:
	s_mov_b64 s[24:25], -1
	s_mov_b64 s[22:23], 0
                                        ; implicit-def: $sgpr20_sgpr21
	s_branch .LBB30_2098
.LBB30_2096:
	s_mov_b64 s[22:23], -1
                                        ; implicit-def: $sgpr20_sgpr21
.LBB30_2097:
	s_mov_b64 s[24:25], 0
.LBB30_2098:
	s_and_b64 vcc, exec, s[24:25]
	s_cbranch_vccz .LBB30_2100
; %bb.2099:
	s_waitcnt vmcnt(0)
	v_cmp_gt_i16_sdwa s[24:25], sext(v0), sext(v3) src0_sel:BYTE_0 src1_sel:BYTE_0
	s_andn2_b64 s[20:21], s[20:21], exec
	s_and_b64 s[24:25], s[24:25], exec
	s_or_b64 s[20:21], s[20:21], s[24:25]
.LBB30_2100:
	s_mov_b64 s[24:25], 0
.LBB30_2101:
	s_and_b64 vcc, exec, s[24:25]
	s_cbranch_vccz .LBB30_2112
; %bb.2102:
	s_cmp_lg_u32 s15, 0
	s_mov_b64 s[0:1], -1
	s_cselect_b64 s[22:23], -1, 0
	s_andn2_b64 vcc, exec, s[22:23]
	s_cbranch_vccz .LBB30_2113
.LBB30_2103:
	s_andn2_b64 vcc, exec, s[0:1]
	s_cbranch_vccnz .LBB30_2105
.LBB30_2104:
	s_waitcnt vmcnt(0)
	v_cmp_ge_i16_sdwa s[0:1], sext(v0), sext(v3) src0_sel:BYTE_0 src1_sel:BYTE_0
	s_andn2_b64 s[20:21], s[20:21], exec
	s_and_b64 s[0:1], s[0:1], exec
	s_or_b64 s[20:21], s[20:21], s[0:1]
.LBB30_2105:
	v_add_u32_e32 v6, s13, v6
	v_ashrrev_i32_e32 v0, 31, v6
	v_mov_b32_e32 v1, s11
	v_add_co_u32_e32 v2, vcc, s10, v6
	s_cmp_lt_i32 s28, 11
	s_waitcnt vmcnt(0)
	v_addc_co_u32_e32 v3, vcc, v1, v0, vcc
	s_cbranch_scc1 .LBB30_2114
; %bb.2106:
	s_and_b32 s30, 0xffff, s28
	s_cmp_gt_i32 s30, 25
	s_mov_b64 s[22:23], 0
	s_cbranch_scc0 .LBB30_2115
; %bb.2107:
	s_cmp_gt_i32 s30, 28
	s_cbranch_scc0 .LBB30_2116
; %bb.2108:
	s_cmp_gt_i32 s30, 43
	;; [unrolled: 3-line block ×3, first 2 shown]
	s_cbranch_scc0 .LBB30_2119
; %bb.2110:
	s_cmp_eq_u32 s30, 46
	s_mov_b64 s[26:27], 0
	s_cbranch_scc0 .LBB30_2120
; %bb.2111:
	global_load_dword v0, v[2:3], off
	s_mov_b64 s[0:1], 0
	s_mov_b64 s[24:25], -1
	s_waitcnt vmcnt(0)
	v_lshlrev_b32_e32 v0, 16, v0
	v_cvt_i32_f32_e32 v0, v0
	s_branch .LBB30_2121
.LBB30_2112:
	s_andn2_b64 vcc, exec, s[22:23]
	s_cbranch_vccnz .LBB30_2103
.LBB30_2113:
	s_waitcnt vmcnt(0)
	v_cmp_lt_i16_sdwa s[22:23], sext(v0), sext(v3) src0_sel:BYTE_0 src1_sel:BYTE_0
	s_andn2_b64 s[20:21], s[20:21], exec
	s_and_b64 s[22:23], s[22:23], exec
	s_or_b64 s[20:21], s[20:21], s[22:23]
	s_cbranch_execz .LBB30_2104
	s_branch .LBB30_2105
.LBB30_2114:
	s_mov_b64 s[0:1], -1
	s_mov_b64 s[24:25], 0
                                        ; implicit-def: $vgpr0
	s_branch .LBB30_2183
.LBB30_2115:
	s_mov_b64 s[26:27], -1
	s_mov_b64 s[24:25], 0
	s_mov_b64 s[0:1], 0
                                        ; implicit-def: $vgpr0
	s_branch .LBB30_2148
.LBB30_2116:
	s_mov_b64 s[26:27], -1
	s_mov_b64 s[24:25], 0
	s_mov_b64 s[0:1], 0
                                        ; implicit-def: $vgpr0
	s_branch .LBB30_2131
.LBB30_2117:
	s_mov_b64 s[26:27], -1
	s_mov_b64 s[24:25], 0
	s_mov_b64 s[0:1], 0
                                        ; implicit-def: $vgpr0
	s_branch .LBB30_2126
.LBB30_2118:
	s_trap 2
	s_or_b64 s[18:19], s[18:19], exec
	s_cbranch_execz .LBB30_2038
	s_branch .LBB30_2039
.LBB30_2119:
	s_mov_b64 s[26:27], -1
	s_mov_b64 s[24:25], 0
	s_mov_b64 s[0:1], 0
                                        ; implicit-def: $vgpr0
	s_branch .LBB30_2121
.LBB30_2120:
	s_mov_b64 s[0:1], -1
                                        ; implicit-def: $vgpr0
	s_mov_b64 s[24:25], 0
.LBB30_2121:
	s_and_b64 vcc, exec, s[26:27]
	s_cbranch_vccz .LBB30_2125
; %bb.2122:
	s_cmp_eq_u32 s30, 44
	s_cbranch_scc0 .LBB30_2124
; %bb.2123:
	global_load_ubyte v0, v[2:3], off
	s_mov_b64 s[0:1], 0
	s_mov_b64 s[24:25], -1
	s_waitcnt vmcnt(0)
	v_lshlrev_b32_e32 v1, 23, v0
	v_cvt_i32_f32_e32 v1, v1
	v_cmp_ne_u32_e32 vcc, 0, v0
	v_cndmask_b32_e32 v0, 0, v1, vcc
	s_branch .LBB30_2125
.LBB30_2124:
	s_mov_b64 s[0:1], -1
                                        ; implicit-def: $vgpr0
.LBB30_2125:
	s_mov_b64 s[26:27], 0
.LBB30_2126:
	s_and_b64 vcc, exec, s[26:27]
	s_cbranch_vccz .LBB30_2130
; %bb.2127:
	s_cmp_eq_u32 s30, 29
	s_cbranch_scc0 .LBB30_2129
; %bb.2128:
	global_load_dwordx2 v[0:1], v[2:3], off
	s_mov_b64 s[0:1], 0
	s_mov_b64 s[24:25], -1
	s_branch .LBB30_2130
.LBB30_2129:
	s_mov_b64 s[0:1], -1
                                        ; implicit-def: $vgpr0
.LBB30_2130:
	s_mov_b64 s[26:27], 0
.LBB30_2131:
	s_and_b64 vcc, exec, s[26:27]
	s_cbranch_vccz .LBB30_2147
; %bb.2132:
	s_cmp_lt_i32 s30, 27
	s_cbranch_scc1 .LBB30_2135
; %bb.2133:
	s_cmp_gt_i32 s30, 27
	s_cbranch_scc0 .LBB30_2136
; %bb.2134:
	global_load_dword v0, v[2:3], off
	s_mov_b64 s[24:25], 0
	s_branch .LBB30_2137
.LBB30_2135:
	s_mov_b64 s[24:25], -1
                                        ; implicit-def: $vgpr0
	s_branch .LBB30_2140
.LBB30_2136:
	s_mov_b64 s[24:25], -1
                                        ; implicit-def: $vgpr0
.LBB30_2137:
	s_andn2_b64 vcc, exec, s[24:25]
	s_cbranch_vccnz .LBB30_2139
; %bb.2138:
	global_load_ushort v0, v[2:3], off
.LBB30_2139:
	s_mov_b64 s[24:25], 0
.LBB30_2140:
	s_andn2_b64 vcc, exec, s[24:25]
	s_cbranch_vccnz .LBB30_2146
; %bb.2141:
	global_load_ubyte v1, v[2:3], off
	s_movk_i32 s24, 0x7f
	s_mov_b64 s[26:27], 0
	s_waitcnt vmcnt(0)
	v_cmp_lt_i16_e32 vcc, s24, v1
	s_and_saveexec_b64 s[24:25], vcc
	s_xor_b64 s[24:25], exec, s[24:25]
	s_cbranch_execz .LBB30_2158
; %bb.2142:
	s_movk_i32 s26, 0x80
	v_cmp_ne_u16_e32 vcc, s26, v1
	s_and_b64 s[26:27], vcc, exec
	s_andn2_saveexec_b64 s[24:25], s[24:25]
	s_cbranch_execnz .LBB30_2159
.LBB30_2143:
	s_or_b64 exec, exec, s[24:25]
	v_mov_b32_e32 v0, 0
	s_and_saveexec_b64 s[24:25], s[26:27]
	s_cbranch_execz .LBB30_2145
.LBB30_2144:
	v_lshlrev_b32_e32 v0, 24, v1
	v_and_b32_e32 v1, 0xffff, v1
	v_and_b32_e32 v4, 7, v1
	v_ffbh_u32_e32 v9, v4
	v_min_u32_e32 v9, 32, v9
	v_subrev_u32_e32 v10, 28, v9
	v_bfe_u32 v8, v1, 3, 4
	v_lshlrev_b32_e32 v1, v10, v1
	v_sub_u32_e32 v9, 29, v9
	v_and_b32_e32 v1, 7, v1
	v_cmp_eq_u32_e32 vcc, 0, v8
	v_cndmask_b32_e32 v8, v8, v9, vcc
	v_cndmask_b32_e32 v1, v4, v1, vcc
	v_mov_b32_e32 v4, 0x3b800000
	v_lshlrev_b32_e32 v1, 20, v1
	v_and_b32_e32 v0, 0x80000000, v0
	v_lshl_add_u32 v4, v8, 23, v4
	v_or3_b32 v0, v0, v4, v1
	v_cvt_i32_f32_e32 v0, v0
.LBB30_2145:
	s_or_b64 exec, exec, s[24:25]
.LBB30_2146:
	s_mov_b64 s[24:25], -1
.LBB30_2147:
	s_mov_b64 s[26:27], 0
.LBB30_2148:
	s_and_b64 vcc, exec, s[26:27]
	s_cbranch_vccz .LBB30_2179
; %bb.2149:
	s_cmp_gt_i32 s30, 22
	s_cbranch_scc0 .LBB30_2157
; %bb.2150:
	s_cmp_lt_i32 s30, 24
	s_cbranch_scc1 .LBB30_2160
; %bb.2151:
	s_cmp_gt_i32 s30, 24
	s_cbranch_scc0 .LBB30_2161
; %bb.2152:
	global_load_ubyte v1, v[2:3], off
	s_movk_i32 s22, 0x7f
	s_mov_b64 s[24:25], 0
	s_waitcnt vmcnt(0)
	v_cmp_lt_i16_e32 vcc, s22, v1
	s_and_saveexec_b64 s[22:23], vcc
	s_xor_b64 s[22:23], exec, s[22:23]
	s_cbranch_execz .LBB30_2173
; %bb.2153:
	s_movk_i32 s24, 0x80
	v_cmp_ne_u16_e32 vcc, s24, v1
	s_and_b64 s[24:25], vcc, exec
	s_andn2_saveexec_b64 s[22:23], s[22:23]
	s_cbranch_execnz .LBB30_2174
.LBB30_2154:
	s_or_b64 exec, exec, s[22:23]
	v_mov_b32_e32 v0, 0
	s_and_saveexec_b64 s[22:23], s[24:25]
	s_cbranch_execz .LBB30_2156
.LBB30_2155:
	v_lshlrev_b32_e32 v0, 24, v1
	v_and_b32_e32 v1, 0xffff, v1
	v_and_b32_e32 v4, 3, v1
	v_ffbh_u32_e32 v9, v4
	v_min_u32_e32 v9, 32, v9
	v_subrev_u32_e32 v10, 29, v9
	v_bfe_u32 v8, v1, 2, 5
	v_lshlrev_b32_e32 v1, v10, v1
	v_sub_u32_e32 v9, 30, v9
	v_and_b32_e32 v1, 3, v1
	v_cmp_eq_u32_e32 vcc, 0, v8
	v_cndmask_b32_e32 v8, v8, v9, vcc
	v_cndmask_b32_e32 v1, v4, v1, vcc
	v_mov_b32_e32 v4, 0x37800000
	v_lshlrev_b32_e32 v1, 21, v1
	v_and_b32_e32 v0, 0x80000000, v0
	v_lshl_add_u32 v4, v8, 23, v4
	v_or3_b32 v0, v0, v4, v1
	v_cvt_i32_f32_e32 v0, v0
.LBB30_2156:
	s_or_b64 exec, exec, s[22:23]
	s_mov_b64 s[22:23], 0
	s_branch .LBB30_2162
.LBB30_2157:
	s_mov_b64 s[22:23], -1
                                        ; implicit-def: $vgpr0
	s_branch .LBB30_2168
.LBB30_2158:
	s_andn2_saveexec_b64 s[24:25], s[24:25]
	s_cbranch_execz .LBB30_2143
.LBB30_2159:
	v_cmp_ne_u16_e32 vcc, 0, v1
	s_andn2_b64 s[26:27], s[26:27], exec
	s_and_b64 s[34:35], vcc, exec
	s_or_b64 s[26:27], s[26:27], s[34:35]
	s_or_b64 exec, exec, s[24:25]
	v_mov_b32_e32 v0, 0
	s_and_saveexec_b64 s[24:25], s[26:27]
	s_cbranch_execnz .LBB30_2144
	s_branch .LBB30_2145
.LBB30_2160:
	s_mov_b64 s[22:23], -1
                                        ; implicit-def: $vgpr0
	s_branch .LBB30_2165
.LBB30_2161:
	s_mov_b64 s[22:23], -1
                                        ; implicit-def: $vgpr0
.LBB30_2162:
	s_and_b64 vcc, exec, s[22:23]
	s_cbranch_vccz .LBB30_2164
; %bb.2163:
	global_load_ubyte v0, v[2:3], off
	s_mov_b32 s22, 0x7f800000
	s_waitcnt vmcnt(0)
	v_lshlrev_b32_e32 v0, 24, v0
	v_and_b32_e32 v1, 0x7f000000, v0
	v_ffbh_u32_e32 v4, v1
	v_min_u32_e32 v4, 32, v4
	v_sub_u32_e64 v4, v4, 4 clamp
	v_lshlrev_b32_e32 v9, v4, v1
	v_lshlrev_b32_e32 v4, 23, v4
	v_lshrrev_b32_e32 v9, 4, v9
	v_add_u32_e32 v8, 0x1000000, v1
	v_sub_u32_e32 v4, v9, v4
	v_ashrrev_i32_e32 v8, 8, v8
	v_add_u32_e32 v4, 0x3c000000, v4
	v_and_or_b32 v4, v8, s22, v4
	v_cmp_ne_u32_e32 vcc, 0, v1
	v_cndmask_b32_e32 v1, 0, v4, vcc
	s_brev_b32 s22, 1
	v_and_or_b32 v0, v0, s22, v1
	v_cvt_i32_f32_e32 v0, v0
.LBB30_2164:
	s_mov_b64 s[22:23], 0
.LBB30_2165:
	s_andn2_b64 vcc, exec, s[22:23]
	s_cbranch_vccnz .LBB30_2167
; %bb.2166:
	global_load_ubyte v0, v[2:3], off
	s_movk_i32 s22, 0x7f00
	s_brev_b32 s23, 16
	s_waitcnt vmcnt(0)
	v_lshlrev_b16_e32 v1, 8, v0
	v_lshlrev_b32_e32 v0, 25, v0
	v_lshrrev_b32_e32 v4, 4, v0
	v_and_or_b32 v8, v1, s22, 0.5
	v_or_b32_e32 v4, 0x70000000, v4
	v_add_f32_e32 v8, -0.5, v8
	v_mul_f32_e32 v4, 0x7800000, v4
	v_cmp_gt_u32_e32 vcc, s23, v0
	v_bfe_i32 v1, v1, 0, 16
	v_cndmask_b32_e32 v0, v4, v8, vcc
	s_brev_b32 s22, 1
	v_and_or_b32 v0, v1, s22, v0
	v_cvt_i32_f32_e32 v0, v0
.LBB30_2167:
	s_mov_b64 s[22:23], 0
	s_mov_b64 s[24:25], -1
.LBB30_2168:
	s_andn2_b64 vcc, exec, s[22:23]
	s_mov_b64 s[22:23], 0
	s_cbranch_vccnz .LBB30_2179
; %bb.2169:
	s_cmp_gt_i32 s30, 14
	s_cbranch_scc0 .LBB30_2172
; %bb.2170:
	s_cmp_eq_u32 s30, 15
	s_cbranch_scc0 .LBB30_2175
; %bb.2171:
	global_load_ushort v0, v[2:3], off
	s_mov_b64 s[0:1], 0
	s_mov_b64 s[24:25], -1
	s_waitcnt vmcnt(0)
	v_lshlrev_b32_e32 v0, 16, v0
	v_cvt_i32_f32_e32 v0, v0
	s_branch .LBB30_2176
.LBB30_2172:
	s_mov_b64 s[26:27], -1
                                        ; implicit-def: $vgpr0
	s_branch .LBB30_2177
.LBB30_2173:
	s_andn2_saveexec_b64 s[22:23], s[22:23]
	s_cbranch_execz .LBB30_2154
.LBB30_2174:
	v_cmp_ne_u16_e32 vcc, 0, v1
	s_andn2_b64 s[24:25], s[24:25], exec
	s_and_b64 s[26:27], vcc, exec
	s_or_b64 s[24:25], s[24:25], s[26:27]
	s_or_b64 exec, exec, s[22:23]
	v_mov_b32_e32 v0, 0
	s_and_saveexec_b64 s[22:23], s[24:25]
	s_cbranch_execnz .LBB30_2155
	s_branch .LBB30_2156
.LBB30_2175:
	s_mov_b64 s[0:1], -1
                                        ; implicit-def: $vgpr0
.LBB30_2176:
	s_mov_b64 s[26:27], 0
.LBB30_2177:
	s_and_b64 vcc, exec, s[26:27]
	s_cbranch_vccz .LBB30_2179
; %bb.2178:
	s_cmp_lg_u32 s30, 11
	s_mov_b64 s[22:23], -1
	s_cselect_b64 s[0:1], -1, 0
.LBB30_2179:
	s_and_b64 vcc, exec, s[0:1]
	s_cbranch_vccnz .LBB30_2244
; %bb.2180:
	s_andn2_b64 vcc, exec, s[22:23]
	s_cbranch_vccnz .LBB30_2182
.LBB30_2181:
	global_load_ubyte v0, v[2:3], off
	s_mov_b64 s[24:25], -1
	s_waitcnt vmcnt(0)
	v_cmp_ne_u16_e32 vcc, 0, v0
	v_cndmask_b32_e64 v0, 0, 1, vcc
.LBB30_2182:
	s_mov_b64 s[0:1], 0
.LBB30_2183:
	s_and_b64 vcc, exec, s[0:1]
	s_cbranch_vccz .LBB30_2232
; %bb.2184:
	s_and_b32 s22, 0xffff, s28
	s_cmp_lt_i32 s22, 5
	s_cbranch_scc1 .LBB30_2189
; %bb.2185:
	s_cmp_lt_i32 s22, 8
	s_cbranch_scc1 .LBB30_2190
; %bb.2186:
	;; [unrolled: 3-line block ×3, first 2 shown]
	s_cmp_gt_i32 s22, 9
	s_cbranch_scc0 .LBB30_2192
; %bb.2188:
	global_load_dwordx2 v[0:1], v[2:3], off
	s_mov_b64 s[0:1], 0
	s_waitcnt vmcnt(0)
	v_cvt_i32_f64_e32 v0, v[0:1]
	s_branch .LBB30_2193
.LBB30_2189:
	s_mov_b64 s[0:1], -1
                                        ; implicit-def: $vgpr0
	s_branch .LBB30_2211
.LBB30_2190:
	s_mov_b64 s[0:1], -1
                                        ; implicit-def: $vgpr0
	s_branch .LBB30_2199
.LBB30_2191:
	s_mov_b64 s[0:1], -1
                                        ; implicit-def: $vgpr0
	s_branch .LBB30_2196
.LBB30_2192:
	s_mov_b64 s[0:1], -1
                                        ; implicit-def: $vgpr0
.LBB30_2193:
	s_andn2_b64 vcc, exec, s[0:1]
	s_cbranch_vccnz .LBB30_2195
; %bb.2194:
	global_load_dword v0, v[2:3], off
	s_waitcnt vmcnt(0)
	v_cvt_i32_f32_e32 v0, v0
.LBB30_2195:
	s_mov_b64 s[0:1], 0
.LBB30_2196:
	s_andn2_b64 vcc, exec, s[0:1]
	s_cbranch_vccnz .LBB30_2198
; %bb.2197:
	global_load_dword v0, v[2:3], off
	s_waitcnt vmcnt(0)
	v_cvt_i16_f16_e32 v0, v0
.LBB30_2198:
	s_mov_b64 s[0:1], 0
.LBB30_2199:
	s_andn2_b64 vcc, exec, s[0:1]
	s_cbranch_vccnz .LBB30_2210
; %bb.2200:
	s_cmp_lt_i32 s22, 6
	s_cbranch_scc1 .LBB30_2203
; %bb.2201:
	s_cmp_gt_i32 s22, 6
	s_cbranch_scc0 .LBB30_2204
; %bb.2202:
	global_load_dwordx2 v[0:1], v[2:3], off
	s_mov_b64 s[0:1], 0
	s_waitcnt vmcnt(0)
	v_cvt_i32_f64_e32 v0, v[0:1]
	s_branch .LBB30_2205
.LBB30_2203:
	s_mov_b64 s[0:1], -1
                                        ; implicit-def: $vgpr0
	s_branch .LBB30_2208
.LBB30_2204:
	s_mov_b64 s[0:1], -1
                                        ; implicit-def: $vgpr0
.LBB30_2205:
	s_andn2_b64 vcc, exec, s[0:1]
	s_cbranch_vccnz .LBB30_2207
; %bb.2206:
	global_load_dword v0, v[2:3], off
	s_waitcnt vmcnt(0)
	v_cvt_i32_f32_e32 v0, v0
.LBB30_2207:
	s_mov_b64 s[0:1], 0
.LBB30_2208:
	s_andn2_b64 vcc, exec, s[0:1]
	s_cbranch_vccnz .LBB30_2210
; %bb.2209:
	global_load_ushort v0, v[2:3], off
	s_waitcnt vmcnt(0)
	v_cvt_i16_f16_e32 v0, v0
.LBB30_2210:
	s_mov_b64 s[0:1], 0
.LBB30_2211:
	s_andn2_b64 vcc, exec, s[0:1]
	s_cbranch_vccnz .LBB30_2231
; %bb.2212:
	s_cmp_lt_i32 s22, 2
	s_cbranch_scc1 .LBB30_2216
; %bb.2213:
	s_cmp_lt_i32 s22, 3
	s_cbranch_scc1 .LBB30_2217
; %bb.2214:
	s_cmp_gt_i32 s22, 3
	s_cbranch_scc0 .LBB30_2218
; %bb.2215:
	global_load_dwordx2 v[0:1], v[2:3], off
	s_mov_b64 s[0:1], 0
	s_branch .LBB30_2219
.LBB30_2216:
	s_mov_b64 s[0:1], -1
                                        ; implicit-def: $vgpr0
	s_branch .LBB30_2225
.LBB30_2217:
	s_mov_b64 s[0:1], -1
                                        ; implicit-def: $vgpr0
	s_branch .LBB30_2222
.LBB30_2218:
	s_mov_b64 s[0:1], -1
                                        ; implicit-def: $vgpr0
.LBB30_2219:
	s_andn2_b64 vcc, exec, s[0:1]
	s_cbranch_vccnz .LBB30_2221
; %bb.2220:
	global_load_dword v0, v[2:3], off
.LBB30_2221:
	s_mov_b64 s[0:1], 0
.LBB30_2222:
	s_andn2_b64 vcc, exec, s[0:1]
	s_cbranch_vccnz .LBB30_2224
; %bb.2223:
	global_load_ushort v0, v[2:3], off
.LBB30_2224:
	s_mov_b64 s[0:1], 0
.LBB30_2225:
	s_andn2_b64 vcc, exec, s[0:1]
	s_cbranch_vccnz .LBB30_2231
; %bb.2226:
	s_cmp_gt_i32 s22, 0
	s_cbranch_scc0 .LBB30_2228
; %bb.2227:
	global_load_ubyte v0, v[2:3], off
	s_mov_b64 s[0:1], 0
	s_branch .LBB30_2229
.LBB30_2228:
	s_mov_b64 s[0:1], -1
                                        ; implicit-def: $vgpr0
.LBB30_2229:
	s_andn2_b64 vcc, exec, s[0:1]
	s_cbranch_vccnz .LBB30_2231
; %bb.2230:
	global_load_ubyte v0, v[2:3], off
.LBB30_2231:
	s_mov_b64 s[24:25], -1
.LBB30_2232:
	s_andn2_b64 vcc, exec, s[24:25]
	s_cbranch_vccnz .LBB30_2634
; %bb.2233:
	v_add_u32_e32 v7, s14, v7
	v_ashrrev_i32_e32 v2, 31, v7
	v_mov_b32_e32 v3, s3
	s_waitcnt vmcnt(0)
	v_add_co_u32_e32 v1, vcc, s2, v7
	s_cmp_lt_i32 s29, 11
	v_addc_co_u32_e32 v2, vcc, v3, v2, vcc
	s_cbranch_scc1 .LBB30_2240
; %bb.2234:
	s_and_b32 s30, 0xffff, s29
	s_cmp_gt_i32 s30, 25
	s_mov_b64 s[22:23], 0
	s_cbranch_scc0 .LBB30_2241
; %bb.2235:
	s_cmp_gt_i32 s30, 28
	s_cbranch_scc0 .LBB30_2242
; %bb.2236:
	s_cmp_gt_i32 s30, 43
	;; [unrolled: 3-line block ×3, first 2 shown]
	s_cbranch_scc0 .LBB30_2245
; %bb.2238:
	s_cmp_eq_u32 s30, 46
	s_mov_b64 s[26:27], 0
	s_cbranch_scc0 .LBB30_2248
; %bb.2239:
	global_load_dword v3, v[1:2], off
	s_mov_b64 s[0:1], 0
	s_mov_b64 s[24:25], -1
	s_waitcnt vmcnt(0)
	v_lshlrev_b32_e32 v3, 16, v3
	v_cvt_i32_f32_e32 v3, v3
	s_branch .LBB30_2249
.LBB30_2240:
	s_mov_b64 s[0:1], -1
	s_mov_b64 s[24:25], 0
                                        ; implicit-def: $vgpr3
	s_branch .LBB30_2311
.LBB30_2241:
	s_mov_b64 s[26:27], -1
	s_mov_b64 s[24:25], 0
	s_mov_b64 s[0:1], 0
                                        ; implicit-def: $vgpr3
	s_branch .LBB30_2276
.LBB30_2242:
	s_mov_b64 s[26:27], -1
	s_mov_b64 s[24:25], 0
	s_mov_b64 s[0:1], 0
                                        ; implicit-def: $vgpr3
	s_branch .LBB30_2259
.LBB30_2243:
	s_mov_b64 s[26:27], -1
	s_mov_b64 s[24:25], 0
	s_mov_b64 s[0:1], 0
                                        ; implicit-def: $vgpr3
	s_branch .LBB30_2254
.LBB30_2244:
	s_trap 2
	s_or_b64 s[18:19], s[18:19], exec
	s_cbranch_execz .LBB30_2181
	s_branch .LBB30_2182
.LBB30_2245:
	s_mov_b64 s[26:27], -1
	s_mov_b64 s[24:25], 0
	s_mov_b64 s[0:1], 0
                                        ; implicit-def: $vgpr3
	s_branch .LBB30_2249
.LBB30_2246:
	s_andn2_saveexec_b64 s[46:47], s[46:47]
	s_cbranch_execz .LBB30_1111
.LBB30_2247:
	v_add_f32_e32 v2, 0x42800000, v3
	v_and_b32_e32 v2, 0xff, v2
	v_cmp_ne_u32_e32 vcc, 0, v2
	s_andn2_b64 s[44:45], s[44:45], exec
	s_and_b64 s[52:53], vcc, exec
	s_or_b64 s[44:45], s[44:45], s[52:53]
	s_or_b64 exec, exec, s[46:47]
	v_mov_b32_e32 v4, 0
	s_and_saveexec_b64 s[46:47], s[44:45]
	s_cbranch_execnz .LBB30_1112
	s_branch .LBB30_1113
.LBB30_2248:
	s_mov_b64 s[0:1], -1
                                        ; implicit-def: $vgpr3
	s_mov_b64 s[24:25], 0
.LBB30_2249:
	s_and_b64 vcc, exec, s[26:27]
	s_cbranch_vccz .LBB30_2253
; %bb.2250:
	s_cmp_eq_u32 s30, 44
	s_cbranch_scc0 .LBB30_2252
; %bb.2251:
	global_load_ubyte v3, v[1:2], off
	s_mov_b64 s[0:1], 0
	s_mov_b64 s[24:25], -1
	s_waitcnt vmcnt(0)
	v_lshlrev_b32_e32 v4, 23, v3
	v_cvt_i32_f32_e32 v4, v4
	v_cmp_ne_u32_e32 vcc, 0, v3
	v_cndmask_b32_e32 v3, 0, v4, vcc
	s_branch .LBB30_2253
.LBB30_2252:
	s_mov_b64 s[0:1], -1
                                        ; implicit-def: $vgpr3
.LBB30_2253:
	s_mov_b64 s[26:27], 0
.LBB30_2254:
	s_and_b64 vcc, exec, s[26:27]
	s_cbranch_vccz .LBB30_2258
; %bb.2255:
	s_cmp_eq_u32 s30, 29
	s_cbranch_scc0 .LBB30_2257
; %bb.2256:
	global_load_dwordx2 v[3:4], v[1:2], off
	s_mov_b64 s[0:1], 0
	s_mov_b64 s[24:25], -1
	s_branch .LBB30_2258
.LBB30_2257:
	s_mov_b64 s[0:1], -1
                                        ; implicit-def: $vgpr3
.LBB30_2258:
	s_mov_b64 s[26:27], 0
.LBB30_2259:
	s_and_b64 vcc, exec, s[26:27]
	s_cbranch_vccz .LBB30_2275
; %bb.2260:
	s_cmp_lt_i32 s30, 27
	s_cbranch_scc1 .LBB30_2263
; %bb.2261:
	s_cmp_gt_i32 s30, 27
	s_cbranch_scc0 .LBB30_2264
; %bb.2262:
	global_load_dword v3, v[1:2], off
	s_mov_b64 s[24:25], 0
	s_branch .LBB30_2265
.LBB30_2263:
	s_mov_b64 s[24:25], -1
                                        ; implicit-def: $vgpr3
	s_branch .LBB30_2268
.LBB30_2264:
	s_mov_b64 s[24:25], -1
                                        ; implicit-def: $vgpr3
.LBB30_2265:
	s_andn2_b64 vcc, exec, s[24:25]
	s_cbranch_vccnz .LBB30_2267
; %bb.2266:
	global_load_ushort v3, v[1:2], off
.LBB30_2267:
	s_mov_b64 s[24:25], 0
.LBB30_2268:
	s_andn2_b64 vcc, exec, s[24:25]
	s_cbranch_vccnz .LBB30_2274
; %bb.2269:
	global_load_ubyte v4, v[1:2], off
	s_movk_i32 s24, 0x7f
	s_mov_b64 s[26:27], 0
	s_waitcnt vmcnt(0)
	v_cmp_lt_i16_e32 vcc, s24, v4
	s_and_saveexec_b64 s[24:25], vcc
	s_xor_b64 s[24:25], exec, s[24:25]
	s_cbranch_execz .LBB30_2286
; %bb.2270:
	s_movk_i32 s26, 0x80
	v_cmp_ne_u16_e32 vcc, s26, v4
	s_and_b64 s[26:27], vcc, exec
	s_andn2_saveexec_b64 s[24:25], s[24:25]
	s_cbranch_execnz .LBB30_2287
.LBB30_2271:
	s_or_b64 exec, exec, s[24:25]
	v_mov_b32_e32 v3, 0
	s_and_saveexec_b64 s[24:25], s[26:27]
	s_cbranch_execz .LBB30_2273
.LBB30_2272:
	v_lshlrev_b32_e32 v3, 24, v4
	v_and_b32_e32 v4, 0xffff, v4
	v_and_b32_e32 v8, 7, v4
	v_ffbh_u32_e32 v10, v8
	v_min_u32_e32 v10, 32, v10
	v_subrev_u32_e32 v11, 28, v10
	v_bfe_u32 v9, v4, 3, 4
	v_lshlrev_b32_e32 v4, v11, v4
	v_sub_u32_e32 v10, 29, v10
	v_and_b32_e32 v4, 7, v4
	v_cmp_eq_u32_e32 vcc, 0, v9
	v_cndmask_b32_e32 v9, v9, v10, vcc
	v_cndmask_b32_e32 v4, v8, v4, vcc
	v_mov_b32_e32 v8, 0x3b800000
	v_lshlrev_b32_e32 v4, 20, v4
	v_and_b32_e32 v3, 0x80000000, v3
	v_lshl_add_u32 v8, v9, 23, v8
	v_or3_b32 v3, v3, v8, v4
	v_cvt_i32_f32_e32 v3, v3
.LBB30_2273:
	s_or_b64 exec, exec, s[24:25]
.LBB30_2274:
	s_mov_b64 s[24:25], -1
.LBB30_2275:
	s_mov_b64 s[26:27], 0
.LBB30_2276:
	s_and_b64 vcc, exec, s[26:27]
	s_cbranch_vccz .LBB30_2307
; %bb.2277:
	s_cmp_gt_i32 s30, 22
	s_cbranch_scc0 .LBB30_2285
; %bb.2278:
	s_cmp_lt_i32 s30, 24
	s_cbranch_scc1 .LBB30_2288
; %bb.2279:
	s_cmp_gt_i32 s30, 24
	s_cbranch_scc0 .LBB30_2289
; %bb.2280:
	global_load_ubyte v4, v[1:2], off
	s_movk_i32 s22, 0x7f
	s_mov_b64 s[24:25], 0
	s_waitcnt vmcnt(0)
	v_cmp_lt_i16_e32 vcc, s22, v4
	s_and_saveexec_b64 s[22:23], vcc
	s_xor_b64 s[22:23], exec, s[22:23]
	s_cbranch_execz .LBB30_2301
; %bb.2281:
	s_movk_i32 s24, 0x80
	v_cmp_ne_u16_e32 vcc, s24, v4
	s_and_b64 s[24:25], vcc, exec
	s_andn2_saveexec_b64 s[22:23], s[22:23]
	s_cbranch_execnz .LBB30_2302
.LBB30_2282:
	s_or_b64 exec, exec, s[22:23]
	v_mov_b32_e32 v3, 0
	s_and_saveexec_b64 s[22:23], s[24:25]
	s_cbranch_execz .LBB30_2284
.LBB30_2283:
	v_lshlrev_b32_e32 v3, 24, v4
	v_and_b32_e32 v4, 0xffff, v4
	v_and_b32_e32 v8, 3, v4
	v_ffbh_u32_e32 v10, v8
	v_min_u32_e32 v10, 32, v10
	v_subrev_u32_e32 v11, 29, v10
	v_bfe_u32 v9, v4, 2, 5
	v_lshlrev_b32_e32 v4, v11, v4
	v_sub_u32_e32 v10, 30, v10
	v_and_b32_e32 v4, 3, v4
	v_cmp_eq_u32_e32 vcc, 0, v9
	v_cndmask_b32_e32 v9, v9, v10, vcc
	v_cndmask_b32_e32 v4, v8, v4, vcc
	v_mov_b32_e32 v8, 0x37800000
	v_lshlrev_b32_e32 v4, 21, v4
	v_and_b32_e32 v3, 0x80000000, v3
	v_lshl_add_u32 v8, v9, 23, v8
	v_or3_b32 v3, v3, v8, v4
	v_cvt_i32_f32_e32 v3, v3
.LBB30_2284:
	s_or_b64 exec, exec, s[22:23]
	s_mov_b64 s[22:23], 0
	s_branch .LBB30_2290
.LBB30_2285:
	s_mov_b64 s[22:23], -1
                                        ; implicit-def: $vgpr3
	s_branch .LBB30_2296
.LBB30_2286:
	s_andn2_saveexec_b64 s[24:25], s[24:25]
	s_cbranch_execz .LBB30_2271
.LBB30_2287:
	v_cmp_ne_u16_e32 vcc, 0, v4
	s_andn2_b64 s[26:27], s[26:27], exec
	s_and_b64 s[34:35], vcc, exec
	s_or_b64 s[26:27], s[26:27], s[34:35]
	s_or_b64 exec, exec, s[24:25]
	v_mov_b32_e32 v3, 0
	s_and_saveexec_b64 s[24:25], s[26:27]
	s_cbranch_execnz .LBB30_2272
	s_branch .LBB30_2273
.LBB30_2288:
	s_mov_b64 s[22:23], -1
                                        ; implicit-def: $vgpr3
	s_branch .LBB30_2293
.LBB30_2289:
	s_mov_b64 s[22:23], -1
                                        ; implicit-def: $vgpr3
.LBB30_2290:
	s_and_b64 vcc, exec, s[22:23]
	s_cbranch_vccz .LBB30_2292
; %bb.2291:
	global_load_ubyte v3, v[1:2], off
	s_mov_b32 s22, 0x7f800000
	s_waitcnt vmcnt(0)
	v_lshlrev_b32_e32 v3, 24, v3
	v_and_b32_e32 v4, 0x7f000000, v3
	v_ffbh_u32_e32 v8, v4
	v_min_u32_e32 v8, 32, v8
	v_sub_u32_e64 v8, v8, 4 clamp
	v_lshlrev_b32_e32 v10, v8, v4
	v_lshlrev_b32_e32 v8, 23, v8
	v_lshrrev_b32_e32 v10, 4, v10
	v_add_u32_e32 v9, 0x1000000, v4
	v_sub_u32_e32 v8, v10, v8
	v_ashrrev_i32_e32 v9, 8, v9
	v_add_u32_e32 v8, 0x3c000000, v8
	v_and_or_b32 v8, v9, s22, v8
	v_cmp_ne_u32_e32 vcc, 0, v4
	v_cndmask_b32_e32 v4, 0, v8, vcc
	s_brev_b32 s22, 1
	v_and_or_b32 v3, v3, s22, v4
	v_cvt_i32_f32_e32 v3, v3
.LBB30_2292:
	s_mov_b64 s[22:23], 0
.LBB30_2293:
	s_andn2_b64 vcc, exec, s[22:23]
	s_cbranch_vccnz .LBB30_2295
; %bb.2294:
	global_load_ubyte v3, v[1:2], off
	s_movk_i32 s22, 0x7f00
	s_brev_b32 s23, 16
	s_waitcnt vmcnt(0)
	v_lshlrev_b16_e32 v4, 8, v3
	v_lshlrev_b32_e32 v3, 25, v3
	v_lshrrev_b32_e32 v8, 4, v3
	v_and_or_b32 v9, v4, s22, 0.5
	v_or_b32_e32 v8, 0x70000000, v8
	v_add_f32_e32 v9, -0.5, v9
	v_mul_f32_e32 v8, 0x7800000, v8
	v_cmp_gt_u32_e32 vcc, s23, v3
	v_bfe_i32 v4, v4, 0, 16
	v_cndmask_b32_e32 v3, v8, v9, vcc
	s_brev_b32 s22, 1
	v_and_or_b32 v3, v4, s22, v3
	v_cvt_i32_f32_e32 v3, v3
.LBB30_2295:
	s_mov_b64 s[22:23], 0
	s_mov_b64 s[24:25], -1
.LBB30_2296:
	s_andn2_b64 vcc, exec, s[22:23]
	s_mov_b64 s[22:23], 0
	s_cbranch_vccnz .LBB30_2307
; %bb.2297:
	s_cmp_gt_i32 s30, 14
	s_cbranch_scc0 .LBB30_2300
; %bb.2298:
	s_cmp_eq_u32 s30, 15
	s_cbranch_scc0 .LBB30_2303
; %bb.2299:
	global_load_ushort v3, v[1:2], off
	s_mov_b64 s[0:1], 0
	s_mov_b64 s[24:25], -1
	s_waitcnt vmcnt(0)
	v_lshlrev_b32_e32 v3, 16, v3
	v_cvt_i32_f32_e32 v3, v3
	s_branch .LBB30_2304
.LBB30_2300:
	s_mov_b64 s[26:27], -1
                                        ; implicit-def: $vgpr3
	s_branch .LBB30_2305
.LBB30_2301:
	s_andn2_saveexec_b64 s[22:23], s[22:23]
	s_cbranch_execz .LBB30_2282
.LBB30_2302:
	v_cmp_ne_u16_e32 vcc, 0, v4
	s_andn2_b64 s[24:25], s[24:25], exec
	s_and_b64 s[26:27], vcc, exec
	s_or_b64 s[24:25], s[24:25], s[26:27]
	s_or_b64 exec, exec, s[22:23]
	v_mov_b32_e32 v3, 0
	s_and_saveexec_b64 s[22:23], s[24:25]
	s_cbranch_execnz .LBB30_2283
	s_branch .LBB30_2284
.LBB30_2303:
	s_mov_b64 s[0:1], -1
                                        ; implicit-def: $vgpr3
.LBB30_2304:
	s_mov_b64 s[26:27], 0
.LBB30_2305:
	s_and_b64 vcc, exec, s[26:27]
	s_cbranch_vccz .LBB30_2307
; %bb.2306:
	s_cmp_lg_u32 s30, 11
	s_mov_b64 s[22:23], -1
	s_cselect_b64 s[0:1], -1, 0
.LBB30_2307:
	s_and_b64 vcc, exec, s[0:1]
	s_cbranch_vccnz .LBB30_2389
; %bb.2308:
	s_andn2_b64 vcc, exec, s[22:23]
	s_cbranch_vccnz .LBB30_2310
.LBB30_2309:
	global_load_ubyte v3, v[1:2], off
	s_mov_b64 s[24:25], -1
	s_waitcnt vmcnt(0)
	v_cmp_ne_u16_e32 vcc, 0, v3
	v_cndmask_b32_e64 v3, 0, 1, vcc
.LBB30_2310:
	s_mov_b64 s[0:1], 0
.LBB30_2311:
	s_and_b64 vcc, exec, s[0:1]
	s_cbranch_vccz .LBB30_2360
; %bb.2312:
	s_and_b32 s22, 0xffff, s29
	s_cmp_lt_i32 s22, 5
	s_cbranch_scc1 .LBB30_2317
; %bb.2313:
	s_cmp_lt_i32 s22, 8
	s_cbranch_scc1 .LBB30_2318
; %bb.2314:
	;; [unrolled: 3-line block ×3, first 2 shown]
	s_cmp_gt_i32 s22, 9
	s_cbranch_scc0 .LBB30_2320
; %bb.2316:
	global_load_dwordx2 v[3:4], v[1:2], off
	s_mov_b64 s[0:1], 0
	s_waitcnt vmcnt(0)
	v_cvt_i32_f64_e32 v3, v[3:4]
	s_branch .LBB30_2321
.LBB30_2317:
	s_mov_b64 s[0:1], -1
                                        ; implicit-def: $vgpr3
	s_branch .LBB30_2339
.LBB30_2318:
	s_mov_b64 s[0:1], -1
                                        ; implicit-def: $vgpr3
	s_branch .LBB30_2327
.LBB30_2319:
	s_mov_b64 s[0:1], -1
                                        ; implicit-def: $vgpr3
	s_branch .LBB30_2324
.LBB30_2320:
	s_mov_b64 s[0:1], -1
                                        ; implicit-def: $vgpr3
.LBB30_2321:
	s_andn2_b64 vcc, exec, s[0:1]
	s_cbranch_vccnz .LBB30_2323
; %bb.2322:
	global_load_dword v3, v[1:2], off
	s_waitcnt vmcnt(0)
	v_cvt_i32_f32_e32 v3, v3
.LBB30_2323:
	s_mov_b64 s[0:1], 0
.LBB30_2324:
	s_andn2_b64 vcc, exec, s[0:1]
	s_cbranch_vccnz .LBB30_2326
; %bb.2325:
	global_load_dword v3, v[1:2], off
	s_waitcnt vmcnt(0)
	v_cvt_i16_f16_e32 v3, v3
.LBB30_2326:
	s_mov_b64 s[0:1], 0
.LBB30_2327:
	s_andn2_b64 vcc, exec, s[0:1]
	s_cbranch_vccnz .LBB30_2338
; %bb.2328:
	s_cmp_lt_i32 s22, 6
	s_cbranch_scc1 .LBB30_2331
; %bb.2329:
	s_cmp_gt_i32 s22, 6
	s_cbranch_scc0 .LBB30_2332
; %bb.2330:
	global_load_dwordx2 v[3:4], v[1:2], off
	s_mov_b64 s[0:1], 0
	s_waitcnt vmcnt(0)
	v_cvt_i32_f64_e32 v3, v[3:4]
	s_branch .LBB30_2333
.LBB30_2331:
	s_mov_b64 s[0:1], -1
                                        ; implicit-def: $vgpr3
	s_branch .LBB30_2336
.LBB30_2332:
	s_mov_b64 s[0:1], -1
                                        ; implicit-def: $vgpr3
.LBB30_2333:
	s_andn2_b64 vcc, exec, s[0:1]
	s_cbranch_vccnz .LBB30_2335
; %bb.2334:
	global_load_dword v3, v[1:2], off
	s_waitcnt vmcnt(0)
	v_cvt_i32_f32_e32 v3, v3
.LBB30_2335:
	s_mov_b64 s[0:1], 0
.LBB30_2336:
	s_andn2_b64 vcc, exec, s[0:1]
	s_cbranch_vccnz .LBB30_2338
; %bb.2337:
	global_load_ushort v3, v[1:2], off
	s_waitcnt vmcnt(0)
	v_cvt_i16_f16_e32 v3, v3
.LBB30_2338:
	s_mov_b64 s[0:1], 0
.LBB30_2339:
	s_andn2_b64 vcc, exec, s[0:1]
	s_cbranch_vccnz .LBB30_2359
; %bb.2340:
	s_cmp_lt_i32 s22, 2
	s_cbranch_scc1 .LBB30_2344
; %bb.2341:
	s_cmp_lt_i32 s22, 3
	s_cbranch_scc1 .LBB30_2345
; %bb.2342:
	s_cmp_gt_i32 s22, 3
	s_cbranch_scc0 .LBB30_2346
; %bb.2343:
	global_load_dwordx2 v[3:4], v[1:2], off
	s_mov_b64 s[0:1], 0
	s_branch .LBB30_2347
.LBB30_2344:
	s_mov_b64 s[0:1], -1
                                        ; implicit-def: $vgpr3
	s_branch .LBB30_2353
.LBB30_2345:
	s_mov_b64 s[0:1], -1
                                        ; implicit-def: $vgpr3
	s_branch .LBB30_2350
.LBB30_2346:
	s_mov_b64 s[0:1], -1
                                        ; implicit-def: $vgpr3
.LBB30_2347:
	s_andn2_b64 vcc, exec, s[0:1]
	s_cbranch_vccnz .LBB30_2349
; %bb.2348:
	global_load_dword v3, v[1:2], off
.LBB30_2349:
	s_mov_b64 s[0:1], 0
.LBB30_2350:
	s_andn2_b64 vcc, exec, s[0:1]
	s_cbranch_vccnz .LBB30_2352
; %bb.2351:
	global_load_ushort v3, v[1:2], off
.LBB30_2352:
	s_mov_b64 s[0:1], 0
.LBB30_2353:
	s_andn2_b64 vcc, exec, s[0:1]
	s_cbranch_vccnz .LBB30_2359
; %bb.2354:
	s_cmp_gt_i32 s22, 0
	s_cbranch_scc0 .LBB30_2356
; %bb.2355:
	global_load_ubyte v3, v[1:2], off
	s_mov_b64 s[0:1], 0
	s_branch .LBB30_2357
.LBB30_2356:
	s_mov_b64 s[0:1], -1
                                        ; implicit-def: $vgpr3
.LBB30_2357:
	s_andn2_b64 vcc, exec, s[0:1]
	s_cbranch_vccnz .LBB30_2359
; %bb.2358:
	global_load_ubyte v3, v[1:2], off
.LBB30_2359:
	s_mov_b64 s[24:25], -1
.LBB30_2360:
	s_andn2_b64 vcc, exec, s[24:25]
	s_cbranch_vccnz .LBB30_2634
; %bb.2361:
	s_cmp_lt_i32 s15, 1
	s_mov_b64 s[0:1], 0
	s_cbranch_scc1 .LBB30_2365
; %bb.2362:
	s_cmp_gt_i32 s15, 1
	s_cbranch_scc0 .LBB30_2366
; %bb.2363:
	s_cmp_eq_u32 s15, 2
	s_cbranch_scc0 .LBB30_2367
; %bb.2364:
	s_waitcnt vmcnt(0)
	v_cmp_le_i16_sdwa s[22:23], sext(v0), sext(v3) src0_sel:BYTE_0 src1_sel:BYTE_0
	s_mov_b64 s[24:25], 0
	s_branch .LBB30_2368
.LBB30_2365:
	s_mov_b64 s[26:27], -1
                                        ; implicit-def: $sgpr22_sgpr23
	s_mov_b64 s[24:25], 0
	s_branch .LBB30_2372
.LBB30_2366:
	s_mov_b64 s[26:27], -1
	s_mov_b64 s[24:25], 0
                                        ; implicit-def: $sgpr22_sgpr23
	s_branch .LBB30_2369
.LBB30_2367:
	s_mov_b64 s[24:25], -1
                                        ; implicit-def: $sgpr22_sgpr23
.LBB30_2368:
	s_mov_b64 s[26:27], 0
.LBB30_2369:
	s_and_b64 vcc, exec, s[26:27]
	s_cbranch_vccz .LBB30_2371
; %bb.2370:
	s_waitcnt vmcnt(0)
	v_cmp_gt_i16_sdwa s[26:27], sext(v0), sext(v3) src0_sel:BYTE_0 src1_sel:BYTE_0
	s_andn2_b64 s[22:23], s[22:23], exec
	s_and_b64 s[26:27], s[26:27], exec
	s_or_b64 s[22:23], s[22:23], s[26:27]
.LBB30_2371:
	s_mov_b64 s[26:27], 0
.LBB30_2372:
	s_and_b64 vcc, exec, s[26:27]
	s_cbranch_vccz .LBB30_2383
; %bb.2373:
	s_cmp_lg_u32 s15, 0
	s_mov_b64 s[0:1], -1
	s_cselect_b64 s[24:25], -1, 0
	s_andn2_b64 vcc, exec, s[24:25]
	s_cbranch_vccz .LBB30_2384
.LBB30_2374:
	s_andn2_b64 vcc, exec, s[0:1]
	s_cbranch_vccnz .LBB30_2376
.LBB30_2375:
	s_waitcnt vmcnt(0)
	v_cmp_ge_i16_sdwa s[0:1], sext(v0), sext(v3) src0_sel:BYTE_0 src1_sel:BYTE_0
	s_andn2_b64 s[22:23], s[22:23], exec
	s_and_b64 s[0:1], s[0:1], exec
	s_or_b64 s[22:23], s[22:23], s[0:1]
.LBB30_2376:
	v_add_u32_e32 v0, s13, v6
	v_ashrrev_i32_e32 v1, 31, v0
	s_waitcnt vmcnt(0)
	v_mov_b32_e32 v3, s11
	v_add_co_u32_e32 v2, vcc, s10, v0
	s_cmp_lt_i32 s28, 11
	v_addc_co_u32_e32 v3, vcc, v3, v1, vcc
	s_cbranch_scc1 .LBB30_2385
; %bb.2377:
	s_and_b32 s13, 0xffff, s28
	s_cmp_gt_i32 s13, 25
	s_mov_b64 s[10:11], 0
	s_cbranch_scc0 .LBB30_2386
; %bb.2378:
	s_cmp_gt_i32 s13, 28
	s_cbranch_scc0 .LBB30_2387
; %bb.2379:
	s_cmp_gt_i32 s13, 43
	s_cbranch_scc0 .LBB30_2388
; %bb.2380:
	s_cmp_gt_i32 s13, 45
	s_cbranch_scc0 .LBB30_2390
; %bb.2381:
	s_cmp_eq_u32 s13, 46
	s_mov_b64 s[26:27], 0
	s_cbranch_scc0 .LBB30_2391
; %bb.2382:
	global_load_dword v0, v[2:3], off
	s_mov_b64 s[0:1], 0
	s_mov_b64 s[24:25], -1
	s_waitcnt vmcnt(0)
	v_lshlrev_b32_e32 v0, 16, v0
	v_cvt_i32_f32_e32 v0, v0
	s_branch .LBB30_2392
.LBB30_2383:
	s_andn2_b64 vcc, exec, s[24:25]
	s_cbranch_vccnz .LBB30_2374
.LBB30_2384:
	s_waitcnt vmcnt(0)
	v_cmp_lt_i16_sdwa s[24:25], sext(v0), sext(v3) src0_sel:BYTE_0 src1_sel:BYTE_0
	s_andn2_b64 s[22:23], s[22:23], exec
	s_and_b64 s[24:25], s[24:25], exec
	s_or_b64 s[22:23], s[22:23], s[24:25]
	s_cbranch_execz .LBB30_2375
	s_branch .LBB30_2376
.LBB30_2385:
	s_mov_b64 s[0:1], -1
	s_mov_b64 s[24:25], 0
                                        ; implicit-def: $vgpr0
	s_branch .LBB30_2454
.LBB30_2386:
	s_mov_b64 s[26:27], -1
	s_mov_b64 s[24:25], 0
	s_mov_b64 s[0:1], 0
                                        ; implicit-def: $vgpr0
	s_branch .LBB30_2419
.LBB30_2387:
	s_mov_b64 s[26:27], -1
	s_mov_b64 s[24:25], 0
	s_mov_b64 s[0:1], 0
                                        ; implicit-def: $vgpr0
	s_branch .LBB30_2402
.LBB30_2388:
	s_mov_b64 s[26:27], -1
	s_mov_b64 s[24:25], 0
	s_mov_b64 s[0:1], 0
                                        ; implicit-def: $vgpr0
	s_branch .LBB30_2397
.LBB30_2389:
	s_trap 2
	s_or_b64 s[18:19], s[18:19], exec
	s_cbranch_execz .LBB30_2309
	s_branch .LBB30_2310
.LBB30_2390:
	s_mov_b64 s[26:27], -1
	s_mov_b64 s[24:25], 0
	s_mov_b64 s[0:1], 0
                                        ; implicit-def: $vgpr0
	s_branch .LBB30_2392
.LBB30_2391:
	s_mov_b64 s[0:1], -1
                                        ; implicit-def: $vgpr0
	s_mov_b64 s[24:25], 0
.LBB30_2392:
	s_and_b64 vcc, exec, s[26:27]
	s_cbranch_vccz .LBB30_2396
; %bb.2393:
	s_cmp_eq_u32 s13, 44
	s_cbranch_scc0 .LBB30_2395
; %bb.2394:
	global_load_ubyte v0, v[2:3], off
	s_mov_b64 s[0:1], 0
	s_mov_b64 s[24:25], -1
	s_waitcnt vmcnt(0)
	v_lshlrev_b32_e32 v1, 23, v0
	v_cvt_i32_f32_e32 v1, v1
	v_cmp_ne_u32_e32 vcc, 0, v0
	v_cndmask_b32_e32 v0, 0, v1, vcc
	s_branch .LBB30_2396
.LBB30_2395:
	s_mov_b64 s[0:1], -1
                                        ; implicit-def: $vgpr0
.LBB30_2396:
	s_mov_b64 s[26:27], 0
.LBB30_2397:
	s_and_b64 vcc, exec, s[26:27]
	s_cbranch_vccz .LBB30_2401
; %bb.2398:
	s_cmp_eq_u32 s13, 29
	s_cbranch_scc0 .LBB30_2400
; %bb.2399:
	global_load_dwordx2 v[0:1], v[2:3], off
	s_mov_b64 s[0:1], 0
	s_mov_b64 s[24:25], -1
	s_branch .LBB30_2401
.LBB30_2400:
	s_mov_b64 s[0:1], -1
                                        ; implicit-def: $vgpr0
.LBB30_2401:
	s_mov_b64 s[26:27], 0
.LBB30_2402:
	s_and_b64 vcc, exec, s[26:27]
	s_cbranch_vccz .LBB30_2418
; %bb.2403:
	s_cmp_lt_i32 s13, 27
	s_cbranch_scc1 .LBB30_2406
; %bb.2404:
	s_cmp_gt_i32 s13, 27
	s_cbranch_scc0 .LBB30_2407
; %bb.2405:
	global_load_dword v0, v[2:3], off
	s_mov_b64 s[24:25], 0
	s_branch .LBB30_2408
.LBB30_2406:
	s_mov_b64 s[24:25], -1
                                        ; implicit-def: $vgpr0
	s_branch .LBB30_2411
.LBB30_2407:
	s_mov_b64 s[24:25], -1
                                        ; implicit-def: $vgpr0
.LBB30_2408:
	s_andn2_b64 vcc, exec, s[24:25]
	s_cbranch_vccnz .LBB30_2410
; %bb.2409:
	global_load_ushort v0, v[2:3], off
.LBB30_2410:
	s_mov_b64 s[24:25], 0
.LBB30_2411:
	s_andn2_b64 vcc, exec, s[24:25]
	s_cbranch_vccnz .LBB30_2417
; %bb.2412:
	global_load_ubyte v1, v[2:3], off
	s_movk_i32 s24, 0x7f
	s_mov_b64 s[26:27], 0
	s_waitcnt vmcnt(0)
	v_cmp_lt_i16_e32 vcc, s24, v1
	s_and_saveexec_b64 s[24:25], vcc
	s_xor_b64 s[24:25], exec, s[24:25]
	s_cbranch_execz .LBB30_2429
; %bb.2413:
	s_movk_i32 s26, 0x80
	v_cmp_ne_u16_e32 vcc, s26, v1
	s_and_b64 s[26:27], vcc, exec
	s_andn2_saveexec_b64 s[24:25], s[24:25]
	s_cbranch_execnz .LBB30_2430
.LBB30_2414:
	s_or_b64 exec, exec, s[24:25]
	v_mov_b32_e32 v0, 0
	s_and_saveexec_b64 s[24:25], s[26:27]
	s_cbranch_execz .LBB30_2416
.LBB30_2415:
	v_lshlrev_b32_e32 v0, 24, v1
	v_and_b32_e32 v1, 0xffff, v1
	v_and_b32_e32 v4, 7, v1
	v_ffbh_u32_e32 v8, v4
	v_min_u32_e32 v8, 32, v8
	v_subrev_u32_e32 v9, 28, v8
	v_bfe_u32 v6, v1, 3, 4
	v_lshlrev_b32_e32 v1, v9, v1
	v_sub_u32_e32 v8, 29, v8
	v_and_b32_e32 v1, 7, v1
	v_cmp_eq_u32_e32 vcc, 0, v6
	v_cndmask_b32_e32 v6, v6, v8, vcc
	v_cndmask_b32_e32 v1, v4, v1, vcc
	v_mov_b32_e32 v4, 0x3b800000
	v_lshlrev_b32_e32 v1, 20, v1
	v_and_b32_e32 v0, 0x80000000, v0
	v_lshl_add_u32 v4, v6, 23, v4
	v_or3_b32 v0, v0, v4, v1
	v_cvt_i32_f32_e32 v0, v0
.LBB30_2416:
	s_or_b64 exec, exec, s[24:25]
.LBB30_2417:
	s_mov_b64 s[24:25], -1
.LBB30_2418:
	s_mov_b64 s[26:27], 0
.LBB30_2419:
	s_and_b64 vcc, exec, s[26:27]
	s_cbranch_vccz .LBB30_2450
; %bb.2420:
	s_cmp_gt_i32 s13, 22
	s_cbranch_scc0 .LBB30_2428
; %bb.2421:
	s_cmp_lt_i32 s13, 24
	s_cbranch_scc1 .LBB30_2431
; %bb.2422:
	s_cmp_gt_i32 s13, 24
	s_cbranch_scc0 .LBB30_2432
; %bb.2423:
	global_load_ubyte v1, v[2:3], off
	s_movk_i32 s10, 0x7f
	s_mov_b64 s[24:25], 0
	s_waitcnt vmcnt(0)
	v_cmp_lt_i16_e32 vcc, s10, v1
	s_and_saveexec_b64 s[10:11], vcc
	s_xor_b64 s[10:11], exec, s[10:11]
	s_cbranch_execz .LBB30_2444
; %bb.2424:
	s_movk_i32 s24, 0x80
	v_cmp_ne_u16_e32 vcc, s24, v1
	s_and_b64 s[24:25], vcc, exec
	s_andn2_saveexec_b64 s[10:11], s[10:11]
	s_cbranch_execnz .LBB30_2445
.LBB30_2425:
	s_or_b64 exec, exec, s[10:11]
	v_mov_b32_e32 v0, 0
	s_and_saveexec_b64 s[10:11], s[24:25]
	s_cbranch_execz .LBB30_2427
.LBB30_2426:
	v_lshlrev_b32_e32 v0, 24, v1
	v_and_b32_e32 v1, 0xffff, v1
	v_and_b32_e32 v4, 3, v1
	v_ffbh_u32_e32 v8, v4
	v_min_u32_e32 v8, 32, v8
	v_subrev_u32_e32 v9, 29, v8
	v_bfe_u32 v6, v1, 2, 5
	v_lshlrev_b32_e32 v1, v9, v1
	v_sub_u32_e32 v8, 30, v8
	v_and_b32_e32 v1, 3, v1
	v_cmp_eq_u32_e32 vcc, 0, v6
	v_cndmask_b32_e32 v6, v6, v8, vcc
	v_cndmask_b32_e32 v1, v4, v1, vcc
	v_mov_b32_e32 v4, 0x37800000
	v_lshlrev_b32_e32 v1, 21, v1
	v_and_b32_e32 v0, 0x80000000, v0
	v_lshl_add_u32 v4, v6, 23, v4
	v_or3_b32 v0, v0, v4, v1
	v_cvt_i32_f32_e32 v0, v0
.LBB30_2427:
	s_or_b64 exec, exec, s[10:11]
	s_mov_b64 s[10:11], 0
	s_branch .LBB30_2433
.LBB30_2428:
	s_mov_b64 s[10:11], -1
                                        ; implicit-def: $vgpr0
	s_branch .LBB30_2439
.LBB30_2429:
	s_andn2_saveexec_b64 s[24:25], s[24:25]
	s_cbranch_execz .LBB30_2414
.LBB30_2430:
	v_cmp_ne_u16_e32 vcc, 0, v1
	s_andn2_b64 s[26:27], s[26:27], exec
	s_and_b64 s[30:31], vcc, exec
	s_or_b64 s[26:27], s[26:27], s[30:31]
	s_or_b64 exec, exec, s[24:25]
	v_mov_b32_e32 v0, 0
	s_and_saveexec_b64 s[24:25], s[26:27]
	s_cbranch_execnz .LBB30_2415
	s_branch .LBB30_2416
.LBB30_2431:
	s_mov_b64 s[10:11], -1
                                        ; implicit-def: $vgpr0
	s_branch .LBB30_2436
.LBB30_2432:
	s_mov_b64 s[10:11], -1
                                        ; implicit-def: $vgpr0
.LBB30_2433:
	s_and_b64 vcc, exec, s[10:11]
	s_cbranch_vccz .LBB30_2435
; %bb.2434:
	global_load_ubyte v0, v[2:3], off
	s_mov_b32 s10, 0x7f800000
	s_waitcnt vmcnt(0)
	v_lshlrev_b32_e32 v0, 24, v0
	v_and_b32_e32 v1, 0x7f000000, v0
	v_ffbh_u32_e32 v4, v1
	v_min_u32_e32 v4, 32, v4
	v_sub_u32_e64 v4, v4, 4 clamp
	v_lshlrev_b32_e32 v8, v4, v1
	v_lshlrev_b32_e32 v4, 23, v4
	v_lshrrev_b32_e32 v8, 4, v8
	v_add_u32_e32 v6, 0x1000000, v1
	v_sub_u32_e32 v4, v8, v4
	v_ashrrev_i32_e32 v6, 8, v6
	v_add_u32_e32 v4, 0x3c000000, v4
	v_and_or_b32 v4, v6, s10, v4
	v_cmp_ne_u32_e32 vcc, 0, v1
	v_cndmask_b32_e32 v1, 0, v4, vcc
	s_brev_b32 s10, 1
	v_and_or_b32 v0, v0, s10, v1
	v_cvt_i32_f32_e32 v0, v0
.LBB30_2435:
	s_mov_b64 s[10:11], 0
.LBB30_2436:
	s_andn2_b64 vcc, exec, s[10:11]
	s_cbranch_vccnz .LBB30_2438
; %bb.2437:
	global_load_ubyte v0, v[2:3], off
	s_movk_i32 s10, 0x7f00
	s_brev_b32 s11, 16
	s_waitcnt vmcnt(0)
	v_lshlrev_b16_e32 v1, 8, v0
	v_lshlrev_b32_e32 v0, 25, v0
	v_lshrrev_b32_e32 v4, 4, v0
	v_and_or_b32 v6, v1, s10, 0.5
	v_or_b32_e32 v4, 0x70000000, v4
	v_add_f32_e32 v6, -0.5, v6
	v_mul_f32_e32 v4, 0x7800000, v4
	v_cmp_gt_u32_e32 vcc, s11, v0
	v_bfe_i32 v1, v1, 0, 16
	v_cndmask_b32_e32 v0, v4, v6, vcc
	s_brev_b32 s10, 1
	v_and_or_b32 v0, v1, s10, v0
	v_cvt_i32_f32_e32 v0, v0
.LBB30_2438:
	s_mov_b64 s[10:11], 0
	s_mov_b64 s[24:25], -1
.LBB30_2439:
	s_andn2_b64 vcc, exec, s[10:11]
	s_mov_b64 s[10:11], 0
	s_cbranch_vccnz .LBB30_2450
; %bb.2440:
	s_cmp_gt_i32 s13, 14
	s_cbranch_scc0 .LBB30_2443
; %bb.2441:
	s_cmp_eq_u32 s13, 15
	s_cbranch_scc0 .LBB30_2446
; %bb.2442:
	global_load_ushort v0, v[2:3], off
	s_mov_b64 s[0:1], 0
	s_mov_b64 s[24:25], -1
	s_waitcnt vmcnt(0)
	v_lshlrev_b32_e32 v0, 16, v0
	v_cvt_i32_f32_e32 v0, v0
	s_branch .LBB30_2447
.LBB30_2443:
	s_mov_b64 s[26:27], -1
                                        ; implicit-def: $vgpr0
	s_branch .LBB30_2448
.LBB30_2444:
	s_andn2_saveexec_b64 s[10:11], s[10:11]
	s_cbranch_execz .LBB30_2425
.LBB30_2445:
	v_cmp_ne_u16_e32 vcc, 0, v1
	s_andn2_b64 s[24:25], s[24:25], exec
	s_and_b64 s[26:27], vcc, exec
	s_or_b64 s[24:25], s[24:25], s[26:27]
	s_or_b64 exec, exec, s[10:11]
	v_mov_b32_e32 v0, 0
	s_and_saveexec_b64 s[10:11], s[24:25]
	s_cbranch_execnz .LBB30_2426
	s_branch .LBB30_2427
.LBB30_2446:
	s_mov_b64 s[0:1], -1
                                        ; implicit-def: $vgpr0
.LBB30_2447:
	s_mov_b64 s[26:27], 0
.LBB30_2448:
	s_and_b64 vcc, exec, s[26:27]
	s_cbranch_vccz .LBB30_2450
; %bb.2449:
	s_cmp_lg_u32 s13, 11
	s_mov_b64 s[10:11], -1
	s_cselect_b64 s[0:1], -1, 0
.LBB30_2450:
	s_and_b64 vcc, exec, s[0:1]
	s_cbranch_vccnz .LBB30_2515
; %bb.2451:
	s_andn2_b64 vcc, exec, s[10:11]
	s_cbranch_vccnz .LBB30_2453
.LBB30_2452:
	global_load_ubyte v0, v[2:3], off
	s_mov_b64 s[24:25], -1
	s_waitcnt vmcnt(0)
	v_cmp_ne_u16_e32 vcc, 0, v0
	v_cndmask_b32_e64 v0, 0, 1, vcc
.LBB30_2453:
	s_mov_b64 s[0:1], 0
.LBB30_2454:
	s_and_b64 vcc, exec, s[0:1]
	s_cbranch_vccz .LBB30_2503
; %bb.2455:
	s_and_b32 s10, 0xffff, s28
	s_cmp_lt_i32 s10, 5
	s_cbranch_scc1 .LBB30_2460
; %bb.2456:
	s_cmp_lt_i32 s10, 8
	s_cbranch_scc1 .LBB30_2461
; %bb.2457:
	;; [unrolled: 3-line block ×3, first 2 shown]
	s_cmp_gt_i32 s10, 9
	s_cbranch_scc0 .LBB30_2463
; %bb.2459:
	global_load_dwordx2 v[0:1], v[2:3], off
	s_mov_b64 s[0:1], 0
	s_waitcnt vmcnt(0)
	v_cvt_i32_f64_e32 v0, v[0:1]
	s_branch .LBB30_2464
.LBB30_2460:
	s_mov_b64 s[0:1], -1
                                        ; implicit-def: $vgpr0
	s_branch .LBB30_2482
.LBB30_2461:
	s_mov_b64 s[0:1], -1
                                        ; implicit-def: $vgpr0
	s_branch .LBB30_2470
.LBB30_2462:
	s_mov_b64 s[0:1], -1
                                        ; implicit-def: $vgpr0
	s_branch .LBB30_2467
.LBB30_2463:
	s_mov_b64 s[0:1], -1
                                        ; implicit-def: $vgpr0
.LBB30_2464:
	s_andn2_b64 vcc, exec, s[0:1]
	s_cbranch_vccnz .LBB30_2466
; %bb.2465:
	global_load_dword v0, v[2:3], off
	s_waitcnt vmcnt(0)
	v_cvt_i32_f32_e32 v0, v0
.LBB30_2466:
	s_mov_b64 s[0:1], 0
.LBB30_2467:
	s_andn2_b64 vcc, exec, s[0:1]
	s_cbranch_vccnz .LBB30_2469
; %bb.2468:
	global_load_dword v0, v[2:3], off
	s_waitcnt vmcnt(0)
	v_cvt_i16_f16_e32 v0, v0
.LBB30_2469:
	s_mov_b64 s[0:1], 0
.LBB30_2470:
	s_andn2_b64 vcc, exec, s[0:1]
	s_cbranch_vccnz .LBB30_2481
; %bb.2471:
	s_cmp_lt_i32 s10, 6
	s_cbranch_scc1 .LBB30_2474
; %bb.2472:
	s_cmp_gt_i32 s10, 6
	s_cbranch_scc0 .LBB30_2475
; %bb.2473:
	global_load_dwordx2 v[0:1], v[2:3], off
	s_mov_b64 s[0:1], 0
	s_waitcnt vmcnt(0)
	v_cvt_i32_f64_e32 v0, v[0:1]
	s_branch .LBB30_2476
.LBB30_2474:
	s_mov_b64 s[0:1], -1
                                        ; implicit-def: $vgpr0
	s_branch .LBB30_2479
.LBB30_2475:
	s_mov_b64 s[0:1], -1
                                        ; implicit-def: $vgpr0
.LBB30_2476:
	s_andn2_b64 vcc, exec, s[0:1]
	s_cbranch_vccnz .LBB30_2478
; %bb.2477:
	global_load_dword v0, v[2:3], off
	s_waitcnt vmcnt(0)
	v_cvt_i32_f32_e32 v0, v0
.LBB30_2478:
	s_mov_b64 s[0:1], 0
.LBB30_2479:
	s_andn2_b64 vcc, exec, s[0:1]
	s_cbranch_vccnz .LBB30_2481
; %bb.2480:
	global_load_ushort v0, v[2:3], off
	s_waitcnt vmcnt(0)
	v_cvt_i16_f16_e32 v0, v0
.LBB30_2481:
	s_mov_b64 s[0:1], 0
.LBB30_2482:
	s_andn2_b64 vcc, exec, s[0:1]
	s_cbranch_vccnz .LBB30_2502
; %bb.2483:
	s_cmp_lt_i32 s10, 2
	s_cbranch_scc1 .LBB30_2487
; %bb.2484:
	s_cmp_lt_i32 s10, 3
	s_cbranch_scc1 .LBB30_2488
; %bb.2485:
	s_cmp_gt_i32 s10, 3
	s_cbranch_scc0 .LBB30_2489
; %bb.2486:
	global_load_dwordx2 v[0:1], v[2:3], off
	s_mov_b64 s[0:1], 0
	s_branch .LBB30_2490
.LBB30_2487:
	s_mov_b64 s[0:1], -1
                                        ; implicit-def: $vgpr0
	s_branch .LBB30_2496
.LBB30_2488:
	s_mov_b64 s[0:1], -1
                                        ; implicit-def: $vgpr0
	s_branch .LBB30_2493
.LBB30_2489:
	s_mov_b64 s[0:1], -1
                                        ; implicit-def: $vgpr0
.LBB30_2490:
	s_andn2_b64 vcc, exec, s[0:1]
	s_cbranch_vccnz .LBB30_2492
; %bb.2491:
	global_load_dword v0, v[2:3], off
.LBB30_2492:
	s_mov_b64 s[0:1], 0
.LBB30_2493:
	s_andn2_b64 vcc, exec, s[0:1]
	s_cbranch_vccnz .LBB30_2495
; %bb.2494:
	global_load_ushort v0, v[2:3], off
.LBB30_2495:
	s_mov_b64 s[0:1], 0
.LBB30_2496:
	s_andn2_b64 vcc, exec, s[0:1]
	s_cbranch_vccnz .LBB30_2502
; %bb.2497:
	s_cmp_gt_i32 s10, 0
	s_cbranch_scc0 .LBB30_2499
; %bb.2498:
	global_load_ubyte v0, v[2:3], off
	s_mov_b64 s[0:1], 0
	s_branch .LBB30_2500
.LBB30_2499:
	s_mov_b64 s[0:1], -1
                                        ; implicit-def: $vgpr0
.LBB30_2500:
	s_andn2_b64 vcc, exec, s[0:1]
	s_cbranch_vccnz .LBB30_2502
; %bb.2501:
	global_load_ubyte v0, v[2:3], off
.LBB30_2502:
	s_mov_b64 s[24:25], -1
.LBB30_2503:
	s_andn2_b64 vcc, exec, s[24:25]
	s_cbranch_vccnz .LBB30_2634
; %bb.2504:
	s_waitcnt vmcnt(0)
	v_add_u32_e32 v1, s14, v7
	v_ashrrev_i32_e32 v2, 31, v1
	v_mov_b32_e32 v3, s3
	v_add_co_u32_e32 v1, vcc, s2, v1
	s_cmp_lt_i32 s29, 11
	v_addc_co_u32_e32 v2, vcc, v3, v2, vcc
	s_cbranch_scc1 .LBB30_2511
; %bb.2505:
	s_and_b32 s13, 0xffff, s29
	s_cmp_gt_i32 s13, 25
	s_mov_b64 s[2:3], 0
	s_cbranch_scc0 .LBB30_2512
; %bb.2506:
	s_cmp_gt_i32 s13, 28
	s_cbranch_scc0 .LBB30_2513
; %bb.2507:
	s_cmp_gt_i32 s13, 43
	;; [unrolled: 3-line block ×3, first 2 shown]
	s_cbranch_scc0 .LBB30_2516
; %bb.2509:
	s_cmp_eq_u32 s13, 46
	s_mov_b64 s[24:25], 0
	s_cbranch_scc0 .LBB30_2517
; %bb.2510:
	global_load_dword v3, v[1:2], off
	s_mov_b64 s[0:1], 0
	s_mov_b64 s[10:11], -1
	s_waitcnt vmcnt(0)
	v_lshlrev_b32_e32 v3, 16, v3
	v_cvt_i32_f32_e32 v3, v3
	s_branch .LBB30_2518
.LBB30_2511:
	s_mov_b64 s[0:1], -1
	s_mov_b64 s[10:11], 0
                                        ; implicit-def: $vgpr3
	s_branch .LBB30_2580
.LBB30_2512:
	s_mov_b64 s[24:25], -1
	s_mov_b64 s[10:11], 0
	s_mov_b64 s[0:1], 0
                                        ; implicit-def: $vgpr3
	s_branch .LBB30_2545
.LBB30_2513:
	s_mov_b64 s[24:25], -1
	s_mov_b64 s[10:11], 0
	s_mov_b64 s[0:1], 0
                                        ; implicit-def: $vgpr3
	s_branch .LBB30_2528
.LBB30_2514:
	s_mov_b64 s[24:25], -1
	s_mov_b64 s[10:11], 0
	s_mov_b64 s[0:1], 0
                                        ; implicit-def: $vgpr3
	s_branch .LBB30_2523
.LBB30_2515:
	s_trap 2
	s_or_b64 s[18:19], s[18:19], exec
	s_cbranch_execz .LBB30_2452
	s_branch .LBB30_2453
.LBB30_2516:
	s_mov_b64 s[24:25], -1
	s_mov_b64 s[10:11], 0
	s_mov_b64 s[0:1], 0
                                        ; implicit-def: $vgpr3
	s_branch .LBB30_2518
.LBB30_2517:
	s_mov_b64 s[0:1], -1
                                        ; implicit-def: $vgpr3
	s_mov_b64 s[10:11], 0
.LBB30_2518:
	s_and_b64 vcc, exec, s[24:25]
	s_cbranch_vccz .LBB30_2522
; %bb.2519:
	s_cmp_eq_u32 s13, 44
	s_cbranch_scc0 .LBB30_2521
; %bb.2520:
	global_load_ubyte v3, v[1:2], off
	s_mov_b64 s[0:1], 0
	s_mov_b64 s[10:11], -1
	s_waitcnt vmcnt(0)
	v_lshlrev_b32_e32 v4, 23, v3
	v_cvt_i32_f32_e32 v4, v4
	v_cmp_ne_u32_e32 vcc, 0, v3
	v_cndmask_b32_e32 v3, 0, v4, vcc
	s_branch .LBB30_2522
.LBB30_2521:
	s_mov_b64 s[0:1], -1
                                        ; implicit-def: $vgpr3
.LBB30_2522:
	s_mov_b64 s[24:25], 0
.LBB30_2523:
	s_and_b64 vcc, exec, s[24:25]
	s_cbranch_vccz .LBB30_2527
; %bb.2524:
	s_cmp_eq_u32 s13, 29
	s_cbranch_scc0 .LBB30_2526
; %bb.2525:
	global_load_dwordx2 v[3:4], v[1:2], off
	s_mov_b64 s[0:1], 0
	s_mov_b64 s[10:11], -1
	s_branch .LBB30_2527
.LBB30_2526:
	s_mov_b64 s[0:1], -1
                                        ; implicit-def: $vgpr3
.LBB30_2527:
	s_mov_b64 s[24:25], 0
.LBB30_2528:
	s_and_b64 vcc, exec, s[24:25]
	s_cbranch_vccz .LBB30_2544
; %bb.2529:
	s_cmp_lt_i32 s13, 27
	s_cbranch_scc1 .LBB30_2532
; %bb.2530:
	s_cmp_gt_i32 s13, 27
	s_cbranch_scc0 .LBB30_2533
; %bb.2531:
	global_load_dword v3, v[1:2], off
	s_mov_b64 s[10:11], 0
	s_branch .LBB30_2534
.LBB30_2532:
	s_mov_b64 s[10:11], -1
                                        ; implicit-def: $vgpr3
	s_branch .LBB30_2537
.LBB30_2533:
	s_mov_b64 s[10:11], -1
                                        ; implicit-def: $vgpr3
.LBB30_2534:
	s_andn2_b64 vcc, exec, s[10:11]
	s_cbranch_vccnz .LBB30_2536
; %bb.2535:
	global_load_ushort v3, v[1:2], off
.LBB30_2536:
	s_mov_b64 s[10:11], 0
.LBB30_2537:
	s_andn2_b64 vcc, exec, s[10:11]
	s_cbranch_vccnz .LBB30_2543
; %bb.2538:
	global_load_ubyte v4, v[1:2], off
	s_movk_i32 s10, 0x7f
	s_mov_b64 s[24:25], 0
	s_waitcnt vmcnt(0)
	v_cmp_lt_i16_e32 vcc, s10, v4
	s_and_saveexec_b64 s[10:11], vcc
	s_xor_b64 s[10:11], exec, s[10:11]
	s_cbranch_execz .LBB30_2555
; %bb.2539:
	s_movk_i32 s14, 0x80
	v_cmp_ne_u16_e32 vcc, s14, v4
	s_and_b64 s[24:25], vcc, exec
	s_andn2_saveexec_b64 s[10:11], s[10:11]
	s_cbranch_execnz .LBB30_2556
.LBB30_2540:
	s_or_b64 exec, exec, s[10:11]
	v_mov_b32_e32 v3, 0
	s_and_saveexec_b64 s[10:11], s[24:25]
	s_cbranch_execz .LBB30_2542
.LBB30_2541:
	v_lshlrev_b32_e32 v3, 24, v4
	v_and_b32_e32 v4, 0xffff, v4
	v_and_b32_e32 v6, 7, v4
	v_ffbh_u32_e32 v8, v6
	v_min_u32_e32 v8, 32, v8
	v_subrev_u32_e32 v9, 28, v8
	v_bfe_u32 v7, v4, 3, 4
	v_lshlrev_b32_e32 v4, v9, v4
	v_sub_u32_e32 v8, 29, v8
	v_and_b32_e32 v4, 7, v4
	v_cmp_eq_u32_e32 vcc, 0, v7
	v_cndmask_b32_e32 v7, v7, v8, vcc
	v_cndmask_b32_e32 v4, v6, v4, vcc
	v_mov_b32_e32 v6, 0x3b800000
	v_lshlrev_b32_e32 v4, 20, v4
	v_and_b32_e32 v3, 0x80000000, v3
	v_lshl_add_u32 v6, v7, 23, v6
	v_or3_b32 v3, v3, v6, v4
	v_cvt_i32_f32_e32 v3, v3
.LBB30_2542:
	s_or_b64 exec, exec, s[10:11]
.LBB30_2543:
	s_mov_b64 s[10:11], -1
.LBB30_2544:
	s_mov_b64 s[24:25], 0
.LBB30_2545:
	s_and_b64 vcc, exec, s[24:25]
	s_cbranch_vccz .LBB30_2576
; %bb.2546:
	s_cmp_gt_i32 s13, 22
	s_cbranch_scc0 .LBB30_2554
; %bb.2547:
	s_cmp_lt_i32 s13, 24
	s_cbranch_scc1 .LBB30_2557
; %bb.2548:
	s_cmp_gt_i32 s13, 24
	s_cbranch_scc0 .LBB30_2558
; %bb.2549:
	global_load_ubyte v4, v[1:2], off
	s_movk_i32 s2, 0x7f
	s_mov_b64 s[10:11], 0
	s_waitcnt vmcnt(0)
	v_cmp_lt_i16_e32 vcc, s2, v4
	s_and_saveexec_b64 s[2:3], vcc
	s_xor_b64 s[2:3], exec, s[2:3]
	s_cbranch_execz .LBB30_2570
; %bb.2550:
	s_movk_i32 s10, 0x80
	v_cmp_ne_u16_e32 vcc, s10, v4
	s_and_b64 s[10:11], vcc, exec
	s_andn2_saveexec_b64 s[2:3], s[2:3]
	s_cbranch_execnz .LBB30_2571
.LBB30_2551:
	s_or_b64 exec, exec, s[2:3]
	v_mov_b32_e32 v3, 0
	s_and_saveexec_b64 s[2:3], s[10:11]
	s_cbranch_execz .LBB30_2553
.LBB30_2552:
	v_lshlrev_b32_e32 v3, 24, v4
	v_and_b32_e32 v4, 0xffff, v4
	v_and_b32_e32 v6, 3, v4
	v_ffbh_u32_e32 v8, v6
	v_min_u32_e32 v8, 32, v8
	v_subrev_u32_e32 v9, 29, v8
	v_bfe_u32 v7, v4, 2, 5
	v_lshlrev_b32_e32 v4, v9, v4
	v_sub_u32_e32 v8, 30, v8
	v_and_b32_e32 v4, 3, v4
	v_cmp_eq_u32_e32 vcc, 0, v7
	v_cndmask_b32_e32 v7, v7, v8, vcc
	v_cndmask_b32_e32 v4, v6, v4, vcc
	v_mov_b32_e32 v6, 0x37800000
	v_lshlrev_b32_e32 v4, 21, v4
	v_and_b32_e32 v3, 0x80000000, v3
	v_lshl_add_u32 v6, v7, 23, v6
	v_or3_b32 v3, v3, v6, v4
	v_cvt_i32_f32_e32 v3, v3
.LBB30_2553:
	s_or_b64 exec, exec, s[2:3]
	s_mov_b64 s[2:3], 0
	s_branch .LBB30_2559
.LBB30_2554:
	s_mov_b64 s[2:3], -1
                                        ; implicit-def: $vgpr3
	s_branch .LBB30_2565
.LBB30_2555:
	s_andn2_saveexec_b64 s[10:11], s[10:11]
	s_cbranch_execz .LBB30_2540
.LBB30_2556:
	v_cmp_ne_u16_e32 vcc, 0, v4
	s_andn2_b64 s[24:25], s[24:25], exec
	s_and_b64 s[26:27], vcc, exec
	s_or_b64 s[24:25], s[24:25], s[26:27]
	s_or_b64 exec, exec, s[10:11]
	v_mov_b32_e32 v3, 0
	s_and_saveexec_b64 s[10:11], s[24:25]
	s_cbranch_execnz .LBB30_2541
	s_branch .LBB30_2542
.LBB30_2557:
	s_mov_b64 s[2:3], -1
                                        ; implicit-def: $vgpr3
	s_branch .LBB30_2562
.LBB30_2558:
	s_mov_b64 s[2:3], -1
                                        ; implicit-def: $vgpr3
.LBB30_2559:
	s_and_b64 vcc, exec, s[2:3]
	s_cbranch_vccz .LBB30_2561
; %bb.2560:
	global_load_ubyte v3, v[1:2], off
	s_mov_b32 s2, 0x7f800000
	s_waitcnt vmcnt(0)
	v_lshlrev_b32_e32 v3, 24, v3
	v_and_b32_e32 v4, 0x7f000000, v3
	v_ffbh_u32_e32 v6, v4
	v_min_u32_e32 v6, 32, v6
	v_sub_u32_e64 v6, v6, 4 clamp
	v_lshlrev_b32_e32 v8, v6, v4
	v_lshlrev_b32_e32 v6, 23, v6
	v_lshrrev_b32_e32 v8, 4, v8
	v_add_u32_e32 v7, 0x1000000, v4
	v_sub_u32_e32 v6, v8, v6
	v_ashrrev_i32_e32 v7, 8, v7
	v_add_u32_e32 v6, 0x3c000000, v6
	v_and_or_b32 v6, v7, s2, v6
	v_cmp_ne_u32_e32 vcc, 0, v4
	v_cndmask_b32_e32 v4, 0, v6, vcc
	s_brev_b32 s2, 1
	v_and_or_b32 v3, v3, s2, v4
	v_cvt_i32_f32_e32 v3, v3
.LBB30_2561:
	s_mov_b64 s[2:3], 0
.LBB30_2562:
	s_andn2_b64 vcc, exec, s[2:3]
	s_cbranch_vccnz .LBB30_2564
; %bb.2563:
	global_load_ubyte v3, v[1:2], off
	s_movk_i32 s2, 0x7f00
	s_brev_b32 s3, 16
	s_waitcnt vmcnt(0)
	v_lshlrev_b16_e32 v4, 8, v3
	v_lshlrev_b32_e32 v3, 25, v3
	v_lshrrev_b32_e32 v6, 4, v3
	v_and_or_b32 v7, v4, s2, 0.5
	v_or_b32_e32 v6, 0x70000000, v6
	v_add_f32_e32 v7, -0.5, v7
	v_mul_f32_e32 v6, 0x7800000, v6
	v_cmp_gt_u32_e32 vcc, s3, v3
	v_bfe_i32 v4, v4, 0, 16
	v_cndmask_b32_e32 v3, v6, v7, vcc
	s_brev_b32 s2, 1
	v_and_or_b32 v3, v4, s2, v3
	v_cvt_i32_f32_e32 v3, v3
.LBB30_2564:
	s_mov_b64 s[2:3], 0
	s_mov_b64 s[10:11], -1
.LBB30_2565:
	s_andn2_b64 vcc, exec, s[2:3]
	s_mov_b64 s[2:3], 0
	s_cbranch_vccnz .LBB30_2576
; %bb.2566:
	s_cmp_gt_i32 s13, 14
	s_cbranch_scc0 .LBB30_2569
; %bb.2567:
	s_cmp_eq_u32 s13, 15
	s_cbranch_scc0 .LBB30_2572
; %bb.2568:
	global_load_ushort v3, v[1:2], off
	s_mov_b64 s[0:1], 0
	s_mov_b64 s[10:11], -1
	s_waitcnt vmcnt(0)
	v_lshlrev_b32_e32 v3, 16, v3
	v_cvt_i32_f32_e32 v3, v3
	s_branch .LBB30_2573
.LBB30_2569:
	s_mov_b64 s[24:25], -1
                                        ; implicit-def: $vgpr3
	s_branch .LBB30_2574
.LBB30_2570:
	s_andn2_saveexec_b64 s[2:3], s[2:3]
	s_cbranch_execz .LBB30_2551
.LBB30_2571:
	v_cmp_ne_u16_e32 vcc, 0, v4
	s_andn2_b64 s[10:11], s[10:11], exec
	s_and_b64 s[24:25], vcc, exec
	s_or_b64 s[10:11], s[10:11], s[24:25]
	s_or_b64 exec, exec, s[2:3]
	v_mov_b32_e32 v3, 0
	s_and_saveexec_b64 s[2:3], s[10:11]
	s_cbranch_execnz .LBB30_2552
	s_branch .LBB30_2553
.LBB30_2572:
	s_mov_b64 s[0:1], -1
                                        ; implicit-def: $vgpr3
.LBB30_2573:
	s_mov_b64 s[24:25], 0
.LBB30_2574:
	s_and_b64 vcc, exec, s[24:25]
	s_cbranch_vccz .LBB30_2576
; %bb.2575:
	s_cmp_lg_u32 s13, 11
	s_mov_b64 s[2:3], -1
	s_cselect_b64 s[0:1], -1, 0
.LBB30_2576:
	s_and_b64 vcc, exec, s[0:1]
	s_cbranch_vccnz .LBB30_3128
; %bb.2577:
	s_andn2_b64 vcc, exec, s[2:3]
	s_cbranch_vccnz .LBB30_2579
.LBB30_2578:
	global_load_ubyte v3, v[1:2], off
	s_mov_b64 s[10:11], -1
	s_waitcnt vmcnt(0)
	v_cmp_ne_u16_e32 vcc, 0, v3
	v_cndmask_b32_e64 v3, 0, 1, vcc
.LBB30_2579:
	s_mov_b64 s[0:1], 0
.LBB30_2580:
	s_and_b64 vcc, exec, s[0:1]
	s_cbranch_vccz .LBB30_2629
; %bb.2581:
	s_and_b32 s2, 0xffff, s29
	s_cmp_lt_i32 s2, 5
	s_cbranch_scc1 .LBB30_2586
; %bb.2582:
	s_cmp_lt_i32 s2, 8
	s_cbranch_scc1 .LBB30_2587
; %bb.2583:
	;; [unrolled: 3-line block ×3, first 2 shown]
	s_cmp_gt_i32 s2, 9
	s_cbranch_scc0 .LBB30_2589
; %bb.2585:
	global_load_dwordx2 v[3:4], v[1:2], off
	s_mov_b64 s[0:1], 0
	s_waitcnt vmcnt(0)
	v_cvt_i32_f64_e32 v3, v[3:4]
	s_branch .LBB30_2590
.LBB30_2586:
	s_mov_b64 s[0:1], -1
                                        ; implicit-def: $vgpr3
	s_branch .LBB30_2608
.LBB30_2587:
	s_mov_b64 s[0:1], -1
                                        ; implicit-def: $vgpr3
	s_branch .LBB30_2596
.LBB30_2588:
	s_mov_b64 s[0:1], -1
                                        ; implicit-def: $vgpr3
	s_branch .LBB30_2593
.LBB30_2589:
	s_mov_b64 s[0:1], -1
                                        ; implicit-def: $vgpr3
.LBB30_2590:
	s_andn2_b64 vcc, exec, s[0:1]
	s_cbranch_vccnz .LBB30_2592
; %bb.2591:
	global_load_dword v3, v[1:2], off
	s_waitcnt vmcnt(0)
	v_cvt_i32_f32_e32 v3, v3
.LBB30_2592:
	s_mov_b64 s[0:1], 0
.LBB30_2593:
	s_andn2_b64 vcc, exec, s[0:1]
	s_cbranch_vccnz .LBB30_2595
; %bb.2594:
	global_load_dword v3, v[1:2], off
	s_waitcnt vmcnt(0)
	v_cvt_i16_f16_e32 v3, v3
.LBB30_2595:
	s_mov_b64 s[0:1], 0
.LBB30_2596:
	s_andn2_b64 vcc, exec, s[0:1]
	s_cbranch_vccnz .LBB30_2607
; %bb.2597:
	s_cmp_lt_i32 s2, 6
	s_cbranch_scc1 .LBB30_2600
; %bb.2598:
	s_cmp_gt_i32 s2, 6
	s_cbranch_scc0 .LBB30_2601
; %bb.2599:
	global_load_dwordx2 v[3:4], v[1:2], off
	s_mov_b64 s[0:1], 0
	s_waitcnt vmcnt(0)
	v_cvt_i32_f64_e32 v3, v[3:4]
	s_branch .LBB30_2602
.LBB30_2600:
	s_mov_b64 s[0:1], -1
                                        ; implicit-def: $vgpr3
	s_branch .LBB30_2605
.LBB30_2601:
	s_mov_b64 s[0:1], -1
                                        ; implicit-def: $vgpr3
.LBB30_2602:
	s_andn2_b64 vcc, exec, s[0:1]
	s_cbranch_vccnz .LBB30_2604
; %bb.2603:
	global_load_dword v3, v[1:2], off
	s_waitcnt vmcnt(0)
	v_cvt_i32_f32_e32 v3, v3
.LBB30_2604:
	s_mov_b64 s[0:1], 0
.LBB30_2605:
	s_andn2_b64 vcc, exec, s[0:1]
	s_cbranch_vccnz .LBB30_2607
; %bb.2606:
	global_load_ushort v3, v[1:2], off
	s_waitcnt vmcnt(0)
	v_cvt_i16_f16_e32 v3, v3
.LBB30_2607:
	s_mov_b64 s[0:1], 0
.LBB30_2608:
	s_andn2_b64 vcc, exec, s[0:1]
	s_cbranch_vccnz .LBB30_2628
; %bb.2609:
	s_cmp_lt_i32 s2, 2
	s_cbranch_scc1 .LBB30_2613
; %bb.2610:
	s_cmp_lt_i32 s2, 3
	s_cbranch_scc1 .LBB30_2614
; %bb.2611:
	s_cmp_gt_i32 s2, 3
	s_cbranch_scc0 .LBB30_2615
; %bb.2612:
	global_load_dwordx2 v[3:4], v[1:2], off
	s_mov_b64 s[0:1], 0
	s_branch .LBB30_2616
.LBB30_2613:
	s_mov_b64 s[0:1], -1
                                        ; implicit-def: $vgpr3
	s_branch .LBB30_2622
.LBB30_2614:
	s_mov_b64 s[0:1], -1
                                        ; implicit-def: $vgpr3
	s_branch .LBB30_2619
.LBB30_2615:
	s_mov_b64 s[0:1], -1
                                        ; implicit-def: $vgpr3
.LBB30_2616:
	s_andn2_b64 vcc, exec, s[0:1]
	s_cbranch_vccnz .LBB30_2618
; %bb.2617:
	global_load_dword v3, v[1:2], off
.LBB30_2618:
	s_mov_b64 s[0:1], 0
.LBB30_2619:
	s_andn2_b64 vcc, exec, s[0:1]
	s_cbranch_vccnz .LBB30_2621
; %bb.2620:
	global_load_ushort v3, v[1:2], off
.LBB30_2621:
	s_mov_b64 s[0:1], 0
.LBB30_2622:
	s_andn2_b64 vcc, exec, s[0:1]
	s_cbranch_vccnz .LBB30_2628
; %bb.2623:
	s_cmp_gt_i32 s2, 0
	s_cbranch_scc0 .LBB30_2625
; %bb.2624:
	global_load_ubyte v3, v[1:2], off
	s_mov_b64 s[0:1], 0
	s_branch .LBB30_2626
.LBB30_2625:
	s_mov_b64 s[0:1], -1
                                        ; implicit-def: $vgpr3
.LBB30_2626:
	s_andn2_b64 vcc, exec, s[0:1]
	s_cbranch_vccnz .LBB30_2628
; %bb.2627:
	global_load_ubyte v3, v[1:2], off
.LBB30_2628:
	s_mov_b64 s[10:11], -1
.LBB30_2629:
	s_andn2_b64 vcc, exec, s[10:11]
	s_cbranch_vccnz .LBB30_2634
; %bb.2630:
	s_cmp_lt_i32 s15, 1
	s_mov_b64 s[0:1], 0
	s_cbranch_scc1 .LBB30_2680
; %bb.2631:
	s_cmp_gt_i32 s15, 1
	s_cbranch_scc0 .LBB30_2681
; %bb.2632:
	s_cmp_eq_u32 s15, 2
	s_cbranch_scc0 .LBB30_2682
; %bb.2633:
	s_waitcnt vmcnt(0)
	v_cmp_le_i16_sdwa s[24:25], sext(v0), sext(v3) src0_sel:BYTE_0 src1_sel:BYTE_0
	s_mov_b64 s[2:3], 0
	s_branch .LBB30_2683
.LBB30_2634:
	s_mov_b64 s[0:1], 0
                                        ; implicit-def: $sgpr24_sgpr25
.LBB30_2635:
	s_mov_b64 s[2:3], 0
                                        ; implicit-def: $sgpr28
                                        ; implicit-def: $vgpr0_vgpr1
.LBB30_2636:
	s_and_b64 s[4:5], s[2:3], exec
	s_andn2_b64 s[2:3], s[16:17], exec
	s_and_b64 s[8:9], s[18:19], exec
	s_and_b64 s[0:1], s[0:1], exec
	s_or_b64 s[16:17], s[2:3], s[8:9]
.LBB30_2637:
	s_or_b64 exec, exec, s[6:7]
	s_and_saveexec_b64 s[2:3], s[16:17]
	s_cbranch_execz .LBB30_2640
; %bb.2638:
	; divergent unreachable
	s_or_b64 exec, exec, s[2:3]
	s_and_saveexec_b64 s[2:3], s[4:5]
	s_xor_b64 s[2:3], exec, s[2:3]
	s_cbranch_execnz .LBB30_2641
.LBB30_2639:
	s_or_b64 exec, exec, s[2:3]
	s_and_saveexec_b64 s[2:3], s[0:1]
	s_cbranch_execnz .LBB30_2642
	s_branch .LBB30_2679
.LBB30_2640:
	s_or_b64 exec, exec, s[2:3]
	s_and_saveexec_b64 s[2:3], s[4:5]
	s_xor_b64 s[2:3], exec, s[2:3]
	s_cbranch_execz .LBB30_2639
.LBB30_2641:
	v_cndmask_b32_e64 v2, 0, 1, s[24:25]
	s_waitcnt vmcnt(0)
	global_store_byte v[0:1], v2, off
	s_or_b64 exec, exec, s[2:3]
	s_and_saveexec_b64 s[2:3], s[0:1]
	s_cbranch_execz .LBB30_2679
.LBB30_2642:
	s_sext_i32_i16 s2, s28
	s_cmp_lt_i32 s2, 5
	s_mov_b64 s[0:1], -1
	s_cbranch_scc1 .LBB30_2663
; %bb.2643:
	s_cmp_lt_i32 s2, 8
	s_cbranch_scc1 .LBB30_2653
; %bb.2644:
	s_cmp_lt_i32 s2, 9
	s_cbranch_scc1 .LBB30_2650
; %bb.2645:
	s_cmp_gt_i32 s2, 9
	s_cbranch_scc0 .LBB30_2647
; %bb.2646:
	v_cndmask_b32_e64 v2, 0, 1, s[24:25]
	s_waitcnt vmcnt(0)
	v_cvt_f64_u32_e32 v[2:3], v2
	v_mov_b32_e32 v4, 0
	v_mov_b32_e32 v5, v4
	s_mov_b64 s[0:1], 0
	global_store_dwordx4 v[0:1], v[2:5], off
.LBB30_2647:
	s_andn2_b64 vcc, exec, s[0:1]
	s_cbranch_vccnz .LBB30_2649
; %bb.2648:
	v_cndmask_b32_e64 v2, 0, 1.0, s[24:25]
	s_waitcnt vmcnt(0)
	v_mov_b32_e32 v3, 0
	global_store_dwordx2 v[0:1], v[2:3], off
.LBB30_2649:
	s_mov_b64 s[0:1], 0
.LBB30_2650:
	s_andn2_b64 vcc, exec, s[0:1]
	s_cbranch_vccnz .LBB30_2652
; %bb.2651:
	v_cndmask_b32_e64 v2, 0, 1.0, s[24:25]
	v_cvt_f16_f32_e32 v2, v2
	s_waitcnt vmcnt(0)
	global_store_dword v[0:1], v2, off
.LBB30_2652:
	s_mov_b64 s[0:1], 0
.LBB30_2653:
	s_andn2_b64 vcc, exec, s[0:1]
	s_cbranch_vccnz .LBB30_2662
; %bb.2654:
	s_sext_i32_i16 s2, s28
	s_cmp_lt_i32 s2, 6
	s_mov_b64 s[0:1], -1
	s_cbranch_scc1 .LBB30_2660
; %bb.2655:
	s_cmp_gt_i32 s2, 6
	s_cbranch_scc0 .LBB30_2657
; %bb.2656:
	v_cndmask_b32_e64 v2, 0, 1, s[24:25]
	s_waitcnt vmcnt(0)
	v_cvt_f64_u32_e32 v[2:3], v2
	s_mov_b64 s[0:1], 0
	global_store_dwordx2 v[0:1], v[2:3], off
.LBB30_2657:
	s_andn2_b64 vcc, exec, s[0:1]
	s_cbranch_vccnz .LBB30_2659
; %bb.2658:
	v_cndmask_b32_e64 v2, 0, 1.0, s[24:25]
	s_waitcnt vmcnt(0)
	global_store_dword v[0:1], v2, off
.LBB30_2659:
	s_mov_b64 s[0:1], 0
.LBB30_2660:
	s_andn2_b64 vcc, exec, s[0:1]
	s_cbranch_vccnz .LBB30_2662
; %bb.2661:
	v_cndmask_b32_e64 v2, 0, 1.0, s[24:25]
	v_cvt_f16_f32_e32 v2, v2
	s_waitcnt vmcnt(0)
	global_store_short v[0:1], v2, off
.LBB30_2662:
	s_mov_b64 s[0:1], 0
.LBB30_2663:
	s_andn2_b64 vcc, exec, s[0:1]
	s_cbranch_vccnz .LBB30_2679
; %bb.2664:
	s_sext_i32_i16 s2, s28
	s_cmp_lt_i32 s2, 2
	s_mov_b64 s[0:1], -1
	s_cbranch_scc1 .LBB30_2674
; %bb.2665:
	s_cmp_lt_i32 s2, 3
	s_cbranch_scc1 .LBB30_2671
; %bb.2666:
	s_cmp_gt_i32 s2, 3
	s_cbranch_scc0 .LBB30_2668
; %bb.2667:
	s_mov_b32 s0, 0
	v_cndmask_b32_e64 v2, 0, 1, s[24:25]
	s_waitcnt vmcnt(0)
	v_mov_b32_e32 v3, s0
	global_store_dwordx2 v[0:1], v[2:3], off
	s_mov_b64 s[0:1], 0
.LBB30_2668:
	s_andn2_b64 vcc, exec, s[0:1]
	s_cbranch_vccnz .LBB30_2670
; %bb.2669:
	v_cndmask_b32_e64 v2, 0, 1, s[24:25]
	s_waitcnt vmcnt(0)
	global_store_dword v[0:1], v2, off
.LBB30_2670:
	s_mov_b64 s[0:1], 0
.LBB30_2671:
	s_andn2_b64 vcc, exec, s[0:1]
	s_cbranch_vccnz .LBB30_2673
; %bb.2672:
	v_cndmask_b32_e64 v2, 0, 1, s[24:25]
	s_waitcnt vmcnt(0)
	global_store_short v[0:1], v2, off
.LBB30_2673:
	s_mov_b64 s[0:1], 0
.LBB30_2674:
	s_andn2_b64 vcc, exec, s[0:1]
	s_cbranch_vccnz .LBB30_2679
; %bb.2675:
	s_sext_i32_i16 s2, s28
	s_mov_b64 s[0:1], -1
	s_cmp_gt_i32 s2, 0
	v_cndmask_b32_e64 v2, 0, 1, s[24:25]
	s_cbranch_scc0 .LBB30_2677
; %bb.2676:
	s_waitcnt vmcnt(0)
	global_store_byte v[0:1], v2, off
	s_mov_b64 s[0:1], 0
.LBB30_2677:
	s_andn2_b64 vcc, exec, s[0:1]
	s_cbranch_vccnz .LBB30_2679
; %bb.2678:
	s_waitcnt vmcnt(0)
	global_store_byte v[0:1], v2, off
	s_endpgm
.LBB30_2679:
	s_endpgm
.LBB30_2680:
	s_mov_b64 s[10:11], -1
                                        ; implicit-def: $sgpr24_sgpr25
	s_mov_b64 s[2:3], 0
	s_branch .LBB30_2687
.LBB30_2681:
	s_mov_b64 s[10:11], -1
	s_mov_b64 s[2:3], 0
                                        ; implicit-def: $sgpr24_sgpr25
	s_branch .LBB30_2684
.LBB30_2682:
	s_mov_b64 s[2:3], -1
                                        ; implicit-def: $sgpr24_sgpr25
.LBB30_2683:
	s_mov_b64 s[10:11], 0
.LBB30_2684:
	s_and_b64 vcc, exec, s[10:11]
	s_cbranch_vccz .LBB30_2686
; %bb.2685:
	s_waitcnt vmcnt(0)
	v_cmp_gt_i16_sdwa s[10:11], sext(v0), sext(v3) src0_sel:BYTE_0 src1_sel:BYTE_0
	s_andn2_b64 s[24:25], s[24:25], exec
	s_and_b64 s[10:11], s[10:11], exec
	s_or_b64 s[24:25], s[24:25], s[10:11]
.LBB30_2686:
	s_mov_b64 s[10:11], 0
.LBB30_2687:
	s_and_b64 vcc, exec, s[10:11]
	s_cbranch_vccz .LBB30_2769
; %bb.2688:
	s_cmp_lg_u32 s15, 0
	s_mov_b64 s[0:1], -1
	s_cselect_b64 s[2:3], -1, 0
	s_andn2_b64 vcc, exec, s[2:3]
	s_cbranch_vccz .LBB30_2770
.LBB30_2689:
	s_andn2_b64 vcc, exec, s[0:1]
	s_cbranch_vccnz .LBB30_2691
.LBB30_2690:
	s_waitcnt vmcnt(0)
	v_cmp_ge_i16_sdwa s[0:1], sext(v0), sext(v3) src0_sel:BYTE_0 src1_sel:BYTE_0
	s_andn2_b64 s[2:3], s[24:25], exec
	s_and_b64 s[0:1], s[0:1], exec
	s_or_b64 s[24:25], s[2:3], s[0:1]
.LBB30_2691:
	v_mul_lo_u32 v2, s12, v5
	v_mov_b32_e32 v1, s9
	s_and_b32 s28, s33, 0xff
	s_cmp_lt_i32 s28, 11
	s_waitcnt vmcnt(0)
	v_ashrrev_i32_e32 v3, 31, v2
	v_add_co_u32_e32 v0, vcc, s8, v2
	v_addc_co_u32_e32 v1, vcc, v1, v3, vcc
	s_cbranch_scc1 .LBB30_2771
; %bb.2692:
	s_and_b32 s13, 0xffff, s28
	s_mov_b64 s[14:15], -1
	s_mov_b64 s[2:3], 0
	s_cmp_gt_i32 s13, 25
	s_mov_b64 s[10:11], 0
	s_mov_b64 s[0:1], 0
	s_cbranch_scc0 .LBB30_2725
; %bb.2693:
	s_cmp_gt_i32 s13, 28
	s_cbranch_scc0 .LBB30_2708
; %bb.2694:
	s_cmp_gt_i32 s13, 43
	;; [unrolled: 3-line block ×3, first 2 shown]
	s_cbranch_scc0 .LBB30_2698
; %bb.2696:
	s_mov_b64 s[0:1], -1
	s_mov_b64 s[14:15], 0
	s_cmp_eq_u32 s13, 46
	s_cbranch_scc0 .LBB30_2698
; %bb.2697:
	v_cndmask_b32_e64 v3, 0, 1.0, s[4:5]
	v_bfe_u32 v4, v3, 16, 1
	s_movk_i32 s0, 0x7fff
	v_add3_u32 v3, v3, v4, s0
	v_lshrrev_b32_e32 v3, 16, v3
	global_store_dword v[0:1], v3, off
	s_mov_b64 s[0:1], 0
	s_mov_b64 s[10:11], -1
.LBB30_2698:
	s_and_b64 vcc, exec, s[14:15]
	s_cbranch_vccz .LBB30_2703
; %bb.2699:
	s_cmp_eq_u32 s13, 44
	s_mov_b64 s[0:1], -1
	s_cbranch_scc0 .LBB30_2703
; %bb.2700:
	v_cndmask_b32_e64 v4, 0, 1.0, s[4:5]
	v_lshrrev_b32_e32 v3, 23, v4
	s_movk_i32 s0, 0xff
	v_cmp_ne_u32_e32 vcc, s0, v3
	v_mov_b32_e32 v5, 0xff
	s_and_saveexec_b64 s[10:11], vcc
; %bb.2701:
	s_mov_b32 s0, 0x3fffff
	v_and_b32_e32 v5, 0x400000, v4
	v_and_or_b32 v4, v4, s0, v3
	v_cmp_ne_u32_e32 vcc, 0, v5
	v_cmp_ne_u32_e64 s[0:1], 0, v4
	s_and_b64 s[0:1], vcc, s[0:1]
	v_cndmask_b32_e64 v4, 0, 1, s[0:1]
	v_add_u32_e32 v5, v3, v4
; %bb.2702:
	s_or_b64 exec, exec, s[10:11]
	s_mov_b64 s[0:1], 0
	s_mov_b64 s[10:11], -1
	global_store_byte v[0:1], v5, off
.LBB30_2703:
	s_mov_b64 s[14:15], 0
.LBB30_2704:
	s_and_b64 vcc, exec, s[14:15]
	s_cbranch_vccz .LBB30_2707
; %bb.2705:
	s_cmp_eq_u32 s13, 29
	s_mov_b64 s[0:1], -1
	s_cbranch_scc0 .LBB30_2707
; %bb.2706:
	s_mov_b32 s0, 0
	v_cndmask_b32_e64 v3, 0, 1, s[4:5]
	v_mov_b32_e32 v4, s0
	global_store_dwordx2 v[0:1], v[3:4], off
	s_mov_b64 s[0:1], 0
	s_mov_b64 s[10:11], -1
.LBB30_2707:
	s_mov_b64 s[14:15], 0
.LBB30_2708:
	s_and_b64 vcc, exec, s[14:15]
	s_cbranch_vccz .LBB30_2724
; %bb.2709:
	s_cmp_lt_i32 s13, 27
	s_mov_b64 s[10:11], -1
	s_cbranch_scc1 .LBB30_2715
; %bb.2710:
	s_cmp_gt_i32 s13, 27
	s_cbranch_scc0 .LBB30_2712
; %bb.2711:
	v_cndmask_b32_e64 v3, 0, 1, s[4:5]
	s_mov_b64 s[10:11], 0
	global_store_dword v[0:1], v3, off
.LBB30_2712:
	s_andn2_b64 vcc, exec, s[10:11]
	s_cbranch_vccnz .LBB30_2714
; %bb.2713:
	v_cndmask_b32_e64 v3, 0, 1, s[4:5]
	global_store_short v[0:1], v3, off
.LBB30_2714:
	s_mov_b64 s[10:11], 0
.LBB30_2715:
	s_andn2_b64 vcc, exec, s[10:11]
	s_cbranch_vccnz .LBB30_2723
; %bb.2716:
	v_cndmask_b32_e64 v4, 0, 1.0, s[4:5]
	s_mov_b32 s10, 0x43800000
	v_cmp_gt_u32_e32 vcc, s10, v4
	v_mov_b32_e32 v5, 0x80
	s_and_saveexec_b64 s[10:11], vcc
	s_cbranch_execz .LBB30_2722
; %bb.2717:
	s_mov_b32 s14, 0x3bffffff
	v_cmp_lt_u32_e32 vcc, s14, v4
	s_mov_b64 s[14:15], 0
                                        ; implicit-def: $vgpr3
	s_and_saveexec_b64 s[26:27], vcc
	s_xor_b64 s[26:27], exec, s[26:27]
	s_cbranch_execz .LBB30_3129
; %bb.2718:
	v_bfe_u32 v3, v4, 20, 1
	s_mov_b32 s29, 0x487ffff
	v_add3_u32 v3, v4, v3, s29
	s_mov_b64 s[14:15], exec
	v_lshrrev_b32_e32 v3, 20, v3
                                        ; implicit-def: $vgpr4
	s_andn2_saveexec_b64 s[26:27], s[26:27]
	s_cbranch_execnz .LBB30_3130
.LBB30_2719:
	s_or_b64 exec, exec, s[26:27]
	v_mov_b32_e32 v5, 0
	s_and_saveexec_b64 s[26:27], s[14:15]
.LBB30_2720:
	v_mov_b32_e32 v5, v3
.LBB30_2721:
	s_or_b64 exec, exec, s[26:27]
.LBB30_2722:
	s_or_b64 exec, exec, s[10:11]
	global_store_byte v[0:1], v5, off
.LBB30_2723:
	s_mov_b64 s[10:11], -1
.LBB30_2724:
	s_mov_b64 s[14:15], 0
.LBB30_2725:
	s_and_b64 vcc, exec, s[14:15]
	s_cbranch_vccz .LBB30_2765
; %bb.2726:
	s_cmp_gt_i32 s13, 22
	s_mov_b64 s[2:3], -1
	s_cbranch_scc0 .LBB30_2758
; %bb.2727:
	s_cmp_lt_i32 s13, 24
	s_cbranch_scc1 .LBB30_2747
; %bb.2728:
	s_cmp_gt_i32 s13, 24
	s_cbranch_scc0 .LBB30_2736
; %bb.2729:
	v_cndmask_b32_e64 v4, 0, 1.0, s[4:5]
	s_mov_b32 s2, 0x47800000
	v_cmp_gt_u32_e32 vcc, s2, v4
	v_mov_b32_e32 v5, 0x80
	s_and_saveexec_b64 s[2:3], vcc
	s_cbranch_execz .LBB30_2735
; %bb.2730:
	s_mov_b32 s10, 0x37ffffff
	v_cmp_lt_u32_e32 vcc, s10, v4
	s_mov_b64 s[10:11], 0
                                        ; implicit-def: $vgpr3
	s_and_saveexec_b64 s[14:15], vcc
	s_xor_b64 s[14:15], exec, s[14:15]
	s_cbranch_execz .LBB30_3132
; %bb.2731:
	v_bfe_u32 v3, v4, 21, 1
	s_mov_b32 s26, 0x88fffff
	v_add3_u32 v3, v4, v3, s26
	s_mov_b64 s[10:11], exec
	v_lshrrev_b32_e32 v3, 21, v3
                                        ; implicit-def: $vgpr4
	s_andn2_saveexec_b64 s[14:15], s[14:15]
	s_cbranch_execnz .LBB30_3133
.LBB30_2732:
	s_or_b64 exec, exec, s[14:15]
	v_mov_b32_e32 v5, 0
	s_and_saveexec_b64 s[14:15], s[10:11]
.LBB30_2733:
	v_mov_b32_e32 v5, v3
.LBB30_2734:
	s_or_b64 exec, exec, s[14:15]
.LBB30_2735:
	s_or_b64 exec, exec, s[2:3]
	s_mov_b64 s[2:3], 0
	global_store_byte v[0:1], v5, off
.LBB30_2736:
	s_and_b64 vcc, exec, s[2:3]
	s_cbranch_vccz .LBB30_2746
; %bb.2737:
	v_cndmask_b32_e64 v3, 0, 1.0, s[4:5]
	s_mov_b32 s2, 0x43f00000
	v_cmp_gt_u32_e32 vcc, s2, v3
                                        ; implicit-def: $vgpr4
	s_and_saveexec_b64 s[2:3], vcc
	s_xor_b64 s[2:3], exec, s[2:3]
	s_cbranch_execz .LBB30_2743
; %bb.2738:
	s_mov_b32 s10, 0x3c7fffff
	v_cmp_lt_u32_e32 vcc, s10, v3
                                        ; implicit-def: $vgpr4
	s_and_saveexec_b64 s[10:11], vcc
	s_xor_b64 s[10:11], exec, s[10:11]
; %bb.2739:
	v_bfe_u32 v4, v3, 20, 1
	s_mov_b32 s14, 0x407ffff
	v_add3_u32 v3, v3, v4, s14
	v_lshrrev_b32_e32 v4, 20, v3
	v_and_b32_e32 v3, 0xff00000, v3
	s_mov_b32 s14, 0x7f00000
	v_mov_b32_e32 v5, 0x7e
	v_cmp_ne_u32_e32 vcc, s14, v3
	v_cndmask_b32_e32 v4, v5, v4, vcc
                                        ; implicit-def: $vgpr3
; %bb.2740:
	s_andn2_saveexec_b64 s[10:11], s[10:11]
; %bb.2741:
	v_add_f32_e32 v4, 0x46800000, v3
; %bb.2742:
	s_or_b64 exec, exec, s[10:11]
                                        ; implicit-def: $vgpr3
.LBB30_2743:
	s_andn2_saveexec_b64 s[2:3], s[2:3]
; %bb.2744:
	s_mov_b32 s10, 0x7f800000
	v_mov_b32_e32 v4, 0x7e
	v_mov_b32_e32 v5, 0x7f
	v_cmp_lt_u32_e32 vcc, s10, v3
	v_cndmask_b32_e32 v4, v4, v5, vcc
; %bb.2745:
	s_or_b64 exec, exec, s[2:3]
	global_store_byte v[0:1], v4, off
.LBB30_2746:
	s_mov_b64 s[2:3], 0
.LBB30_2747:
	s_andn2_b64 vcc, exec, s[2:3]
	s_cbranch_vccnz .LBB30_2757
; %bb.2748:
	v_cndmask_b32_e64 v3, 0, 1.0, s[4:5]
	s_mov_b32 s2, 0x47800000
	v_cmp_gt_u32_e32 vcc, s2, v3
                                        ; implicit-def: $vgpr4
	s_and_saveexec_b64 s[2:3], vcc
	s_xor_b64 s[2:3], exec, s[2:3]
	s_cbranch_execz .LBB30_2754
; %bb.2749:
	s_mov_b32 s10, 0x387fffff
	v_cmp_lt_u32_e32 vcc, s10, v3
                                        ; implicit-def: $vgpr4
	s_and_saveexec_b64 s[10:11], vcc
	s_xor_b64 s[10:11], exec, s[10:11]
; %bb.2750:
	v_bfe_u32 v4, v3, 21, 1
	s_mov_b32 s14, 0x80fffff
	v_add3_u32 v3, v3, v4, s14
	v_lshrrev_b32_e32 v4, 21, v3
                                        ; implicit-def: $vgpr3
; %bb.2751:
	s_andn2_saveexec_b64 s[10:11], s[10:11]
; %bb.2752:
	v_add_f32_e32 v4, 0x43000000, v3
; %bb.2753:
	s_or_b64 exec, exec, s[10:11]
                                        ; implicit-def: $vgpr3
.LBB30_2754:
	s_andn2_saveexec_b64 s[2:3], s[2:3]
; %bb.2755:
	s_mov_b32 s10, 0x7f800000
	v_mov_b32_e32 v4, 0x7c
	v_mov_b32_e32 v5, 0x7f
	v_cmp_lt_u32_e32 vcc, s10, v3
	v_cndmask_b32_e32 v4, v4, v5, vcc
; %bb.2756:
	s_or_b64 exec, exec, s[2:3]
	global_store_byte v[0:1], v4, off
.LBB30_2757:
	s_mov_b64 s[2:3], 0
	s_mov_b64 s[10:11], -1
.LBB30_2758:
	s_andn2_b64 vcc, exec, s[2:3]
	s_mov_b64 s[2:3], 0
	s_cbranch_vccnz .LBB30_2765
; %bb.2759:
	s_cmp_gt_i32 s13, 14
	s_mov_b64 s[14:15], -1
	s_cbranch_scc0 .LBB30_2763
; %bb.2760:
	s_cmp_eq_u32 s13, 15
	s_mov_b64 s[0:1], -1
	s_cbranch_scc0 .LBB30_2762
; %bb.2761:
	v_cndmask_b32_e64 v3, 0, 1.0, s[4:5]
	v_bfe_u32 v4, v3, 16, 1
	s_movk_i32 s0, 0x7fff
	v_add3_u32 v3, v3, v4, s0
	global_store_short_d16_hi v[0:1], v3, off
	s_mov_b64 s[0:1], 0
	s_mov_b64 s[10:11], -1
.LBB30_2762:
	s_mov_b64 s[14:15], 0
.LBB30_2763:
	s_and_b64 vcc, exec, s[14:15]
	s_cbranch_vccz .LBB30_2765
; %bb.2764:
	s_cmp_lg_u32 s13, 11
	s_mov_b64 s[2:3], -1
	s_cselect_b64 s[0:1], -1, 0
.LBB30_2765:
	s_and_b64 vcc, exec, s[0:1]
	s_cbranch_vccnz .LBB30_3131
; %bb.2766:
	s_andn2_b64 vcc, exec, s[2:3]
	s_cbranch_vccnz .LBB30_2768
.LBB30_2767:
	v_cndmask_b32_e64 v3, 0, 1, s[4:5]
	s_mov_b64 s[10:11], -1
	global_store_byte v[0:1], v3, off
.LBB30_2768:
	s_mov_b64 s[0:1], 0
	s_branch .LBB30_2772
.LBB30_2769:
	s_andn2_b64 vcc, exec, s[2:3]
	s_cbranch_vccnz .LBB30_2689
.LBB30_2770:
	s_waitcnt vmcnt(0)
	v_cmp_lt_i16_sdwa s[2:3], sext(v0), sext(v3) src0_sel:BYTE_0 src1_sel:BYTE_0
	s_andn2_b64 s[10:11], s[24:25], exec
	s_and_b64 s[2:3], s[2:3], exec
	s_or_b64 s[24:25], s[10:11], s[2:3]
	s_cbranch_execz .LBB30_2690
	s_branch .LBB30_2691
.LBB30_2771:
	s_mov_b64 s[0:1], -1
	s_mov_b64 s[10:11], 0
.LBB30_2772:
	s_and_b64 vcc, exec, s[0:1]
	s_cbranch_vccz .LBB30_2811
; %bb.2773:
	s_and_b32 s2, 0xffff, s28
	s_cmp_lt_i32 s2, 5
	s_mov_b64 s[0:1], -1
	s_cbranch_scc1 .LBB30_2794
; %bb.2774:
	s_cmp_lt_i32 s2, 8
	s_cbranch_scc1 .LBB30_2784
; %bb.2775:
	s_cmp_lt_i32 s2, 9
	s_cbranch_scc1 .LBB30_2781
; %bb.2776:
	s_cmp_gt_i32 s2, 9
	s_cbranch_scc0 .LBB30_2778
; %bb.2777:
	v_cndmask_b32_e64 v3, 0, 1, s[4:5]
	v_cvt_f64_u32_e32 v[3:4], v3
	v_mov_b32_e32 v5, 0
	v_mov_b32_e32 v6, v5
	s_mov_b64 s[0:1], 0
	global_store_dwordx4 v[0:1], v[3:6], off
.LBB30_2778:
	s_andn2_b64 vcc, exec, s[0:1]
	s_cbranch_vccnz .LBB30_2780
; %bb.2779:
	v_cndmask_b32_e64 v3, 0, 1.0, s[4:5]
	v_mov_b32_e32 v4, 0
	global_store_dwordx2 v[0:1], v[3:4], off
.LBB30_2780:
	s_mov_b64 s[0:1], 0
.LBB30_2781:
	s_andn2_b64 vcc, exec, s[0:1]
	s_cbranch_vccnz .LBB30_2783
; %bb.2782:
	v_cndmask_b32_e64 v3, 0, 1.0, s[4:5]
	v_cvt_f16_f32_e32 v3, v3
	global_store_dword v[0:1], v3, off
.LBB30_2783:
	s_mov_b64 s[0:1], 0
.LBB30_2784:
	s_andn2_b64 vcc, exec, s[0:1]
	s_cbranch_vccnz .LBB30_2793
; %bb.2785:
	s_cmp_lt_i32 s2, 6
	s_mov_b64 s[0:1], -1
	s_cbranch_scc1 .LBB30_2791
; %bb.2786:
	s_cmp_gt_i32 s2, 6
	s_cbranch_scc0 .LBB30_2788
; %bb.2787:
	v_cndmask_b32_e64 v3, 0, 1, s[4:5]
	v_cvt_f64_u32_e32 v[3:4], v3
	s_mov_b64 s[0:1], 0
	global_store_dwordx2 v[0:1], v[3:4], off
.LBB30_2788:
	s_andn2_b64 vcc, exec, s[0:1]
	s_cbranch_vccnz .LBB30_2790
; %bb.2789:
	v_cndmask_b32_e64 v3, 0, 1.0, s[4:5]
	global_store_dword v[0:1], v3, off
.LBB30_2790:
	s_mov_b64 s[0:1], 0
.LBB30_2791:
	s_andn2_b64 vcc, exec, s[0:1]
	s_cbranch_vccnz .LBB30_2793
; %bb.2792:
	v_cndmask_b32_e64 v3, 0, 1.0, s[4:5]
	v_cvt_f16_f32_e32 v3, v3
	global_store_short v[0:1], v3, off
.LBB30_2793:
	s_mov_b64 s[0:1], 0
.LBB30_2794:
	s_andn2_b64 vcc, exec, s[0:1]
	s_cbranch_vccnz .LBB30_2810
; %bb.2795:
	s_cmp_lt_i32 s2, 2
	s_mov_b64 s[0:1], -1
	s_cbranch_scc1 .LBB30_2805
; %bb.2796:
	s_cmp_lt_i32 s2, 3
	s_cbranch_scc1 .LBB30_2802
; %bb.2797:
	s_cmp_gt_i32 s2, 3
	s_cbranch_scc0 .LBB30_2799
; %bb.2798:
	s_mov_b32 s0, 0
	v_cndmask_b32_e64 v3, 0, 1, s[4:5]
	v_mov_b32_e32 v4, s0
	global_store_dwordx2 v[0:1], v[3:4], off
	s_mov_b64 s[0:1], 0
.LBB30_2799:
	s_andn2_b64 vcc, exec, s[0:1]
	s_cbranch_vccnz .LBB30_2801
; %bb.2800:
	v_cndmask_b32_e64 v3, 0, 1, s[4:5]
	global_store_dword v[0:1], v3, off
.LBB30_2801:
	s_mov_b64 s[0:1], 0
.LBB30_2802:
	s_andn2_b64 vcc, exec, s[0:1]
	s_cbranch_vccnz .LBB30_2804
; %bb.2803:
	v_cndmask_b32_e64 v3, 0, 1, s[4:5]
	global_store_short v[0:1], v3, off
.LBB30_2804:
	s_mov_b64 s[0:1], 0
.LBB30_2805:
	s_andn2_b64 vcc, exec, s[0:1]
	s_cbranch_vccnz .LBB30_2810
; %bb.2806:
	s_mov_b64 s[0:1], -1
	s_cmp_gt_i32 s2, 0
	v_cndmask_b32_e64 v3, 0, 1, s[4:5]
	s_cbranch_scc0 .LBB30_2808
; %bb.2807:
	global_store_byte v[0:1], v3, off
	s_mov_b64 s[0:1], 0
.LBB30_2808:
	s_andn2_b64 vcc, exec, s[0:1]
	s_cbranch_vccnz .LBB30_2810
; %bb.2809:
	global_store_byte v[0:1], v3, off
.LBB30_2810:
	s_mov_b64 s[10:11], -1
.LBB30_2811:
	s_andn2_b64 vcc, exec, s[10:11]
	s_cbranch_vccnz .LBB30_3126
; %bb.2812:
	s_lshl_b32 s14, s12, 7
	v_add_u32_e32 v2, s14, v2
	v_ashrrev_i32_e32 v1, 31, v2
	v_mov_b32_e32 v3, s9
	v_add_co_u32_e32 v0, vcc, s8, v2
	s_cmp_lt_i32 s28, 11
	v_addc_co_u32_e32 v1, vcc, v3, v1, vcc
	s_cbranch_scc1 .LBB30_2890
; %bb.2813:
	s_and_b32 s15, 0xffff, s28
	s_mov_b64 s[10:11], -1
	s_mov_b64 s[2:3], 0
	s_cmp_gt_i32 s15, 25
	s_mov_b64 s[4:5], 0
	s_mov_b64 s[0:1], 0
	s_cbranch_scc0 .LBB30_2846
; %bb.2814:
	s_cmp_gt_i32 s15, 28
	s_cbranch_scc0 .LBB30_2829
; %bb.2815:
	s_cmp_gt_i32 s15, 43
	;; [unrolled: 3-line block ×3, first 2 shown]
	s_cbranch_scc0 .LBB30_2819
; %bb.2817:
	s_mov_b64 s[0:1], -1
	s_mov_b64 s[10:11], 0
	s_cmp_eq_u32 s15, 46
	s_cbranch_scc0 .LBB30_2819
; %bb.2818:
	v_cndmask_b32_e64 v3, 0, 1.0, s[20:21]
	v_bfe_u32 v4, v3, 16, 1
	s_movk_i32 s0, 0x7fff
	v_add3_u32 v3, v3, v4, s0
	v_lshrrev_b32_e32 v3, 16, v3
	global_store_dword v[0:1], v3, off
	s_mov_b64 s[0:1], 0
	s_mov_b64 s[4:5], -1
.LBB30_2819:
	s_and_b64 vcc, exec, s[10:11]
	s_cbranch_vccz .LBB30_2824
; %bb.2820:
	s_cmp_eq_u32 s15, 44
	s_mov_b64 s[0:1], -1
	s_cbranch_scc0 .LBB30_2824
; %bb.2821:
	v_cndmask_b32_e64 v4, 0, 1.0, s[20:21]
	v_lshrrev_b32_e32 v3, 23, v4
	s_movk_i32 s0, 0xff
	v_cmp_ne_u32_e32 vcc, s0, v3
	v_mov_b32_e32 v5, 0xff
	s_and_saveexec_b64 s[4:5], vcc
; %bb.2822:
	s_mov_b32 s0, 0x3fffff
	v_and_b32_e32 v5, 0x400000, v4
	v_and_or_b32 v4, v4, s0, v3
	v_cmp_ne_u32_e32 vcc, 0, v5
	v_cmp_ne_u32_e64 s[0:1], 0, v4
	s_and_b64 s[0:1], vcc, s[0:1]
	v_cndmask_b32_e64 v4, 0, 1, s[0:1]
	v_add_u32_e32 v5, v3, v4
; %bb.2823:
	s_or_b64 exec, exec, s[4:5]
	s_mov_b64 s[0:1], 0
	s_mov_b64 s[4:5], -1
	global_store_byte v[0:1], v5, off
.LBB30_2824:
	s_mov_b64 s[10:11], 0
.LBB30_2825:
	s_and_b64 vcc, exec, s[10:11]
	s_cbranch_vccz .LBB30_2828
; %bb.2826:
	s_cmp_eq_u32 s15, 29
	s_mov_b64 s[0:1], -1
	s_cbranch_scc0 .LBB30_2828
; %bb.2827:
	s_mov_b32 s0, 0
	v_cndmask_b32_e64 v3, 0, 1, s[20:21]
	v_mov_b32_e32 v4, s0
	global_store_dwordx2 v[0:1], v[3:4], off
	s_mov_b64 s[0:1], 0
	s_mov_b64 s[4:5], -1
.LBB30_2828:
	s_mov_b64 s[10:11], 0
.LBB30_2829:
	s_and_b64 vcc, exec, s[10:11]
	s_cbranch_vccz .LBB30_2845
; %bb.2830:
	s_cmp_lt_i32 s15, 27
	s_mov_b64 s[4:5], -1
	s_cbranch_scc1 .LBB30_2836
; %bb.2831:
	s_cmp_gt_i32 s15, 27
	s_cbranch_scc0 .LBB30_2833
; %bb.2832:
	v_cndmask_b32_e64 v3, 0, 1, s[20:21]
	s_mov_b64 s[4:5], 0
	global_store_dword v[0:1], v3, off
.LBB30_2833:
	s_andn2_b64 vcc, exec, s[4:5]
	s_cbranch_vccnz .LBB30_2835
; %bb.2834:
	v_cndmask_b32_e64 v3, 0, 1, s[20:21]
	global_store_short v[0:1], v3, off
.LBB30_2835:
	s_mov_b64 s[4:5], 0
.LBB30_2836:
	s_andn2_b64 vcc, exec, s[4:5]
	s_cbranch_vccnz .LBB30_2844
; %bb.2837:
	v_cndmask_b32_e64 v4, 0, 1.0, s[20:21]
	s_mov_b32 s4, 0x43800000
	v_cmp_gt_u32_e32 vcc, s4, v4
	v_mov_b32_e32 v5, 0x80
	s_and_saveexec_b64 s[4:5], vcc
	s_cbranch_execz .LBB30_2843
; %bb.2838:
	s_mov_b32 s10, 0x3bffffff
	v_cmp_lt_u32_e32 vcc, s10, v4
	s_mov_b64 s[10:11], 0
                                        ; implicit-def: $vgpr3
	s_and_saveexec_b64 s[12:13], vcc
	s_xor_b64 s[12:13], exec, s[12:13]
	s_cbranch_execz .LBB30_3134
; %bb.2839:
	v_bfe_u32 v3, v4, 20, 1
	s_mov_b32 s26, 0x487ffff
	v_add3_u32 v3, v4, v3, s26
	s_mov_b64 s[10:11], exec
	v_lshrrev_b32_e32 v3, 20, v3
                                        ; implicit-def: $vgpr4
	s_andn2_saveexec_b64 s[12:13], s[12:13]
	s_cbranch_execnz .LBB30_3135
.LBB30_2840:
	s_or_b64 exec, exec, s[12:13]
	v_mov_b32_e32 v5, 0
	s_and_saveexec_b64 s[12:13], s[10:11]
.LBB30_2841:
	v_mov_b32_e32 v5, v3
.LBB30_2842:
	s_or_b64 exec, exec, s[12:13]
.LBB30_2843:
	s_or_b64 exec, exec, s[4:5]
	global_store_byte v[0:1], v5, off
.LBB30_2844:
	s_mov_b64 s[4:5], -1
.LBB30_2845:
	s_mov_b64 s[10:11], 0
.LBB30_2846:
	s_and_b64 vcc, exec, s[10:11]
	s_cbranch_vccz .LBB30_2886
; %bb.2847:
	s_cmp_gt_i32 s15, 22
	s_mov_b64 s[2:3], -1
	s_cbranch_scc0 .LBB30_2879
; %bb.2848:
	s_cmp_lt_i32 s15, 24
	s_cbranch_scc1 .LBB30_2868
; %bb.2849:
	s_cmp_gt_i32 s15, 24
	s_cbranch_scc0 .LBB30_2857
; %bb.2850:
	v_cndmask_b32_e64 v4, 0, 1.0, s[20:21]
	s_mov_b32 s2, 0x47800000
	v_cmp_gt_u32_e32 vcc, s2, v4
	v_mov_b32_e32 v5, 0x80
	s_and_saveexec_b64 s[2:3], vcc
	s_cbranch_execz .LBB30_2856
; %bb.2851:
	s_mov_b32 s4, 0x37ffffff
	v_cmp_lt_u32_e32 vcc, s4, v4
	s_mov_b64 s[4:5], 0
                                        ; implicit-def: $vgpr3
	s_and_saveexec_b64 s[10:11], vcc
	s_xor_b64 s[10:11], exec, s[10:11]
	s_cbranch_execz .LBB30_3137
; %bb.2852:
	v_bfe_u32 v3, v4, 21, 1
	s_mov_b32 s12, 0x88fffff
	v_add3_u32 v3, v4, v3, s12
	s_mov_b64 s[4:5], exec
	v_lshrrev_b32_e32 v3, 21, v3
                                        ; implicit-def: $vgpr4
	s_andn2_saveexec_b64 s[10:11], s[10:11]
	s_cbranch_execnz .LBB30_3138
.LBB30_2853:
	s_or_b64 exec, exec, s[10:11]
	v_mov_b32_e32 v5, 0
	s_and_saveexec_b64 s[10:11], s[4:5]
.LBB30_2854:
	v_mov_b32_e32 v5, v3
.LBB30_2855:
	s_or_b64 exec, exec, s[10:11]
.LBB30_2856:
	s_or_b64 exec, exec, s[2:3]
	s_mov_b64 s[2:3], 0
	global_store_byte v[0:1], v5, off
.LBB30_2857:
	s_and_b64 vcc, exec, s[2:3]
	s_cbranch_vccz .LBB30_2867
; %bb.2858:
	v_cndmask_b32_e64 v3, 0, 1.0, s[20:21]
	s_mov_b32 s2, 0x43f00000
	v_cmp_gt_u32_e32 vcc, s2, v3
                                        ; implicit-def: $vgpr4
	s_and_saveexec_b64 s[2:3], vcc
	s_xor_b64 s[2:3], exec, s[2:3]
	s_cbranch_execz .LBB30_2864
; %bb.2859:
	s_mov_b32 s4, 0x3c7fffff
	v_cmp_lt_u32_e32 vcc, s4, v3
                                        ; implicit-def: $vgpr4
	s_and_saveexec_b64 s[4:5], vcc
	s_xor_b64 s[4:5], exec, s[4:5]
; %bb.2860:
	v_bfe_u32 v4, v3, 20, 1
	s_mov_b32 s10, 0x407ffff
	v_add3_u32 v3, v3, v4, s10
	v_lshrrev_b32_e32 v4, 20, v3
	v_and_b32_e32 v3, 0xff00000, v3
	s_mov_b32 s10, 0x7f00000
	v_mov_b32_e32 v5, 0x7e
	v_cmp_ne_u32_e32 vcc, s10, v3
	v_cndmask_b32_e32 v4, v5, v4, vcc
                                        ; implicit-def: $vgpr3
; %bb.2861:
	s_andn2_saveexec_b64 s[4:5], s[4:5]
; %bb.2862:
	v_add_f32_e32 v4, 0x46800000, v3
; %bb.2863:
	s_or_b64 exec, exec, s[4:5]
                                        ; implicit-def: $vgpr3
.LBB30_2864:
	s_andn2_saveexec_b64 s[2:3], s[2:3]
; %bb.2865:
	s_mov_b32 s4, 0x7f800000
	v_mov_b32_e32 v4, 0x7e
	v_mov_b32_e32 v5, 0x7f
	v_cmp_lt_u32_e32 vcc, s4, v3
	v_cndmask_b32_e32 v4, v4, v5, vcc
; %bb.2866:
	s_or_b64 exec, exec, s[2:3]
	global_store_byte v[0:1], v4, off
.LBB30_2867:
	s_mov_b64 s[2:3], 0
.LBB30_2868:
	s_andn2_b64 vcc, exec, s[2:3]
	s_cbranch_vccnz .LBB30_2878
; %bb.2869:
	v_cndmask_b32_e64 v3, 0, 1.0, s[20:21]
	s_mov_b32 s2, 0x47800000
	v_cmp_gt_u32_e32 vcc, s2, v3
                                        ; implicit-def: $vgpr4
	s_and_saveexec_b64 s[2:3], vcc
	s_xor_b64 s[2:3], exec, s[2:3]
	s_cbranch_execz .LBB30_2875
; %bb.2870:
	s_mov_b32 s4, 0x387fffff
	v_cmp_lt_u32_e32 vcc, s4, v3
                                        ; implicit-def: $vgpr4
	s_and_saveexec_b64 s[4:5], vcc
	s_xor_b64 s[4:5], exec, s[4:5]
; %bb.2871:
	v_bfe_u32 v4, v3, 21, 1
	s_mov_b32 s10, 0x80fffff
	v_add3_u32 v3, v3, v4, s10
	v_lshrrev_b32_e32 v4, 21, v3
                                        ; implicit-def: $vgpr3
; %bb.2872:
	s_andn2_saveexec_b64 s[4:5], s[4:5]
; %bb.2873:
	v_add_f32_e32 v4, 0x43000000, v3
; %bb.2874:
	s_or_b64 exec, exec, s[4:5]
                                        ; implicit-def: $vgpr3
.LBB30_2875:
	s_andn2_saveexec_b64 s[2:3], s[2:3]
; %bb.2876:
	s_mov_b32 s4, 0x7f800000
	v_mov_b32_e32 v4, 0x7c
	v_mov_b32_e32 v5, 0x7f
	v_cmp_lt_u32_e32 vcc, s4, v3
	v_cndmask_b32_e32 v4, v4, v5, vcc
; %bb.2877:
	s_or_b64 exec, exec, s[2:3]
	global_store_byte v[0:1], v4, off
.LBB30_2878:
	s_mov_b64 s[2:3], 0
	s_mov_b64 s[4:5], -1
.LBB30_2879:
	s_andn2_b64 vcc, exec, s[2:3]
	s_mov_b64 s[2:3], 0
	s_cbranch_vccnz .LBB30_2886
; %bb.2880:
	s_cmp_gt_i32 s15, 14
	s_mov_b64 s[10:11], -1
	s_cbranch_scc0 .LBB30_2884
; %bb.2881:
	s_cmp_eq_u32 s15, 15
	s_mov_b64 s[0:1], -1
	s_cbranch_scc0 .LBB30_2883
; %bb.2882:
	v_cndmask_b32_e64 v3, 0, 1.0, s[20:21]
	v_bfe_u32 v4, v3, 16, 1
	s_movk_i32 s0, 0x7fff
	v_add3_u32 v3, v3, v4, s0
	global_store_short_d16_hi v[0:1], v3, off
	s_mov_b64 s[0:1], 0
	s_mov_b64 s[4:5], -1
.LBB30_2883:
	s_mov_b64 s[10:11], 0
.LBB30_2884:
	s_and_b64 vcc, exec, s[10:11]
	s_cbranch_vccz .LBB30_2886
; %bb.2885:
	s_cmp_lg_u32 s15, 11
	s_mov_b64 s[2:3], -1
	s_cselect_b64 s[0:1], -1, 0
.LBB30_2886:
	s_and_b64 vcc, exec, s[0:1]
	s_cbranch_vccnz .LBB30_3136
; %bb.2887:
	s_andn2_b64 vcc, exec, s[2:3]
	s_cbranch_vccnz .LBB30_2889
.LBB30_2888:
	v_cndmask_b32_e64 v3, 0, 1, s[20:21]
	s_mov_b64 s[4:5], -1
	global_store_byte v[0:1], v3, off
.LBB30_2889:
	s_mov_b64 s[0:1], 0
	s_branch .LBB30_2891
.LBB30_2890:
	s_mov_b64 s[0:1], -1
	s_mov_b64 s[4:5], 0
.LBB30_2891:
	s_and_b64 vcc, exec, s[0:1]
	s_cbranch_vccz .LBB30_2930
; %bb.2892:
	s_and_b32 s2, 0xffff, s28
	s_cmp_lt_i32 s2, 5
	s_mov_b64 s[0:1], -1
	s_cbranch_scc1 .LBB30_2913
; %bb.2893:
	s_cmp_lt_i32 s2, 8
	s_cbranch_scc1 .LBB30_2903
; %bb.2894:
	s_cmp_lt_i32 s2, 9
	s_cbranch_scc1 .LBB30_2900
; %bb.2895:
	s_cmp_gt_i32 s2, 9
	s_cbranch_scc0 .LBB30_2897
; %bb.2896:
	v_cndmask_b32_e64 v3, 0, 1, s[20:21]
	v_cvt_f64_u32_e32 v[3:4], v3
	v_mov_b32_e32 v5, 0
	v_mov_b32_e32 v6, v5
	s_mov_b64 s[0:1], 0
	global_store_dwordx4 v[0:1], v[3:6], off
.LBB30_2897:
	s_andn2_b64 vcc, exec, s[0:1]
	s_cbranch_vccnz .LBB30_2899
; %bb.2898:
	v_cndmask_b32_e64 v3, 0, 1.0, s[20:21]
	v_mov_b32_e32 v4, 0
	global_store_dwordx2 v[0:1], v[3:4], off
.LBB30_2899:
	s_mov_b64 s[0:1], 0
.LBB30_2900:
	s_andn2_b64 vcc, exec, s[0:1]
	s_cbranch_vccnz .LBB30_2902
; %bb.2901:
	v_cndmask_b32_e64 v3, 0, 1.0, s[20:21]
	v_cvt_f16_f32_e32 v3, v3
	global_store_dword v[0:1], v3, off
.LBB30_2902:
	s_mov_b64 s[0:1], 0
.LBB30_2903:
	s_andn2_b64 vcc, exec, s[0:1]
	s_cbranch_vccnz .LBB30_2912
; %bb.2904:
	s_cmp_lt_i32 s2, 6
	s_mov_b64 s[0:1], -1
	s_cbranch_scc1 .LBB30_2910
; %bb.2905:
	s_cmp_gt_i32 s2, 6
	s_cbranch_scc0 .LBB30_2907
; %bb.2906:
	v_cndmask_b32_e64 v3, 0, 1, s[20:21]
	v_cvt_f64_u32_e32 v[3:4], v3
	s_mov_b64 s[0:1], 0
	global_store_dwordx2 v[0:1], v[3:4], off
.LBB30_2907:
	s_andn2_b64 vcc, exec, s[0:1]
	s_cbranch_vccnz .LBB30_2909
; %bb.2908:
	v_cndmask_b32_e64 v3, 0, 1.0, s[20:21]
	global_store_dword v[0:1], v3, off
.LBB30_2909:
	s_mov_b64 s[0:1], 0
.LBB30_2910:
	s_andn2_b64 vcc, exec, s[0:1]
	s_cbranch_vccnz .LBB30_2912
; %bb.2911:
	v_cndmask_b32_e64 v3, 0, 1.0, s[20:21]
	v_cvt_f16_f32_e32 v3, v3
	global_store_short v[0:1], v3, off
.LBB30_2912:
	s_mov_b64 s[0:1], 0
.LBB30_2913:
	s_andn2_b64 vcc, exec, s[0:1]
	s_cbranch_vccnz .LBB30_2929
; %bb.2914:
	s_cmp_lt_i32 s2, 2
	s_mov_b64 s[0:1], -1
	s_cbranch_scc1 .LBB30_2924
; %bb.2915:
	s_cmp_lt_i32 s2, 3
	s_cbranch_scc1 .LBB30_2921
; %bb.2916:
	s_cmp_gt_i32 s2, 3
	s_cbranch_scc0 .LBB30_2918
; %bb.2917:
	s_mov_b32 s0, 0
	v_cndmask_b32_e64 v3, 0, 1, s[20:21]
	v_mov_b32_e32 v4, s0
	global_store_dwordx2 v[0:1], v[3:4], off
	s_mov_b64 s[0:1], 0
.LBB30_2918:
	s_andn2_b64 vcc, exec, s[0:1]
	s_cbranch_vccnz .LBB30_2920
; %bb.2919:
	v_cndmask_b32_e64 v3, 0, 1, s[20:21]
	global_store_dword v[0:1], v3, off
.LBB30_2920:
	s_mov_b64 s[0:1], 0
.LBB30_2921:
	s_andn2_b64 vcc, exec, s[0:1]
	s_cbranch_vccnz .LBB30_2923
; %bb.2922:
	v_cndmask_b32_e64 v3, 0, 1, s[20:21]
	global_store_short v[0:1], v3, off
.LBB30_2923:
	s_mov_b64 s[0:1], 0
.LBB30_2924:
	s_andn2_b64 vcc, exec, s[0:1]
	s_cbranch_vccnz .LBB30_2929
; %bb.2925:
	s_mov_b64 s[0:1], -1
	s_cmp_gt_i32 s2, 0
	v_cndmask_b32_e64 v3, 0, 1, s[20:21]
	s_cbranch_scc0 .LBB30_2927
; %bb.2926:
	global_store_byte v[0:1], v3, off
	s_mov_b64 s[0:1], 0
.LBB30_2927:
	s_andn2_b64 vcc, exec, s[0:1]
	s_cbranch_vccnz .LBB30_2929
; %bb.2928:
	global_store_byte v[0:1], v3, off
.LBB30_2929:
	s_mov_b64 s[4:5], -1
.LBB30_2930:
	s_andn2_b64 vcc, exec, s[4:5]
	s_cbranch_vccnz .LBB30_3126
; %bb.2931:
	v_add_u32_e32 v2, s14, v2
	v_ashrrev_i32_e32 v1, 31, v2
	v_mov_b32_e32 v3, s9
	v_add_co_u32_e32 v0, vcc, s8, v2
	s_cmp_lt_i32 s28, 11
	v_addc_co_u32_e32 v1, vcc, v3, v1, vcc
	s_cbranch_scc1 .LBB30_3009
; %bb.2932:
	s_and_b32 s15, 0xffff, s28
	s_mov_b64 s[10:11], -1
	s_mov_b64 s[2:3], 0
	s_cmp_gt_i32 s15, 25
	s_mov_b64 s[4:5], 0
	s_mov_b64 s[0:1], 0
	s_cbranch_scc0 .LBB30_2965
; %bb.2933:
	s_cmp_gt_i32 s15, 28
	s_cbranch_scc0 .LBB30_2948
; %bb.2934:
	s_cmp_gt_i32 s15, 43
	;; [unrolled: 3-line block ×3, first 2 shown]
	s_cbranch_scc0 .LBB30_2938
; %bb.2936:
	s_mov_b64 s[0:1], -1
	s_mov_b64 s[10:11], 0
	s_cmp_eq_u32 s15, 46
	s_cbranch_scc0 .LBB30_2938
; %bb.2937:
	v_cndmask_b32_e64 v3, 0, 1.0, s[22:23]
	v_bfe_u32 v4, v3, 16, 1
	s_movk_i32 s0, 0x7fff
	v_add3_u32 v3, v3, v4, s0
	v_lshrrev_b32_e32 v3, 16, v3
	global_store_dword v[0:1], v3, off
	s_mov_b64 s[0:1], 0
	s_mov_b64 s[4:5], -1
.LBB30_2938:
	s_and_b64 vcc, exec, s[10:11]
	s_cbranch_vccz .LBB30_2943
; %bb.2939:
	s_cmp_eq_u32 s15, 44
	s_mov_b64 s[0:1], -1
	s_cbranch_scc0 .LBB30_2943
; %bb.2940:
	v_cndmask_b32_e64 v4, 0, 1.0, s[22:23]
	v_lshrrev_b32_e32 v3, 23, v4
	s_movk_i32 s0, 0xff
	v_cmp_ne_u32_e32 vcc, s0, v3
	v_mov_b32_e32 v5, 0xff
	s_and_saveexec_b64 s[4:5], vcc
; %bb.2941:
	s_mov_b32 s0, 0x3fffff
	v_and_b32_e32 v5, 0x400000, v4
	v_and_or_b32 v4, v4, s0, v3
	v_cmp_ne_u32_e32 vcc, 0, v5
	v_cmp_ne_u32_e64 s[0:1], 0, v4
	s_and_b64 s[0:1], vcc, s[0:1]
	v_cndmask_b32_e64 v4, 0, 1, s[0:1]
	v_add_u32_e32 v5, v3, v4
; %bb.2942:
	s_or_b64 exec, exec, s[4:5]
	s_mov_b64 s[0:1], 0
	s_mov_b64 s[4:5], -1
	global_store_byte v[0:1], v5, off
.LBB30_2943:
	s_mov_b64 s[10:11], 0
.LBB30_2944:
	s_and_b64 vcc, exec, s[10:11]
	s_cbranch_vccz .LBB30_2947
; %bb.2945:
	s_cmp_eq_u32 s15, 29
	s_mov_b64 s[0:1], -1
	s_cbranch_scc0 .LBB30_2947
; %bb.2946:
	s_mov_b32 s0, 0
	v_cndmask_b32_e64 v3, 0, 1, s[22:23]
	v_mov_b32_e32 v4, s0
	global_store_dwordx2 v[0:1], v[3:4], off
	s_mov_b64 s[0:1], 0
	s_mov_b64 s[4:5], -1
.LBB30_2947:
	s_mov_b64 s[10:11], 0
.LBB30_2948:
	s_and_b64 vcc, exec, s[10:11]
	s_cbranch_vccz .LBB30_2964
; %bb.2949:
	s_cmp_lt_i32 s15, 27
	s_mov_b64 s[4:5], -1
	s_cbranch_scc1 .LBB30_2955
; %bb.2950:
	s_cmp_gt_i32 s15, 27
	s_cbranch_scc0 .LBB30_2952
; %bb.2951:
	v_cndmask_b32_e64 v3, 0, 1, s[22:23]
	s_mov_b64 s[4:5], 0
	global_store_dword v[0:1], v3, off
.LBB30_2952:
	s_andn2_b64 vcc, exec, s[4:5]
	s_cbranch_vccnz .LBB30_2954
; %bb.2953:
	v_cndmask_b32_e64 v3, 0, 1, s[22:23]
	global_store_short v[0:1], v3, off
.LBB30_2954:
	s_mov_b64 s[4:5], 0
.LBB30_2955:
	s_andn2_b64 vcc, exec, s[4:5]
	s_cbranch_vccnz .LBB30_2963
; %bb.2956:
	v_cndmask_b32_e64 v4, 0, 1.0, s[22:23]
	s_mov_b32 s4, 0x43800000
	v_cmp_gt_u32_e32 vcc, s4, v4
	v_mov_b32_e32 v5, 0x80
	s_and_saveexec_b64 s[4:5], vcc
	s_cbranch_execz .LBB30_2962
; %bb.2957:
	s_mov_b32 s10, 0x3bffffff
	v_cmp_lt_u32_e32 vcc, s10, v4
	s_mov_b64 s[10:11], 0
                                        ; implicit-def: $vgpr3
	s_and_saveexec_b64 s[12:13], vcc
	s_xor_b64 s[12:13], exec, s[12:13]
	s_cbranch_execz .LBB30_3139
; %bb.2958:
	v_bfe_u32 v3, v4, 20, 1
	s_mov_b32 s20, 0x487ffff
	v_add3_u32 v3, v4, v3, s20
	s_mov_b64 s[10:11], exec
	v_lshrrev_b32_e32 v3, 20, v3
                                        ; implicit-def: $vgpr4
	s_andn2_saveexec_b64 s[12:13], s[12:13]
	s_cbranch_execnz .LBB30_3140
.LBB30_2959:
	s_or_b64 exec, exec, s[12:13]
	v_mov_b32_e32 v5, 0
	s_and_saveexec_b64 s[12:13], s[10:11]
.LBB30_2960:
	v_mov_b32_e32 v5, v3
.LBB30_2961:
	s_or_b64 exec, exec, s[12:13]
.LBB30_2962:
	s_or_b64 exec, exec, s[4:5]
	global_store_byte v[0:1], v5, off
.LBB30_2963:
	s_mov_b64 s[4:5], -1
.LBB30_2964:
	s_mov_b64 s[10:11], 0
.LBB30_2965:
	s_and_b64 vcc, exec, s[10:11]
	s_cbranch_vccz .LBB30_3005
; %bb.2966:
	s_cmp_gt_i32 s15, 22
	s_mov_b64 s[2:3], -1
	s_cbranch_scc0 .LBB30_2998
; %bb.2967:
	s_cmp_lt_i32 s15, 24
	s_cbranch_scc1 .LBB30_2987
; %bb.2968:
	s_cmp_gt_i32 s15, 24
	s_cbranch_scc0 .LBB30_2976
; %bb.2969:
	v_cndmask_b32_e64 v4, 0, 1.0, s[22:23]
	s_mov_b32 s2, 0x47800000
	v_cmp_gt_u32_e32 vcc, s2, v4
	v_mov_b32_e32 v5, 0x80
	s_and_saveexec_b64 s[2:3], vcc
	s_cbranch_execz .LBB30_2975
; %bb.2970:
	s_mov_b32 s4, 0x37ffffff
	v_cmp_lt_u32_e32 vcc, s4, v4
	s_mov_b64 s[4:5], 0
                                        ; implicit-def: $vgpr3
	s_and_saveexec_b64 s[10:11], vcc
	s_xor_b64 s[10:11], exec, s[10:11]
	s_cbranch_execz .LBB30_3142
; %bb.2971:
	v_bfe_u32 v3, v4, 21, 1
	s_mov_b32 s12, 0x88fffff
	v_add3_u32 v3, v4, v3, s12
	s_mov_b64 s[4:5], exec
	v_lshrrev_b32_e32 v3, 21, v3
                                        ; implicit-def: $vgpr4
	s_andn2_saveexec_b64 s[10:11], s[10:11]
	s_cbranch_execnz .LBB30_3143
.LBB30_2972:
	s_or_b64 exec, exec, s[10:11]
	v_mov_b32_e32 v5, 0
	s_and_saveexec_b64 s[10:11], s[4:5]
.LBB30_2973:
	v_mov_b32_e32 v5, v3
.LBB30_2974:
	s_or_b64 exec, exec, s[10:11]
.LBB30_2975:
	s_or_b64 exec, exec, s[2:3]
	s_mov_b64 s[2:3], 0
	global_store_byte v[0:1], v5, off
.LBB30_2976:
	s_and_b64 vcc, exec, s[2:3]
	s_cbranch_vccz .LBB30_2986
; %bb.2977:
	v_cndmask_b32_e64 v3, 0, 1.0, s[22:23]
	s_mov_b32 s2, 0x43f00000
	v_cmp_gt_u32_e32 vcc, s2, v3
                                        ; implicit-def: $vgpr4
	s_and_saveexec_b64 s[2:3], vcc
	s_xor_b64 s[2:3], exec, s[2:3]
	s_cbranch_execz .LBB30_2983
; %bb.2978:
	s_mov_b32 s4, 0x3c7fffff
	v_cmp_lt_u32_e32 vcc, s4, v3
                                        ; implicit-def: $vgpr4
	s_and_saveexec_b64 s[4:5], vcc
	s_xor_b64 s[4:5], exec, s[4:5]
; %bb.2979:
	v_bfe_u32 v4, v3, 20, 1
	s_mov_b32 s10, 0x407ffff
	v_add3_u32 v3, v3, v4, s10
	v_lshrrev_b32_e32 v4, 20, v3
	v_and_b32_e32 v3, 0xff00000, v3
	s_mov_b32 s10, 0x7f00000
	v_mov_b32_e32 v5, 0x7e
	v_cmp_ne_u32_e32 vcc, s10, v3
	v_cndmask_b32_e32 v4, v5, v4, vcc
                                        ; implicit-def: $vgpr3
; %bb.2980:
	s_andn2_saveexec_b64 s[4:5], s[4:5]
; %bb.2981:
	v_add_f32_e32 v4, 0x46800000, v3
; %bb.2982:
	s_or_b64 exec, exec, s[4:5]
                                        ; implicit-def: $vgpr3
.LBB30_2983:
	s_andn2_saveexec_b64 s[2:3], s[2:3]
; %bb.2984:
	s_mov_b32 s4, 0x7f800000
	v_mov_b32_e32 v4, 0x7e
	v_mov_b32_e32 v5, 0x7f
	v_cmp_lt_u32_e32 vcc, s4, v3
	v_cndmask_b32_e32 v4, v4, v5, vcc
; %bb.2985:
	s_or_b64 exec, exec, s[2:3]
	global_store_byte v[0:1], v4, off
.LBB30_2986:
	s_mov_b64 s[2:3], 0
.LBB30_2987:
	s_andn2_b64 vcc, exec, s[2:3]
	s_cbranch_vccnz .LBB30_2997
; %bb.2988:
	v_cndmask_b32_e64 v3, 0, 1.0, s[22:23]
	s_mov_b32 s2, 0x47800000
	v_cmp_gt_u32_e32 vcc, s2, v3
                                        ; implicit-def: $vgpr4
	s_and_saveexec_b64 s[2:3], vcc
	s_xor_b64 s[2:3], exec, s[2:3]
	s_cbranch_execz .LBB30_2994
; %bb.2989:
	s_mov_b32 s4, 0x387fffff
	v_cmp_lt_u32_e32 vcc, s4, v3
                                        ; implicit-def: $vgpr4
	s_and_saveexec_b64 s[4:5], vcc
	s_xor_b64 s[4:5], exec, s[4:5]
; %bb.2990:
	v_bfe_u32 v4, v3, 21, 1
	s_mov_b32 s10, 0x80fffff
	v_add3_u32 v3, v3, v4, s10
	v_lshrrev_b32_e32 v4, 21, v3
                                        ; implicit-def: $vgpr3
; %bb.2991:
	s_andn2_saveexec_b64 s[4:5], s[4:5]
; %bb.2992:
	v_add_f32_e32 v4, 0x43000000, v3
; %bb.2993:
	s_or_b64 exec, exec, s[4:5]
                                        ; implicit-def: $vgpr3
.LBB30_2994:
	s_andn2_saveexec_b64 s[2:3], s[2:3]
; %bb.2995:
	s_mov_b32 s4, 0x7f800000
	v_mov_b32_e32 v4, 0x7c
	v_mov_b32_e32 v5, 0x7f
	v_cmp_lt_u32_e32 vcc, s4, v3
	v_cndmask_b32_e32 v4, v4, v5, vcc
; %bb.2996:
	s_or_b64 exec, exec, s[2:3]
	global_store_byte v[0:1], v4, off
.LBB30_2997:
	s_mov_b64 s[2:3], 0
	s_mov_b64 s[4:5], -1
.LBB30_2998:
	s_andn2_b64 vcc, exec, s[2:3]
	s_mov_b64 s[2:3], 0
	s_cbranch_vccnz .LBB30_3005
; %bb.2999:
	s_cmp_gt_i32 s15, 14
	s_mov_b64 s[10:11], -1
	s_cbranch_scc0 .LBB30_3003
; %bb.3000:
	s_cmp_eq_u32 s15, 15
	s_mov_b64 s[0:1], -1
	s_cbranch_scc0 .LBB30_3002
; %bb.3001:
	v_cndmask_b32_e64 v3, 0, 1.0, s[22:23]
	v_bfe_u32 v4, v3, 16, 1
	s_movk_i32 s0, 0x7fff
	v_add3_u32 v3, v3, v4, s0
	global_store_short_d16_hi v[0:1], v3, off
	s_mov_b64 s[0:1], 0
	s_mov_b64 s[4:5], -1
.LBB30_3002:
	s_mov_b64 s[10:11], 0
.LBB30_3003:
	s_and_b64 vcc, exec, s[10:11]
	s_cbranch_vccz .LBB30_3005
; %bb.3004:
	s_cmp_lg_u32 s15, 11
	s_mov_b64 s[2:3], -1
	s_cselect_b64 s[0:1], -1, 0
.LBB30_3005:
	s_and_b64 vcc, exec, s[0:1]
	s_cbranch_vccnz .LBB30_3141
; %bb.3006:
	s_andn2_b64 vcc, exec, s[2:3]
	s_cbranch_vccnz .LBB30_3008
.LBB30_3007:
	v_cndmask_b32_e64 v3, 0, 1, s[22:23]
	s_mov_b64 s[4:5], -1
	global_store_byte v[0:1], v3, off
.LBB30_3008:
	s_mov_b64 s[0:1], 0
	s_branch .LBB30_3010
.LBB30_3009:
	s_mov_b64 s[0:1], -1
	s_mov_b64 s[4:5], 0
.LBB30_3010:
	s_and_b64 vcc, exec, s[0:1]
	s_cbranch_vccz .LBB30_3049
; %bb.3011:
	s_and_b32 s2, 0xffff, s28
	s_cmp_lt_i32 s2, 5
	s_mov_b64 s[0:1], -1
	s_cbranch_scc1 .LBB30_3032
; %bb.3012:
	s_cmp_lt_i32 s2, 8
	s_cbranch_scc1 .LBB30_3022
; %bb.3013:
	s_cmp_lt_i32 s2, 9
	s_cbranch_scc1 .LBB30_3019
; %bb.3014:
	s_cmp_gt_i32 s2, 9
	s_cbranch_scc0 .LBB30_3016
; %bb.3015:
	v_cndmask_b32_e64 v3, 0, 1, s[22:23]
	v_cvt_f64_u32_e32 v[3:4], v3
	v_mov_b32_e32 v5, 0
	v_mov_b32_e32 v6, v5
	s_mov_b64 s[0:1], 0
	global_store_dwordx4 v[0:1], v[3:6], off
.LBB30_3016:
	s_andn2_b64 vcc, exec, s[0:1]
	s_cbranch_vccnz .LBB30_3018
; %bb.3017:
	v_cndmask_b32_e64 v3, 0, 1.0, s[22:23]
	v_mov_b32_e32 v4, 0
	global_store_dwordx2 v[0:1], v[3:4], off
.LBB30_3018:
	s_mov_b64 s[0:1], 0
.LBB30_3019:
	s_andn2_b64 vcc, exec, s[0:1]
	s_cbranch_vccnz .LBB30_3021
; %bb.3020:
	v_cndmask_b32_e64 v3, 0, 1.0, s[22:23]
	v_cvt_f16_f32_e32 v3, v3
	global_store_dword v[0:1], v3, off
.LBB30_3021:
	s_mov_b64 s[0:1], 0
.LBB30_3022:
	s_andn2_b64 vcc, exec, s[0:1]
	s_cbranch_vccnz .LBB30_3031
; %bb.3023:
	s_cmp_lt_i32 s2, 6
	s_mov_b64 s[0:1], -1
	s_cbranch_scc1 .LBB30_3029
; %bb.3024:
	s_cmp_gt_i32 s2, 6
	s_cbranch_scc0 .LBB30_3026
; %bb.3025:
	v_cndmask_b32_e64 v3, 0, 1, s[22:23]
	v_cvt_f64_u32_e32 v[3:4], v3
	s_mov_b64 s[0:1], 0
	global_store_dwordx2 v[0:1], v[3:4], off
.LBB30_3026:
	s_andn2_b64 vcc, exec, s[0:1]
	s_cbranch_vccnz .LBB30_3028
; %bb.3027:
	v_cndmask_b32_e64 v3, 0, 1.0, s[22:23]
	global_store_dword v[0:1], v3, off
.LBB30_3028:
	s_mov_b64 s[0:1], 0
.LBB30_3029:
	s_andn2_b64 vcc, exec, s[0:1]
	s_cbranch_vccnz .LBB30_3031
; %bb.3030:
	v_cndmask_b32_e64 v3, 0, 1.0, s[22:23]
	v_cvt_f16_f32_e32 v3, v3
	global_store_short v[0:1], v3, off
.LBB30_3031:
	s_mov_b64 s[0:1], 0
.LBB30_3032:
	s_andn2_b64 vcc, exec, s[0:1]
	s_cbranch_vccnz .LBB30_3048
; %bb.3033:
	s_cmp_lt_i32 s2, 2
	s_mov_b64 s[0:1], -1
	s_cbranch_scc1 .LBB30_3043
; %bb.3034:
	s_cmp_lt_i32 s2, 3
	s_cbranch_scc1 .LBB30_3040
; %bb.3035:
	s_cmp_gt_i32 s2, 3
	s_cbranch_scc0 .LBB30_3037
; %bb.3036:
	s_mov_b32 s0, 0
	v_cndmask_b32_e64 v3, 0, 1, s[22:23]
	v_mov_b32_e32 v4, s0
	global_store_dwordx2 v[0:1], v[3:4], off
	s_mov_b64 s[0:1], 0
.LBB30_3037:
	s_andn2_b64 vcc, exec, s[0:1]
	s_cbranch_vccnz .LBB30_3039
; %bb.3038:
	v_cndmask_b32_e64 v3, 0, 1, s[22:23]
	global_store_dword v[0:1], v3, off
.LBB30_3039:
	s_mov_b64 s[0:1], 0
.LBB30_3040:
	s_andn2_b64 vcc, exec, s[0:1]
	s_cbranch_vccnz .LBB30_3042
; %bb.3041:
	v_cndmask_b32_e64 v3, 0, 1, s[22:23]
	global_store_short v[0:1], v3, off
.LBB30_3042:
	s_mov_b64 s[0:1], 0
.LBB30_3043:
	s_andn2_b64 vcc, exec, s[0:1]
	s_cbranch_vccnz .LBB30_3048
; %bb.3044:
	s_mov_b64 s[0:1], -1
	s_cmp_gt_i32 s2, 0
	v_cndmask_b32_e64 v3, 0, 1, s[22:23]
	s_cbranch_scc0 .LBB30_3046
; %bb.3045:
	global_store_byte v[0:1], v3, off
	s_mov_b64 s[0:1], 0
.LBB30_3046:
	s_andn2_b64 vcc, exec, s[0:1]
	s_cbranch_vccnz .LBB30_3048
; %bb.3047:
	global_store_byte v[0:1], v3, off
.LBB30_3048:
	s_mov_b64 s[4:5], -1
.LBB30_3049:
	s_andn2_b64 vcc, exec, s[4:5]
	s_cbranch_vccnz .LBB30_3126
; %bb.3050:
	v_add_u32_e32 v0, s14, v2
	v_ashrrev_i32_e32 v1, 31, v0
	v_mov_b32_e32 v2, s9
	v_add_co_u32_e32 v0, vcc, s8, v0
	s_cmp_lt_i32 s28, 11
	v_addc_co_u32_e32 v1, vcc, v2, v1, vcc
	s_cbranch_scc1 .LBB30_3127
; %bb.3051:
	s_and_b32 s12, 0xffff, s28
	s_mov_b64 s[4:5], -1
	s_mov_b64 s[2:3], 0
	s_cmp_gt_i32 s12, 25
	s_mov_b64 s[0:1], 0
	s_cbranch_scc0 .LBB30_3084
; %bb.3052:
	s_cmp_gt_i32 s12, 28
	s_cbranch_scc0 .LBB30_3068
; %bb.3053:
	s_cmp_gt_i32 s12, 43
	;; [unrolled: 3-line block ×3, first 2 shown]
	s_cbranch_scc0 .LBB30_3058
; %bb.3055:
	s_cmp_eq_u32 s12, 46
	s_mov_b64 s[0:1], -1
	s_cbranch_scc0 .LBB30_3057
; %bb.3056:
	v_cndmask_b32_e64 v2, 0, 1.0, s[24:25]
	v_bfe_u32 v3, v2, 16, 1
	s_movk_i32 s0, 0x7fff
	v_add3_u32 v2, v2, v3, s0
	v_lshrrev_b32_e32 v2, 16, v2
	global_store_dword v[0:1], v2, off
	s_mov_b64 s[0:1], 0
.LBB30_3057:
	s_mov_b64 s[4:5], 0
.LBB30_3058:
	s_and_b64 vcc, exec, s[4:5]
	s_cbranch_vccz .LBB30_3063
; %bb.3059:
	s_cmp_eq_u32 s12, 44
	s_mov_b64 s[0:1], -1
	s_cbranch_scc0 .LBB30_3063
; %bb.3060:
	v_cndmask_b32_e64 v3, 0, 1.0, s[24:25]
	v_lshrrev_b32_e32 v2, 23, v3
	s_movk_i32 s0, 0xff
	v_cmp_ne_u32_e32 vcc, s0, v2
	v_mov_b32_e32 v4, 0xff
	s_and_saveexec_b64 s[4:5], vcc
; %bb.3061:
	s_mov_b32 s0, 0x3fffff
	v_and_b32_e32 v4, 0x400000, v3
	v_and_or_b32 v3, v3, s0, v2
	v_cmp_ne_u32_e32 vcc, 0, v4
	v_cmp_ne_u32_e64 s[0:1], 0, v3
	s_and_b64 s[0:1], vcc, s[0:1]
	v_cndmask_b32_e64 v3, 0, 1, s[0:1]
	v_add_u32_e32 v4, v2, v3
; %bb.3062:
	s_or_b64 exec, exec, s[4:5]
	s_mov_b64 s[0:1], 0
	global_store_byte v[0:1], v4, off
.LBB30_3063:
	s_mov_b64 s[4:5], 0
.LBB30_3064:
	s_and_b64 vcc, exec, s[4:5]
	s_cbranch_vccz .LBB30_3067
; %bb.3065:
	s_cmp_eq_u32 s12, 29
	s_mov_b64 s[0:1], -1
	s_cbranch_scc0 .LBB30_3067
; %bb.3066:
	s_mov_b32 s0, 0
	v_cndmask_b32_e64 v2, 0, 1, s[24:25]
	v_mov_b32_e32 v3, s0
	global_store_dwordx2 v[0:1], v[2:3], off
	s_mov_b64 s[0:1], 0
.LBB30_3067:
	s_mov_b64 s[4:5], 0
.LBB30_3068:
	s_and_b64 vcc, exec, s[4:5]
	s_cbranch_vccz .LBB30_3083
; %bb.3069:
	s_cmp_lt_i32 s12, 27
	s_mov_b64 s[4:5], -1
	s_cbranch_scc1 .LBB30_3075
; %bb.3070:
	s_cmp_gt_i32 s12, 27
	v_cndmask_b32_e64 v2, 0, 1, s[24:25]
	s_cbranch_scc0 .LBB30_3072
; %bb.3071:
	global_store_dword v[0:1], v2, off
	s_mov_b64 s[4:5], 0
.LBB30_3072:
	s_andn2_b64 vcc, exec, s[4:5]
	s_cbranch_vccnz .LBB30_3074
; %bb.3073:
	global_store_short v[0:1], v2, off
.LBB30_3074:
	s_mov_b64 s[4:5], 0
.LBB30_3075:
	s_andn2_b64 vcc, exec, s[4:5]
	s_cbranch_vccnz .LBB30_3083
; %bb.3076:
	v_cndmask_b32_e64 v3, 0, 1.0, s[24:25]
	s_mov_b32 s4, 0x43800000
	v_cmp_gt_u32_e32 vcc, s4, v3
	v_mov_b32_e32 v4, 0x80
	s_and_saveexec_b64 s[4:5], vcc
	s_cbranch_execz .LBB30_3082
; %bb.3077:
	s_mov_b32 s8, 0x3bffffff
	v_cmp_lt_u32_e32 vcc, s8, v3
	s_mov_b64 s[8:9], 0
                                        ; implicit-def: $vgpr2
	s_and_saveexec_b64 s[10:11], vcc
	s_xor_b64 s[10:11], exec, s[10:11]
	s_cbranch_execz .LBB30_3144
; %bb.3078:
	v_bfe_u32 v2, v3, 20, 1
	s_mov_b32 s13, 0x487ffff
	v_add3_u32 v2, v3, v2, s13
	s_mov_b64 s[8:9], exec
	v_lshrrev_b32_e32 v2, 20, v2
                                        ; implicit-def: $vgpr3
	s_andn2_saveexec_b64 s[10:11], s[10:11]
	s_cbranch_execnz .LBB30_3145
.LBB30_3079:
	s_or_b64 exec, exec, s[10:11]
	v_mov_b32_e32 v4, 0
	s_and_saveexec_b64 s[10:11], s[8:9]
.LBB30_3080:
	v_mov_b32_e32 v4, v2
.LBB30_3081:
	s_or_b64 exec, exec, s[10:11]
.LBB30_3082:
	s_or_b64 exec, exec, s[4:5]
	global_store_byte v[0:1], v4, off
.LBB30_3083:
	s_mov_b64 s[4:5], 0
.LBB30_3084:
	s_and_b64 vcc, exec, s[4:5]
	s_cbranch_vccz .LBB30_3124
; %bb.3085:
	s_cmp_gt_i32 s12, 22
	s_mov_b64 s[2:3], -1
	s_cbranch_scc0 .LBB30_3117
; %bb.3086:
	s_cmp_lt_i32 s12, 24
	s_cbranch_scc1 .LBB30_3106
; %bb.3087:
	s_cmp_gt_i32 s12, 24
	s_cbranch_scc0 .LBB30_3095
; %bb.3088:
	v_cndmask_b32_e64 v3, 0, 1.0, s[24:25]
	s_mov_b32 s2, 0x47800000
	v_cmp_gt_u32_e32 vcc, s2, v3
	v_mov_b32_e32 v4, 0x80
	s_and_saveexec_b64 s[2:3], vcc
	s_cbranch_execz .LBB30_3094
; %bb.3089:
	s_mov_b32 s4, 0x37ffffff
	v_cmp_lt_u32_e32 vcc, s4, v3
	s_mov_b64 s[4:5], 0
                                        ; implicit-def: $vgpr2
	s_and_saveexec_b64 s[8:9], vcc
	s_xor_b64 s[8:9], exec, s[8:9]
	s_cbranch_execz .LBB30_3147
; %bb.3090:
	v_bfe_u32 v2, v3, 21, 1
	s_mov_b32 s10, 0x88fffff
	v_add3_u32 v2, v3, v2, s10
	s_mov_b64 s[4:5], exec
	v_lshrrev_b32_e32 v2, 21, v2
                                        ; implicit-def: $vgpr3
	s_andn2_saveexec_b64 s[8:9], s[8:9]
	s_cbranch_execnz .LBB30_3148
.LBB30_3091:
	s_or_b64 exec, exec, s[8:9]
	v_mov_b32_e32 v4, 0
	s_and_saveexec_b64 s[8:9], s[4:5]
.LBB30_3092:
	v_mov_b32_e32 v4, v2
.LBB30_3093:
	s_or_b64 exec, exec, s[8:9]
.LBB30_3094:
	s_or_b64 exec, exec, s[2:3]
	s_mov_b64 s[2:3], 0
	global_store_byte v[0:1], v4, off
.LBB30_3095:
	s_and_b64 vcc, exec, s[2:3]
	s_cbranch_vccz .LBB30_3105
; %bb.3096:
	v_cndmask_b32_e64 v2, 0, 1.0, s[24:25]
	s_mov_b32 s2, 0x43f00000
	v_cmp_gt_u32_e32 vcc, s2, v2
                                        ; implicit-def: $vgpr3
	s_and_saveexec_b64 s[2:3], vcc
	s_xor_b64 s[2:3], exec, s[2:3]
	s_cbranch_execz .LBB30_3102
; %bb.3097:
	s_mov_b32 s4, 0x3c7fffff
	v_cmp_lt_u32_e32 vcc, s4, v2
                                        ; implicit-def: $vgpr3
	s_and_saveexec_b64 s[4:5], vcc
	s_xor_b64 s[4:5], exec, s[4:5]
; %bb.3098:
	v_bfe_u32 v3, v2, 20, 1
	s_mov_b32 s8, 0x407ffff
	v_add3_u32 v2, v2, v3, s8
	v_lshrrev_b32_e32 v3, 20, v2
	v_and_b32_e32 v2, 0xff00000, v2
	s_mov_b32 s8, 0x7f00000
	v_mov_b32_e32 v4, 0x7e
	v_cmp_ne_u32_e32 vcc, s8, v2
	v_cndmask_b32_e32 v3, v4, v3, vcc
                                        ; implicit-def: $vgpr2
; %bb.3099:
	s_andn2_saveexec_b64 s[4:5], s[4:5]
; %bb.3100:
	v_add_f32_e32 v3, 0x46800000, v2
; %bb.3101:
	s_or_b64 exec, exec, s[4:5]
                                        ; implicit-def: $vgpr2
.LBB30_3102:
	s_andn2_saveexec_b64 s[2:3], s[2:3]
; %bb.3103:
	s_mov_b32 s4, 0x7f800000
	v_mov_b32_e32 v3, 0x7e
	v_mov_b32_e32 v4, 0x7f
	v_cmp_lt_u32_e32 vcc, s4, v2
	v_cndmask_b32_e32 v3, v3, v4, vcc
; %bb.3104:
	s_or_b64 exec, exec, s[2:3]
	global_store_byte v[0:1], v3, off
.LBB30_3105:
	s_mov_b64 s[2:3], 0
.LBB30_3106:
	s_andn2_b64 vcc, exec, s[2:3]
	s_cbranch_vccnz .LBB30_3116
; %bb.3107:
	v_cndmask_b32_e64 v2, 0, 1.0, s[24:25]
	s_mov_b32 s2, 0x47800000
	v_cmp_gt_u32_e32 vcc, s2, v2
                                        ; implicit-def: $vgpr3
	s_and_saveexec_b64 s[2:3], vcc
	s_xor_b64 s[2:3], exec, s[2:3]
	s_cbranch_execz .LBB30_3113
; %bb.3108:
	s_mov_b32 s4, 0x387fffff
	v_cmp_lt_u32_e32 vcc, s4, v2
                                        ; implicit-def: $vgpr3
	s_and_saveexec_b64 s[4:5], vcc
	s_xor_b64 s[4:5], exec, s[4:5]
; %bb.3109:
	v_bfe_u32 v3, v2, 21, 1
	s_mov_b32 s8, 0x80fffff
	v_add3_u32 v2, v2, v3, s8
	v_lshrrev_b32_e32 v3, 21, v2
                                        ; implicit-def: $vgpr2
; %bb.3110:
	s_andn2_saveexec_b64 s[4:5], s[4:5]
; %bb.3111:
	v_add_f32_e32 v3, 0x43000000, v2
; %bb.3112:
	s_or_b64 exec, exec, s[4:5]
                                        ; implicit-def: $vgpr2
.LBB30_3113:
	s_andn2_saveexec_b64 s[2:3], s[2:3]
; %bb.3114:
	s_mov_b32 s4, 0x7f800000
	v_mov_b32_e32 v3, 0x7c
	v_mov_b32_e32 v4, 0x7f
	v_cmp_lt_u32_e32 vcc, s4, v2
	v_cndmask_b32_e32 v3, v3, v4, vcc
; %bb.3115:
	s_or_b64 exec, exec, s[2:3]
	global_store_byte v[0:1], v3, off
.LBB30_3116:
	s_mov_b64 s[2:3], 0
.LBB30_3117:
	s_andn2_b64 vcc, exec, s[2:3]
	s_mov_b64 s[2:3], 0
	s_cbranch_vccnz .LBB30_3124
; %bb.3118:
	s_cmp_gt_i32 s12, 14
	s_mov_b64 s[4:5], -1
	s_cbranch_scc0 .LBB30_3122
; %bb.3119:
	s_cmp_eq_u32 s12, 15
	s_mov_b64 s[0:1], -1
	s_cbranch_scc0 .LBB30_3121
; %bb.3120:
	v_cndmask_b32_e64 v2, 0, 1.0, s[24:25]
	v_bfe_u32 v3, v2, 16, 1
	s_movk_i32 s0, 0x7fff
	v_add3_u32 v2, v2, v3, s0
	global_store_short_d16_hi v[0:1], v2, off
	s_mov_b64 s[0:1], 0
.LBB30_3121:
	s_mov_b64 s[4:5], 0
.LBB30_3122:
	s_and_b64 vcc, exec, s[4:5]
	s_cbranch_vccz .LBB30_3124
; %bb.3123:
	s_cmp_lg_u32 s12, 11
	s_mov_b64 s[2:3], -1
	s_cselect_b64 s[0:1], -1, 0
.LBB30_3124:
	s_and_b64 vcc, exec, s[0:1]
	s_cbranch_vccnz .LBB30_3146
.LBB30_3125:
	s_mov_b64 s[0:1], 0
	s_branch .LBB30_2636
.LBB30_3126:
	s_mov_b64 s[0:1], 0
	s_branch .LBB30_2635
.LBB30_3127:
	s_mov_b64 s[2:3], 0
	s_mov_b64 s[0:1], -1
	s_branch .LBB30_2636
.LBB30_3128:
	s_trap 2
	s_or_b64 s[18:19], s[18:19], exec
	s_cbranch_execz .LBB30_2578
	s_branch .LBB30_2579
.LBB30_3129:
	s_andn2_saveexec_b64 s[26:27], s[26:27]
	s_cbranch_execz .LBB30_2719
.LBB30_3130:
	v_add_f32_e32 v3, 0x46000000, v4
	v_and_b32_e32 v3, 0xff, v3
	v_cmp_ne_u32_e32 vcc, 0, v3
	s_andn2_b64 s[14:15], s[14:15], exec
	s_and_b64 s[30:31], vcc, exec
	s_or_b64 s[14:15], s[14:15], s[30:31]
	s_or_b64 exec, exec, s[26:27]
	v_mov_b32_e32 v5, 0
	s_and_saveexec_b64 s[26:27], s[14:15]
	s_cbranch_execnz .LBB30_2720
	s_branch .LBB30_2721
.LBB30_3131:
	s_trap 2
	s_or_b64 s[18:19], s[18:19], exec
	s_cbranch_execz .LBB30_2767
	s_branch .LBB30_2768
.LBB30_3132:
	s_andn2_saveexec_b64 s[14:15], s[14:15]
	s_cbranch_execz .LBB30_2732
.LBB30_3133:
	v_add_f32_e32 v3, 0x42800000, v4
	v_and_b32_e32 v3, 0xff, v3
	v_cmp_ne_u32_e32 vcc, 0, v3
	s_andn2_b64 s[10:11], s[10:11], exec
	s_and_b64 s[26:27], vcc, exec
	s_or_b64 s[10:11], s[10:11], s[26:27]
	s_or_b64 exec, exec, s[14:15]
	v_mov_b32_e32 v5, 0
	s_and_saveexec_b64 s[14:15], s[10:11]
	s_cbranch_execnz .LBB30_2733
	s_branch .LBB30_2734
.LBB30_3134:
	s_andn2_saveexec_b64 s[12:13], s[12:13]
	s_cbranch_execz .LBB30_2840
.LBB30_3135:
	v_add_f32_e32 v3, 0x46000000, v4
	v_and_b32_e32 v3, 0xff, v3
	v_cmp_ne_u32_e32 vcc, 0, v3
	s_andn2_b64 s[10:11], s[10:11], exec
	s_and_b64 s[26:27], vcc, exec
	s_or_b64 s[10:11], s[10:11], s[26:27]
	s_or_b64 exec, exec, s[12:13]
	v_mov_b32_e32 v5, 0
	s_and_saveexec_b64 s[12:13], s[10:11]
	s_cbranch_execnz .LBB30_2841
	s_branch .LBB30_2842
.LBB30_3136:
	s_trap 2
	s_or_b64 s[18:19], s[18:19], exec
	s_cbranch_execz .LBB30_2888
	s_branch .LBB30_2889
.LBB30_3137:
	s_andn2_saveexec_b64 s[10:11], s[10:11]
	s_cbranch_execz .LBB30_2853
.LBB30_3138:
	v_add_f32_e32 v3, 0x42800000, v4
	v_and_b32_e32 v3, 0xff, v3
	v_cmp_ne_u32_e32 vcc, 0, v3
	s_andn2_b64 s[4:5], s[4:5], exec
	s_and_b64 s[12:13], vcc, exec
	s_or_b64 s[4:5], s[4:5], s[12:13]
	s_or_b64 exec, exec, s[10:11]
	v_mov_b32_e32 v5, 0
	s_and_saveexec_b64 s[10:11], s[4:5]
	s_cbranch_execnz .LBB30_2854
	s_branch .LBB30_2855
.LBB30_3139:
	s_andn2_saveexec_b64 s[12:13], s[12:13]
	s_cbranch_execz .LBB30_2959
.LBB30_3140:
	v_add_f32_e32 v3, 0x46000000, v4
	v_and_b32_e32 v3, 0xff, v3
	v_cmp_ne_u32_e32 vcc, 0, v3
	s_andn2_b64 s[10:11], s[10:11], exec
	s_and_b64 s[20:21], vcc, exec
	s_or_b64 s[10:11], s[10:11], s[20:21]
	s_or_b64 exec, exec, s[12:13]
	v_mov_b32_e32 v5, 0
	s_and_saveexec_b64 s[12:13], s[10:11]
	s_cbranch_execnz .LBB30_2960
	s_branch .LBB30_2961
.LBB30_3141:
	s_trap 2
	s_or_b64 s[18:19], s[18:19], exec
	s_cbranch_execz .LBB30_3007
	s_branch .LBB30_3008
.LBB30_3142:
	s_andn2_saveexec_b64 s[10:11], s[10:11]
	s_cbranch_execz .LBB30_2972
.LBB30_3143:
	v_add_f32_e32 v3, 0x42800000, v4
	v_and_b32_e32 v3, 0xff, v3
	v_cmp_ne_u32_e32 vcc, 0, v3
	s_andn2_b64 s[4:5], s[4:5], exec
	s_and_b64 s[12:13], vcc, exec
	s_or_b64 s[4:5], s[4:5], s[12:13]
	s_or_b64 exec, exec, s[10:11]
	v_mov_b32_e32 v5, 0
	s_and_saveexec_b64 s[10:11], s[4:5]
	s_cbranch_execnz .LBB30_2973
	s_branch .LBB30_2974
.LBB30_3144:
	s_andn2_saveexec_b64 s[10:11], s[10:11]
	s_cbranch_execz .LBB30_3079
.LBB30_3145:
	v_add_f32_e32 v2, 0x46000000, v3
	v_and_b32_e32 v2, 0xff, v2
	v_cmp_ne_u32_e32 vcc, 0, v2
	s_andn2_b64 s[8:9], s[8:9], exec
	s_and_b64 s[14:15], vcc, exec
	s_or_b64 s[8:9], s[8:9], s[14:15]
	s_or_b64 exec, exec, s[10:11]
	v_mov_b32_e32 v4, 0
	s_and_saveexec_b64 s[10:11], s[8:9]
	s_cbranch_execnz .LBB30_3080
	s_branch .LBB30_3081
.LBB30_3146:
	s_mov_b64 s[2:3], 0
	s_or_b64 s[18:19], s[18:19], exec
	s_trap 2
	s_branch .LBB30_3125
.LBB30_3147:
	s_andn2_saveexec_b64 s[8:9], s[8:9]
	s_cbranch_execz .LBB30_3091
.LBB30_3148:
	v_add_f32_e32 v2, 0x42800000, v3
	v_and_b32_e32 v2, 0xff, v2
	v_cmp_ne_u32_e32 vcc, 0, v2
	s_andn2_b64 s[4:5], s[4:5], exec
	s_and_b64 s[10:11], vcc, exec
	s_or_b64 s[4:5], s[4:5], s[10:11]
	s_or_b64 exec, exec, s[8:9]
	v_mov_b32_e32 v4, 0
	s_and_saveexec_b64 s[8:9], s[4:5]
	s_cbranch_execnz .LBB30_3092
	s_branch .LBB30_3093
	.section	.rodata,"a",@progbits
	.p2align	6, 0x0
	.amdhsa_kernel _ZN2at6native32elementwise_kernel_manual_unrollILi128ELi4EZNS0_15gpu_kernel_implINS0_12_GLOBAL__N_114CompareFunctorIaEEEEvRNS_18TensorIteratorBaseERKT_EUlibE_EEviT1_
		.amdhsa_group_segment_fixed_size 0
		.amdhsa_private_segment_fixed_size 0
		.amdhsa_kernarg_size 56
		.amdhsa_user_sgpr_count 6
		.amdhsa_user_sgpr_private_segment_buffer 1
		.amdhsa_user_sgpr_dispatch_ptr 0
		.amdhsa_user_sgpr_queue_ptr 0
		.amdhsa_user_sgpr_kernarg_segment_ptr 1
		.amdhsa_user_sgpr_dispatch_id 0
		.amdhsa_user_sgpr_flat_scratch_init 0
		.amdhsa_user_sgpr_private_segment_size 0
		.amdhsa_uses_dynamic_stack 0
		.amdhsa_system_sgpr_private_segment_wavefront_offset 0
		.amdhsa_system_sgpr_workgroup_id_x 1
		.amdhsa_system_sgpr_workgroup_id_y 0
		.amdhsa_system_sgpr_workgroup_id_z 0
		.amdhsa_system_sgpr_workgroup_info 0
		.amdhsa_system_vgpr_workitem_id 0
		.amdhsa_next_free_vgpr 12
		.amdhsa_next_free_sgpr 57
		.amdhsa_reserve_vcc 1
		.amdhsa_reserve_flat_scratch 0
		.amdhsa_float_round_mode_32 0
		.amdhsa_float_round_mode_16_64 0
		.amdhsa_float_denorm_mode_32 3
		.amdhsa_float_denorm_mode_16_64 3
		.amdhsa_dx10_clamp 1
		.amdhsa_ieee_mode 1
		.amdhsa_fp16_overflow 0
		.amdhsa_exception_fp_ieee_invalid_op 0
		.amdhsa_exception_fp_denorm_src 0
		.amdhsa_exception_fp_ieee_div_zero 0
		.amdhsa_exception_fp_ieee_overflow 0
		.amdhsa_exception_fp_ieee_underflow 0
		.amdhsa_exception_fp_ieee_inexact 0
		.amdhsa_exception_int_div_zero 0
	.end_amdhsa_kernel
	.section	.text._ZN2at6native32elementwise_kernel_manual_unrollILi128ELi4EZNS0_15gpu_kernel_implINS0_12_GLOBAL__N_114CompareFunctorIaEEEEvRNS_18TensorIteratorBaseERKT_EUlibE_EEviT1_,"axG",@progbits,_ZN2at6native32elementwise_kernel_manual_unrollILi128ELi4EZNS0_15gpu_kernel_implINS0_12_GLOBAL__N_114CompareFunctorIaEEEEvRNS_18TensorIteratorBaseERKT_EUlibE_EEviT1_,comdat
.Lfunc_end30:
	.size	_ZN2at6native32elementwise_kernel_manual_unrollILi128ELi4EZNS0_15gpu_kernel_implINS0_12_GLOBAL__N_114CompareFunctorIaEEEEvRNS_18TensorIteratorBaseERKT_EUlibE_EEviT1_, .Lfunc_end30-_ZN2at6native32elementwise_kernel_manual_unrollILi128ELi4EZNS0_15gpu_kernel_implINS0_12_GLOBAL__N_114CompareFunctorIaEEEEvRNS_18TensorIteratorBaseERKT_EUlibE_EEviT1_
                                        ; -- End function
	.set _ZN2at6native32elementwise_kernel_manual_unrollILi128ELi4EZNS0_15gpu_kernel_implINS0_12_GLOBAL__N_114CompareFunctorIaEEEEvRNS_18TensorIteratorBaseERKT_EUlibE_EEviT1_.num_vgpr, 12
	.set _ZN2at6native32elementwise_kernel_manual_unrollILi128ELi4EZNS0_15gpu_kernel_implINS0_12_GLOBAL__N_114CompareFunctorIaEEEEvRNS_18TensorIteratorBaseERKT_EUlibE_EEviT1_.num_agpr, 0
	.set _ZN2at6native32elementwise_kernel_manual_unrollILi128ELi4EZNS0_15gpu_kernel_implINS0_12_GLOBAL__N_114CompareFunctorIaEEEEvRNS_18TensorIteratorBaseERKT_EUlibE_EEviT1_.numbered_sgpr, 57
	.set _ZN2at6native32elementwise_kernel_manual_unrollILi128ELi4EZNS0_15gpu_kernel_implINS0_12_GLOBAL__N_114CompareFunctorIaEEEEvRNS_18TensorIteratorBaseERKT_EUlibE_EEviT1_.num_named_barrier, 0
	.set _ZN2at6native32elementwise_kernel_manual_unrollILi128ELi4EZNS0_15gpu_kernel_implINS0_12_GLOBAL__N_114CompareFunctorIaEEEEvRNS_18TensorIteratorBaseERKT_EUlibE_EEviT1_.private_seg_size, 0
	.set _ZN2at6native32elementwise_kernel_manual_unrollILi128ELi4EZNS0_15gpu_kernel_implINS0_12_GLOBAL__N_114CompareFunctorIaEEEEvRNS_18TensorIteratorBaseERKT_EUlibE_EEviT1_.uses_vcc, 1
	.set _ZN2at6native32elementwise_kernel_manual_unrollILi128ELi4EZNS0_15gpu_kernel_implINS0_12_GLOBAL__N_114CompareFunctorIaEEEEvRNS_18TensorIteratorBaseERKT_EUlibE_EEviT1_.uses_flat_scratch, 0
	.set _ZN2at6native32elementwise_kernel_manual_unrollILi128ELi4EZNS0_15gpu_kernel_implINS0_12_GLOBAL__N_114CompareFunctorIaEEEEvRNS_18TensorIteratorBaseERKT_EUlibE_EEviT1_.has_dyn_sized_stack, 0
	.set _ZN2at6native32elementwise_kernel_manual_unrollILi128ELi4EZNS0_15gpu_kernel_implINS0_12_GLOBAL__N_114CompareFunctorIaEEEEvRNS_18TensorIteratorBaseERKT_EUlibE_EEviT1_.has_recursion, 0
	.set _ZN2at6native32elementwise_kernel_manual_unrollILi128ELi4EZNS0_15gpu_kernel_implINS0_12_GLOBAL__N_114CompareFunctorIaEEEEvRNS_18TensorIteratorBaseERKT_EUlibE_EEviT1_.has_indirect_call, 0
	.section	.AMDGPU.csdata,"",@progbits
; Kernel info:
; codeLenInByte = 45340
; TotalNumSgprs: 61
; NumVgprs: 12
; ScratchSize: 0
; MemoryBound: 1
; FloatMode: 240
; IeeeMode: 1
; LDSByteSize: 0 bytes/workgroup (compile time only)
; SGPRBlocks: 7
; VGPRBlocks: 2
; NumSGPRsForWavesPerEU: 61
; NumVGPRsForWavesPerEU: 12
; Occupancy: 10
; WaveLimiterHint : 0
; COMPUTE_PGM_RSRC2:SCRATCH_EN: 0
; COMPUTE_PGM_RSRC2:USER_SGPR: 6
; COMPUTE_PGM_RSRC2:TRAP_HANDLER: 0
; COMPUTE_PGM_RSRC2:TGID_X_EN: 1
; COMPUTE_PGM_RSRC2:TGID_Y_EN: 0
; COMPUTE_PGM_RSRC2:TGID_Z_EN: 0
; COMPUTE_PGM_RSRC2:TIDIG_COMP_CNT: 0
	.section	.text._ZN2at6native32elementwise_kernel_manual_unrollILi128ELi4EZNS0_15gpu_kernel_implINS0_12_GLOBAL__N_114CompareFunctorIaEEEEvRNS_18TensorIteratorBaseERKT_EUlibE0_EEviT1_,"axG",@progbits,_ZN2at6native32elementwise_kernel_manual_unrollILi128ELi4EZNS0_15gpu_kernel_implINS0_12_GLOBAL__N_114CompareFunctorIaEEEEvRNS_18TensorIteratorBaseERKT_EUlibE0_EEviT1_,comdat
	.globl	_ZN2at6native32elementwise_kernel_manual_unrollILi128ELi4EZNS0_15gpu_kernel_implINS0_12_GLOBAL__N_114CompareFunctorIaEEEEvRNS_18TensorIteratorBaseERKT_EUlibE0_EEviT1_ ; -- Begin function _ZN2at6native32elementwise_kernel_manual_unrollILi128ELi4EZNS0_15gpu_kernel_implINS0_12_GLOBAL__N_114CompareFunctorIaEEEEvRNS_18TensorIteratorBaseERKT_EUlibE0_EEviT1_
	.p2align	8
	.type	_ZN2at6native32elementwise_kernel_manual_unrollILi128ELi4EZNS0_15gpu_kernel_implINS0_12_GLOBAL__N_114CompareFunctorIaEEEEvRNS_18TensorIteratorBaseERKT_EUlibE0_EEviT1_,@function
_ZN2at6native32elementwise_kernel_manual_unrollILi128ELi4EZNS0_15gpu_kernel_implINS0_12_GLOBAL__N_114CompareFunctorIaEEEEvRNS_18TensorIteratorBaseERKT_EUlibE0_EEviT1_: ; @_ZN2at6native32elementwise_kernel_manual_unrollILi128ELi4EZNS0_15gpu_kernel_implINS0_12_GLOBAL__N_114CompareFunctorIaEEEEvRNS_18TensorIteratorBaseERKT_EUlibE0_EEviT1_
; %bb.0:
	s_load_dword s68, s[4:5], 0x0
	s_load_dword s33, s[4:5], 0x8
	s_add_u32 s2, s4, 8
	s_addc_u32 s3, s5, 0
	v_lshl_or_b32 v8, s6, 9, v0
	v_or_b32_e32 v23, 0x180, v8
	s_waitcnt lgkmcnt(0)
	s_add_i32 s70, s33, -1
	s_cmp_gt_u32 s70, 1
	v_cmp_le_i32_e32 vcc, s68, v23
	s_cselect_b64 s[24:25], -1, 0
	s_mov_b64 s[6:7], 0
	s_mov_b64 s[12:13], 0
	s_and_saveexec_b64 s[0:1], vcc
	s_xor_b64 s[26:27], exec, s[0:1]
	s_cbranch_execz .LBB31_1623
; %bb.1:
	s_cmp_lg_u32 s33, 0
	s_load_dwordx4 s[16:19], s[2:3], 0x4
	s_load_dwordx2 s[30:31], s[2:3], 0x14
	s_load_dwordx8 s[8:15], s[2:3], 0x188
	s_load_dwordx4 s[20:23], s[2:3], 0xc4
	s_load_dwordx2 s[28:29], s[2:3], 0xd4
	s_cselect_b64 s[36:37], -1, 0
	s_min_u32 s73, s70, 15
	s_cmp_gt_u32 s33, 1
	s_cselect_b64 s[34:35], -1, 0
	s_waitcnt lgkmcnt(0)
	s_lshr_b32 s72, s15, 8
	s_lshr_b32 s71, s15, 16
	v_cmp_gt_i32_e32 vcc, s68, v8
	s_mov_b64 s[0:1], -1
	s_mov_b64 s[48:49], 0
	s_mov_b64 s[42:43], 0
	;; [unrolled: 1-line block ×4, first 2 shown]
	s_and_saveexec_b64 s[44:45], vcc
	s_cbranch_execz .LBB31_402
; %bb.2:
	s_andn2_b64 vcc, exec, s[24:25]
	s_cbranch_vccnz .LBB31_8
; %bb.3:
	s_andn2_b64 vcc, exec, s[36:37]
	s_cbranch_vccnz .LBB31_9
; %bb.4:
	s_add_i32 s0, s73, 1
	s_and_b32 s38, s0, 30
	s_add_u32 s0, s2, 0xffffffe8
	s_addc_u32 s1, s3, -1
	v_mov_b32_e32 v3, 0
	v_mov_b32_e32 v5, 0
	;; [unrolled: 1-line block ×4, first 2 shown]
.LBB31_5:                               ; =>This Inner Loop Header: Depth=1
	s_load_dwordx4 s[40:43], s[0:1], 0x1c
	s_load_dwordx2 s[46:47], s[0:1], 0x2c
	s_load_dwordx2 s[50:51], s[0:1], 0xec
	s_load_dwordx4 s[52:55], s[0:1], 0xdc
	s_add_u32 s0, s0, 24
	s_waitcnt lgkmcnt(0)
	v_mul_hi_u32 v2, s41, v1
	s_addc_u32 s1, s1, 0
	s_add_i32 s38, s38, -2
	s_cmp_lg_u32 s38, 0
	v_add_u32_e32 v2, v1, v2
	v_lshrrev_b32_e32 v2, s42, v2
	v_mul_lo_u32 v4, v2, s40
	v_mul_hi_u32 v6, s46, v2
	v_sub_u32_e32 v4, v1, v4
	v_add_u32_e32 v1, v2, v6
	v_lshrrev_b32_e32 v1, s47, v1
	v_mul_lo_u32 v9, v1, s43
	v_mul_lo_u32 v6, v4, s52
	;; [unrolled: 1-line block ×4, first 2 shown]
	v_sub_u32_e32 v2, v2, v9
	v_mul_lo_u32 v9, v2, s55
	v_mul_lo_u32 v10, v2, s50
	;; [unrolled: 1-line block ×3, first 2 shown]
	v_add3_u32 v0, v6, v0, v9
	v_add3_u32 v5, v7, v5, v10
	;; [unrolled: 1-line block ×3, first 2 shown]
	s_cbranch_scc1 .LBB31_5
; %bb.6:
	s_bitcmp1_b32 s73, 0
	s_cselect_b64 s[38:39], -1, 0
	s_and_b64 vcc, exec, s[38:39]
	s_cbranch_vccnz .LBB31_10
; %bb.7:
	s_load_dwordx2 s[38:39], s[0:1], 0x1c
	s_load_dword s42, s[0:1], 0x24
	s_load_dwordx2 s[40:41], s[0:1], 0xdc
	s_waitcnt lgkmcnt(0)
	v_mul_hi_u32 v2, s39, v1
	v_add_u32_e32 v2, v1, v2
	v_lshrrev_b32_e32 v2, s42, v2
	v_mul_lo_u32 v2, v2, s38
	s_load_dword s38, s[0:1], 0xe4
	v_sub_u32_e32 v2, v1, v2
	v_mad_u64_u32 v[0:1], s[0:1], v2, s40, v[0:1]
	v_mad_u64_u32 v[5:6], s[0:1], v2, s41, v[5:6]
	s_waitcnt lgkmcnt(0)
	v_mad_u64_u32 v[3:4], s[0:1], v2, s38, v[3:4]
	s_cbranch_execz .LBB31_11
	s_branch .LBB31_13
.LBB31_8:
                                        ; implicit-def: $vgpr0
                                        ; implicit-def: $vgpr5
                                        ; implicit-def: $vgpr3
	s_andn2_b64 vcc, exec, s[0:1]
	s_cbranch_vccz .LBB31_11
	s_branch .LBB31_13
.LBB31_9:
	v_mov_b32_e32 v0, 0
	v_mov_b32_e32 v5, 0
	;; [unrolled: 1-line block ×3, first 2 shown]
.LBB31_10:
	s_cbranch_execnz .LBB31_13
.LBB31_11:
	v_mul_hi_u32 v0, s17, v8
	s_andn2_b64 vcc, exec, s[34:35]
	v_add_u32_e32 v0, v8, v0
	v_lshrrev_b32_e32 v1, s18, v0
	v_mul_lo_u32 v0, v1, s16
	v_sub_u32_e32 v2, v8, v0
	v_mul_lo_u32 v0, v2, s20
	v_mul_lo_u32 v5, v2, s21
	;; [unrolled: 1-line block ×3, first 2 shown]
	s_cbranch_vccnz .LBB31_13
; %bb.12:
	v_mul_hi_u32 v2, s30, v1
	v_add_u32_e32 v2, v1, v2
	v_lshrrev_b32_e32 v2, s31, v2
	v_mul_lo_u32 v2, v2, s19
	v_sub_u32_e32 v2, v1, v2
	v_mad_u64_u32 v[0:1], s[0:1], v2, s23, v[0:1]
	v_mad_u64_u32 v[5:6], s[0:1], v2, s28, v[5:6]
	;; [unrolled: 1-line block ×3, first 2 shown]
.LBB31_13:
	v_mov_b32_e32 v1, s11
	s_and_b32 s40, s72, 0xff
	v_add_co_u32_e32 v4, vcc, s10, v5
	s_cmp_lt_i32 s40, 11
	v_addc_co_u32_e32 v5, vcc, 0, v1, vcc
	s_cbranch_scc1 .LBB31_20
; %bb.14:
	s_and_b32 s41, 0xffff, s40
	s_cmp_gt_i32 s41, 25
	s_cbranch_scc0 .LBB31_29
; %bb.15:
	s_cmp_gt_i32 s41, 28
	s_cbranch_scc0 .LBB31_36
; %bb.16:
	;; [unrolled: 3-line block ×4, first 2 shown]
	s_cmp_eq_u32 s41, 46
	s_mov_b64 s[38:39], 0
	s_cbranch_scc0 .LBB31_64
; %bb.19:
	global_load_dword v1, v[4:5], off
	s_mov_b64 s[0:1], -1
	s_mov_b64 s[42:43], 0
	s_waitcnt vmcnt(0)
	v_lshlrev_b32_e32 v1, 16, v1
	v_cvt_i32_f32_e32 v1, v1
	s_branch .LBB31_66
.LBB31_20:
	s_mov_b64 s[42:43], 0
                                        ; implicit-def: $vgpr1
	s_mov_b64 s[0:1], 0
	s_cbranch_execnz .LBB31_128
.LBB31_21:
	s_andn2_b64 vcc, exec, s[0:1]
	s_cbranch_vccnz .LBB31_175
.LBB31_22:
	v_mov_b32_e32 v4, s13
	s_and_b32 s46, s71, 0xff
	s_waitcnt vmcnt(0)
	v_add_co_u32_e32 v2, vcc, s12, v3
	s_cmp_lt_i32 s46, 11
	v_addc_co_u32_e32 v3, vcc, 0, v4, vcc
	s_cbranch_scc1 .LBB31_30
; %bb.23:
	s_and_b32 s47, 0xffff, s46
	s_cmp_gt_i32 s47, 25
	s_cbranch_scc0 .LBB31_37
; %bb.24:
	s_cmp_gt_i32 s47, 28
	s_cbranch_scc0 .LBB31_42
; %bb.25:
	;; [unrolled: 3-line block ×4, first 2 shown]
	s_cmp_eq_u32 s47, 46
	s_mov_b64 s[38:39], 0
	s_cbranch_scc0 .LBB31_176
; %bb.28:
	global_load_dword v4, v[2:3], off
	s_mov_b64 s[0:1], -1
	s_mov_b64 s[40:41], 0
	s_waitcnt vmcnt(0)
	v_lshlrev_b32_e32 v4, 16, v4
	v_cvt_i32_f32_e32 v4, v4
	s_branch .LBB31_178
.LBB31_29:
	s_mov_b64 s[42:43], 0
	s_mov_b64 s[0:1], 0
                                        ; implicit-def: $vgpr1
	s_cbranch_execnz .LBB31_95
	s_branch .LBB31_127
.LBB31_30:
	s_mov_b64 s[40:41], 0
                                        ; implicit-def: $vgpr4
	s_mov_b64 s[0:1], 0
	s_cbranch_execnz .LBB31_351
.LBB31_31:
	s_andn2_b64 vcc, exec, s[0:1]
	s_cbranch_vccnz .LBB31_399
.LBB31_32:
	s_cmp_lt_i32 s14, 1
	s_mov_b64 s[0:1], 0
	s_cbranch_scc1 .LBB31_38
; %bb.33:
	s_cmp_gt_i32 s14, 1
	s_cbranch_scc0 .LBB31_43
; %bb.34:
	s_cmp_eq_u32 s14, 2
	s_cbranch_scc0 .LBB31_46
; %bb.35:
	s_waitcnt vmcnt(0)
	v_cmp_le_i16_sdwa s[38:39], sext(v1), sext(v4) src0_sel:BYTE_0 src1_sel:BYTE_0
	s_mov_b64 s[46:47], 0
	s_branch .LBB31_47
.LBB31_36:
	s_mov_b64 s[38:39], -1
	s_mov_b64 s[42:43], 0
	s_mov_b64 s[0:1], 0
                                        ; implicit-def: $vgpr1
	s_branch .LBB31_78
.LBB31_37:
	s_mov_b64 s[38:39], -1
	s_mov_b64 s[40:41], 0
	s_mov_b64 s[0:1], 0
                                        ; implicit-def: $vgpr4
	s_branch .LBB31_317
.LBB31_38:
                                        ; implicit-def: $sgpr38_sgpr39
	s_mov_b64 s[46:47], 0
	s_cbranch_execnz .LBB31_51
.LBB31_39:
	s_andn2_b64 vcc, exec, s[46:47]
	s_cbranch_vccnz .LBB31_52
.LBB31_40:
	s_waitcnt vmcnt(0)
	v_cmp_lt_i16_sdwa s[46:47], sext(v1), sext(v4) src0_sel:BYTE_0 src1_sel:BYTE_0
	s_andn2_b64 s[38:39], s[38:39], exec
	s_and_b64 s[46:47], s[46:47], exec
	s_or_b64 s[38:39], s[38:39], s[46:47]
	s_cbranch_execz .LBB31_53
	s_branch .LBB31_54
.LBB31_41:
	s_mov_b64 s[38:39], -1
	s_mov_b64 s[42:43], 0
	s_mov_b64 s[0:1], 0
                                        ; implicit-def: $vgpr1
	s_branch .LBB31_73
.LBB31_42:
	s_mov_b64 s[38:39], -1
	s_mov_b64 s[40:41], 0
	s_mov_b64 s[0:1], 0
                                        ; implicit-def: $vgpr4
	s_branch .LBB31_300
.LBB31_43:
	s_mov_b64 s[50:51], -1
	s_mov_b64 s[46:47], 0
                                        ; implicit-def: $sgpr38_sgpr39
	s_branch .LBB31_48
.LBB31_44:
	s_mov_b64 s[38:39], -1
	s_mov_b64 s[42:43], 0
	s_branch .LBB31_65
.LBB31_45:
	s_mov_b64 s[38:39], -1
	s_mov_b64 s[40:41], 0
	s_mov_b64 s[0:1], 0
                                        ; implicit-def: $vgpr4
	s_branch .LBB31_295
.LBB31_46:
	s_mov_b64 s[46:47], -1
                                        ; implicit-def: $sgpr38_sgpr39
.LBB31_47:
	s_mov_b64 s[50:51], 0
.LBB31_48:
	s_and_b64 vcc, exec, s[50:51]
	s_cbranch_vccz .LBB31_50
; %bb.49:
	s_waitcnt vmcnt(0)
	v_cmp_gt_i16_sdwa s[50:51], sext(v1), sext(v4) src0_sel:BYTE_0 src1_sel:BYTE_0
	s_andn2_b64 s[38:39], s[38:39], exec
	s_and_b64 s[50:51], s[50:51], exec
	s_or_b64 s[38:39], s[38:39], s[50:51]
.LBB31_50:
	s_branch .LBB31_39
.LBB31_51:
	s_cmp_lg_u32 s14, 0
	s_mov_b64 s[0:1], -1
	s_cselect_b64 s[46:47], -1, 0
	s_andn2_b64 vcc, exec, s[46:47]
	s_cbranch_vccz .LBB31_40
.LBB31_52:
	s_andn2_b64 vcc, exec, s[0:1]
	s_cbranch_vccnz .LBB31_54
.LBB31_53:
	s_waitcnt vmcnt(0)
	v_cmp_ge_i16_sdwa s[0:1], sext(v1), sext(v4) src0_sel:BYTE_0 src1_sel:BYTE_0
	s_andn2_b64 s[38:39], s[38:39], exec
	s_and_b64 s[0:1], s[0:1], exec
	s_or_b64 s[38:39], s[38:39], s[0:1]
.LBB31_54:
	v_mov_b32_e32 v1, s9
	s_and_b32 s54, s15, 0xff
	v_add_co_u32_e32 v0, vcc, s8, v0
	s_cmp_lt_i32 s54, 11
	v_addc_co_u32_e32 v1, vcc, 0, v1, vcc
	s_cbranch_scc1 .LBB31_61
; %bb.55:
	s_and_b32 s55, 0xffff, s54
	s_cmp_gt_i32 s55, 25
	s_cbranch_scc0 .LBB31_62
; %bb.56:
	s_cmp_gt_i32 s55, 28
	s_cbranch_scc0 .LBB31_63
; %bb.57:
	;; [unrolled: 3-line block ×4, first 2 shown]
	s_mov_b64 s[50:51], 0
	s_mov_b64 s[0:1], -1
	s_cmp_eq_u32 s55, 46
	s_mov_b64 s[46:47], 0
	s_cbranch_scc0 .LBB31_182
; %bb.60:
	v_cndmask_b32_e64 v2, 0, 1.0, s[38:39]
	v_bfe_u32 v3, v2, 16, 1
	s_movk_i32 s0, 0x7fff
	v_add3_u32 v2, v2, v3, s0
	v_lshrrev_b32_e32 v2, 16, v2
	global_store_dword v[0:1], v2, off
	s_mov_b64 s[46:47], -1
	s_mov_b64 s[0:1], 0
	s_branch .LBB31_182
.LBB31_61:
	s_mov_b64 s[50:51], -1
	s_mov_b64 s[0:1], 0
	s_mov_b64 s[46:47], 0
	s_branch .LBB31_251
.LBB31_62:
	s_mov_b64 s[50:51], -1
	s_mov_b64 s[0:1], 0
	s_mov_b64 s[46:47], 0
	s_branch .LBB31_209
.LBB31_63:
	s_mov_b64 s[50:51], -1
	s_mov_b64 s[0:1], 0
	s_mov_b64 s[46:47], 0
	s_branch .LBB31_192
.LBB31_64:
	s_mov_b64 s[42:43], -1
.LBB31_65:
	s_mov_b64 s[0:1], 0
                                        ; implicit-def: $vgpr1
.LBB31_66:
	s_and_b64 vcc, exec, s[38:39]
	s_cbranch_vccz .LBB31_72
; %bb.67:
	s_cmp_eq_u32 s41, 44
	s_cbranch_scc0 .LBB31_71
; %bb.68:
	global_load_ubyte v1, v[4:5], off
	s_mov_b64 s[0:1], -1
	s_mov_b64 s[42:43], 0
	s_waitcnt vmcnt(0)
	v_lshlrev_b32_e32 v2, 23, v1
	v_cvt_i32_f32_e32 v2, v2
	v_cmp_ne_u32_e32 vcc, 0, v1
	v_cndmask_b32_e32 v1, 0, v2, vcc
	s_branch .LBB31_72
.LBB31_69:
	s_mov_b64 s[38:39], -1
	s_mov_b64 s[40:41], 0
	s_branch .LBB31_177
.LBB31_70:
	s_mov_b64 s[50:51], -1
	s_mov_b64 s[0:1], 0
	s_mov_b64 s[46:47], 0
	s_branch .LBB31_188
.LBB31_71:
	s_mov_b64 s[42:43], -1
                                        ; implicit-def: $vgpr1
.LBB31_72:
	s_mov_b64 s[38:39], 0
.LBB31_73:
	s_and_b64 vcc, exec, s[38:39]
	s_cbranch_vccz .LBB31_77
; %bb.74:
	s_cmp_eq_u32 s41, 29
	s_cbranch_scc0 .LBB31_76
; %bb.75:
	global_load_dwordx2 v[1:2], v[4:5], off
	s_mov_b64 s[0:1], -1
	s_mov_b64 s[42:43], 0
	s_branch .LBB31_77
.LBB31_76:
	s_mov_b64 s[42:43], -1
                                        ; implicit-def: $vgpr1
.LBB31_77:
	s_mov_b64 s[38:39], 0
.LBB31_78:
	s_and_b64 vcc, exec, s[38:39]
	s_cbranch_vccz .LBB31_94
; %bb.79:
	s_cmp_lt_i32 s41, 27
	s_cbranch_scc1 .LBB31_82
; %bb.80:
	s_cmp_gt_i32 s41, 27
	s_cbranch_scc0 .LBB31_83
; %bb.81:
	global_load_dword v1, v[4:5], off
	s_mov_b64 s[0:1], 0
	s_branch .LBB31_84
.LBB31_82:
	s_mov_b64 s[0:1], -1
                                        ; implicit-def: $vgpr1
	s_branch .LBB31_87
.LBB31_83:
	s_mov_b64 s[0:1], -1
                                        ; implicit-def: $vgpr1
.LBB31_84:
	s_andn2_b64 vcc, exec, s[0:1]
	s_cbranch_vccnz .LBB31_86
; %bb.85:
	global_load_ushort v1, v[4:5], off
.LBB31_86:
	s_mov_b64 s[0:1], 0
.LBB31_87:
	s_andn2_b64 vcc, exec, s[0:1]
	s_cbranch_vccnz .LBB31_93
; %bb.88:
	global_load_ubyte v2, v[4:5], off
	s_movk_i32 s0, 0x7f
	s_mov_b64 s[38:39], 0
	s_waitcnt vmcnt(0)
	v_cmp_lt_i16_e32 vcc, s0, v2
	s_and_saveexec_b64 s[0:1], vcc
	s_xor_b64 s[0:1], exec, s[0:1]
	s_cbranch_execz .LBB31_104
; %bb.89:
	s_movk_i32 s38, 0x80
	v_cmp_ne_u16_e32 vcc, s38, v2
	s_and_b64 s[38:39], vcc, exec
	s_andn2_saveexec_b64 s[0:1], s[0:1]
	s_cbranch_execnz .LBB31_105
.LBB31_90:
	s_or_b64 exec, exec, s[0:1]
	v_mov_b32_e32 v1, 0
	s_and_saveexec_b64 s[0:1], s[38:39]
	s_cbranch_execz .LBB31_92
.LBB31_91:
	v_lshlrev_b32_e32 v1, 24, v2
	v_and_b32_e32 v2, 0xffff, v2
	v_and_b32_e32 v6, 7, v2
	v_ffbh_u32_e32 v9, v6
	v_min_u32_e32 v9, 32, v9
	v_subrev_u32_e32 v10, 28, v9
	v_bfe_u32 v7, v2, 3, 4
	v_lshlrev_b32_e32 v2, v10, v2
	v_sub_u32_e32 v9, 29, v9
	v_and_b32_e32 v2, 7, v2
	v_cmp_eq_u32_e32 vcc, 0, v7
	v_cndmask_b32_e32 v7, v7, v9, vcc
	v_cndmask_b32_e32 v2, v6, v2, vcc
	v_mov_b32_e32 v6, 0x3b800000
	v_lshlrev_b32_e32 v2, 20, v2
	v_and_b32_e32 v1, 0x80000000, v1
	v_lshl_add_u32 v6, v7, 23, v6
	v_or3_b32 v1, v1, v6, v2
	v_cvt_i32_f32_e32 v1, v1
.LBB31_92:
	s_or_b64 exec, exec, s[0:1]
.LBB31_93:
	s_mov_b64 s[0:1], -1
.LBB31_94:
	s_branch .LBB31_127
.LBB31_95:
	s_cmp_gt_i32 s41, 22
	s_cbranch_scc0 .LBB31_103
; %bb.96:
	s_cmp_lt_i32 s41, 24
	s_cbranch_scc1 .LBB31_106
; %bb.97:
	s_cmp_gt_i32 s41, 24
	s_cbranch_scc0 .LBB31_107
; %bb.98:
	global_load_ubyte v2, v[4:5], off
	s_movk_i32 s0, 0x7f
	s_mov_b64 s[38:39], 0
	s_waitcnt vmcnt(0)
	v_cmp_lt_i16_e32 vcc, s0, v2
	s_and_saveexec_b64 s[0:1], vcc
	s_xor_b64 s[0:1], exec, s[0:1]
	s_cbranch_execz .LBB31_119
; %bb.99:
	s_movk_i32 s38, 0x80
	v_cmp_ne_u16_e32 vcc, s38, v2
	s_and_b64 s[38:39], vcc, exec
	s_andn2_saveexec_b64 s[0:1], s[0:1]
	s_cbranch_execnz .LBB31_120
.LBB31_100:
	s_or_b64 exec, exec, s[0:1]
	v_mov_b32_e32 v1, 0
	s_and_saveexec_b64 s[0:1], s[38:39]
	s_cbranch_execz .LBB31_102
.LBB31_101:
	v_lshlrev_b32_e32 v1, 24, v2
	v_and_b32_e32 v2, 0xffff, v2
	v_and_b32_e32 v6, 3, v2
	v_ffbh_u32_e32 v9, v6
	v_min_u32_e32 v9, 32, v9
	v_subrev_u32_e32 v10, 29, v9
	v_bfe_u32 v7, v2, 2, 5
	v_lshlrev_b32_e32 v2, v10, v2
	v_sub_u32_e32 v9, 30, v9
	v_and_b32_e32 v2, 3, v2
	v_cmp_eq_u32_e32 vcc, 0, v7
	v_cndmask_b32_e32 v7, v7, v9, vcc
	v_cndmask_b32_e32 v2, v6, v2, vcc
	v_mov_b32_e32 v6, 0x37800000
	v_lshlrev_b32_e32 v2, 21, v2
	v_and_b32_e32 v1, 0x80000000, v1
	v_lshl_add_u32 v6, v7, 23, v6
	v_or3_b32 v1, v1, v6, v2
	v_cvt_i32_f32_e32 v1, v1
.LBB31_102:
	s_or_b64 exec, exec, s[0:1]
	s_mov_b64 s[0:1], 0
	s_branch .LBB31_108
.LBB31_103:
	s_mov_b64 s[38:39], -1
                                        ; implicit-def: $vgpr1
	s_branch .LBB31_114
.LBB31_104:
	s_andn2_saveexec_b64 s[0:1], s[0:1]
	s_cbranch_execz .LBB31_90
.LBB31_105:
	v_cmp_ne_u16_e32 vcc, 0, v2
	s_andn2_b64 s[38:39], s[38:39], exec
	s_and_b64 s[46:47], vcc, exec
	s_or_b64 s[38:39], s[38:39], s[46:47]
	s_or_b64 exec, exec, s[0:1]
	v_mov_b32_e32 v1, 0
	s_and_saveexec_b64 s[0:1], s[38:39]
	s_cbranch_execnz .LBB31_91
	s_branch .LBB31_92
.LBB31_106:
	s_mov_b64 s[0:1], -1
                                        ; implicit-def: $vgpr1
	s_branch .LBB31_111
.LBB31_107:
	s_mov_b64 s[0:1], -1
                                        ; implicit-def: $vgpr1
.LBB31_108:
	s_and_b64 vcc, exec, s[0:1]
	s_cbranch_vccz .LBB31_110
; %bb.109:
	global_load_ubyte v1, v[4:5], off
	s_mov_b32 s0, 0x7f800000
	s_waitcnt vmcnt(0)
	v_lshlrev_b32_e32 v1, 24, v1
	v_and_b32_e32 v2, 0x7f000000, v1
	v_ffbh_u32_e32 v6, v2
	v_min_u32_e32 v6, 32, v6
	v_sub_u32_e64 v6, v6, 4 clamp
	v_lshlrev_b32_e32 v9, v6, v2
	v_lshlrev_b32_e32 v6, 23, v6
	v_lshrrev_b32_e32 v9, 4, v9
	v_add_u32_e32 v7, 0x1000000, v2
	v_sub_u32_e32 v6, v9, v6
	v_ashrrev_i32_e32 v7, 8, v7
	v_add_u32_e32 v6, 0x3c000000, v6
	v_and_or_b32 v6, v7, s0, v6
	v_cmp_ne_u32_e32 vcc, 0, v2
	v_cndmask_b32_e32 v2, 0, v6, vcc
	s_brev_b32 s0, 1
	v_and_or_b32 v1, v1, s0, v2
	v_cvt_i32_f32_e32 v1, v1
.LBB31_110:
	s_mov_b64 s[0:1], 0
.LBB31_111:
	s_andn2_b64 vcc, exec, s[0:1]
	s_cbranch_vccnz .LBB31_113
; %bb.112:
	global_load_ubyte v1, v[4:5], off
	s_movk_i32 s0, 0x7f00
	s_brev_b32 s1, 16
	s_waitcnt vmcnt(0)
	v_lshlrev_b16_e32 v2, 8, v1
	v_lshlrev_b32_e32 v1, 25, v1
	v_lshrrev_b32_e32 v6, 4, v1
	v_and_or_b32 v7, v2, s0, 0.5
	v_or_b32_e32 v6, 0x70000000, v6
	v_add_f32_e32 v7, -0.5, v7
	v_mul_f32_e32 v6, 0x7800000, v6
	v_cmp_gt_u32_e32 vcc, s1, v1
	v_bfe_i32 v2, v2, 0, 16
	v_cndmask_b32_e32 v1, v6, v7, vcc
	s_brev_b32 s0, 1
	v_and_or_b32 v1, v2, s0, v1
	v_cvt_i32_f32_e32 v1, v1
.LBB31_113:
	s_mov_b64 s[38:39], 0
	s_mov_b64 s[0:1], -1
.LBB31_114:
	s_andn2_b64 vcc, exec, s[38:39]
	s_cbranch_vccnz .LBB31_127
; %bb.115:
	s_cmp_gt_i32 s41, 14
	s_cbranch_scc0 .LBB31_118
; %bb.116:
	s_cmp_eq_u32 s41, 15
	s_cbranch_scc0 .LBB31_121
; %bb.117:
	global_load_ushort v1, v[4:5], off
	s_mov_b64 s[0:1], -1
	s_mov_b64 s[42:43], 0
	s_waitcnt vmcnt(0)
	v_lshlrev_b32_e32 v1, 16, v1
	v_cvt_i32_f32_e32 v1, v1
	s_branch .LBB31_122
.LBB31_118:
	s_mov_b64 s[38:39], -1
                                        ; implicit-def: $vgpr1
	s_branch .LBB31_123
.LBB31_119:
	s_andn2_saveexec_b64 s[0:1], s[0:1]
	s_cbranch_execz .LBB31_100
.LBB31_120:
	v_cmp_ne_u16_e32 vcc, 0, v2
	s_andn2_b64 s[38:39], s[38:39], exec
	s_and_b64 s[46:47], vcc, exec
	s_or_b64 s[38:39], s[38:39], s[46:47]
	s_or_b64 exec, exec, s[0:1]
	v_mov_b32_e32 v1, 0
	s_and_saveexec_b64 s[0:1], s[38:39]
	s_cbranch_execnz .LBB31_101
	s_branch .LBB31_102
.LBB31_121:
	s_mov_b64 s[42:43], -1
                                        ; implicit-def: $vgpr1
.LBB31_122:
	s_mov_b64 s[38:39], 0
.LBB31_123:
	s_and_b64 vcc, exec, s[38:39]
	s_cbranch_vccz .LBB31_127
; %bb.124:
	s_cmp_eq_u32 s41, 11
	s_cbranch_scc0 .LBB31_126
; %bb.125:
	global_load_ubyte v1, v[4:5], off
	s_mov_b64 s[0:1], -1
	s_mov_b64 s[42:43], 0
	s_waitcnt vmcnt(0)
	v_cmp_ne_u16_e32 vcc, 0, v1
	v_cndmask_b32_e64 v1, 0, 1, vcc
	s_branch .LBB31_127
.LBB31_126:
	s_mov_b64 s[42:43], -1
                                        ; implicit-def: $vgpr1
.LBB31_127:
	s_branch .LBB31_21
.LBB31_128:
	s_and_b32 s38, 0xffff, s40
	s_cmp_lt_i32 s38, 5
	s_cbranch_scc1 .LBB31_133
; %bb.129:
	s_cmp_lt_i32 s38, 8
	s_cbranch_scc1 .LBB31_134
; %bb.130:
	s_cmp_lt_i32 s38, 9
	s_cbranch_scc1 .LBB31_135
; %bb.131:
	s_cmp_gt_i32 s38, 9
	s_cbranch_scc0 .LBB31_136
; %bb.132:
	global_load_dwordx2 v[1:2], v[4:5], off
	s_mov_b64 s[0:1], 0
	s_waitcnt vmcnt(0)
	v_cvt_i32_f64_e32 v1, v[1:2]
	s_branch .LBB31_137
.LBB31_133:
                                        ; implicit-def: $vgpr1
	s_branch .LBB31_155
.LBB31_134:
	s_mov_b64 s[0:1], -1
                                        ; implicit-def: $vgpr1
	s_branch .LBB31_143
.LBB31_135:
	s_mov_b64 s[0:1], -1
                                        ; implicit-def: $vgpr1
	s_branch .LBB31_140
.LBB31_136:
	s_mov_b64 s[0:1], -1
                                        ; implicit-def: $vgpr1
.LBB31_137:
	s_andn2_b64 vcc, exec, s[0:1]
	s_cbranch_vccnz .LBB31_139
; %bb.138:
	global_load_dword v1, v[4:5], off
	s_waitcnt vmcnt(0)
	v_cvt_i32_f32_e32 v1, v1
.LBB31_139:
	s_mov_b64 s[0:1], 0
.LBB31_140:
	s_andn2_b64 vcc, exec, s[0:1]
	s_cbranch_vccnz .LBB31_142
; %bb.141:
	global_load_dword v1, v[4:5], off
	s_waitcnt vmcnt(0)
	v_cvt_i16_f16_e32 v1, v1
.LBB31_142:
	s_mov_b64 s[0:1], 0
.LBB31_143:
	s_andn2_b64 vcc, exec, s[0:1]
	s_cbranch_vccnz .LBB31_154
; %bb.144:
	s_cmp_lt_i32 s38, 6
	s_cbranch_scc1 .LBB31_147
; %bb.145:
	s_cmp_gt_i32 s38, 6
	s_cbranch_scc0 .LBB31_148
; %bb.146:
	global_load_dwordx2 v[1:2], v[4:5], off
	s_mov_b64 s[0:1], 0
	s_waitcnt vmcnt(0)
	v_cvt_i32_f64_e32 v1, v[1:2]
	s_branch .LBB31_149
.LBB31_147:
	s_mov_b64 s[0:1], -1
                                        ; implicit-def: $vgpr1
	s_branch .LBB31_152
.LBB31_148:
	s_mov_b64 s[0:1], -1
                                        ; implicit-def: $vgpr1
.LBB31_149:
	s_andn2_b64 vcc, exec, s[0:1]
	s_cbranch_vccnz .LBB31_151
; %bb.150:
	global_load_dword v1, v[4:5], off
	s_waitcnt vmcnt(0)
	v_cvt_i32_f32_e32 v1, v1
.LBB31_151:
	s_mov_b64 s[0:1], 0
.LBB31_152:
	s_andn2_b64 vcc, exec, s[0:1]
	s_cbranch_vccnz .LBB31_154
; %bb.153:
	global_load_ushort v1, v[4:5], off
	s_waitcnt vmcnt(0)
	v_cvt_i16_f16_e32 v1, v1
.LBB31_154:
	s_cbranch_execnz .LBB31_174
.LBB31_155:
	s_cmp_lt_i32 s38, 2
	s_cbranch_scc1 .LBB31_159
; %bb.156:
	s_cmp_lt_i32 s38, 3
	s_cbranch_scc1 .LBB31_160
; %bb.157:
	s_cmp_gt_i32 s38, 3
	s_cbranch_scc0 .LBB31_161
; %bb.158:
	global_load_dwordx2 v[1:2], v[4:5], off
	s_mov_b64 s[0:1], 0
	s_branch .LBB31_162
.LBB31_159:
	s_mov_b64 s[0:1], -1
                                        ; implicit-def: $vgpr1
	s_branch .LBB31_168
.LBB31_160:
	s_mov_b64 s[0:1], -1
                                        ; implicit-def: $vgpr1
	s_branch .LBB31_165
.LBB31_161:
	s_mov_b64 s[0:1], -1
                                        ; implicit-def: $vgpr1
.LBB31_162:
	s_andn2_b64 vcc, exec, s[0:1]
	s_cbranch_vccnz .LBB31_164
; %bb.163:
	global_load_dword v1, v[4:5], off
.LBB31_164:
	s_mov_b64 s[0:1], 0
.LBB31_165:
	s_andn2_b64 vcc, exec, s[0:1]
	s_cbranch_vccnz .LBB31_167
; %bb.166:
	global_load_ushort v1, v[4:5], off
.LBB31_167:
	s_mov_b64 s[0:1], 0
.LBB31_168:
	s_andn2_b64 vcc, exec, s[0:1]
	s_cbranch_vccnz .LBB31_174
; %bb.169:
	s_cmp_gt_i32 s38, 0
	s_cbranch_scc0 .LBB31_171
; %bb.170:
	global_load_ubyte v1, v[4:5], off
	s_mov_b64 s[0:1], 0
	s_branch .LBB31_172
.LBB31_171:
	s_mov_b64 s[0:1], -1
                                        ; implicit-def: $vgpr1
.LBB31_172:
	s_andn2_b64 vcc, exec, s[0:1]
	s_cbranch_vccnz .LBB31_174
; %bb.173:
	global_load_ubyte v1, v[4:5], off
.LBB31_174:
	s_branch .LBB31_22
.LBB31_175:
	s_mov_b64 s[0:1], 0
	s_mov_b64 s[40:41], 0
	s_branch .LBB31_400
.LBB31_176:
	s_mov_b64 s[40:41], -1
.LBB31_177:
	s_mov_b64 s[0:1], 0
                                        ; implicit-def: $vgpr4
.LBB31_178:
	s_and_b64 vcc, exec, s[38:39]
	s_cbranch_vccz .LBB31_294
; %bb.179:
	s_cmp_eq_u32 s47, 44
	s_cbranch_scc0 .LBB31_293
; %bb.180:
	global_load_ubyte v4, v[2:3], off
	s_mov_b64 s[0:1], -1
	s_mov_b64 s[40:41], 0
	s_waitcnt vmcnt(0)
	v_lshlrev_b32_e32 v5, 23, v4
	v_cvt_i32_f32_e32 v5, v5
	v_cmp_ne_u32_e32 vcc, 0, v4
	v_cndmask_b32_e32 v4, 0, v5, vcc
	s_branch .LBB31_294
.LBB31_181:
	s_mov_b64 s[50:51], -1
	s_mov_b64 s[0:1], 0
	s_mov_b64 s[46:47], 0
.LBB31_182:
	s_and_b64 vcc, exec, s[50:51]
	s_cbranch_vccz .LBB31_187
; %bb.183:
	s_cmp_eq_u32 s55, 44
	s_mov_b64 s[0:1], -1
	s_cbranch_scc0 .LBB31_187
; %bb.184:
	v_cndmask_b32_e64 v3, 0, 1.0, s[38:39]
	v_lshrrev_b32_e32 v2, 23, v3
	s_movk_i32 s0, 0xff
	v_cmp_ne_u32_e32 vcc, s0, v2
	s_waitcnt vmcnt(0)
	v_mov_b32_e32 v4, 0xff
	s_and_saveexec_b64 s[46:47], vcc
; %bb.185:
	s_mov_b32 s0, 0x3fffff
	v_and_b32_e32 v4, 0x400000, v3
	v_and_or_b32 v3, v3, s0, v2
	v_cmp_ne_u32_e32 vcc, 0, v4
	v_cmp_ne_u32_e64 s[0:1], 0, v3
	s_and_b64 s[0:1], vcc, s[0:1]
	v_cndmask_b32_e64 v3, 0, 1, s[0:1]
	v_add_u32_e32 v4, v2, v3
; %bb.186:
	s_or_b64 exec, exec, s[46:47]
	s_mov_b64 s[46:47], -1
	s_mov_b64 s[0:1], 0
	global_store_byte v[0:1], v4, off
.LBB31_187:
	s_mov_b64 s[50:51], 0
.LBB31_188:
	s_and_b64 vcc, exec, s[50:51]
	s_cbranch_vccz .LBB31_191
; %bb.189:
	s_cmp_eq_u32 s55, 29
	s_mov_b64 s[0:1], -1
	s_cbranch_scc0 .LBB31_191
; %bb.190:
	s_mov_b32 s0, 0
	v_cndmask_b32_e64 v2, 0, 1, s[38:39]
	v_mov_b32_e32 v3, s0
	global_store_dwordx2 v[0:1], v[2:3], off
	s_mov_b64 s[46:47], -1
	s_mov_b64 s[0:1], 0
.LBB31_191:
	s_mov_b64 s[50:51], 0
.LBB31_192:
	s_and_b64 vcc, exec, s[50:51]
	s_cbranch_vccz .LBB31_208
; %bb.193:
	s_cmp_lt_i32 s55, 27
	s_mov_b64 s[46:47], -1
	s_cbranch_scc1 .LBB31_199
; %bb.194:
	s_cmp_gt_i32 s55, 27
	s_cbranch_scc0 .LBB31_196
; %bb.195:
	v_cndmask_b32_e64 v2, 0, 1, s[38:39]
	s_mov_b64 s[46:47], 0
	global_store_dword v[0:1], v2, off
.LBB31_196:
	s_andn2_b64 vcc, exec, s[46:47]
	s_cbranch_vccnz .LBB31_198
; %bb.197:
	v_cndmask_b32_e64 v2, 0, 1, s[38:39]
	global_store_short v[0:1], v2, off
.LBB31_198:
	s_mov_b64 s[46:47], 0
.LBB31_199:
	s_andn2_b64 vcc, exec, s[46:47]
	s_cbranch_vccnz .LBB31_207
; %bb.200:
	v_cndmask_b32_e64 v3, 0, 1.0, s[38:39]
	s_mov_b32 s46, 0x43800000
	v_cmp_gt_u32_e32 vcc, s46, v3
	s_waitcnt vmcnt(0)
	v_mov_b32_e32 v4, 0x80
	s_and_saveexec_b64 s[46:47], vcc
	s_cbranch_execz .LBB31_206
; %bb.201:
	s_mov_b32 s50, 0x3bffffff
	v_cmp_lt_u32_e32 vcc, s50, v3
	s_mov_b64 s[50:51], 0
                                        ; implicit-def: $vgpr2
	s_and_saveexec_b64 s[52:53], vcc
	s_xor_b64 s[52:53], exec, s[52:53]
	s_cbranch_execz .LBB31_442
; %bb.202:
	v_bfe_u32 v2, v3, 20, 1
	s_mov_b32 s56, 0x487ffff
	v_add3_u32 v2, v3, v2, s56
	s_mov_b64 s[50:51], exec
	v_lshrrev_b32_e32 v2, 20, v2
                                        ; implicit-def: $vgpr3
	s_andn2_saveexec_b64 s[52:53], s[52:53]
	s_cbranch_execnz .LBB31_443
.LBB31_203:
	s_or_b64 exec, exec, s[52:53]
	v_mov_b32_e32 v4, 0
	s_and_saveexec_b64 s[52:53], s[50:51]
.LBB31_204:
	v_mov_b32_e32 v4, v2
.LBB31_205:
	s_or_b64 exec, exec, s[52:53]
.LBB31_206:
	s_or_b64 exec, exec, s[46:47]
	global_store_byte v[0:1], v4, off
.LBB31_207:
	s_mov_b64 s[46:47], -1
.LBB31_208:
	s_mov_b64 s[50:51], 0
.LBB31_209:
	s_and_b64 vcc, exec, s[50:51]
	s_cbranch_vccz .LBB31_250
; %bb.210:
	s_cmp_gt_i32 s55, 22
	s_mov_b64 s[50:51], -1
	s_cbranch_scc0 .LBB31_242
; %bb.211:
	s_cmp_lt_i32 s55, 24
	s_mov_b64 s[46:47], -1
	s_cbranch_scc1 .LBB31_231
; %bb.212:
	s_cmp_gt_i32 s55, 24
	s_cbranch_scc0 .LBB31_220
; %bb.213:
	v_cndmask_b32_e64 v3, 0, 1.0, s[38:39]
	s_mov_b32 s46, 0x47800000
	v_cmp_gt_u32_e32 vcc, s46, v3
	s_waitcnt vmcnt(0)
	v_mov_b32_e32 v4, 0x80
	s_and_saveexec_b64 s[46:47], vcc
	s_cbranch_execz .LBB31_219
; %bb.214:
	s_mov_b32 s50, 0x37ffffff
	v_cmp_lt_u32_e32 vcc, s50, v3
	s_mov_b64 s[50:51], 0
                                        ; implicit-def: $vgpr2
	s_and_saveexec_b64 s[52:53], vcc
	s_xor_b64 s[52:53], exec, s[52:53]
	s_cbranch_execz .LBB31_557
; %bb.215:
	v_bfe_u32 v2, v3, 21, 1
	s_mov_b32 s56, 0x88fffff
	v_add3_u32 v2, v3, v2, s56
	s_mov_b64 s[50:51], exec
	v_lshrrev_b32_e32 v2, 21, v2
                                        ; implicit-def: $vgpr3
	s_andn2_saveexec_b64 s[52:53], s[52:53]
	s_cbranch_execnz .LBB31_558
.LBB31_216:
	s_or_b64 exec, exec, s[52:53]
	v_mov_b32_e32 v4, 0
	s_and_saveexec_b64 s[52:53], s[50:51]
.LBB31_217:
	v_mov_b32_e32 v4, v2
.LBB31_218:
	s_or_b64 exec, exec, s[52:53]
.LBB31_219:
	s_or_b64 exec, exec, s[46:47]
	s_mov_b64 s[46:47], 0
	global_store_byte v[0:1], v4, off
.LBB31_220:
	s_and_b64 vcc, exec, s[46:47]
	s_cbranch_vccz .LBB31_230
; %bb.221:
	v_cndmask_b32_e64 v2, 0, 1.0, s[38:39]
	s_mov_b32 s46, 0x43f00000
	v_cmp_gt_u32_e32 vcc, s46, v2
                                        ; implicit-def: $vgpr3
	s_and_saveexec_b64 s[46:47], vcc
	s_xor_b64 s[46:47], exec, s[46:47]
	s_cbranch_execz .LBB31_227
; %bb.222:
	s_mov_b32 s50, 0x3c7fffff
	v_cmp_lt_u32_e32 vcc, s50, v2
                                        ; implicit-def: $vgpr3
	s_and_saveexec_b64 s[50:51], vcc
	s_xor_b64 s[50:51], exec, s[50:51]
	s_cbranch_execz .LBB31_224
; %bb.223:
	v_bfe_u32 v3, v2, 20, 1
	s_mov_b32 s52, 0x407ffff
	v_add3_u32 v2, v2, v3, s52
	v_lshrrev_b32_e32 v3, 20, v2
	v_and_b32_e32 v2, 0xff00000, v2
	s_mov_b32 s52, 0x7f00000
	s_waitcnt vmcnt(0)
	v_mov_b32_e32 v4, 0x7e
	v_cmp_ne_u32_e32 vcc, s52, v2
	v_cndmask_b32_e32 v3, v4, v3, vcc
                                        ; implicit-def: $vgpr2
.LBB31_224:
	s_andn2_saveexec_b64 s[50:51], s[50:51]
; %bb.225:
	v_add_f32_e32 v3, 0x46800000, v2
; %bb.226:
	s_or_b64 exec, exec, s[50:51]
                                        ; implicit-def: $vgpr2
.LBB31_227:
	s_andn2_saveexec_b64 s[46:47], s[46:47]
	s_cbranch_execz .LBB31_229
; %bb.228:
	s_mov_b32 s50, 0x7f800000
	v_mov_b32_e32 v3, 0x7e
	s_waitcnt vmcnt(0)
	v_mov_b32_e32 v4, 0x7f
	v_cmp_lt_u32_e32 vcc, s50, v2
	v_cndmask_b32_e32 v3, v3, v4, vcc
.LBB31_229:
	s_or_b64 exec, exec, s[46:47]
	global_store_byte v[0:1], v3, off
.LBB31_230:
	s_mov_b64 s[46:47], 0
.LBB31_231:
	s_andn2_b64 vcc, exec, s[46:47]
	s_cbranch_vccnz .LBB31_241
; %bb.232:
	v_cndmask_b32_e64 v2, 0, 1.0, s[38:39]
	s_mov_b32 s46, 0x47800000
	v_cmp_gt_u32_e32 vcc, s46, v2
                                        ; implicit-def: $vgpr3
	s_and_saveexec_b64 s[46:47], vcc
	s_xor_b64 s[46:47], exec, s[46:47]
	s_cbranch_execz .LBB31_238
; %bb.233:
	s_mov_b32 s50, 0x387fffff
	v_cmp_lt_u32_e32 vcc, s50, v2
                                        ; implicit-def: $vgpr3
	s_and_saveexec_b64 s[50:51], vcc
	s_xor_b64 s[50:51], exec, s[50:51]
; %bb.234:
	v_bfe_u32 v3, v2, 21, 1
	s_mov_b32 s52, 0x80fffff
	v_add3_u32 v2, v2, v3, s52
	v_lshrrev_b32_e32 v3, 21, v2
                                        ; implicit-def: $vgpr2
; %bb.235:
	s_andn2_saveexec_b64 s[50:51], s[50:51]
; %bb.236:
	v_add_f32_e32 v3, 0x43000000, v2
; %bb.237:
	s_or_b64 exec, exec, s[50:51]
                                        ; implicit-def: $vgpr2
.LBB31_238:
	s_andn2_saveexec_b64 s[46:47], s[46:47]
	s_cbranch_execz .LBB31_240
; %bb.239:
	s_mov_b32 s50, 0x7f800000
	v_mov_b32_e32 v3, 0x7c
	s_waitcnt vmcnt(0)
	v_mov_b32_e32 v4, 0x7f
	v_cmp_lt_u32_e32 vcc, s50, v2
	v_cndmask_b32_e32 v3, v3, v4, vcc
.LBB31_240:
	s_or_b64 exec, exec, s[46:47]
	global_store_byte v[0:1], v3, off
.LBB31_241:
	s_mov_b64 s[50:51], 0
	s_mov_b64 s[46:47], -1
.LBB31_242:
	s_andn2_b64 vcc, exec, s[50:51]
	s_cbranch_vccnz .LBB31_250
; %bb.243:
	s_cmp_gt_i32 s55, 14
	s_mov_b64 s[50:51], -1
	s_cbranch_scc0 .LBB31_247
; %bb.244:
	s_cmp_eq_u32 s55, 15
	s_mov_b64 s[0:1], -1
	s_cbranch_scc0 .LBB31_246
; %bb.245:
	v_cndmask_b32_e64 v2, 0, 1.0, s[38:39]
	v_bfe_u32 v3, v2, 16, 1
	s_movk_i32 s0, 0x7fff
	v_add3_u32 v2, v2, v3, s0
	global_store_short_d16_hi v[0:1], v2, off
	s_mov_b64 s[46:47], -1
	s_mov_b64 s[0:1], 0
.LBB31_246:
	s_mov_b64 s[50:51], 0
.LBB31_247:
	s_and_b64 vcc, exec, s[50:51]
	s_cbranch_vccz .LBB31_250
; %bb.248:
	s_cmp_eq_u32 s55, 11
	s_mov_b64 s[0:1], -1
	s_cbranch_scc0 .LBB31_250
; %bb.249:
	v_cndmask_b32_e64 v2, 0, 1, s[38:39]
	s_mov_b64 s[46:47], -1
	s_mov_b64 s[0:1], 0
	global_store_byte v[0:1], v2, off
.LBB31_250:
	s_mov_b64 s[50:51], 0
.LBB31_251:
	s_and_b64 vcc, exec, s[50:51]
	s_cbranch_vccz .LBB31_290
; %bb.252:
	s_and_b32 s50, 0xffff, s54
	s_cmp_lt_i32 s50, 5
	s_mov_b64 s[46:47], -1
	s_cbranch_scc1 .LBB31_273
; %bb.253:
	s_cmp_lt_i32 s50, 8
	s_cbranch_scc1 .LBB31_263
; %bb.254:
	s_cmp_lt_i32 s50, 9
	s_cbranch_scc1 .LBB31_260
; %bb.255:
	s_cmp_gt_i32 s50, 9
	s_cbranch_scc0 .LBB31_257
; %bb.256:
	v_cndmask_b32_e64 v2, 0, 1, s[38:39]
	v_cvt_f64_u32_e32 v[2:3], v2
	s_waitcnt vmcnt(0)
	v_mov_b32_e32 v4, 0
	v_mov_b32_e32 v5, v4
	s_mov_b64 s[46:47], 0
	global_store_dwordx4 v[0:1], v[2:5], off
.LBB31_257:
	s_andn2_b64 vcc, exec, s[46:47]
	s_cbranch_vccnz .LBB31_259
; %bb.258:
	v_cndmask_b32_e64 v2, 0, 1.0, s[38:39]
	v_mov_b32_e32 v3, 0
	global_store_dwordx2 v[0:1], v[2:3], off
.LBB31_259:
	s_mov_b64 s[46:47], 0
.LBB31_260:
	s_andn2_b64 vcc, exec, s[46:47]
	s_cbranch_vccnz .LBB31_262
; %bb.261:
	v_cndmask_b32_e64 v2, 0, 1.0, s[38:39]
	v_cvt_f16_f32_e32 v2, v2
	global_store_dword v[0:1], v2, off
.LBB31_262:
	s_mov_b64 s[46:47], 0
.LBB31_263:
	s_andn2_b64 vcc, exec, s[46:47]
	s_cbranch_vccnz .LBB31_272
; %bb.264:
	s_cmp_lt_i32 s50, 6
	s_mov_b64 s[46:47], -1
	s_cbranch_scc1 .LBB31_270
; %bb.265:
	s_cmp_gt_i32 s50, 6
	s_cbranch_scc0 .LBB31_267
; %bb.266:
	v_cndmask_b32_e64 v2, 0, 1, s[38:39]
	v_cvt_f64_u32_e32 v[2:3], v2
	s_mov_b64 s[46:47], 0
	global_store_dwordx2 v[0:1], v[2:3], off
.LBB31_267:
	s_andn2_b64 vcc, exec, s[46:47]
	s_cbranch_vccnz .LBB31_269
; %bb.268:
	v_cndmask_b32_e64 v2, 0, 1.0, s[38:39]
	global_store_dword v[0:1], v2, off
.LBB31_269:
	s_mov_b64 s[46:47], 0
.LBB31_270:
	s_andn2_b64 vcc, exec, s[46:47]
	s_cbranch_vccnz .LBB31_272
; %bb.271:
	v_cndmask_b32_e64 v2, 0, 1.0, s[38:39]
	v_cvt_f16_f32_e32 v2, v2
	global_store_short v[0:1], v2, off
.LBB31_272:
	s_mov_b64 s[46:47], 0
.LBB31_273:
	s_andn2_b64 vcc, exec, s[46:47]
	s_cbranch_vccnz .LBB31_289
; %bb.274:
	s_cmp_lt_i32 s50, 2
	s_mov_b64 s[46:47], -1
	s_cbranch_scc1 .LBB31_284
; %bb.275:
	s_cmp_lt_i32 s50, 3
	s_cbranch_scc1 .LBB31_281
; %bb.276:
	s_cmp_gt_i32 s50, 3
	s_cbranch_scc0 .LBB31_278
; %bb.277:
	s_mov_b32 s46, 0
	v_cndmask_b32_e64 v2, 0, 1, s[38:39]
	v_mov_b32_e32 v3, s46
	global_store_dwordx2 v[0:1], v[2:3], off
	s_mov_b64 s[46:47], 0
.LBB31_278:
	s_andn2_b64 vcc, exec, s[46:47]
	s_cbranch_vccnz .LBB31_280
; %bb.279:
	v_cndmask_b32_e64 v2, 0, 1, s[38:39]
	global_store_dword v[0:1], v2, off
.LBB31_280:
	s_mov_b64 s[46:47], 0
.LBB31_281:
	s_andn2_b64 vcc, exec, s[46:47]
	s_cbranch_vccnz .LBB31_283
; %bb.282:
	v_cndmask_b32_e64 v2, 0, 1, s[38:39]
	global_store_short v[0:1], v2, off
.LBB31_283:
	s_mov_b64 s[46:47], 0
.LBB31_284:
	s_andn2_b64 vcc, exec, s[46:47]
	s_cbranch_vccnz .LBB31_289
; %bb.285:
	s_cmp_gt_i32 s50, 0
	s_mov_b64 s[46:47], -1
	s_cbranch_scc0 .LBB31_287
; %bb.286:
	v_cndmask_b32_e64 v2, 0, 1, s[38:39]
	global_store_byte v[0:1], v2, off
	s_mov_b64 s[46:47], 0
.LBB31_287:
	s_andn2_b64 vcc, exec, s[46:47]
	s_cbranch_vccnz .LBB31_289
; %bb.288:
	v_cndmask_b32_e64 v2, 0, 1, s[38:39]
	global_store_byte v[0:1], v2, off
.LBB31_289:
	s_mov_b64 s[46:47], -1
.LBB31_290:
	s_andn2_b64 vcc, exec, s[46:47]
	s_cbranch_vccnz .LBB31_292
; %bb.291:
	v_add_u32_e32 v8, 0x80, v8
	s_mov_b64 s[46:47], -1
	s_branch .LBB31_401
.LBB31_292:
	s_mov_b64 s[46:47], 0
                                        ; implicit-def: $vgpr8
	s_branch .LBB31_401
.LBB31_293:
	s_mov_b64 s[40:41], -1
                                        ; implicit-def: $vgpr4
.LBB31_294:
	s_mov_b64 s[38:39], 0
.LBB31_295:
	s_and_b64 vcc, exec, s[38:39]
	s_cbranch_vccz .LBB31_299
; %bb.296:
	s_cmp_eq_u32 s47, 29
	s_cbranch_scc0 .LBB31_298
; %bb.297:
	global_load_dwordx2 v[4:5], v[2:3], off
	s_mov_b64 s[0:1], -1
	s_mov_b64 s[40:41], 0
	s_branch .LBB31_299
.LBB31_298:
	s_mov_b64 s[40:41], -1
                                        ; implicit-def: $vgpr4
.LBB31_299:
	s_mov_b64 s[38:39], 0
.LBB31_300:
	s_and_b64 vcc, exec, s[38:39]
	s_cbranch_vccz .LBB31_316
; %bb.301:
	s_cmp_lt_i32 s47, 27
	s_cbranch_scc1 .LBB31_304
; %bb.302:
	s_cmp_gt_i32 s47, 27
	s_cbranch_scc0 .LBB31_305
; %bb.303:
	global_load_dword v4, v[2:3], off
	s_mov_b64 s[0:1], 0
	s_branch .LBB31_306
.LBB31_304:
	s_mov_b64 s[0:1], -1
                                        ; implicit-def: $vgpr4
	s_branch .LBB31_309
.LBB31_305:
	s_mov_b64 s[0:1], -1
                                        ; implicit-def: $vgpr4
.LBB31_306:
	s_andn2_b64 vcc, exec, s[0:1]
	s_cbranch_vccnz .LBB31_308
; %bb.307:
	global_load_ushort v4, v[2:3], off
.LBB31_308:
	s_mov_b64 s[0:1], 0
.LBB31_309:
	s_andn2_b64 vcc, exec, s[0:1]
	s_cbranch_vccnz .LBB31_315
; %bb.310:
	global_load_ubyte v5, v[2:3], off
	s_movk_i32 s0, 0x7f
	s_mov_b64 s[38:39], 0
	s_waitcnt vmcnt(0)
	v_cmp_lt_i16_e32 vcc, s0, v5
	s_and_saveexec_b64 s[0:1], vcc
	s_xor_b64 s[0:1], exec, s[0:1]
	s_cbranch_execz .LBB31_327
; %bb.311:
	s_movk_i32 s38, 0x80
	v_cmp_ne_u16_e32 vcc, s38, v5
	s_and_b64 s[38:39], vcc, exec
	s_andn2_saveexec_b64 s[0:1], s[0:1]
	s_cbranch_execnz .LBB31_328
.LBB31_312:
	s_or_b64 exec, exec, s[0:1]
	v_mov_b32_e32 v4, 0
	s_and_saveexec_b64 s[0:1], s[38:39]
	s_cbranch_execz .LBB31_314
.LBB31_313:
	v_lshlrev_b32_e32 v4, 24, v5
	v_and_b32_e32 v5, 0xffff, v5
	v_and_b32_e32 v6, 7, v5
	v_ffbh_u32_e32 v9, v6
	v_min_u32_e32 v9, 32, v9
	v_subrev_u32_e32 v10, 28, v9
	v_bfe_u32 v7, v5, 3, 4
	v_lshlrev_b32_e32 v5, v10, v5
	v_sub_u32_e32 v9, 29, v9
	v_and_b32_e32 v5, 7, v5
	v_cmp_eq_u32_e32 vcc, 0, v7
	v_cndmask_b32_e32 v7, v7, v9, vcc
	v_cndmask_b32_e32 v5, v6, v5, vcc
	v_mov_b32_e32 v6, 0x3b800000
	v_lshlrev_b32_e32 v5, 20, v5
	v_and_b32_e32 v4, 0x80000000, v4
	v_lshl_add_u32 v6, v7, 23, v6
	v_or3_b32 v4, v4, v6, v5
	v_cvt_i32_f32_e32 v4, v4
.LBB31_314:
	s_or_b64 exec, exec, s[0:1]
.LBB31_315:
	s_mov_b64 s[0:1], -1
.LBB31_316:
	s_mov_b64 s[38:39], 0
.LBB31_317:
	s_and_b64 vcc, exec, s[38:39]
	s_cbranch_vccz .LBB31_350
; %bb.318:
	s_cmp_gt_i32 s47, 22
	s_cbranch_scc0 .LBB31_326
; %bb.319:
	s_cmp_lt_i32 s47, 24
	s_cbranch_scc1 .LBB31_329
; %bb.320:
	s_cmp_gt_i32 s47, 24
	s_cbranch_scc0 .LBB31_330
; %bb.321:
	global_load_ubyte v5, v[2:3], off
	s_movk_i32 s0, 0x7f
	s_mov_b64 s[38:39], 0
	s_waitcnt vmcnt(0)
	v_cmp_lt_i16_e32 vcc, s0, v5
	s_and_saveexec_b64 s[0:1], vcc
	s_xor_b64 s[0:1], exec, s[0:1]
	s_cbranch_execz .LBB31_342
; %bb.322:
	s_movk_i32 s38, 0x80
	v_cmp_ne_u16_e32 vcc, s38, v5
	s_and_b64 s[38:39], vcc, exec
	s_andn2_saveexec_b64 s[0:1], s[0:1]
	s_cbranch_execnz .LBB31_343
.LBB31_323:
	s_or_b64 exec, exec, s[0:1]
	v_mov_b32_e32 v4, 0
	s_and_saveexec_b64 s[0:1], s[38:39]
	s_cbranch_execz .LBB31_325
.LBB31_324:
	v_lshlrev_b32_e32 v4, 24, v5
	v_and_b32_e32 v5, 0xffff, v5
	v_and_b32_e32 v6, 3, v5
	v_ffbh_u32_e32 v9, v6
	v_min_u32_e32 v9, 32, v9
	v_subrev_u32_e32 v10, 29, v9
	v_bfe_u32 v7, v5, 2, 5
	v_lshlrev_b32_e32 v5, v10, v5
	v_sub_u32_e32 v9, 30, v9
	v_and_b32_e32 v5, 3, v5
	v_cmp_eq_u32_e32 vcc, 0, v7
	v_cndmask_b32_e32 v7, v7, v9, vcc
	v_cndmask_b32_e32 v5, v6, v5, vcc
	v_mov_b32_e32 v6, 0x37800000
	v_lshlrev_b32_e32 v5, 21, v5
	v_and_b32_e32 v4, 0x80000000, v4
	v_lshl_add_u32 v6, v7, 23, v6
	v_or3_b32 v4, v4, v6, v5
	v_cvt_i32_f32_e32 v4, v4
.LBB31_325:
	s_or_b64 exec, exec, s[0:1]
	s_mov_b64 s[0:1], 0
	s_branch .LBB31_331
.LBB31_326:
	s_mov_b64 s[38:39], -1
                                        ; implicit-def: $vgpr4
	s_branch .LBB31_337
.LBB31_327:
	s_andn2_saveexec_b64 s[0:1], s[0:1]
	s_cbranch_execz .LBB31_312
.LBB31_328:
	v_cmp_ne_u16_e32 vcc, 0, v5
	s_andn2_b64 s[38:39], s[38:39], exec
	s_and_b64 s[50:51], vcc, exec
	s_or_b64 s[38:39], s[38:39], s[50:51]
	s_or_b64 exec, exec, s[0:1]
	v_mov_b32_e32 v4, 0
	s_and_saveexec_b64 s[0:1], s[38:39]
	s_cbranch_execnz .LBB31_313
	s_branch .LBB31_314
.LBB31_329:
	s_mov_b64 s[0:1], -1
                                        ; implicit-def: $vgpr4
	s_branch .LBB31_334
.LBB31_330:
	s_mov_b64 s[0:1], -1
                                        ; implicit-def: $vgpr4
.LBB31_331:
	s_and_b64 vcc, exec, s[0:1]
	s_cbranch_vccz .LBB31_333
; %bb.332:
	global_load_ubyte v4, v[2:3], off
	s_mov_b32 s0, 0x7f800000
	s_waitcnt vmcnt(0)
	v_lshlrev_b32_e32 v4, 24, v4
	v_and_b32_e32 v5, 0x7f000000, v4
	v_ffbh_u32_e32 v6, v5
	v_min_u32_e32 v6, 32, v6
	v_sub_u32_e64 v6, v6, 4 clamp
	v_lshlrev_b32_e32 v9, v6, v5
	v_lshlrev_b32_e32 v6, 23, v6
	v_lshrrev_b32_e32 v9, 4, v9
	v_add_u32_e32 v7, 0x1000000, v5
	v_sub_u32_e32 v6, v9, v6
	v_ashrrev_i32_e32 v7, 8, v7
	v_add_u32_e32 v6, 0x3c000000, v6
	v_and_or_b32 v6, v7, s0, v6
	v_cmp_ne_u32_e32 vcc, 0, v5
	v_cndmask_b32_e32 v5, 0, v6, vcc
	s_brev_b32 s0, 1
	v_and_or_b32 v4, v4, s0, v5
	v_cvt_i32_f32_e32 v4, v4
.LBB31_333:
	s_mov_b64 s[0:1], 0
.LBB31_334:
	s_andn2_b64 vcc, exec, s[0:1]
	s_cbranch_vccnz .LBB31_336
; %bb.335:
	global_load_ubyte v4, v[2:3], off
	s_movk_i32 s0, 0x7f00
	s_brev_b32 s1, 16
	s_waitcnt vmcnt(0)
	v_lshlrev_b16_e32 v5, 8, v4
	v_lshlrev_b32_e32 v4, 25, v4
	v_lshrrev_b32_e32 v6, 4, v4
	v_and_or_b32 v7, v5, s0, 0.5
	v_or_b32_e32 v6, 0x70000000, v6
	v_add_f32_e32 v7, -0.5, v7
	v_mul_f32_e32 v6, 0x7800000, v6
	v_cmp_gt_u32_e32 vcc, s1, v4
	v_bfe_i32 v5, v5, 0, 16
	v_cndmask_b32_e32 v4, v6, v7, vcc
	s_brev_b32 s0, 1
	v_and_or_b32 v4, v5, s0, v4
	v_cvt_i32_f32_e32 v4, v4
.LBB31_336:
	s_mov_b64 s[38:39], 0
	s_mov_b64 s[0:1], -1
.LBB31_337:
	s_andn2_b64 vcc, exec, s[38:39]
	s_cbranch_vccnz .LBB31_350
; %bb.338:
	s_cmp_gt_i32 s47, 14
	s_cbranch_scc0 .LBB31_341
; %bb.339:
	s_cmp_eq_u32 s47, 15
	s_cbranch_scc0 .LBB31_344
; %bb.340:
	global_load_ushort v4, v[2:3], off
	s_mov_b64 s[0:1], -1
	s_mov_b64 s[40:41], 0
	s_waitcnt vmcnt(0)
	v_lshlrev_b32_e32 v4, 16, v4
	v_cvt_i32_f32_e32 v4, v4
	s_branch .LBB31_345
.LBB31_341:
	s_mov_b64 s[38:39], -1
                                        ; implicit-def: $vgpr4
	s_branch .LBB31_346
.LBB31_342:
	s_andn2_saveexec_b64 s[0:1], s[0:1]
	s_cbranch_execz .LBB31_323
.LBB31_343:
	v_cmp_ne_u16_e32 vcc, 0, v5
	s_andn2_b64 s[38:39], s[38:39], exec
	s_and_b64 s[50:51], vcc, exec
	s_or_b64 s[38:39], s[38:39], s[50:51]
	s_or_b64 exec, exec, s[0:1]
	v_mov_b32_e32 v4, 0
	s_and_saveexec_b64 s[0:1], s[38:39]
	s_cbranch_execnz .LBB31_324
	s_branch .LBB31_325
.LBB31_344:
	s_mov_b64 s[40:41], -1
                                        ; implicit-def: $vgpr4
.LBB31_345:
	s_mov_b64 s[38:39], 0
.LBB31_346:
	s_and_b64 vcc, exec, s[38:39]
	s_cbranch_vccz .LBB31_350
; %bb.347:
	s_cmp_eq_u32 s47, 11
	s_cbranch_scc0 .LBB31_349
; %bb.348:
	global_load_ubyte v4, v[2:3], off
	s_mov_b64 s[0:1], -1
	s_mov_b64 s[40:41], 0
	s_waitcnt vmcnt(0)
	v_cmp_ne_u16_e32 vcc, 0, v4
	v_cndmask_b32_e64 v4, 0, 1, vcc
	s_branch .LBB31_350
.LBB31_349:
	s_mov_b64 s[40:41], -1
                                        ; implicit-def: $vgpr4
.LBB31_350:
	s_branch .LBB31_31
.LBB31_351:
	s_and_b32 s38, 0xffff, s46
	s_cmp_lt_i32 s38, 5
	s_cbranch_scc1 .LBB31_356
; %bb.352:
	s_cmp_lt_i32 s38, 8
	s_cbranch_scc1 .LBB31_357
; %bb.353:
	;; [unrolled: 3-line block ×3, first 2 shown]
	s_cmp_gt_i32 s38, 9
	s_cbranch_scc0 .LBB31_359
; %bb.355:
	global_load_dwordx2 v[4:5], v[2:3], off
	s_mov_b64 s[0:1], 0
	s_waitcnt vmcnt(0)
	v_cvt_i32_f64_e32 v4, v[4:5]
	s_branch .LBB31_360
.LBB31_356:
	s_mov_b64 s[0:1], -1
                                        ; implicit-def: $vgpr4
	s_branch .LBB31_378
.LBB31_357:
	s_mov_b64 s[0:1], -1
                                        ; implicit-def: $vgpr4
	s_branch .LBB31_366
.LBB31_358:
	s_mov_b64 s[0:1], -1
                                        ; implicit-def: $vgpr4
	s_branch .LBB31_363
.LBB31_359:
	s_mov_b64 s[0:1], -1
                                        ; implicit-def: $vgpr4
.LBB31_360:
	s_andn2_b64 vcc, exec, s[0:1]
	s_cbranch_vccnz .LBB31_362
; %bb.361:
	global_load_dword v4, v[2:3], off
	s_waitcnt vmcnt(0)
	v_cvt_i32_f32_e32 v4, v4
.LBB31_362:
	s_mov_b64 s[0:1], 0
.LBB31_363:
	s_andn2_b64 vcc, exec, s[0:1]
	s_cbranch_vccnz .LBB31_365
; %bb.364:
	global_load_dword v4, v[2:3], off
	s_waitcnt vmcnt(0)
	v_cvt_i16_f16_e32 v4, v4
.LBB31_365:
	s_mov_b64 s[0:1], 0
.LBB31_366:
	s_andn2_b64 vcc, exec, s[0:1]
	s_cbranch_vccnz .LBB31_377
; %bb.367:
	s_cmp_lt_i32 s38, 6
	s_cbranch_scc1 .LBB31_370
; %bb.368:
	s_cmp_gt_i32 s38, 6
	s_cbranch_scc0 .LBB31_371
; %bb.369:
	global_load_dwordx2 v[4:5], v[2:3], off
	s_mov_b64 s[0:1], 0
	s_waitcnt vmcnt(0)
	v_cvt_i32_f64_e32 v4, v[4:5]
	s_branch .LBB31_372
.LBB31_370:
	s_mov_b64 s[0:1], -1
                                        ; implicit-def: $vgpr4
	s_branch .LBB31_375
.LBB31_371:
	s_mov_b64 s[0:1], -1
                                        ; implicit-def: $vgpr4
.LBB31_372:
	s_andn2_b64 vcc, exec, s[0:1]
	s_cbranch_vccnz .LBB31_374
; %bb.373:
	global_load_dword v4, v[2:3], off
	s_waitcnt vmcnt(0)
	v_cvt_i32_f32_e32 v4, v4
.LBB31_374:
	s_mov_b64 s[0:1], 0
.LBB31_375:
	s_andn2_b64 vcc, exec, s[0:1]
	s_cbranch_vccnz .LBB31_377
; %bb.376:
	global_load_ushort v4, v[2:3], off
	s_waitcnt vmcnt(0)
	v_cvt_i16_f16_e32 v4, v4
.LBB31_377:
	s_mov_b64 s[0:1], 0
.LBB31_378:
	s_andn2_b64 vcc, exec, s[0:1]
	s_cbranch_vccnz .LBB31_398
; %bb.379:
	s_cmp_lt_i32 s38, 2
	s_cbranch_scc1 .LBB31_383
; %bb.380:
	s_cmp_lt_i32 s38, 3
	s_cbranch_scc1 .LBB31_384
; %bb.381:
	s_cmp_gt_i32 s38, 3
	s_cbranch_scc0 .LBB31_385
; %bb.382:
	global_load_dwordx2 v[4:5], v[2:3], off
	s_mov_b64 s[0:1], 0
	s_branch .LBB31_386
.LBB31_383:
	s_mov_b64 s[0:1], -1
                                        ; implicit-def: $vgpr4
	s_branch .LBB31_392
.LBB31_384:
	s_mov_b64 s[0:1], -1
                                        ; implicit-def: $vgpr4
	s_branch .LBB31_389
.LBB31_385:
	s_mov_b64 s[0:1], -1
                                        ; implicit-def: $vgpr4
.LBB31_386:
	s_andn2_b64 vcc, exec, s[0:1]
	s_cbranch_vccnz .LBB31_388
; %bb.387:
	global_load_dword v4, v[2:3], off
.LBB31_388:
	s_mov_b64 s[0:1], 0
.LBB31_389:
	s_andn2_b64 vcc, exec, s[0:1]
	s_cbranch_vccnz .LBB31_391
; %bb.390:
	global_load_ushort v4, v[2:3], off
.LBB31_391:
	s_mov_b64 s[0:1], 0
.LBB31_392:
	s_andn2_b64 vcc, exec, s[0:1]
	s_cbranch_vccnz .LBB31_398
; %bb.393:
	s_cmp_gt_i32 s38, 0
	s_cbranch_scc0 .LBB31_395
; %bb.394:
	global_load_ubyte v4, v[2:3], off
	s_mov_b64 s[0:1], 0
	s_branch .LBB31_396
.LBB31_395:
	s_mov_b64 s[0:1], -1
                                        ; implicit-def: $vgpr4
.LBB31_396:
	s_andn2_b64 vcc, exec, s[0:1]
	s_cbranch_vccnz .LBB31_398
; %bb.397:
	global_load_ubyte v4, v[2:3], off
.LBB31_398:
	s_branch .LBB31_32
.LBB31_399:
	s_mov_b64 s[0:1], 0
.LBB31_400:
                                        ; implicit-def: $vgpr8
	s_mov_b64 s[46:47], 0
.LBB31_401:
	s_and_b64 s[38:39], s[0:1], exec
	s_and_b64 s[40:41], s[40:41], exec
	;; [unrolled: 1-line block ×3, first 2 shown]
	s_orn2_b64 s[0:1], s[46:47], exec
.LBB31_402:
	s_or_b64 exec, exec, s[44:45]
	s_mov_b64 s[52:53], 0
	s_mov_b64 s[50:51], 0
                                        ; implicit-def: $sgpr74
                                        ; implicit-def: $vgpr4_vgpr5
                                        ; implicit-def: $vgpr0
                                        ; implicit-def: $vgpr3
                                        ; implicit-def: $vgpr1
	s_and_saveexec_b64 s[44:45], s[0:1]
	s_cbranch_execz .LBB31_410
; %bb.403:
	v_cmp_gt_i32_e32 vcc, s68, v8
	s_mov_b64 s[0:1], -1
	s_mov_b64 s[46:47], s[42:43]
	s_mov_b64 s[48:49], s[40:41]
	;; [unrolled: 1-line block ×3, first 2 shown]
	s_and_saveexec_b64 s[52:53], vcc
	s_cbranch_execz .LBB31_812
; %bb.404:
	s_andn2_b64 vcc, exec, s[24:25]
	s_cbranch_vccnz .LBB31_413
; %bb.405:
	s_andn2_b64 vcc, exec, s[36:37]
	s_cbranch_vccnz .LBB31_414
; %bb.406:
	s_add_i32 s0, s73, 1
	s_and_b32 s46, s0, 30
	s_add_u32 s0, s2, 0xffffffe8
	s_addc_u32 s1, s3, -1
	v_mov_b32_e32 v3, 0
	s_waitcnt vmcnt(0)
	v_mov_b32_e32 v5, 0
	v_mov_b32_e32 v0, 0
	;; [unrolled: 1-line block ×3, first 2 shown]
.LBB31_407:                             ; =>This Inner Loop Header: Depth=1
	s_load_dwordx4 s[48:51], s[0:1], 0x1c
	s_load_dwordx2 s[54:55], s[0:1], 0x2c
	s_load_dwordx2 s[60:61], s[0:1], 0xec
	s_load_dwordx4 s[56:59], s[0:1], 0xdc
	s_add_u32 s0, s0, 24
	s_waitcnt lgkmcnt(0)
	v_mul_hi_u32 v2, s49, v1
	s_addc_u32 s1, s1, 0
	s_add_i32 s46, s46, -2
	s_cmp_eq_u32 s46, 0
	v_add_u32_e32 v2, v1, v2
	v_lshrrev_b32_e32 v2, s50, v2
	v_mul_lo_u32 v4, v2, s48
	v_mul_hi_u32 v6, s54, v2
	v_sub_u32_e32 v4, v1, v4
	v_add_u32_e32 v1, v2, v6
	v_lshrrev_b32_e32 v1, s55, v1
	v_mul_lo_u32 v9, v1, s51
	v_mul_lo_u32 v6, v4, s56
	;; [unrolled: 1-line block ×4, first 2 shown]
	v_sub_u32_e32 v2, v2, v9
	v_mul_lo_u32 v9, v2, s59
	v_mul_lo_u32 v10, v2, s60
	;; [unrolled: 1-line block ×3, first 2 shown]
	v_add3_u32 v0, v6, v0, v9
	v_add3_u32 v5, v7, v5, v10
	;; [unrolled: 1-line block ×3, first 2 shown]
	s_cbranch_scc0 .LBB31_407
; %bb.408:
	s_bitcmp1_b32 s73, 0
	s_cselect_b64 s[46:47], -1, 0
	s_and_b64 vcc, exec, s[46:47]
	s_cbranch_vccnz .LBB31_415
; %bb.409:
	s_load_dwordx2 s[46:47], s[0:1], 0x1c
	s_load_dword s50, s[0:1], 0x24
	s_load_dwordx2 s[48:49], s[0:1], 0xdc
	s_waitcnt lgkmcnt(0)
	v_mul_hi_u32 v2, s47, v1
	v_add_u32_e32 v2, v1, v2
	v_lshrrev_b32_e32 v2, s50, v2
	v_mul_lo_u32 v2, v2, s46
	s_load_dword s46, s[0:1], 0xe4
	v_sub_u32_e32 v2, v1, v2
	v_mad_u64_u32 v[0:1], s[0:1], v2, s48, v[0:1]
	v_mad_u64_u32 v[5:6], s[0:1], v2, s49, v[5:6]
	s_waitcnt lgkmcnt(0)
	v_mad_u64_u32 v[3:4], s[0:1], v2, s46, v[3:4]
	s_branch .LBB31_415
.LBB31_410:
	s_or_b64 exec, exec, s[44:45]
	s_mov_b64 s[10:11], 0
	s_and_saveexec_b64 s[0:1], s[42:43]
	s_cbranch_execnz .LBB31_1315
.LBB31_411:
	s_or_b64 exec, exec, s[0:1]
	s_and_saveexec_b64 s[0:1], s[48:49]
	s_xor_b64 s[0:1], exec, s[0:1]
	s_cbranch_execz .LBB31_1316
.LBB31_412:
	s_waitcnt vmcnt(0)
	global_load_ubyte v1, v[4:5], off
	s_or_b64 s[50:51], s[50:51], exec
	s_waitcnt vmcnt(0)
	v_cmp_ne_u16_e32 vcc, 0, v1
	v_cndmask_b32_e64 v1, 0, 1, vcc
	s_or_b64 exec, exec, s[0:1]
	s_and_saveexec_b64 s[0:1], s[52:53]
	s_cbranch_execz .LBB31_1362
	s_branch .LBB31_1317
.LBB31_413:
                                        ; implicit-def: $vgpr0
                                        ; implicit-def: $vgpr5
                                        ; implicit-def: $vgpr3
	s_andn2_b64 vcc, exec, s[0:1]
	s_cbranch_vccz .LBB31_416
	s_branch .LBB31_418
.LBB31_414:
	v_mov_b32_e32 v0, 0
	s_waitcnt vmcnt(0)
	v_mov_b32_e32 v5, 0
	v_mov_b32_e32 v3, 0
.LBB31_415:
	s_cbranch_execnz .LBB31_418
.LBB31_416:
	v_mul_hi_u32 v0, s17, v8
	s_andn2_b64 vcc, exec, s[34:35]
	v_add_u32_e32 v0, v8, v0
	s_waitcnt vmcnt(0)
	v_lshrrev_b32_e32 v1, s18, v0
	v_mul_lo_u32 v0, v1, s16
	v_sub_u32_e32 v2, v8, v0
	v_mul_lo_u32 v0, v2, s20
	v_mul_lo_u32 v5, v2, s21
	;; [unrolled: 1-line block ×3, first 2 shown]
	s_cbranch_vccnz .LBB31_418
; %bb.417:
	v_mul_hi_u32 v2, s30, v1
	v_add_u32_e32 v2, v1, v2
	v_lshrrev_b32_e32 v2, s31, v2
	v_mul_lo_u32 v2, v2, s19
	v_sub_u32_e32 v2, v1, v2
	v_mad_u64_u32 v[0:1], s[0:1], v2, s23, v[0:1]
	v_mad_u64_u32 v[5:6], s[0:1], v2, s28, v[5:6]
	;; [unrolled: 1-line block ×3, first 2 shown]
.LBB31_418:
	s_waitcnt vmcnt(0)
	v_mov_b32_e32 v1, s11
	s_and_b32 s50, s72, 0xff
	v_add_co_u32_e32 v4, vcc, s10, v5
	s_cmp_lt_i32 s50, 11
	v_addc_co_u32_e32 v5, vcc, 0, v1, vcc
	s_cbranch_scc1 .LBB31_425
; %bb.419:
	s_and_b32 s51, 0xffff, s50
	s_cmp_gt_i32 s51, 25
	s_cbranch_scc0 .LBB31_434
; %bb.420:
	s_cmp_gt_i32 s51, 28
	s_cbranch_scc0 .LBB31_436
; %bb.421:
	;; [unrolled: 3-line block ×4, first 2 shown]
	s_cmp_eq_u32 s51, 46
	s_mov_b64 s[48:49], 0
	s_cbranch_scc0 .LBB31_444
; %bb.424:
	global_load_dword v1, v[4:5], off
	s_mov_b64 s[0:1], -1
	s_mov_b64 s[46:47], 0
	s_waitcnt vmcnt(0)
	v_lshlrev_b32_e32 v1, 16, v1
	v_cvt_i32_f32_e32 v1, v1
	s_branch .LBB31_445
.LBB31_425:
	s_mov_b64 s[0:1], 0
                                        ; implicit-def: $vgpr1
	s_mov_b64 s[46:47], s[42:43]
	s_cbranch_execnz .LBB31_507
.LBB31_426:
	s_andn2_b64 vcc, exec, s[0:1]
	s_cbranch_vccnz .LBB31_555
.LBB31_427:
	v_mov_b32_e32 v4, s13
	s_and_b32 s54, s71, 0xff
	s_waitcnt vmcnt(0)
	v_add_co_u32_e32 v2, vcc, s12, v3
	s_cmp_lt_i32 s54, 11
	v_addc_co_u32_e32 v3, vcc, 0, v4, vcc
	s_cbranch_scc1 .LBB31_435
; %bb.428:
	s_and_b32 s55, 0xffff, s54
	s_cmp_gt_i32 s55, 25
	s_cbranch_scc0 .LBB31_437
; %bb.429:
	s_cmp_gt_i32 s55, 28
	s_cbranch_scc0 .LBB31_439
; %bb.430:
	;; [unrolled: 3-line block ×4, first 2 shown]
	s_cmp_eq_u32 s55, 46
	s_mov_b64 s[50:51], 0
	s_cbranch_scc0 .LBB31_559
; %bb.433:
	global_load_dword v4, v[2:3], off
	s_mov_b64 s[0:1], -1
	s_mov_b64 s[48:49], 0
	s_waitcnt vmcnt(0)
	v_lshlrev_b32_e32 v4, 16, v4
	v_cvt_i32_f32_e32 v4, v4
	s_branch .LBB31_560
.LBB31_434:
	s_mov_b64 s[48:49], -1
	s_mov_b64 s[0:1], 0
	s_mov_b64 s[46:47], s[42:43]
                                        ; implicit-def: $vgpr1
	s_branch .LBB31_473
.LBB31_435:
	s_mov_b64 s[50:51], -1
	s_mov_b64 s[0:1], 0
                                        ; implicit-def: $vgpr4
	s_mov_b64 s[48:49], s[40:41]
	s_branch .LBB31_621
.LBB31_436:
	s_mov_b64 s[48:49], -1
	s_mov_b64 s[0:1], 0
	s_mov_b64 s[46:47], s[42:43]
                                        ; implicit-def: $vgpr1
	s_branch .LBB31_456
.LBB31_437:
	s_mov_b64 s[50:51], -1
	s_mov_b64 s[0:1], 0
	s_mov_b64 s[48:49], s[40:41]
                                        ; implicit-def: $vgpr4
	s_branch .LBB31_587
.LBB31_438:
	s_mov_b64 s[48:49], -1
	s_mov_b64 s[0:1], 0
	s_mov_b64 s[46:47], s[42:43]
                                        ; implicit-def: $vgpr1
	s_branch .LBB31_451
.LBB31_439:
	s_mov_b64 s[50:51], -1
	s_mov_b64 s[0:1], 0
	s_mov_b64 s[48:49], s[40:41]
                                        ; implicit-def: $vgpr4
	s_branch .LBB31_570
.LBB31_440:
	s_mov_b64 s[48:49], -1
	s_mov_b64 s[0:1], 0
	s_mov_b64 s[46:47], s[42:43]
                                        ; implicit-def: $vgpr1
	s_branch .LBB31_445
.LBB31_441:
	s_mov_b64 s[50:51], -1
	s_mov_b64 s[0:1], 0
	s_mov_b64 s[48:49], s[40:41]
                                        ; implicit-def: $vgpr4
	s_branch .LBB31_565
.LBB31_442:
	s_andn2_saveexec_b64 s[52:53], s[52:53]
	s_cbranch_execz .LBB31_203
.LBB31_443:
	v_add_f32_e32 v2, 0x46000000, v3
	v_and_b32_e32 v2, 0xff, v2
	v_cmp_ne_u32_e32 vcc, 0, v2
	s_andn2_b64 s[50:51], s[50:51], exec
	s_and_b64 s[56:57], vcc, exec
	s_or_b64 s[50:51], s[50:51], s[56:57]
	s_or_b64 exec, exec, s[52:53]
	v_mov_b32_e32 v4, 0
	s_and_saveexec_b64 s[52:53], s[50:51]
	s_cbranch_execnz .LBB31_204
	s_branch .LBB31_205
.LBB31_444:
	s_mov_b64 s[46:47], -1
                                        ; implicit-def: $vgpr1
	s_mov_b64 s[0:1], 0
.LBB31_445:
	s_and_b64 vcc, exec, s[48:49]
	s_cbranch_vccz .LBB31_450
; %bb.446:
	s_cmp_eq_u32 s51, 44
	s_cbranch_scc0 .LBB31_449
; %bb.447:
	global_load_ubyte v1, v[4:5], off
	s_mov_b64 s[0:1], -1
	s_mov_b64 s[46:47], 0
	s_waitcnt vmcnt(0)
	v_lshlrev_b32_e32 v2, 23, v1
	v_cvt_i32_f32_e32 v2, v2
	v_cmp_ne_u32_e32 vcc, 0, v1
	v_cndmask_b32_e32 v1, 0, v2, vcc
	s_branch .LBB31_450
.LBB31_448:
	s_mov_b64 s[50:51], -1
	s_mov_b64 s[0:1], 0
	s_mov_b64 s[48:49], s[40:41]
                                        ; implicit-def: $vgpr4
	s_branch .LBB31_560
.LBB31_449:
	s_mov_b64 s[46:47], -1
                                        ; implicit-def: $vgpr1
.LBB31_450:
	s_mov_b64 s[48:49], 0
.LBB31_451:
	s_and_b64 vcc, exec, s[48:49]
	s_cbranch_vccz .LBB31_455
; %bb.452:
	s_cmp_eq_u32 s51, 29
	s_cbranch_scc0 .LBB31_454
; %bb.453:
	global_load_dwordx2 v[1:2], v[4:5], off
	s_mov_b64 s[0:1], -1
	s_mov_b64 s[46:47], 0
	s_branch .LBB31_455
.LBB31_454:
	s_mov_b64 s[46:47], -1
                                        ; implicit-def: $vgpr1
.LBB31_455:
	s_mov_b64 s[48:49], 0
.LBB31_456:
	s_and_b64 vcc, exec, s[48:49]
	s_cbranch_vccz .LBB31_472
; %bb.457:
	s_cmp_lt_i32 s51, 27
	s_cbranch_scc1 .LBB31_460
; %bb.458:
	s_cmp_gt_i32 s51, 27
	s_cbranch_scc0 .LBB31_461
; %bb.459:
	global_load_dword v1, v[4:5], off
	s_mov_b64 s[0:1], 0
	s_branch .LBB31_462
.LBB31_460:
	s_mov_b64 s[0:1], -1
                                        ; implicit-def: $vgpr1
	s_branch .LBB31_465
.LBB31_461:
	s_mov_b64 s[0:1], -1
                                        ; implicit-def: $vgpr1
.LBB31_462:
	s_andn2_b64 vcc, exec, s[0:1]
	s_cbranch_vccnz .LBB31_464
; %bb.463:
	global_load_ushort v1, v[4:5], off
.LBB31_464:
	s_mov_b64 s[0:1], 0
.LBB31_465:
	s_andn2_b64 vcc, exec, s[0:1]
	s_cbranch_vccnz .LBB31_471
; %bb.466:
	global_load_ubyte v2, v[4:5], off
	s_movk_i32 s0, 0x7f
	s_mov_b64 s[48:49], 0
	s_waitcnt vmcnt(0)
	v_cmp_lt_i16_e32 vcc, s0, v2
	s_and_saveexec_b64 s[0:1], vcc
	s_xor_b64 s[0:1], exec, s[0:1]
	s_cbranch_execz .LBB31_483
; %bb.467:
	s_movk_i32 s48, 0x80
	v_cmp_ne_u16_e32 vcc, s48, v2
	s_and_b64 s[48:49], vcc, exec
	s_andn2_saveexec_b64 s[0:1], s[0:1]
	s_cbranch_execnz .LBB31_484
.LBB31_468:
	s_or_b64 exec, exec, s[0:1]
	v_mov_b32_e32 v1, 0
	s_and_saveexec_b64 s[0:1], s[48:49]
	s_cbranch_execz .LBB31_470
.LBB31_469:
	v_lshlrev_b32_e32 v1, 24, v2
	v_and_b32_e32 v2, 0xffff, v2
	v_and_b32_e32 v6, 7, v2
	v_ffbh_u32_e32 v9, v6
	v_min_u32_e32 v9, 32, v9
	v_subrev_u32_e32 v10, 28, v9
	v_bfe_u32 v7, v2, 3, 4
	v_lshlrev_b32_e32 v2, v10, v2
	v_sub_u32_e32 v9, 29, v9
	v_and_b32_e32 v2, 7, v2
	v_cmp_eq_u32_e32 vcc, 0, v7
	v_cndmask_b32_e32 v7, v7, v9, vcc
	v_cndmask_b32_e32 v2, v6, v2, vcc
	v_mov_b32_e32 v6, 0x3b800000
	v_lshlrev_b32_e32 v2, 20, v2
	v_and_b32_e32 v1, 0x80000000, v1
	v_lshl_add_u32 v6, v7, 23, v6
	v_or3_b32 v1, v1, v6, v2
	v_cvt_i32_f32_e32 v1, v1
.LBB31_470:
	s_or_b64 exec, exec, s[0:1]
.LBB31_471:
	s_mov_b64 s[0:1], -1
.LBB31_472:
	s_mov_b64 s[48:49], 0
.LBB31_473:
	s_and_b64 vcc, exec, s[48:49]
	s_cbranch_vccz .LBB31_506
; %bb.474:
	s_cmp_gt_i32 s51, 22
	s_cbranch_scc0 .LBB31_482
; %bb.475:
	s_cmp_lt_i32 s51, 24
	s_cbranch_scc1 .LBB31_485
; %bb.476:
	s_cmp_gt_i32 s51, 24
	s_cbranch_scc0 .LBB31_486
; %bb.477:
	global_load_ubyte v2, v[4:5], off
	s_movk_i32 s0, 0x7f
	s_mov_b64 s[48:49], 0
	s_waitcnt vmcnt(0)
	v_cmp_lt_i16_e32 vcc, s0, v2
	s_and_saveexec_b64 s[0:1], vcc
	s_xor_b64 s[0:1], exec, s[0:1]
	s_cbranch_execz .LBB31_498
; %bb.478:
	s_movk_i32 s48, 0x80
	v_cmp_ne_u16_e32 vcc, s48, v2
	s_and_b64 s[48:49], vcc, exec
	s_andn2_saveexec_b64 s[0:1], s[0:1]
	s_cbranch_execnz .LBB31_499
.LBB31_479:
	s_or_b64 exec, exec, s[0:1]
	v_mov_b32_e32 v1, 0
	s_and_saveexec_b64 s[0:1], s[48:49]
	s_cbranch_execz .LBB31_481
.LBB31_480:
	v_lshlrev_b32_e32 v1, 24, v2
	v_and_b32_e32 v2, 0xffff, v2
	v_and_b32_e32 v6, 3, v2
	v_ffbh_u32_e32 v9, v6
	v_min_u32_e32 v9, 32, v9
	v_subrev_u32_e32 v10, 29, v9
	v_bfe_u32 v7, v2, 2, 5
	v_lshlrev_b32_e32 v2, v10, v2
	v_sub_u32_e32 v9, 30, v9
	v_and_b32_e32 v2, 3, v2
	v_cmp_eq_u32_e32 vcc, 0, v7
	v_cndmask_b32_e32 v7, v7, v9, vcc
	v_cndmask_b32_e32 v2, v6, v2, vcc
	v_mov_b32_e32 v6, 0x37800000
	v_lshlrev_b32_e32 v2, 21, v2
	v_and_b32_e32 v1, 0x80000000, v1
	v_lshl_add_u32 v6, v7, 23, v6
	v_or3_b32 v1, v1, v6, v2
	v_cvt_i32_f32_e32 v1, v1
.LBB31_481:
	s_or_b64 exec, exec, s[0:1]
	s_mov_b64 s[0:1], 0
	s_branch .LBB31_487
.LBB31_482:
	s_mov_b64 s[48:49], -1
                                        ; implicit-def: $vgpr1
	s_branch .LBB31_493
.LBB31_483:
	s_andn2_saveexec_b64 s[0:1], s[0:1]
	s_cbranch_execz .LBB31_468
.LBB31_484:
	v_cmp_ne_u16_e32 vcc, 0, v2
	s_andn2_b64 s[48:49], s[48:49], exec
	s_and_b64 s[54:55], vcc, exec
	s_or_b64 s[48:49], s[48:49], s[54:55]
	s_or_b64 exec, exec, s[0:1]
	v_mov_b32_e32 v1, 0
	s_and_saveexec_b64 s[0:1], s[48:49]
	s_cbranch_execnz .LBB31_469
	s_branch .LBB31_470
.LBB31_485:
	s_mov_b64 s[0:1], -1
                                        ; implicit-def: $vgpr1
	s_branch .LBB31_490
.LBB31_486:
	s_mov_b64 s[0:1], -1
                                        ; implicit-def: $vgpr1
.LBB31_487:
	s_and_b64 vcc, exec, s[0:1]
	s_cbranch_vccz .LBB31_489
; %bb.488:
	global_load_ubyte v1, v[4:5], off
	s_mov_b32 s0, 0x7f800000
	s_waitcnt vmcnt(0)
	v_lshlrev_b32_e32 v1, 24, v1
	v_and_b32_e32 v2, 0x7f000000, v1
	v_ffbh_u32_e32 v6, v2
	v_min_u32_e32 v6, 32, v6
	v_sub_u32_e64 v6, v6, 4 clamp
	v_lshlrev_b32_e32 v9, v6, v2
	v_lshlrev_b32_e32 v6, 23, v6
	v_lshrrev_b32_e32 v9, 4, v9
	v_add_u32_e32 v7, 0x1000000, v2
	v_sub_u32_e32 v6, v9, v6
	v_ashrrev_i32_e32 v7, 8, v7
	v_add_u32_e32 v6, 0x3c000000, v6
	v_and_or_b32 v6, v7, s0, v6
	v_cmp_ne_u32_e32 vcc, 0, v2
	v_cndmask_b32_e32 v2, 0, v6, vcc
	s_brev_b32 s0, 1
	v_and_or_b32 v1, v1, s0, v2
	v_cvt_i32_f32_e32 v1, v1
.LBB31_489:
	s_mov_b64 s[0:1], 0
.LBB31_490:
	s_andn2_b64 vcc, exec, s[0:1]
	s_cbranch_vccnz .LBB31_492
; %bb.491:
	global_load_ubyte v1, v[4:5], off
	s_movk_i32 s0, 0x7f00
	s_brev_b32 s1, 16
	s_waitcnt vmcnt(0)
	v_lshlrev_b16_e32 v2, 8, v1
	v_lshlrev_b32_e32 v1, 25, v1
	v_lshrrev_b32_e32 v6, 4, v1
	v_and_or_b32 v7, v2, s0, 0.5
	v_or_b32_e32 v6, 0x70000000, v6
	v_add_f32_e32 v7, -0.5, v7
	v_mul_f32_e32 v6, 0x7800000, v6
	v_cmp_gt_u32_e32 vcc, s1, v1
	v_bfe_i32 v2, v2, 0, 16
	v_cndmask_b32_e32 v1, v6, v7, vcc
	s_brev_b32 s0, 1
	v_and_or_b32 v1, v2, s0, v1
	v_cvt_i32_f32_e32 v1, v1
.LBB31_492:
	s_mov_b64 s[48:49], 0
	s_mov_b64 s[0:1], -1
.LBB31_493:
	s_andn2_b64 vcc, exec, s[48:49]
	s_cbranch_vccnz .LBB31_506
; %bb.494:
	s_cmp_gt_i32 s51, 14
	s_cbranch_scc0 .LBB31_497
; %bb.495:
	s_cmp_eq_u32 s51, 15
	s_cbranch_scc0 .LBB31_500
; %bb.496:
	global_load_ushort v1, v[4:5], off
	s_mov_b64 s[0:1], -1
	s_mov_b64 s[46:47], 0
	s_waitcnt vmcnt(0)
	v_lshlrev_b32_e32 v1, 16, v1
	v_cvt_i32_f32_e32 v1, v1
	s_branch .LBB31_501
.LBB31_497:
	s_mov_b64 s[48:49], -1
                                        ; implicit-def: $vgpr1
	s_branch .LBB31_502
.LBB31_498:
	s_andn2_saveexec_b64 s[0:1], s[0:1]
	s_cbranch_execz .LBB31_479
.LBB31_499:
	v_cmp_ne_u16_e32 vcc, 0, v2
	s_andn2_b64 s[48:49], s[48:49], exec
	s_and_b64 s[54:55], vcc, exec
	s_or_b64 s[48:49], s[48:49], s[54:55]
	s_or_b64 exec, exec, s[0:1]
	v_mov_b32_e32 v1, 0
	s_and_saveexec_b64 s[0:1], s[48:49]
	s_cbranch_execnz .LBB31_480
	s_branch .LBB31_481
.LBB31_500:
	s_mov_b64 s[46:47], -1
                                        ; implicit-def: $vgpr1
.LBB31_501:
	s_mov_b64 s[48:49], 0
.LBB31_502:
	s_and_b64 vcc, exec, s[48:49]
	s_cbranch_vccz .LBB31_506
; %bb.503:
	s_cmp_eq_u32 s51, 11
	s_cbranch_scc0 .LBB31_505
; %bb.504:
	global_load_ubyte v1, v[4:5], off
	s_mov_b64 s[0:1], -1
	s_mov_b64 s[46:47], 0
	s_waitcnt vmcnt(0)
	v_cmp_ne_u16_e32 vcc, 0, v1
	v_cndmask_b32_e64 v1, 0, 1, vcc
	s_branch .LBB31_506
.LBB31_505:
	s_mov_b64 s[46:47], -1
                                        ; implicit-def: $vgpr1
.LBB31_506:
	s_branch .LBB31_426
.LBB31_507:
	s_and_b32 s48, 0xffff, s50
	s_cmp_lt_i32 s48, 5
	s_cbranch_scc1 .LBB31_512
; %bb.508:
	s_cmp_lt_i32 s48, 8
	s_cbranch_scc1 .LBB31_513
; %bb.509:
	;; [unrolled: 3-line block ×3, first 2 shown]
	s_cmp_gt_i32 s48, 9
	s_cbranch_scc0 .LBB31_515
; %bb.511:
	global_load_dwordx2 v[1:2], v[4:5], off
	s_mov_b64 s[0:1], 0
	s_waitcnt vmcnt(0)
	v_cvt_i32_f64_e32 v1, v[1:2]
	s_branch .LBB31_516
.LBB31_512:
	s_mov_b64 s[0:1], -1
                                        ; implicit-def: $vgpr1
	s_branch .LBB31_534
.LBB31_513:
	s_mov_b64 s[0:1], -1
                                        ; implicit-def: $vgpr1
	s_branch .LBB31_522
.LBB31_514:
	s_mov_b64 s[0:1], -1
                                        ; implicit-def: $vgpr1
	s_branch .LBB31_519
.LBB31_515:
	s_mov_b64 s[0:1], -1
                                        ; implicit-def: $vgpr1
.LBB31_516:
	s_andn2_b64 vcc, exec, s[0:1]
	s_cbranch_vccnz .LBB31_518
; %bb.517:
	global_load_dword v1, v[4:5], off
	s_waitcnt vmcnt(0)
	v_cvt_i32_f32_e32 v1, v1
.LBB31_518:
	s_mov_b64 s[0:1], 0
.LBB31_519:
	s_andn2_b64 vcc, exec, s[0:1]
	s_cbranch_vccnz .LBB31_521
; %bb.520:
	global_load_dword v1, v[4:5], off
	s_waitcnt vmcnt(0)
	v_cvt_i16_f16_e32 v1, v1
.LBB31_521:
	s_mov_b64 s[0:1], 0
.LBB31_522:
	s_andn2_b64 vcc, exec, s[0:1]
	s_cbranch_vccnz .LBB31_533
; %bb.523:
	s_cmp_lt_i32 s48, 6
	s_cbranch_scc1 .LBB31_526
; %bb.524:
	s_cmp_gt_i32 s48, 6
	s_cbranch_scc0 .LBB31_527
; %bb.525:
	global_load_dwordx2 v[1:2], v[4:5], off
	s_mov_b64 s[0:1], 0
	s_waitcnt vmcnt(0)
	v_cvt_i32_f64_e32 v1, v[1:2]
	s_branch .LBB31_528
.LBB31_526:
	s_mov_b64 s[0:1], -1
                                        ; implicit-def: $vgpr1
	s_branch .LBB31_531
.LBB31_527:
	s_mov_b64 s[0:1], -1
                                        ; implicit-def: $vgpr1
.LBB31_528:
	s_andn2_b64 vcc, exec, s[0:1]
	s_cbranch_vccnz .LBB31_530
; %bb.529:
	global_load_dword v1, v[4:5], off
	s_waitcnt vmcnt(0)
	v_cvt_i32_f32_e32 v1, v1
.LBB31_530:
	s_mov_b64 s[0:1], 0
.LBB31_531:
	s_andn2_b64 vcc, exec, s[0:1]
	s_cbranch_vccnz .LBB31_533
; %bb.532:
	global_load_ushort v1, v[4:5], off
	s_waitcnt vmcnt(0)
	v_cvt_i16_f16_e32 v1, v1
.LBB31_533:
	s_mov_b64 s[0:1], 0
.LBB31_534:
	s_andn2_b64 vcc, exec, s[0:1]
	s_cbranch_vccnz .LBB31_554
; %bb.535:
	s_cmp_lt_i32 s48, 2
	s_cbranch_scc1 .LBB31_539
; %bb.536:
	s_cmp_lt_i32 s48, 3
	s_cbranch_scc1 .LBB31_540
; %bb.537:
	s_cmp_gt_i32 s48, 3
	s_cbranch_scc0 .LBB31_541
; %bb.538:
	global_load_dwordx2 v[1:2], v[4:5], off
	s_mov_b64 s[0:1], 0
	s_branch .LBB31_542
.LBB31_539:
	s_mov_b64 s[0:1], -1
                                        ; implicit-def: $vgpr1
	s_branch .LBB31_548
.LBB31_540:
	s_mov_b64 s[0:1], -1
                                        ; implicit-def: $vgpr1
	s_branch .LBB31_545
.LBB31_541:
	s_mov_b64 s[0:1], -1
                                        ; implicit-def: $vgpr1
.LBB31_542:
	s_andn2_b64 vcc, exec, s[0:1]
	s_cbranch_vccnz .LBB31_544
; %bb.543:
	global_load_dword v1, v[4:5], off
.LBB31_544:
	s_mov_b64 s[0:1], 0
.LBB31_545:
	s_andn2_b64 vcc, exec, s[0:1]
	s_cbranch_vccnz .LBB31_547
; %bb.546:
	global_load_ushort v1, v[4:5], off
.LBB31_547:
	s_mov_b64 s[0:1], 0
.LBB31_548:
	s_andn2_b64 vcc, exec, s[0:1]
	s_cbranch_vccnz .LBB31_554
; %bb.549:
	s_cmp_gt_i32 s48, 0
	s_cbranch_scc0 .LBB31_551
; %bb.550:
	global_load_ubyte v1, v[4:5], off
	s_mov_b64 s[0:1], 0
	s_branch .LBB31_552
.LBB31_551:
	s_mov_b64 s[0:1], -1
                                        ; implicit-def: $vgpr1
.LBB31_552:
	s_andn2_b64 vcc, exec, s[0:1]
	s_cbranch_vccnz .LBB31_554
; %bb.553:
	global_load_ubyte v1, v[4:5], off
.LBB31_554:
	s_branch .LBB31_427
.LBB31_555:
	s_mov_b64 s[54:55], 0
	s_mov_b64 s[0:1], s[38:39]
	s_mov_b64 s[48:49], s[40:41]
.LBB31_556:
                                        ; implicit-def: $vgpr8
	s_branch .LBB31_811
.LBB31_557:
	s_andn2_saveexec_b64 s[52:53], s[52:53]
	s_cbranch_execz .LBB31_216
.LBB31_558:
	v_add_f32_e32 v2, 0x42800000, v3
	v_and_b32_e32 v2, 0xff, v2
	v_cmp_ne_u32_e32 vcc, 0, v2
	s_andn2_b64 s[50:51], s[50:51], exec
	s_and_b64 s[56:57], vcc, exec
	s_or_b64 s[50:51], s[50:51], s[56:57]
	s_or_b64 exec, exec, s[52:53]
	v_mov_b32_e32 v4, 0
	s_and_saveexec_b64 s[52:53], s[50:51]
	s_cbranch_execnz .LBB31_217
	s_branch .LBB31_218
.LBB31_559:
	s_mov_b64 s[48:49], -1
                                        ; implicit-def: $vgpr4
	s_mov_b64 s[0:1], 0
.LBB31_560:
	s_and_b64 vcc, exec, s[50:51]
	s_cbranch_vccz .LBB31_564
; %bb.561:
	s_cmp_eq_u32 s55, 44
	s_cbranch_scc0 .LBB31_563
; %bb.562:
	global_load_ubyte v4, v[2:3], off
	s_mov_b64 s[0:1], -1
	s_mov_b64 s[48:49], 0
	s_waitcnt vmcnt(0)
	v_lshlrev_b32_e32 v5, 23, v4
	v_cvt_i32_f32_e32 v5, v5
	v_cmp_ne_u32_e32 vcc, 0, v4
	v_cndmask_b32_e32 v4, 0, v5, vcc
	s_branch .LBB31_564
.LBB31_563:
	s_mov_b64 s[48:49], -1
                                        ; implicit-def: $vgpr4
.LBB31_564:
	s_mov_b64 s[50:51], 0
.LBB31_565:
	s_and_b64 vcc, exec, s[50:51]
	s_cbranch_vccz .LBB31_569
; %bb.566:
	s_cmp_eq_u32 s55, 29
	s_cbranch_scc0 .LBB31_568
; %bb.567:
	global_load_dwordx2 v[4:5], v[2:3], off
	s_mov_b64 s[0:1], -1
	s_mov_b64 s[48:49], 0
	s_branch .LBB31_569
.LBB31_568:
	s_mov_b64 s[48:49], -1
                                        ; implicit-def: $vgpr4
.LBB31_569:
	s_mov_b64 s[50:51], 0
.LBB31_570:
	s_and_b64 vcc, exec, s[50:51]
	s_cbranch_vccz .LBB31_586
; %bb.571:
	s_cmp_lt_i32 s55, 27
	s_cbranch_scc1 .LBB31_574
; %bb.572:
	s_cmp_gt_i32 s55, 27
	s_cbranch_scc0 .LBB31_575
; %bb.573:
	global_load_dword v4, v[2:3], off
	s_mov_b64 s[0:1], 0
	s_branch .LBB31_576
.LBB31_574:
	s_mov_b64 s[0:1], -1
                                        ; implicit-def: $vgpr4
	s_branch .LBB31_579
.LBB31_575:
	s_mov_b64 s[0:1], -1
                                        ; implicit-def: $vgpr4
.LBB31_576:
	s_andn2_b64 vcc, exec, s[0:1]
	s_cbranch_vccnz .LBB31_578
; %bb.577:
	global_load_ushort v4, v[2:3], off
.LBB31_578:
	s_mov_b64 s[0:1], 0
.LBB31_579:
	s_andn2_b64 vcc, exec, s[0:1]
	s_cbranch_vccnz .LBB31_585
; %bb.580:
	global_load_ubyte v5, v[2:3], off
	s_movk_i32 s0, 0x7f
	s_mov_b64 s[50:51], 0
	s_waitcnt vmcnt(0)
	v_cmp_lt_i16_e32 vcc, s0, v5
	s_and_saveexec_b64 s[0:1], vcc
	s_xor_b64 s[0:1], exec, s[0:1]
	s_cbranch_execz .LBB31_597
; %bb.581:
	s_movk_i32 s50, 0x80
	v_cmp_ne_u16_e32 vcc, s50, v5
	s_and_b64 s[50:51], vcc, exec
	s_andn2_saveexec_b64 s[0:1], s[0:1]
	s_cbranch_execnz .LBB31_598
.LBB31_582:
	s_or_b64 exec, exec, s[0:1]
	v_mov_b32_e32 v4, 0
	s_and_saveexec_b64 s[0:1], s[50:51]
	s_cbranch_execz .LBB31_584
.LBB31_583:
	v_lshlrev_b32_e32 v4, 24, v5
	v_and_b32_e32 v5, 0xffff, v5
	v_and_b32_e32 v6, 7, v5
	v_ffbh_u32_e32 v9, v6
	v_min_u32_e32 v9, 32, v9
	v_subrev_u32_e32 v10, 28, v9
	v_bfe_u32 v7, v5, 3, 4
	v_lshlrev_b32_e32 v5, v10, v5
	v_sub_u32_e32 v9, 29, v9
	v_and_b32_e32 v5, 7, v5
	v_cmp_eq_u32_e32 vcc, 0, v7
	v_cndmask_b32_e32 v7, v7, v9, vcc
	v_cndmask_b32_e32 v5, v6, v5, vcc
	v_mov_b32_e32 v6, 0x3b800000
	v_lshlrev_b32_e32 v5, 20, v5
	v_and_b32_e32 v4, 0x80000000, v4
	v_lshl_add_u32 v6, v7, 23, v6
	v_or3_b32 v4, v4, v6, v5
	v_cvt_i32_f32_e32 v4, v4
.LBB31_584:
	s_or_b64 exec, exec, s[0:1]
.LBB31_585:
	s_mov_b64 s[0:1], -1
.LBB31_586:
	s_mov_b64 s[50:51], 0
.LBB31_587:
	s_and_b64 vcc, exec, s[50:51]
	s_cbranch_vccz .LBB31_620
; %bb.588:
	s_cmp_gt_i32 s55, 22
	s_cbranch_scc0 .LBB31_596
; %bb.589:
	s_cmp_lt_i32 s55, 24
	s_cbranch_scc1 .LBB31_599
; %bb.590:
	s_cmp_gt_i32 s55, 24
	s_cbranch_scc0 .LBB31_600
; %bb.591:
	global_load_ubyte v5, v[2:3], off
	s_movk_i32 s0, 0x7f
	s_mov_b64 s[50:51], 0
	s_waitcnt vmcnt(0)
	v_cmp_lt_i16_e32 vcc, s0, v5
	s_and_saveexec_b64 s[0:1], vcc
	s_xor_b64 s[0:1], exec, s[0:1]
	s_cbranch_execz .LBB31_612
; %bb.592:
	s_movk_i32 s50, 0x80
	v_cmp_ne_u16_e32 vcc, s50, v5
	s_and_b64 s[50:51], vcc, exec
	s_andn2_saveexec_b64 s[0:1], s[0:1]
	s_cbranch_execnz .LBB31_613
.LBB31_593:
	s_or_b64 exec, exec, s[0:1]
	v_mov_b32_e32 v4, 0
	s_and_saveexec_b64 s[0:1], s[50:51]
	s_cbranch_execz .LBB31_595
.LBB31_594:
	v_lshlrev_b32_e32 v4, 24, v5
	v_and_b32_e32 v5, 0xffff, v5
	v_and_b32_e32 v6, 3, v5
	v_ffbh_u32_e32 v9, v6
	v_min_u32_e32 v9, 32, v9
	v_subrev_u32_e32 v10, 29, v9
	v_bfe_u32 v7, v5, 2, 5
	v_lshlrev_b32_e32 v5, v10, v5
	v_sub_u32_e32 v9, 30, v9
	v_and_b32_e32 v5, 3, v5
	v_cmp_eq_u32_e32 vcc, 0, v7
	v_cndmask_b32_e32 v7, v7, v9, vcc
	v_cndmask_b32_e32 v5, v6, v5, vcc
	v_mov_b32_e32 v6, 0x37800000
	v_lshlrev_b32_e32 v5, 21, v5
	v_and_b32_e32 v4, 0x80000000, v4
	v_lshl_add_u32 v6, v7, 23, v6
	v_or3_b32 v4, v4, v6, v5
	v_cvt_i32_f32_e32 v4, v4
.LBB31_595:
	s_or_b64 exec, exec, s[0:1]
	s_mov_b64 s[0:1], 0
	s_branch .LBB31_601
.LBB31_596:
	s_mov_b64 s[50:51], -1
                                        ; implicit-def: $vgpr4
	s_branch .LBB31_607
.LBB31_597:
	s_andn2_saveexec_b64 s[0:1], s[0:1]
	s_cbranch_execz .LBB31_582
.LBB31_598:
	v_cmp_ne_u16_e32 vcc, 0, v5
	s_andn2_b64 s[50:51], s[50:51], exec
	s_and_b64 s[56:57], vcc, exec
	s_or_b64 s[50:51], s[50:51], s[56:57]
	s_or_b64 exec, exec, s[0:1]
	v_mov_b32_e32 v4, 0
	s_and_saveexec_b64 s[0:1], s[50:51]
	s_cbranch_execnz .LBB31_583
	s_branch .LBB31_584
.LBB31_599:
	s_mov_b64 s[0:1], -1
                                        ; implicit-def: $vgpr4
	s_branch .LBB31_604
.LBB31_600:
	s_mov_b64 s[0:1], -1
                                        ; implicit-def: $vgpr4
.LBB31_601:
	s_and_b64 vcc, exec, s[0:1]
	s_cbranch_vccz .LBB31_603
; %bb.602:
	global_load_ubyte v4, v[2:3], off
	s_mov_b32 s0, 0x7f800000
	s_waitcnt vmcnt(0)
	v_lshlrev_b32_e32 v4, 24, v4
	v_and_b32_e32 v5, 0x7f000000, v4
	v_ffbh_u32_e32 v6, v5
	v_min_u32_e32 v6, 32, v6
	v_sub_u32_e64 v6, v6, 4 clamp
	v_lshlrev_b32_e32 v9, v6, v5
	v_lshlrev_b32_e32 v6, 23, v6
	v_lshrrev_b32_e32 v9, 4, v9
	v_add_u32_e32 v7, 0x1000000, v5
	v_sub_u32_e32 v6, v9, v6
	v_ashrrev_i32_e32 v7, 8, v7
	v_add_u32_e32 v6, 0x3c000000, v6
	v_and_or_b32 v6, v7, s0, v6
	v_cmp_ne_u32_e32 vcc, 0, v5
	v_cndmask_b32_e32 v5, 0, v6, vcc
	s_brev_b32 s0, 1
	v_and_or_b32 v4, v4, s0, v5
	v_cvt_i32_f32_e32 v4, v4
.LBB31_603:
	s_mov_b64 s[0:1], 0
.LBB31_604:
	s_andn2_b64 vcc, exec, s[0:1]
	s_cbranch_vccnz .LBB31_606
; %bb.605:
	global_load_ubyte v4, v[2:3], off
	s_movk_i32 s0, 0x7f00
	s_brev_b32 s1, 16
	s_waitcnt vmcnt(0)
	v_lshlrev_b16_e32 v5, 8, v4
	v_lshlrev_b32_e32 v4, 25, v4
	v_lshrrev_b32_e32 v6, 4, v4
	v_and_or_b32 v7, v5, s0, 0.5
	v_or_b32_e32 v6, 0x70000000, v6
	v_add_f32_e32 v7, -0.5, v7
	v_mul_f32_e32 v6, 0x7800000, v6
	v_cmp_gt_u32_e32 vcc, s1, v4
	v_bfe_i32 v5, v5, 0, 16
	v_cndmask_b32_e32 v4, v6, v7, vcc
	s_brev_b32 s0, 1
	v_and_or_b32 v4, v5, s0, v4
	v_cvt_i32_f32_e32 v4, v4
.LBB31_606:
	s_mov_b64 s[50:51], 0
	s_mov_b64 s[0:1], -1
.LBB31_607:
	s_andn2_b64 vcc, exec, s[50:51]
	s_cbranch_vccnz .LBB31_620
; %bb.608:
	s_cmp_gt_i32 s55, 14
	s_cbranch_scc0 .LBB31_611
; %bb.609:
	s_cmp_eq_u32 s55, 15
	s_cbranch_scc0 .LBB31_614
; %bb.610:
	global_load_ushort v4, v[2:3], off
	s_mov_b64 s[0:1], -1
	s_mov_b64 s[48:49], 0
	s_waitcnt vmcnt(0)
	v_lshlrev_b32_e32 v4, 16, v4
	v_cvt_i32_f32_e32 v4, v4
	s_branch .LBB31_615
.LBB31_611:
	s_mov_b64 s[50:51], -1
                                        ; implicit-def: $vgpr4
	s_branch .LBB31_616
.LBB31_612:
	s_andn2_saveexec_b64 s[0:1], s[0:1]
	s_cbranch_execz .LBB31_593
.LBB31_613:
	v_cmp_ne_u16_e32 vcc, 0, v5
	s_andn2_b64 s[50:51], s[50:51], exec
	s_and_b64 s[56:57], vcc, exec
	s_or_b64 s[50:51], s[50:51], s[56:57]
	s_or_b64 exec, exec, s[0:1]
	v_mov_b32_e32 v4, 0
	s_and_saveexec_b64 s[0:1], s[50:51]
	s_cbranch_execnz .LBB31_594
	s_branch .LBB31_595
.LBB31_614:
	s_mov_b64 s[48:49], -1
                                        ; implicit-def: $vgpr4
.LBB31_615:
	s_mov_b64 s[50:51], 0
.LBB31_616:
	s_and_b64 vcc, exec, s[50:51]
	s_cbranch_vccz .LBB31_620
; %bb.617:
	s_cmp_eq_u32 s55, 11
	s_cbranch_scc0 .LBB31_619
; %bb.618:
	global_load_ubyte v4, v[2:3], off
	s_mov_b64 s[0:1], -1
	s_mov_b64 s[48:49], 0
	s_waitcnt vmcnt(0)
	v_cmp_ne_u16_e32 vcc, 0, v4
	v_cndmask_b32_e64 v4, 0, 1, vcc
	s_branch .LBB31_620
.LBB31_619:
	s_mov_b64 s[48:49], -1
                                        ; implicit-def: $vgpr4
.LBB31_620:
	s_mov_b64 s[50:51], 0
.LBB31_621:
	s_and_b64 vcc, exec, s[50:51]
	s_cbranch_vccz .LBB31_670
; %bb.622:
	s_and_b32 s50, 0xffff, s54
	s_cmp_lt_i32 s50, 5
	s_cbranch_scc1 .LBB31_627
; %bb.623:
	s_cmp_lt_i32 s50, 8
	s_cbranch_scc1 .LBB31_628
; %bb.624:
	;; [unrolled: 3-line block ×3, first 2 shown]
	s_cmp_gt_i32 s50, 9
	s_cbranch_scc0 .LBB31_630
; %bb.626:
	global_load_dwordx2 v[4:5], v[2:3], off
	s_mov_b64 s[0:1], 0
	s_waitcnt vmcnt(0)
	v_cvt_i32_f64_e32 v4, v[4:5]
	s_branch .LBB31_631
.LBB31_627:
	s_mov_b64 s[0:1], -1
                                        ; implicit-def: $vgpr4
	s_branch .LBB31_649
.LBB31_628:
	s_mov_b64 s[0:1], -1
                                        ; implicit-def: $vgpr4
	s_branch .LBB31_637
.LBB31_629:
	s_mov_b64 s[0:1], -1
                                        ; implicit-def: $vgpr4
	s_branch .LBB31_634
.LBB31_630:
	s_mov_b64 s[0:1], -1
                                        ; implicit-def: $vgpr4
.LBB31_631:
	s_andn2_b64 vcc, exec, s[0:1]
	s_cbranch_vccnz .LBB31_633
; %bb.632:
	global_load_dword v4, v[2:3], off
	s_waitcnt vmcnt(0)
	v_cvt_i32_f32_e32 v4, v4
.LBB31_633:
	s_mov_b64 s[0:1], 0
.LBB31_634:
	s_andn2_b64 vcc, exec, s[0:1]
	s_cbranch_vccnz .LBB31_636
; %bb.635:
	global_load_dword v4, v[2:3], off
	s_waitcnt vmcnt(0)
	v_cvt_i16_f16_e32 v4, v4
.LBB31_636:
	s_mov_b64 s[0:1], 0
.LBB31_637:
	s_andn2_b64 vcc, exec, s[0:1]
	s_cbranch_vccnz .LBB31_648
; %bb.638:
	s_cmp_lt_i32 s50, 6
	s_cbranch_scc1 .LBB31_641
; %bb.639:
	s_cmp_gt_i32 s50, 6
	s_cbranch_scc0 .LBB31_642
; %bb.640:
	global_load_dwordx2 v[4:5], v[2:3], off
	s_mov_b64 s[0:1], 0
	s_waitcnt vmcnt(0)
	v_cvt_i32_f64_e32 v4, v[4:5]
	s_branch .LBB31_643
.LBB31_641:
	s_mov_b64 s[0:1], -1
                                        ; implicit-def: $vgpr4
	s_branch .LBB31_646
.LBB31_642:
	s_mov_b64 s[0:1], -1
                                        ; implicit-def: $vgpr4
.LBB31_643:
	s_andn2_b64 vcc, exec, s[0:1]
	s_cbranch_vccnz .LBB31_645
; %bb.644:
	global_load_dword v4, v[2:3], off
	s_waitcnt vmcnt(0)
	v_cvt_i32_f32_e32 v4, v4
.LBB31_645:
	s_mov_b64 s[0:1], 0
.LBB31_646:
	s_andn2_b64 vcc, exec, s[0:1]
	s_cbranch_vccnz .LBB31_648
; %bb.647:
	global_load_ushort v4, v[2:3], off
	s_waitcnt vmcnt(0)
	v_cvt_i16_f16_e32 v4, v4
.LBB31_648:
	s_mov_b64 s[0:1], 0
.LBB31_649:
	s_andn2_b64 vcc, exec, s[0:1]
	s_cbranch_vccnz .LBB31_669
; %bb.650:
	s_cmp_lt_i32 s50, 2
	s_cbranch_scc1 .LBB31_654
; %bb.651:
	s_cmp_lt_i32 s50, 3
	s_cbranch_scc1 .LBB31_655
; %bb.652:
	s_cmp_gt_i32 s50, 3
	s_cbranch_scc0 .LBB31_656
; %bb.653:
	global_load_dwordx2 v[4:5], v[2:3], off
	s_mov_b64 s[0:1], 0
	s_branch .LBB31_657
.LBB31_654:
	s_mov_b64 s[0:1], -1
                                        ; implicit-def: $vgpr4
	s_branch .LBB31_663
.LBB31_655:
	s_mov_b64 s[0:1], -1
                                        ; implicit-def: $vgpr4
	s_branch .LBB31_660
.LBB31_656:
	s_mov_b64 s[0:1], -1
                                        ; implicit-def: $vgpr4
.LBB31_657:
	s_andn2_b64 vcc, exec, s[0:1]
	s_cbranch_vccnz .LBB31_659
; %bb.658:
	global_load_dword v4, v[2:3], off
.LBB31_659:
	s_mov_b64 s[0:1], 0
.LBB31_660:
	s_andn2_b64 vcc, exec, s[0:1]
	s_cbranch_vccnz .LBB31_662
; %bb.661:
	global_load_ushort v4, v[2:3], off
.LBB31_662:
	s_mov_b64 s[0:1], 0
.LBB31_663:
	s_andn2_b64 vcc, exec, s[0:1]
	s_cbranch_vccnz .LBB31_669
; %bb.664:
	s_cmp_gt_i32 s50, 0
	s_cbranch_scc0 .LBB31_666
; %bb.665:
	global_load_ubyte v4, v[2:3], off
	s_mov_b64 s[0:1], 0
	s_branch .LBB31_667
.LBB31_666:
	s_mov_b64 s[0:1], -1
                                        ; implicit-def: $vgpr4
.LBB31_667:
	s_andn2_b64 vcc, exec, s[0:1]
	s_cbranch_vccnz .LBB31_669
; %bb.668:
	global_load_ubyte v4, v[2:3], off
.LBB31_669:
	s_mov_b64 s[0:1], -1
.LBB31_670:
	s_andn2_b64 vcc, exec, s[0:1]
	s_cbranch_vccnz .LBB31_675
; %bb.671:
	s_cmp_lt_i32 s14, 1
	s_mov_b64 s[0:1], 0
	s_cbranch_scc1 .LBB31_676
; %bb.672:
	s_cmp_gt_i32 s14, 1
	s_cbranch_scc0 .LBB31_677
; %bb.673:
	s_cmp_eq_u32 s14, 2
	s_cbranch_scc0 .LBB31_678
; %bb.674:
	s_waitcnt vmcnt(0)
	v_cmp_le_i16_sdwa s[50:51], sext(v1), sext(v4) src0_sel:BYTE_0 src1_sel:BYTE_0
	s_mov_b64 s[54:55], 0
	s_branch .LBB31_679
.LBB31_675:
	s_mov_b64 s[54:55], 0
                                        ; implicit-def: $vgpr8
	s_mov_b64 s[0:1], s[38:39]
	s_branch .LBB31_811
.LBB31_676:
	s_mov_b64 s[56:57], -1
                                        ; implicit-def: $sgpr50_sgpr51
	s_mov_b64 s[54:55], 0
	s_branch .LBB31_683
.LBB31_677:
	s_mov_b64 s[56:57], -1
	s_mov_b64 s[54:55], 0
                                        ; implicit-def: $sgpr50_sgpr51
	s_branch .LBB31_680
.LBB31_678:
	s_mov_b64 s[54:55], -1
                                        ; implicit-def: $sgpr50_sgpr51
.LBB31_679:
	s_mov_b64 s[56:57], 0
.LBB31_680:
	s_and_b64 vcc, exec, s[56:57]
	s_cbranch_vccz .LBB31_682
; %bb.681:
	s_waitcnt vmcnt(0)
	v_cmp_gt_i16_sdwa s[56:57], sext(v1), sext(v4) src0_sel:BYTE_0 src1_sel:BYTE_0
	s_andn2_b64 s[50:51], s[50:51], exec
	s_and_b64 s[56:57], s[56:57], exec
	s_or_b64 s[50:51], s[50:51], s[56:57]
.LBB31_682:
	s_mov_b64 s[56:57], 0
.LBB31_683:
	s_and_b64 vcc, exec, s[56:57]
	s_cbranch_vccz .LBB31_694
; %bb.684:
	s_cmp_lg_u32 s14, 0
	s_mov_b64 s[0:1], -1
	s_cselect_b64 s[54:55], -1, 0
	s_andn2_b64 vcc, exec, s[54:55]
	s_cbranch_vccz .LBB31_695
.LBB31_685:
	s_andn2_b64 vcc, exec, s[0:1]
	s_cbranch_vccnz .LBB31_687
.LBB31_686:
	s_waitcnt vmcnt(0)
	v_cmp_ge_i16_sdwa s[0:1], sext(v1), sext(v4) src0_sel:BYTE_0 src1_sel:BYTE_0
	s_andn2_b64 s[50:51], s[50:51], exec
	s_and_b64 s[0:1], s[0:1], exec
	s_or_b64 s[50:51], s[50:51], s[0:1]
.LBB31_687:
	v_mov_b32_e32 v1, s9
	s_and_b32 s60, s15, 0xff
	v_add_co_u32_e32 v0, vcc, s8, v0
	s_cmp_lt_i32 s60, 11
	v_addc_co_u32_e32 v1, vcc, 0, v1, vcc
	s_cbranch_scc1 .LBB31_696
; %bb.688:
	s_and_b32 s61, 0xffff, s60
	s_cmp_gt_i32 s61, 25
	s_cbranch_scc0 .LBB31_697
; %bb.689:
	s_cmp_gt_i32 s61, 28
	s_cbranch_scc0 .LBB31_698
; %bb.690:
	;; [unrolled: 3-line block ×4, first 2 shown]
	s_mov_b64 s[56:57], 0
	s_mov_b64 s[0:1], -1
	s_cmp_eq_u32 s61, 46
	s_mov_b64 s[54:55], 0
	s_cbranch_scc0 .LBB31_701
; %bb.693:
	v_cndmask_b32_e64 v2, 0, 1.0, s[50:51]
	v_bfe_u32 v3, v2, 16, 1
	s_movk_i32 s0, 0x7fff
	v_add3_u32 v2, v2, v3, s0
	v_lshrrev_b32_e32 v2, 16, v2
	global_store_dword v[0:1], v2, off
	s_mov_b64 s[54:55], -1
	s_mov_b64 s[0:1], 0
	s_branch .LBB31_701
.LBB31_694:
	s_andn2_b64 vcc, exec, s[54:55]
	s_cbranch_vccnz .LBB31_685
.LBB31_695:
	s_waitcnt vmcnt(0)
	v_cmp_lt_i16_sdwa s[54:55], sext(v1), sext(v4) src0_sel:BYTE_0 src1_sel:BYTE_0
	s_andn2_b64 s[50:51], s[50:51], exec
	s_and_b64 s[54:55], s[54:55], exec
	s_or_b64 s[50:51], s[50:51], s[54:55]
	s_cbranch_execz .LBB31_686
	s_branch .LBB31_687
.LBB31_696:
	s_mov_b64 s[56:57], -1
	s_mov_b64 s[54:55], 0
	s_mov_b64 s[0:1], s[38:39]
	s_branch .LBB31_770
.LBB31_697:
	s_mov_b64 s[56:57], -1
	s_mov_b64 s[54:55], 0
	s_mov_b64 s[0:1], s[38:39]
	s_branch .LBB31_728
.LBB31_698:
	s_mov_b64 s[56:57], -1
	s_mov_b64 s[54:55], 0
	s_mov_b64 s[0:1], s[38:39]
	s_branch .LBB31_711
.LBB31_699:
	s_mov_b64 s[56:57], -1
	s_mov_b64 s[54:55], 0
	s_mov_b64 s[0:1], s[38:39]
	s_branch .LBB31_707
.LBB31_700:
	s_mov_b64 s[56:57], -1
	s_mov_b64 s[54:55], 0
	s_mov_b64 s[0:1], s[38:39]
.LBB31_701:
	s_and_b64 vcc, exec, s[56:57]
	s_cbranch_vccz .LBB31_706
; %bb.702:
	s_cmp_eq_u32 s61, 44
	s_mov_b64 s[0:1], -1
	s_cbranch_scc0 .LBB31_706
; %bb.703:
	v_cndmask_b32_e64 v3, 0, 1.0, s[50:51]
	v_lshrrev_b32_e32 v2, 23, v3
	s_movk_i32 s0, 0xff
	v_cmp_ne_u32_e32 vcc, s0, v2
	s_waitcnt vmcnt(0)
	v_mov_b32_e32 v4, 0xff
	s_and_saveexec_b64 s[54:55], vcc
; %bb.704:
	s_mov_b32 s0, 0x3fffff
	v_and_b32_e32 v4, 0x400000, v3
	v_and_or_b32 v3, v3, s0, v2
	v_cmp_ne_u32_e32 vcc, 0, v4
	v_cmp_ne_u32_e64 s[0:1], 0, v3
	s_and_b64 s[0:1], vcc, s[0:1]
	v_cndmask_b32_e64 v3, 0, 1, s[0:1]
	v_add_u32_e32 v4, v2, v3
; %bb.705:
	s_or_b64 exec, exec, s[54:55]
	s_mov_b64 s[54:55], -1
	s_mov_b64 s[0:1], 0
	global_store_byte v[0:1], v4, off
.LBB31_706:
	s_mov_b64 s[56:57], 0
.LBB31_707:
	s_and_b64 vcc, exec, s[56:57]
	s_cbranch_vccz .LBB31_710
; %bb.708:
	s_cmp_eq_u32 s61, 29
	s_mov_b64 s[0:1], -1
	s_cbranch_scc0 .LBB31_710
; %bb.709:
	s_mov_b32 s0, 0
	v_cndmask_b32_e64 v2, 0, 1, s[50:51]
	v_mov_b32_e32 v3, s0
	global_store_dwordx2 v[0:1], v[2:3], off
	s_mov_b64 s[54:55], -1
	s_mov_b64 s[0:1], 0
.LBB31_710:
	s_mov_b64 s[56:57], 0
.LBB31_711:
	s_and_b64 vcc, exec, s[56:57]
	s_cbranch_vccz .LBB31_727
; %bb.712:
	s_cmp_lt_i32 s61, 27
	s_mov_b64 s[54:55], -1
	s_cbranch_scc1 .LBB31_718
; %bb.713:
	s_cmp_gt_i32 s61, 27
	s_cbranch_scc0 .LBB31_715
; %bb.714:
	v_cndmask_b32_e64 v2, 0, 1, s[50:51]
	s_mov_b64 s[54:55], 0
	global_store_dword v[0:1], v2, off
.LBB31_715:
	s_andn2_b64 vcc, exec, s[54:55]
	s_cbranch_vccnz .LBB31_717
; %bb.716:
	v_cndmask_b32_e64 v2, 0, 1, s[50:51]
	global_store_short v[0:1], v2, off
.LBB31_717:
	s_mov_b64 s[54:55], 0
.LBB31_718:
	s_andn2_b64 vcc, exec, s[54:55]
	s_cbranch_vccnz .LBB31_726
; %bb.719:
	v_cndmask_b32_e64 v3, 0, 1.0, s[50:51]
	s_mov_b32 s54, 0x43800000
	v_cmp_gt_u32_e32 vcc, s54, v3
	s_waitcnt vmcnt(0)
	v_mov_b32_e32 v4, 0x80
	s_and_saveexec_b64 s[54:55], vcc
	s_cbranch_execz .LBB31_725
; %bb.720:
	s_mov_b32 s56, 0x3bffffff
	v_cmp_lt_u32_e32 vcc, s56, v3
	s_mov_b64 s[56:57], 0
                                        ; implicit-def: $vgpr2
	s_and_saveexec_b64 s[58:59], vcc
	s_xor_b64 s[58:59], exec, s[58:59]
	s_cbranch_execz .LBB31_839
; %bb.721:
	v_bfe_u32 v2, v3, 20, 1
	s_mov_b32 s62, 0x487ffff
	v_add3_u32 v2, v3, v2, s62
	s_mov_b64 s[56:57], exec
	v_lshrrev_b32_e32 v2, 20, v2
                                        ; implicit-def: $vgpr3
	s_andn2_saveexec_b64 s[58:59], s[58:59]
	s_cbranch_execnz .LBB31_840
.LBB31_722:
	s_or_b64 exec, exec, s[58:59]
	v_mov_b32_e32 v4, 0
	s_and_saveexec_b64 s[58:59], s[56:57]
.LBB31_723:
	v_mov_b32_e32 v4, v2
.LBB31_724:
	s_or_b64 exec, exec, s[58:59]
.LBB31_725:
	s_or_b64 exec, exec, s[54:55]
	global_store_byte v[0:1], v4, off
.LBB31_726:
	s_mov_b64 s[54:55], -1
.LBB31_727:
	s_mov_b64 s[56:57], 0
.LBB31_728:
	s_and_b64 vcc, exec, s[56:57]
	s_cbranch_vccz .LBB31_769
; %bb.729:
	s_cmp_gt_i32 s61, 22
	s_mov_b64 s[56:57], -1
	s_cbranch_scc0 .LBB31_761
; %bb.730:
	s_cmp_lt_i32 s61, 24
	s_mov_b64 s[54:55], -1
	s_cbranch_scc1 .LBB31_750
; %bb.731:
	s_cmp_gt_i32 s61, 24
	s_cbranch_scc0 .LBB31_739
; %bb.732:
	v_cndmask_b32_e64 v3, 0, 1.0, s[50:51]
	s_mov_b32 s54, 0x47800000
	v_cmp_gt_u32_e32 vcc, s54, v3
	s_waitcnt vmcnt(0)
	v_mov_b32_e32 v4, 0x80
	s_and_saveexec_b64 s[54:55], vcc
	s_cbranch_execz .LBB31_738
; %bb.733:
	s_mov_b32 s56, 0x37ffffff
	v_cmp_lt_u32_e32 vcc, s56, v3
	s_mov_b64 s[56:57], 0
                                        ; implicit-def: $vgpr2
	s_and_saveexec_b64 s[58:59], vcc
	s_xor_b64 s[58:59], exec, s[58:59]
	s_cbranch_execz .LBB31_967
; %bb.734:
	v_bfe_u32 v2, v3, 21, 1
	s_mov_b32 s62, 0x88fffff
	v_add3_u32 v2, v3, v2, s62
	s_mov_b64 s[56:57], exec
	v_lshrrev_b32_e32 v2, 21, v2
                                        ; implicit-def: $vgpr3
	s_andn2_saveexec_b64 s[58:59], s[58:59]
	s_cbranch_execnz .LBB31_968
.LBB31_735:
	s_or_b64 exec, exec, s[58:59]
	v_mov_b32_e32 v4, 0
	s_and_saveexec_b64 s[58:59], s[56:57]
.LBB31_736:
	v_mov_b32_e32 v4, v2
.LBB31_737:
	s_or_b64 exec, exec, s[58:59]
.LBB31_738:
	s_or_b64 exec, exec, s[54:55]
	s_mov_b64 s[54:55], 0
	global_store_byte v[0:1], v4, off
.LBB31_739:
	s_and_b64 vcc, exec, s[54:55]
	s_cbranch_vccz .LBB31_749
; %bb.740:
	v_cndmask_b32_e64 v2, 0, 1.0, s[50:51]
	s_mov_b32 s54, 0x43f00000
	v_cmp_gt_u32_e32 vcc, s54, v2
                                        ; implicit-def: $vgpr3
	s_and_saveexec_b64 s[54:55], vcc
	s_xor_b64 s[54:55], exec, s[54:55]
	s_cbranch_execz .LBB31_746
; %bb.741:
	s_mov_b32 s56, 0x3c7fffff
	v_cmp_lt_u32_e32 vcc, s56, v2
                                        ; implicit-def: $vgpr3
	s_and_saveexec_b64 s[56:57], vcc
	s_xor_b64 s[56:57], exec, s[56:57]
	s_cbranch_execz .LBB31_743
; %bb.742:
	v_bfe_u32 v3, v2, 20, 1
	s_mov_b32 s58, 0x407ffff
	v_add3_u32 v2, v2, v3, s58
	v_lshrrev_b32_e32 v3, 20, v2
	v_and_b32_e32 v2, 0xff00000, v2
	s_mov_b32 s58, 0x7f00000
	s_waitcnt vmcnt(0)
	v_mov_b32_e32 v4, 0x7e
	v_cmp_ne_u32_e32 vcc, s58, v2
	v_cndmask_b32_e32 v3, v4, v3, vcc
                                        ; implicit-def: $vgpr2
.LBB31_743:
	s_andn2_saveexec_b64 s[56:57], s[56:57]
; %bb.744:
	v_add_f32_e32 v3, 0x46800000, v2
; %bb.745:
	s_or_b64 exec, exec, s[56:57]
                                        ; implicit-def: $vgpr2
.LBB31_746:
	s_andn2_saveexec_b64 s[54:55], s[54:55]
	s_cbranch_execz .LBB31_748
; %bb.747:
	s_mov_b32 s56, 0x7f800000
	v_mov_b32_e32 v3, 0x7e
	s_waitcnt vmcnt(0)
	v_mov_b32_e32 v4, 0x7f
	v_cmp_lt_u32_e32 vcc, s56, v2
	v_cndmask_b32_e32 v3, v3, v4, vcc
.LBB31_748:
	s_or_b64 exec, exec, s[54:55]
	global_store_byte v[0:1], v3, off
.LBB31_749:
	s_mov_b64 s[54:55], 0
.LBB31_750:
	s_andn2_b64 vcc, exec, s[54:55]
	s_cbranch_vccnz .LBB31_760
; %bb.751:
	v_cndmask_b32_e64 v2, 0, 1.0, s[50:51]
	s_mov_b32 s54, 0x47800000
	v_cmp_gt_u32_e32 vcc, s54, v2
                                        ; implicit-def: $vgpr3
	s_and_saveexec_b64 s[54:55], vcc
	s_xor_b64 s[54:55], exec, s[54:55]
	s_cbranch_execz .LBB31_757
; %bb.752:
	s_mov_b32 s56, 0x387fffff
	v_cmp_lt_u32_e32 vcc, s56, v2
                                        ; implicit-def: $vgpr3
	s_and_saveexec_b64 s[56:57], vcc
	s_xor_b64 s[56:57], exec, s[56:57]
; %bb.753:
	v_bfe_u32 v3, v2, 21, 1
	s_mov_b32 s58, 0x80fffff
	v_add3_u32 v2, v2, v3, s58
	v_lshrrev_b32_e32 v3, 21, v2
                                        ; implicit-def: $vgpr2
; %bb.754:
	s_andn2_saveexec_b64 s[56:57], s[56:57]
; %bb.755:
	v_add_f32_e32 v3, 0x43000000, v2
; %bb.756:
	s_or_b64 exec, exec, s[56:57]
                                        ; implicit-def: $vgpr2
.LBB31_757:
	s_andn2_saveexec_b64 s[54:55], s[54:55]
	s_cbranch_execz .LBB31_759
; %bb.758:
	s_mov_b32 s56, 0x7f800000
	v_mov_b32_e32 v3, 0x7c
	s_waitcnt vmcnt(0)
	v_mov_b32_e32 v4, 0x7f
	v_cmp_lt_u32_e32 vcc, s56, v2
	v_cndmask_b32_e32 v3, v3, v4, vcc
.LBB31_759:
	s_or_b64 exec, exec, s[54:55]
	global_store_byte v[0:1], v3, off
.LBB31_760:
	s_mov_b64 s[56:57], 0
	s_mov_b64 s[54:55], -1
.LBB31_761:
	s_andn2_b64 vcc, exec, s[56:57]
	s_cbranch_vccnz .LBB31_769
; %bb.762:
	s_cmp_gt_i32 s61, 14
	s_mov_b64 s[56:57], -1
	s_cbranch_scc0 .LBB31_766
; %bb.763:
	s_cmp_eq_u32 s61, 15
	s_mov_b64 s[0:1], -1
	s_cbranch_scc0 .LBB31_765
; %bb.764:
	v_cndmask_b32_e64 v2, 0, 1.0, s[50:51]
	v_bfe_u32 v3, v2, 16, 1
	s_movk_i32 s0, 0x7fff
	v_add3_u32 v2, v2, v3, s0
	global_store_short_d16_hi v[0:1], v2, off
	s_mov_b64 s[54:55], -1
	s_mov_b64 s[0:1], 0
.LBB31_765:
	s_mov_b64 s[56:57], 0
.LBB31_766:
	s_and_b64 vcc, exec, s[56:57]
	s_cbranch_vccz .LBB31_769
; %bb.767:
	s_cmp_eq_u32 s61, 11
	s_mov_b64 s[0:1], -1
	s_cbranch_scc0 .LBB31_769
; %bb.768:
	v_cndmask_b32_e64 v2, 0, 1, s[50:51]
	s_mov_b64 s[54:55], -1
	s_mov_b64 s[0:1], 0
	global_store_byte v[0:1], v2, off
.LBB31_769:
	s_mov_b64 s[56:57], 0
.LBB31_770:
	s_and_b64 vcc, exec, s[56:57]
	s_cbranch_vccz .LBB31_809
; %bb.771:
	s_and_b32 s56, 0xffff, s60
	s_cmp_lt_i32 s56, 5
	s_mov_b64 s[54:55], -1
	s_cbranch_scc1 .LBB31_792
; %bb.772:
	s_cmp_lt_i32 s56, 8
	s_cbranch_scc1 .LBB31_782
; %bb.773:
	s_cmp_lt_i32 s56, 9
	s_cbranch_scc1 .LBB31_779
; %bb.774:
	s_cmp_gt_i32 s56, 9
	s_cbranch_scc0 .LBB31_776
; %bb.775:
	v_cndmask_b32_e64 v2, 0, 1, s[50:51]
	v_cvt_f64_u32_e32 v[2:3], v2
	s_waitcnt vmcnt(0)
	v_mov_b32_e32 v4, 0
	v_mov_b32_e32 v5, v4
	s_mov_b64 s[54:55], 0
	global_store_dwordx4 v[0:1], v[2:5], off
.LBB31_776:
	s_andn2_b64 vcc, exec, s[54:55]
	s_cbranch_vccnz .LBB31_778
; %bb.777:
	v_cndmask_b32_e64 v2, 0, 1.0, s[50:51]
	v_mov_b32_e32 v3, 0
	global_store_dwordx2 v[0:1], v[2:3], off
.LBB31_778:
	s_mov_b64 s[54:55], 0
.LBB31_779:
	s_andn2_b64 vcc, exec, s[54:55]
	s_cbranch_vccnz .LBB31_781
; %bb.780:
	v_cndmask_b32_e64 v2, 0, 1.0, s[50:51]
	v_cvt_f16_f32_e32 v2, v2
	global_store_dword v[0:1], v2, off
.LBB31_781:
	s_mov_b64 s[54:55], 0
.LBB31_782:
	s_andn2_b64 vcc, exec, s[54:55]
	s_cbranch_vccnz .LBB31_791
; %bb.783:
	s_cmp_lt_i32 s56, 6
	s_mov_b64 s[54:55], -1
	s_cbranch_scc1 .LBB31_789
; %bb.784:
	s_cmp_gt_i32 s56, 6
	s_cbranch_scc0 .LBB31_786
; %bb.785:
	v_cndmask_b32_e64 v2, 0, 1, s[50:51]
	v_cvt_f64_u32_e32 v[2:3], v2
	s_mov_b64 s[54:55], 0
	global_store_dwordx2 v[0:1], v[2:3], off
.LBB31_786:
	s_andn2_b64 vcc, exec, s[54:55]
	s_cbranch_vccnz .LBB31_788
; %bb.787:
	v_cndmask_b32_e64 v2, 0, 1.0, s[50:51]
	global_store_dword v[0:1], v2, off
.LBB31_788:
	s_mov_b64 s[54:55], 0
.LBB31_789:
	s_andn2_b64 vcc, exec, s[54:55]
	s_cbranch_vccnz .LBB31_791
; %bb.790:
	v_cndmask_b32_e64 v2, 0, 1.0, s[50:51]
	v_cvt_f16_f32_e32 v2, v2
	global_store_short v[0:1], v2, off
.LBB31_791:
	s_mov_b64 s[54:55], 0
.LBB31_792:
	s_andn2_b64 vcc, exec, s[54:55]
	s_cbranch_vccnz .LBB31_808
; %bb.793:
	s_cmp_lt_i32 s56, 2
	s_mov_b64 s[54:55], -1
	s_cbranch_scc1 .LBB31_803
; %bb.794:
	s_cmp_lt_i32 s56, 3
	s_cbranch_scc1 .LBB31_800
; %bb.795:
	s_cmp_gt_i32 s56, 3
	s_cbranch_scc0 .LBB31_797
; %bb.796:
	s_mov_b32 s54, 0
	v_cndmask_b32_e64 v2, 0, 1, s[50:51]
	v_mov_b32_e32 v3, s54
	s_mov_b64 s[54:55], 0
	global_store_dwordx2 v[0:1], v[2:3], off
.LBB31_797:
	s_andn2_b64 vcc, exec, s[54:55]
	s_cbranch_vccnz .LBB31_799
; %bb.798:
	v_cndmask_b32_e64 v2, 0, 1, s[50:51]
	global_store_dword v[0:1], v2, off
.LBB31_799:
	s_mov_b64 s[54:55], 0
.LBB31_800:
	s_andn2_b64 vcc, exec, s[54:55]
	s_cbranch_vccnz .LBB31_802
; %bb.801:
	v_cndmask_b32_e64 v2, 0, 1, s[50:51]
	global_store_short v[0:1], v2, off
.LBB31_802:
	s_mov_b64 s[54:55], 0
.LBB31_803:
	s_andn2_b64 vcc, exec, s[54:55]
	s_cbranch_vccnz .LBB31_808
; %bb.804:
	s_mov_b64 s[54:55], -1
	s_cmp_gt_i32 s56, 0
	v_cndmask_b32_e64 v2, 0, 1, s[50:51]
	s_cbranch_scc0 .LBB31_806
; %bb.805:
	s_mov_b64 s[54:55], 0
	global_store_byte v[0:1], v2, off
.LBB31_806:
	s_andn2_b64 vcc, exec, s[54:55]
	s_cbranch_vccnz .LBB31_808
; %bb.807:
	global_store_byte v[0:1], v2, off
.LBB31_808:
	s_mov_b64 s[54:55], -1
.LBB31_809:
	s_andn2_b64 vcc, exec, s[54:55]
	s_cbranch_vccnz .LBB31_821
; %bb.810:
	v_add_u32_e32 v8, 0x80, v8
	s_mov_b64 s[54:55], -1
.LBB31_811:
	s_andn2_b64 s[50:51], s[38:39], exec
	s_and_b64 s[0:1], s[0:1], exec
	s_or_b64 s[50:51], s[50:51], s[0:1]
	s_andn2_b64 s[0:1], s[40:41], exec
	s_and_b64 s[48:49], s[48:49], exec
	s_or_b64 s[48:49], s[0:1], s[48:49]
	;; [unrolled: 3-line block ×3, first 2 shown]
	s_orn2_b64 s[0:1], s[54:55], exec
.LBB31_812:
	s_or_b64 exec, exec, s[52:53]
	s_mov_b64 s[54:55], 0
	s_mov_b64 s[56:57], 0
	;; [unrolled: 1-line block ×3, first 2 shown]
                                        ; implicit-def: $sgpr74
                                        ; implicit-def: $vgpr4_vgpr5
                                        ; implicit-def: $vgpr0
                                        ; implicit-def: $vgpr3
                                        ; implicit-def: $vgpr1
	s_and_saveexec_b64 s[52:53], s[0:1]
	s_cbranch_execz .LBB31_1314
; %bb.813:
	v_cmp_gt_i32_e32 vcc, s68, v8
	s_mov_b64 s[66:67], -1
	s_mov_b64 s[0:1], s[46:47]
	s_mov_b64 s[58:59], s[48:49]
	;; [unrolled: 1-line block ×3, first 2 shown]
	s_and_saveexec_b64 s[54:55], vcc
	s_cbranch_execz .LBB31_1222
; %bb.814:
	s_andn2_b64 vcc, exec, s[24:25]
	s_cbranch_vccnz .LBB31_820
; %bb.815:
	s_andn2_b64 vcc, exec, s[36:37]
	s_cbranch_vccnz .LBB31_822
; %bb.816:
	s_add_i32 s0, s73, 1
	s_and_b32 s56, s0, 30
	s_add_u32 s0, s2, 0xffffffe8
	s_addc_u32 s1, s3, -1
	v_mov_b32_e32 v3, 0
	s_waitcnt vmcnt(0)
	v_mov_b32_e32 v5, 0
	v_mov_b32_e32 v0, 0
	;; [unrolled: 1-line block ×3, first 2 shown]
.LBB31_817:                             ; =>This Inner Loop Header: Depth=1
	s_load_dwordx4 s[60:63], s[0:1], 0x1c
	s_load_dwordx2 s[58:59], s[0:1], 0x2c
	s_load_dwordx2 s[74:75], s[0:1], 0xec
	s_load_dwordx4 s[64:67], s[0:1], 0xdc
	s_add_u32 s0, s0, 24
	s_waitcnt lgkmcnt(0)
	v_mul_hi_u32 v2, s61, v1
	s_addc_u32 s1, s1, 0
	s_add_i32 s56, s56, -2
	s_cmp_eq_u32 s56, 0
	v_add_u32_e32 v2, v1, v2
	v_lshrrev_b32_e32 v2, s62, v2
	v_mul_lo_u32 v4, v2, s60
	v_mul_hi_u32 v6, s58, v2
	v_sub_u32_e32 v4, v1, v4
	v_add_u32_e32 v1, v2, v6
	v_lshrrev_b32_e32 v1, s59, v1
	v_mul_lo_u32 v9, v1, s63
	v_mul_lo_u32 v6, v4, s64
	;; [unrolled: 1-line block ×4, first 2 shown]
	v_sub_u32_e32 v2, v2, v9
	v_mul_lo_u32 v9, v2, s67
	v_mul_lo_u32 v10, v2, s74
	;; [unrolled: 1-line block ×3, first 2 shown]
	v_add3_u32 v0, v6, v0, v9
	v_add3_u32 v5, v7, v5, v10
	;; [unrolled: 1-line block ×3, first 2 shown]
	s_cbranch_scc0 .LBB31_817
; %bb.818:
	s_bitcmp1_b32 s73, 0
	s_cselect_b64 s[56:57], -1, 0
	s_and_b64 vcc, exec, s[56:57]
	s_cbranch_vccnz .LBB31_823
; %bb.819:
	s_load_dwordx2 s[56:57], s[0:1], 0x1c
	s_load_dword s60, s[0:1], 0x24
	s_load_dwordx2 s[58:59], s[0:1], 0xdc
	s_waitcnt lgkmcnt(0)
	v_mul_hi_u32 v2, s57, v1
	v_add_u32_e32 v2, v1, v2
	v_lshrrev_b32_e32 v2, s60, v2
	v_mul_lo_u32 v2, v2, s56
	s_load_dword s56, s[0:1], 0xe4
	v_sub_u32_e32 v2, v1, v2
	v_mad_u64_u32 v[0:1], s[0:1], v2, s58, v[0:1]
	v_mad_u64_u32 v[5:6], s[0:1], v2, s59, v[5:6]
	s_waitcnt lgkmcnt(0)
	v_mad_u64_u32 v[3:4], s[0:1], v2, s56, v[3:4]
	s_branch .LBB31_823
.LBB31_820:
	s_mov_b64 s[0:1], -1
                                        ; implicit-def: $vgpr0
                                        ; implicit-def: $vgpr5
                                        ; implicit-def: $vgpr3
	s_branch .LBB31_824
.LBB31_821:
	s_mov_b64 s[54:55], 0
	s_branch .LBB31_556
.LBB31_822:
	v_mov_b32_e32 v0, 0
	s_waitcnt vmcnt(0)
	v_mov_b32_e32 v5, 0
	v_mov_b32_e32 v3, 0
.LBB31_823:
	s_mov_b64 s[0:1], 0
.LBB31_824:
	s_andn2_b64 vcc, exec, s[0:1]
	s_cbranch_vccnz .LBB31_827
; %bb.825:
	v_mul_hi_u32 v0, s17, v8
	s_andn2_b64 vcc, exec, s[34:35]
	v_add_u32_e32 v0, v8, v0
	s_waitcnt vmcnt(0)
	v_lshrrev_b32_e32 v1, s18, v0
	v_mul_lo_u32 v0, v1, s16
	v_sub_u32_e32 v2, v8, v0
	v_mul_lo_u32 v0, v2, s20
	v_mul_lo_u32 v5, v2, s21
	;; [unrolled: 1-line block ×3, first 2 shown]
	s_cbranch_vccnz .LBB31_827
; %bb.826:
	v_mul_hi_u32 v2, s30, v1
	v_add_u32_e32 v2, v1, v2
	v_lshrrev_b32_e32 v2, s31, v2
	v_mul_lo_u32 v2, v2, s19
	v_sub_u32_e32 v2, v1, v2
	v_mad_u64_u32 v[0:1], s[0:1], v2, s23, v[0:1]
	v_mad_u64_u32 v[5:6], s[0:1], v2, s28, v[5:6]
	v_mad_u64_u32 v[3:4], s[0:1], v2, s29, v[3:4]
.LBB31_827:
	s_waitcnt vmcnt(0)
	v_mov_b32_e32 v1, s11
	s_and_b32 s60, s72, 0xff
	v_add_co_u32_e32 v4, vcc, s10, v5
	s_cmp_lt_i32 s60, 11
	v_addc_co_u32_e32 v5, vcc, 0, v1, vcc
	s_cbranch_scc1 .LBB31_834
; %bb.828:
	s_and_b32 s61, 0xffff, s60
	s_cmp_gt_i32 s61, 25
	s_cbranch_scc0 .LBB31_835
; %bb.829:
	s_cmp_gt_i32 s61, 28
	s_cbranch_scc0 .LBB31_836
; %bb.830:
	;; [unrolled: 3-line block ×4, first 2 shown]
	s_cmp_eq_u32 s61, 46
	s_mov_b64 s[58:59], 0
	s_cbranch_scc0 .LBB31_841
; %bb.833:
	global_load_dword v1, v[4:5], off
	s_mov_b64 s[0:1], -1
	s_mov_b64 s[56:57], 0
	s_waitcnt vmcnt(0)
	v_lshlrev_b32_e32 v1, 16, v1
	v_cvt_i32_f32_e32 v1, v1
	s_branch .LBB31_842
.LBB31_834:
	s_mov_b64 s[58:59], -1
	s_mov_b64 s[0:1], 0
                                        ; implicit-def: $vgpr1
	s_mov_b64 s[56:57], s[46:47]
	s_branch .LBB31_903
.LBB31_835:
	s_mov_b64 s[58:59], -1
	s_mov_b64 s[0:1], 0
	s_mov_b64 s[56:57], s[46:47]
                                        ; implicit-def: $vgpr1
	s_branch .LBB31_869
.LBB31_836:
	s_mov_b64 s[58:59], -1
	s_mov_b64 s[0:1], 0
	s_mov_b64 s[56:57], s[46:47]
                                        ; implicit-def: $vgpr1
	s_branch .LBB31_852
.LBB31_837:
	s_mov_b64 s[58:59], -1
	s_mov_b64 s[0:1], 0
	s_mov_b64 s[56:57], s[46:47]
                                        ; implicit-def: $vgpr1
	s_branch .LBB31_847
.LBB31_838:
	s_mov_b64 s[58:59], -1
	s_mov_b64 s[0:1], 0
	s_mov_b64 s[56:57], s[46:47]
                                        ; implicit-def: $vgpr1
	s_branch .LBB31_842
.LBB31_839:
	s_andn2_saveexec_b64 s[58:59], s[58:59]
	s_cbranch_execz .LBB31_722
.LBB31_840:
	v_add_f32_e32 v2, 0x46000000, v3
	v_and_b32_e32 v2, 0xff, v2
	v_cmp_ne_u32_e32 vcc, 0, v2
	s_andn2_b64 s[56:57], s[56:57], exec
	s_and_b64 s[62:63], vcc, exec
	s_or_b64 s[56:57], s[56:57], s[62:63]
	s_or_b64 exec, exec, s[58:59]
	v_mov_b32_e32 v4, 0
	s_and_saveexec_b64 s[58:59], s[56:57]
	s_cbranch_execnz .LBB31_723
	s_branch .LBB31_724
.LBB31_841:
	s_mov_b64 s[56:57], -1
                                        ; implicit-def: $vgpr1
	s_mov_b64 s[0:1], 0
.LBB31_842:
	s_and_b64 vcc, exec, s[58:59]
	s_cbranch_vccz .LBB31_846
; %bb.843:
	s_cmp_eq_u32 s61, 44
	s_cbranch_scc0 .LBB31_845
; %bb.844:
	global_load_ubyte v1, v[4:5], off
	s_mov_b64 s[0:1], -1
	s_mov_b64 s[56:57], 0
	s_waitcnt vmcnt(0)
	v_lshlrev_b32_e32 v2, 23, v1
	v_cvt_i32_f32_e32 v2, v2
	v_cmp_ne_u32_e32 vcc, 0, v1
	v_cndmask_b32_e32 v1, 0, v2, vcc
	s_branch .LBB31_846
.LBB31_845:
	s_mov_b64 s[56:57], -1
                                        ; implicit-def: $vgpr1
.LBB31_846:
	s_mov_b64 s[58:59], 0
.LBB31_847:
	s_and_b64 vcc, exec, s[58:59]
	s_cbranch_vccz .LBB31_851
; %bb.848:
	s_cmp_eq_u32 s61, 29
	s_cbranch_scc0 .LBB31_850
; %bb.849:
	global_load_dwordx2 v[1:2], v[4:5], off
	s_mov_b64 s[0:1], -1
	s_mov_b64 s[56:57], 0
	s_branch .LBB31_851
.LBB31_850:
	s_mov_b64 s[56:57], -1
                                        ; implicit-def: $vgpr1
.LBB31_851:
	s_mov_b64 s[58:59], 0
.LBB31_852:
	s_and_b64 vcc, exec, s[58:59]
	s_cbranch_vccz .LBB31_868
; %bb.853:
	s_cmp_lt_i32 s61, 27
	s_cbranch_scc1 .LBB31_856
; %bb.854:
	s_cmp_gt_i32 s61, 27
	s_cbranch_scc0 .LBB31_857
; %bb.855:
	global_load_dword v1, v[4:5], off
	s_mov_b64 s[0:1], 0
	s_branch .LBB31_858
.LBB31_856:
	s_mov_b64 s[0:1], -1
                                        ; implicit-def: $vgpr1
	s_branch .LBB31_861
.LBB31_857:
	s_mov_b64 s[0:1], -1
                                        ; implicit-def: $vgpr1
.LBB31_858:
	s_andn2_b64 vcc, exec, s[0:1]
	s_cbranch_vccnz .LBB31_860
; %bb.859:
	global_load_ushort v1, v[4:5], off
.LBB31_860:
	s_mov_b64 s[0:1], 0
.LBB31_861:
	s_andn2_b64 vcc, exec, s[0:1]
	s_cbranch_vccnz .LBB31_867
; %bb.862:
	global_load_ubyte v2, v[4:5], off
	s_movk_i32 s0, 0x7f
	s_mov_b64 s[58:59], 0
	s_waitcnt vmcnt(0)
	v_cmp_lt_i16_e32 vcc, s0, v2
	s_and_saveexec_b64 s[0:1], vcc
	s_xor_b64 s[0:1], exec, s[0:1]
	s_cbranch_execz .LBB31_879
; %bb.863:
	s_movk_i32 s58, 0x80
	v_cmp_ne_u16_e32 vcc, s58, v2
	s_and_b64 s[58:59], vcc, exec
	s_andn2_saveexec_b64 s[0:1], s[0:1]
	s_cbranch_execnz .LBB31_880
.LBB31_864:
	s_or_b64 exec, exec, s[0:1]
	v_mov_b32_e32 v1, 0
	s_and_saveexec_b64 s[0:1], s[58:59]
	s_cbranch_execz .LBB31_866
.LBB31_865:
	v_lshlrev_b32_e32 v1, 24, v2
	v_and_b32_e32 v2, 0xffff, v2
	v_and_b32_e32 v6, 7, v2
	v_ffbh_u32_e32 v9, v6
	v_min_u32_e32 v9, 32, v9
	v_subrev_u32_e32 v10, 28, v9
	v_bfe_u32 v7, v2, 3, 4
	v_lshlrev_b32_e32 v2, v10, v2
	v_sub_u32_e32 v9, 29, v9
	v_and_b32_e32 v2, 7, v2
	v_cmp_eq_u32_e32 vcc, 0, v7
	v_cndmask_b32_e32 v7, v7, v9, vcc
	v_cndmask_b32_e32 v2, v6, v2, vcc
	v_mov_b32_e32 v6, 0x3b800000
	v_lshlrev_b32_e32 v2, 20, v2
	v_and_b32_e32 v1, 0x80000000, v1
	v_lshl_add_u32 v6, v7, 23, v6
	v_or3_b32 v1, v1, v6, v2
	v_cvt_i32_f32_e32 v1, v1
.LBB31_866:
	s_or_b64 exec, exec, s[0:1]
.LBB31_867:
	s_mov_b64 s[0:1], -1
.LBB31_868:
	s_mov_b64 s[58:59], 0
.LBB31_869:
	s_and_b64 vcc, exec, s[58:59]
	s_cbranch_vccz .LBB31_902
; %bb.870:
	s_cmp_gt_i32 s61, 22
	s_cbranch_scc0 .LBB31_878
; %bb.871:
	s_cmp_lt_i32 s61, 24
	s_cbranch_scc1 .LBB31_881
; %bb.872:
	s_cmp_gt_i32 s61, 24
	s_cbranch_scc0 .LBB31_882
; %bb.873:
	global_load_ubyte v2, v[4:5], off
	s_movk_i32 s0, 0x7f
	s_mov_b64 s[58:59], 0
	s_waitcnt vmcnt(0)
	v_cmp_lt_i16_e32 vcc, s0, v2
	s_and_saveexec_b64 s[0:1], vcc
	s_xor_b64 s[0:1], exec, s[0:1]
	s_cbranch_execz .LBB31_894
; %bb.874:
	s_movk_i32 s58, 0x80
	v_cmp_ne_u16_e32 vcc, s58, v2
	s_and_b64 s[58:59], vcc, exec
	s_andn2_saveexec_b64 s[0:1], s[0:1]
	s_cbranch_execnz .LBB31_895
.LBB31_875:
	s_or_b64 exec, exec, s[0:1]
	v_mov_b32_e32 v1, 0
	s_and_saveexec_b64 s[0:1], s[58:59]
	s_cbranch_execz .LBB31_877
.LBB31_876:
	v_lshlrev_b32_e32 v1, 24, v2
	v_and_b32_e32 v2, 0xffff, v2
	v_and_b32_e32 v6, 3, v2
	v_ffbh_u32_e32 v9, v6
	v_min_u32_e32 v9, 32, v9
	v_subrev_u32_e32 v10, 29, v9
	v_bfe_u32 v7, v2, 2, 5
	v_lshlrev_b32_e32 v2, v10, v2
	v_sub_u32_e32 v9, 30, v9
	v_and_b32_e32 v2, 3, v2
	v_cmp_eq_u32_e32 vcc, 0, v7
	v_cndmask_b32_e32 v7, v7, v9, vcc
	v_cndmask_b32_e32 v2, v6, v2, vcc
	v_mov_b32_e32 v6, 0x37800000
	v_lshlrev_b32_e32 v2, 21, v2
	v_and_b32_e32 v1, 0x80000000, v1
	v_lshl_add_u32 v6, v7, 23, v6
	v_or3_b32 v1, v1, v6, v2
	v_cvt_i32_f32_e32 v1, v1
.LBB31_877:
	s_or_b64 exec, exec, s[0:1]
	s_mov_b64 s[0:1], 0
	s_branch .LBB31_883
.LBB31_878:
	s_mov_b64 s[58:59], -1
                                        ; implicit-def: $vgpr1
	s_branch .LBB31_889
.LBB31_879:
	s_andn2_saveexec_b64 s[0:1], s[0:1]
	s_cbranch_execz .LBB31_864
.LBB31_880:
	v_cmp_ne_u16_e32 vcc, 0, v2
	s_andn2_b64 s[58:59], s[58:59], exec
	s_and_b64 s[62:63], vcc, exec
	s_or_b64 s[58:59], s[58:59], s[62:63]
	s_or_b64 exec, exec, s[0:1]
	v_mov_b32_e32 v1, 0
	s_and_saveexec_b64 s[0:1], s[58:59]
	s_cbranch_execnz .LBB31_865
	s_branch .LBB31_866
.LBB31_881:
	s_mov_b64 s[0:1], -1
                                        ; implicit-def: $vgpr1
	s_branch .LBB31_886
.LBB31_882:
	s_mov_b64 s[0:1], -1
                                        ; implicit-def: $vgpr1
.LBB31_883:
	s_and_b64 vcc, exec, s[0:1]
	s_cbranch_vccz .LBB31_885
; %bb.884:
	global_load_ubyte v1, v[4:5], off
	s_mov_b32 s0, 0x7f800000
	s_waitcnt vmcnt(0)
	v_lshlrev_b32_e32 v1, 24, v1
	v_and_b32_e32 v2, 0x7f000000, v1
	v_ffbh_u32_e32 v6, v2
	v_min_u32_e32 v6, 32, v6
	v_sub_u32_e64 v6, v6, 4 clamp
	v_lshlrev_b32_e32 v9, v6, v2
	v_lshlrev_b32_e32 v6, 23, v6
	v_lshrrev_b32_e32 v9, 4, v9
	v_add_u32_e32 v7, 0x1000000, v2
	v_sub_u32_e32 v6, v9, v6
	v_ashrrev_i32_e32 v7, 8, v7
	v_add_u32_e32 v6, 0x3c000000, v6
	v_and_or_b32 v6, v7, s0, v6
	v_cmp_ne_u32_e32 vcc, 0, v2
	v_cndmask_b32_e32 v2, 0, v6, vcc
	s_brev_b32 s0, 1
	v_and_or_b32 v1, v1, s0, v2
	v_cvt_i32_f32_e32 v1, v1
.LBB31_885:
	s_mov_b64 s[0:1], 0
.LBB31_886:
	s_andn2_b64 vcc, exec, s[0:1]
	s_cbranch_vccnz .LBB31_888
; %bb.887:
	global_load_ubyte v1, v[4:5], off
	s_movk_i32 s0, 0x7f00
	s_brev_b32 s1, 16
	s_waitcnt vmcnt(0)
	v_lshlrev_b16_e32 v2, 8, v1
	v_lshlrev_b32_e32 v1, 25, v1
	v_lshrrev_b32_e32 v6, 4, v1
	v_and_or_b32 v7, v2, s0, 0.5
	v_or_b32_e32 v6, 0x70000000, v6
	v_add_f32_e32 v7, -0.5, v7
	v_mul_f32_e32 v6, 0x7800000, v6
	v_cmp_gt_u32_e32 vcc, s1, v1
	v_bfe_i32 v2, v2, 0, 16
	v_cndmask_b32_e32 v1, v6, v7, vcc
	s_brev_b32 s0, 1
	v_and_or_b32 v1, v2, s0, v1
	v_cvt_i32_f32_e32 v1, v1
.LBB31_888:
	s_mov_b64 s[58:59], 0
	s_mov_b64 s[0:1], -1
.LBB31_889:
	s_andn2_b64 vcc, exec, s[58:59]
	s_cbranch_vccnz .LBB31_902
; %bb.890:
	s_cmp_gt_i32 s61, 14
	s_cbranch_scc0 .LBB31_893
; %bb.891:
	s_cmp_eq_u32 s61, 15
	s_cbranch_scc0 .LBB31_896
; %bb.892:
	global_load_ushort v1, v[4:5], off
	s_mov_b64 s[0:1], -1
	s_mov_b64 s[56:57], 0
	s_waitcnt vmcnt(0)
	v_lshlrev_b32_e32 v1, 16, v1
	v_cvt_i32_f32_e32 v1, v1
	s_branch .LBB31_897
.LBB31_893:
	s_mov_b64 s[58:59], -1
                                        ; implicit-def: $vgpr1
	s_branch .LBB31_898
.LBB31_894:
	s_andn2_saveexec_b64 s[0:1], s[0:1]
	s_cbranch_execz .LBB31_875
.LBB31_895:
	v_cmp_ne_u16_e32 vcc, 0, v2
	s_andn2_b64 s[58:59], s[58:59], exec
	s_and_b64 s[62:63], vcc, exec
	s_or_b64 s[58:59], s[58:59], s[62:63]
	s_or_b64 exec, exec, s[0:1]
	v_mov_b32_e32 v1, 0
	s_and_saveexec_b64 s[0:1], s[58:59]
	s_cbranch_execnz .LBB31_876
	s_branch .LBB31_877
.LBB31_896:
	s_mov_b64 s[56:57], -1
                                        ; implicit-def: $vgpr1
.LBB31_897:
	s_mov_b64 s[58:59], 0
.LBB31_898:
	s_and_b64 vcc, exec, s[58:59]
	s_cbranch_vccz .LBB31_902
; %bb.899:
	s_cmp_eq_u32 s61, 11
	s_cbranch_scc0 .LBB31_901
; %bb.900:
	global_load_ubyte v1, v[4:5], off
	s_mov_b64 s[0:1], -1
	s_mov_b64 s[56:57], 0
	s_waitcnt vmcnt(0)
	v_cmp_ne_u16_e32 vcc, 0, v1
	v_cndmask_b32_e64 v1, 0, 1, vcc
	s_branch .LBB31_902
.LBB31_901:
	s_mov_b64 s[56:57], -1
                                        ; implicit-def: $vgpr1
.LBB31_902:
	s_mov_b64 s[58:59], 0
.LBB31_903:
	s_and_b64 vcc, exec, s[58:59]
	s_cbranch_vccz .LBB31_952
; %bb.904:
	s_and_b32 s58, 0xffff, s60
	s_cmp_lt_i32 s58, 5
	s_cbranch_scc1 .LBB31_909
; %bb.905:
	s_cmp_lt_i32 s58, 8
	s_cbranch_scc1 .LBB31_910
; %bb.906:
	;; [unrolled: 3-line block ×3, first 2 shown]
	s_cmp_gt_i32 s58, 9
	s_cbranch_scc0 .LBB31_912
; %bb.908:
	global_load_dwordx2 v[1:2], v[4:5], off
	s_mov_b64 s[0:1], 0
	s_waitcnt vmcnt(0)
	v_cvt_i32_f64_e32 v1, v[1:2]
	s_branch .LBB31_913
.LBB31_909:
	s_mov_b64 s[0:1], -1
                                        ; implicit-def: $vgpr1
	s_branch .LBB31_931
.LBB31_910:
	s_mov_b64 s[0:1], -1
                                        ; implicit-def: $vgpr1
	s_branch .LBB31_919
.LBB31_911:
	s_mov_b64 s[0:1], -1
                                        ; implicit-def: $vgpr1
	s_branch .LBB31_916
.LBB31_912:
	s_mov_b64 s[0:1], -1
                                        ; implicit-def: $vgpr1
.LBB31_913:
	s_andn2_b64 vcc, exec, s[0:1]
	s_cbranch_vccnz .LBB31_915
; %bb.914:
	global_load_dword v1, v[4:5], off
	s_waitcnt vmcnt(0)
	v_cvt_i32_f32_e32 v1, v1
.LBB31_915:
	s_mov_b64 s[0:1], 0
.LBB31_916:
	s_andn2_b64 vcc, exec, s[0:1]
	s_cbranch_vccnz .LBB31_918
; %bb.917:
	global_load_dword v1, v[4:5], off
	s_waitcnt vmcnt(0)
	v_cvt_i16_f16_e32 v1, v1
.LBB31_918:
	s_mov_b64 s[0:1], 0
.LBB31_919:
	s_andn2_b64 vcc, exec, s[0:1]
	s_cbranch_vccnz .LBB31_930
; %bb.920:
	s_cmp_lt_i32 s58, 6
	s_cbranch_scc1 .LBB31_923
; %bb.921:
	s_cmp_gt_i32 s58, 6
	s_cbranch_scc0 .LBB31_924
; %bb.922:
	global_load_dwordx2 v[1:2], v[4:5], off
	s_mov_b64 s[0:1], 0
	s_waitcnt vmcnt(0)
	v_cvt_i32_f64_e32 v1, v[1:2]
	s_branch .LBB31_925
.LBB31_923:
	s_mov_b64 s[0:1], -1
                                        ; implicit-def: $vgpr1
	s_branch .LBB31_928
.LBB31_924:
	s_mov_b64 s[0:1], -1
                                        ; implicit-def: $vgpr1
.LBB31_925:
	s_andn2_b64 vcc, exec, s[0:1]
	s_cbranch_vccnz .LBB31_927
; %bb.926:
	global_load_dword v1, v[4:5], off
	s_waitcnt vmcnt(0)
	v_cvt_i32_f32_e32 v1, v1
.LBB31_927:
	s_mov_b64 s[0:1], 0
.LBB31_928:
	s_andn2_b64 vcc, exec, s[0:1]
	s_cbranch_vccnz .LBB31_930
; %bb.929:
	global_load_ushort v1, v[4:5], off
	s_waitcnt vmcnt(0)
	v_cvt_i16_f16_e32 v1, v1
.LBB31_930:
	s_mov_b64 s[0:1], 0
.LBB31_931:
	s_andn2_b64 vcc, exec, s[0:1]
	s_cbranch_vccnz .LBB31_951
; %bb.932:
	s_cmp_lt_i32 s58, 2
	s_cbranch_scc1 .LBB31_936
; %bb.933:
	s_cmp_lt_i32 s58, 3
	s_cbranch_scc1 .LBB31_937
; %bb.934:
	s_cmp_gt_i32 s58, 3
	s_cbranch_scc0 .LBB31_938
; %bb.935:
	global_load_dwordx2 v[1:2], v[4:5], off
	s_mov_b64 s[0:1], 0
	s_branch .LBB31_939
.LBB31_936:
	s_mov_b64 s[0:1], -1
                                        ; implicit-def: $vgpr1
	s_branch .LBB31_945
.LBB31_937:
	s_mov_b64 s[0:1], -1
                                        ; implicit-def: $vgpr1
	s_branch .LBB31_942
.LBB31_938:
	s_mov_b64 s[0:1], -1
                                        ; implicit-def: $vgpr1
.LBB31_939:
	s_andn2_b64 vcc, exec, s[0:1]
	s_cbranch_vccnz .LBB31_941
; %bb.940:
	global_load_dword v1, v[4:5], off
.LBB31_941:
	s_mov_b64 s[0:1], 0
.LBB31_942:
	s_andn2_b64 vcc, exec, s[0:1]
	s_cbranch_vccnz .LBB31_944
; %bb.943:
	global_load_ushort v1, v[4:5], off
.LBB31_944:
	s_mov_b64 s[0:1], 0
.LBB31_945:
	s_andn2_b64 vcc, exec, s[0:1]
	s_cbranch_vccnz .LBB31_951
; %bb.946:
	s_cmp_gt_i32 s58, 0
	s_cbranch_scc0 .LBB31_948
; %bb.947:
	global_load_ubyte v1, v[4:5], off
	s_mov_b64 s[0:1], 0
	s_branch .LBB31_949
.LBB31_948:
	s_mov_b64 s[0:1], -1
                                        ; implicit-def: $vgpr1
.LBB31_949:
	s_andn2_b64 vcc, exec, s[0:1]
	s_cbranch_vccnz .LBB31_951
; %bb.950:
	global_load_ubyte v1, v[4:5], off
.LBB31_951:
	s_mov_b64 s[0:1], -1
.LBB31_952:
	s_andn2_b64 vcc, exec, s[0:1]
	s_cbranch_vccnz .LBB31_960
; %bb.953:
	v_mov_b32_e32 v4, s13
	s_and_b32 s62, s71, 0xff
	s_waitcnt vmcnt(0)
	v_add_co_u32_e32 v2, vcc, s12, v3
	s_cmp_lt_i32 s62, 11
	v_addc_co_u32_e32 v3, vcc, 0, v4, vcc
	s_cbranch_scc1 .LBB31_962
; %bb.954:
	s_and_b32 s63, 0xffff, s62
	s_cmp_gt_i32 s63, 25
	s_cbranch_scc0 .LBB31_963
; %bb.955:
	s_cmp_gt_i32 s63, 28
	s_cbranch_scc0 .LBB31_964
; %bb.956:
	;; [unrolled: 3-line block ×4, first 2 shown]
	s_cmp_eq_u32 s63, 46
	s_mov_b64 s[60:61], 0
	s_cbranch_scc0 .LBB31_969
; %bb.959:
	global_load_dword v4, v[2:3], off
	s_mov_b64 s[0:1], -1
	s_mov_b64 s[58:59], 0
	s_waitcnt vmcnt(0)
	v_lshlrev_b32_e32 v4, 16, v4
	v_cvt_i32_f32_e32 v4, v4
	s_branch .LBB31_970
.LBB31_960:
	s_mov_b64 s[62:63], 0
	s_mov_b64 s[0:1], s[50:51]
	s_mov_b64 s[58:59], s[48:49]
.LBB31_961:
                                        ; implicit-def: $vgpr8
	s_branch .LBB31_1221
.LBB31_962:
	s_mov_b64 s[60:61], -1
	s_mov_b64 s[0:1], 0
                                        ; implicit-def: $vgpr4
	s_mov_b64 s[58:59], s[48:49]
	s_branch .LBB31_1031
.LBB31_963:
	s_mov_b64 s[60:61], -1
	s_mov_b64 s[0:1], 0
	s_mov_b64 s[58:59], s[48:49]
                                        ; implicit-def: $vgpr4
	s_branch .LBB31_997
.LBB31_964:
	s_mov_b64 s[60:61], -1
	s_mov_b64 s[0:1], 0
	s_mov_b64 s[58:59], s[48:49]
                                        ; implicit-def: $vgpr4
	s_branch .LBB31_980
.LBB31_965:
	s_mov_b64 s[60:61], -1
	s_mov_b64 s[0:1], 0
	s_mov_b64 s[58:59], s[48:49]
                                        ; implicit-def: $vgpr4
	s_branch .LBB31_975
.LBB31_966:
	s_mov_b64 s[60:61], -1
	s_mov_b64 s[0:1], 0
	s_mov_b64 s[58:59], s[48:49]
                                        ; implicit-def: $vgpr4
	s_branch .LBB31_970
.LBB31_967:
	s_andn2_saveexec_b64 s[58:59], s[58:59]
	s_cbranch_execz .LBB31_735
.LBB31_968:
	v_add_f32_e32 v2, 0x42800000, v3
	v_and_b32_e32 v2, 0xff, v2
	v_cmp_ne_u32_e32 vcc, 0, v2
	s_andn2_b64 s[56:57], s[56:57], exec
	s_and_b64 s[62:63], vcc, exec
	s_or_b64 s[56:57], s[56:57], s[62:63]
	s_or_b64 exec, exec, s[58:59]
	v_mov_b32_e32 v4, 0
	s_and_saveexec_b64 s[58:59], s[56:57]
	s_cbranch_execnz .LBB31_736
	s_branch .LBB31_737
.LBB31_969:
	s_mov_b64 s[58:59], -1
                                        ; implicit-def: $vgpr4
	s_mov_b64 s[0:1], 0
.LBB31_970:
	s_and_b64 vcc, exec, s[60:61]
	s_cbranch_vccz .LBB31_974
; %bb.971:
	s_cmp_eq_u32 s63, 44
	s_cbranch_scc0 .LBB31_973
; %bb.972:
	global_load_ubyte v4, v[2:3], off
	s_mov_b64 s[0:1], -1
	s_mov_b64 s[58:59], 0
	s_waitcnt vmcnt(0)
	v_lshlrev_b32_e32 v5, 23, v4
	v_cvt_i32_f32_e32 v5, v5
	v_cmp_ne_u32_e32 vcc, 0, v4
	v_cndmask_b32_e32 v4, 0, v5, vcc
	s_branch .LBB31_974
.LBB31_973:
	s_mov_b64 s[58:59], -1
                                        ; implicit-def: $vgpr4
.LBB31_974:
	s_mov_b64 s[60:61], 0
.LBB31_975:
	s_and_b64 vcc, exec, s[60:61]
	s_cbranch_vccz .LBB31_979
; %bb.976:
	s_cmp_eq_u32 s63, 29
	s_cbranch_scc0 .LBB31_978
; %bb.977:
	global_load_dwordx2 v[4:5], v[2:3], off
	s_mov_b64 s[0:1], -1
	s_mov_b64 s[58:59], 0
	s_branch .LBB31_979
.LBB31_978:
	s_mov_b64 s[58:59], -1
                                        ; implicit-def: $vgpr4
.LBB31_979:
	s_mov_b64 s[60:61], 0
.LBB31_980:
	s_and_b64 vcc, exec, s[60:61]
	s_cbranch_vccz .LBB31_996
; %bb.981:
	s_cmp_lt_i32 s63, 27
	s_cbranch_scc1 .LBB31_984
; %bb.982:
	s_cmp_gt_i32 s63, 27
	s_cbranch_scc0 .LBB31_985
; %bb.983:
	global_load_dword v4, v[2:3], off
	s_mov_b64 s[0:1], 0
	s_branch .LBB31_986
.LBB31_984:
	s_mov_b64 s[0:1], -1
                                        ; implicit-def: $vgpr4
	s_branch .LBB31_989
.LBB31_985:
	s_mov_b64 s[0:1], -1
                                        ; implicit-def: $vgpr4
.LBB31_986:
	s_andn2_b64 vcc, exec, s[0:1]
	s_cbranch_vccnz .LBB31_988
; %bb.987:
	global_load_ushort v4, v[2:3], off
.LBB31_988:
	s_mov_b64 s[0:1], 0
.LBB31_989:
	s_andn2_b64 vcc, exec, s[0:1]
	s_cbranch_vccnz .LBB31_995
; %bb.990:
	global_load_ubyte v5, v[2:3], off
	s_movk_i32 s0, 0x7f
	s_mov_b64 s[60:61], 0
	s_waitcnt vmcnt(0)
	v_cmp_lt_i16_e32 vcc, s0, v5
	s_and_saveexec_b64 s[0:1], vcc
	s_xor_b64 s[0:1], exec, s[0:1]
	s_cbranch_execz .LBB31_1007
; %bb.991:
	s_movk_i32 s60, 0x80
	v_cmp_ne_u16_e32 vcc, s60, v5
	s_and_b64 s[60:61], vcc, exec
	s_andn2_saveexec_b64 s[0:1], s[0:1]
	s_cbranch_execnz .LBB31_1008
.LBB31_992:
	s_or_b64 exec, exec, s[0:1]
	v_mov_b32_e32 v4, 0
	s_and_saveexec_b64 s[0:1], s[60:61]
	s_cbranch_execz .LBB31_994
.LBB31_993:
	v_lshlrev_b32_e32 v4, 24, v5
	v_and_b32_e32 v5, 0xffff, v5
	v_and_b32_e32 v6, 7, v5
	v_ffbh_u32_e32 v9, v6
	v_min_u32_e32 v9, 32, v9
	v_subrev_u32_e32 v10, 28, v9
	v_bfe_u32 v7, v5, 3, 4
	v_lshlrev_b32_e32 v5, v10, v5
	v_sub_u32_e32 v9, 29, v9
	v_and_b32_e32 v5, 7, v5
	v_cmp_eq_u32_e32 vcc, 0, v7
	v_cndmask_b32_e32 v7, v7, v9, vcc
	v_cndmask_b32_e32 v5, v6, v5, vcc
	v_mov_b32_e32 v6, 0x3b800000
	v_lshlrev_b32_e32 v5, 20, v5
	v_and_b32_e32 v4, 0x80000000, v4
	v_lshl_add_u32 v6, v7, 23, v6
	v_or3_b32 v4, v4, v6, v5
	v_cvt_i32_f32_e32 v4, v4
.LBB31_994:
	s_or_b64 exec, exec, s[0:1]
.LBB31_995:
	s_mov_b64 s[0:1], -1
.LBB31_996:
	s_mov_b64 s[60:61], 0
.LBB31_997:
	s_and_b64 vcc, exec, s[60:61]
	s_cbranch_vccz .LBB31_1030
; %bb.998:
	s_cmp_gt_i32 s63, 22
	s_cbranch_scc0 .LBB31_1006
; %bb.999:
	s_cmp_lt_i32 s63, 24
	s_cbranch_scc1 .LBB31_1009
; %bb.1000:
	s_cmp_gt_i32 s63, 24
	s_cbranch_scc0 .LBB31_1010
; %bb.1001:
	global_load_ubyte v5, v[2:3], off
	s_movk_i32 s0, 0x7f
	s_mov_b64 s[60:61], 0
	s_waitcnt vmcnt(0)
	v_cmp_lt_i16_e32 vcc, s0, v5
	s_and_saveexec_b64 s[0:1], vcc
	s_xor_b64 s[0:1], exec, s[0:1]
	s_cbranch_execz .LBB31_1022
; %bb.1002:
	s_movk_i32 s60, 0x80
	v_cmp_ne_u16_e32 vcc, s60, v5
	s_and_b64 s[60:61], vcc, exec
	s_andn2_saveexec_b64 s[0:1], s[0:1]
	s_cbranch_execnz .LBB31_1023
.LBB31_1003:
	s_or_b64 exec, exec, s[0:1]
	v_mov_b32_e32 v4, 0
	s_and_saveexec_b64 s[0:1], s[60:61]
	s_cbranch_execz .LBB31_1005
.LBB31_1004:
	v_lshlrev_b32_e32 v4, 24, v5
	v_and_b32_e32 v5, 0xffff, v5
	v_and_b32_e32 v6, 3, v5
	v_ffbh_u32_e32 v9, v6
	v_min_u32_e32 v9, 32, v9
	v_subrev_u32_e32 v10, 29, v9
	v_bfe_u32 v7, v5, 2, 5
	v_lshlrev_b32_e32 v5, v10, v5
	v_sub_u32_e32 v9, 30, v9
	v_and_b32_e32 v5, 3, v5
	v_cmp_eq_u32_e32 vcc, 0, v7
	v_cndmask_b32_e32 v7, v7, v9, vcc
	v_cndmask_b32_e32 v5, v6, v5, vcc
	v_mov_b32_e32 v6, 0x37800000
	v_lshlrev_b32_e32 v5, 21, v5
	v_and_b32_e32 v4, 0x80000000, v4
	v_lshl_add_u32 v6, v7, 23, v6
	v_or3_b32 v4, v4, v6, v5
	v_cvt_i32_f32_e32 v4, v4
.LBB31_1005:
	s_or_b64 exec, exec, s[0:1]
	s_mov_b64 s[0:1], 0
	s_branch .LBB31_1011
.LBB31_1006:
	s_mov_b64 s[60:61], -1
                                        ; implicit-def: $vgpr4
	s_branch .LBB31_1017
.LBB31_1007:
	s_andn2_saveexec_b64 s[0:1], s[0:1]
	s_cbranch_execz .LBB31_992
.LBB31_1008:
	v_cmp_ne_u16_e32 vcc, 0, v5
	s_andn2_b64 s[60:61], s[60:61], exec
	s_and_b64 s[64:65], vcc, exec
	s_or_b64 s[60:61], s[60:61], s[64:65]
	s_or_b64 exec, exec, s[0:1]
	v_mov_b32_e32 v4, 0
	s_and_saveexec_b64 s[0:1], s[60:61]
	s_cbranch_execnz .LBB31_993
	s_branch .LBB31_994
.LBB31_1009:
	s_mov_b64 s[0:1], -1
                                        ; implicit-def: $vgpr4
	s_branch .LBB31_1014
.LBB31_1010:
	s_mov_b64 s[0:1], -1
                                        ; implicit-def: $vgpr4
.LBB31_1011:
	s_and_b64 vcc, exec, s[0:1]
	s_cbranch_vccz .LBB31_1013
; %bb.1012:
	global_load_ubyte v4, v[2:3], off
	s_mov_b32 s0, 0x7f800000
	s_waitcnt vmcnt(0)
	v_lshlrev_b32_e32 v4, 24, v4
	v_and_b32_e32 v5, 0x7f000000, v4
	v_ffbh_u32_e32 v6, v5
	v_min_u32_e32 v6, 32, v6
	v_sub_u32_e64 v6, v6, 4 clamp
	v_lshlrev_b32_e32 v9, v6, v5
	v_lshlrev_b32_e32 v6, 23, v6
	v_lshrrev_b32_e32 v9, 4, v9
	v_add_u32_e32 v7, 0x1000000, v5
	v_sub_u32_e32 v6, v9, v6
	v_ashrrev_i32_e32 v7, 8, v7
	v_add_u32_e32 v6, 0x3c000000, v6
	v_and_or_b32 v6, v7, s0, v6
	v_cmp_ne_u32_e32 vcc, 0, v5
	v_cndmask_b32_e32 v5, 0, v6, vcc
	s_brev_b32 s0, 1
	v_and_or_b32 v4, v4, s0, v5
	v_cvt_i32_f32_e32 v4, v4
.LBB31_1013:
	s_mov_b64 s[0:1], 0
.LBB31_1014:
	s_andn2_b64 vcc, exec, s[0:1]
	s_cbranch_vccnz .LBB31_1016
; %bb.1015:
	global_load_ubyte v4, v[2:3], off
	s_movk_i32 s0, 0x7f00
	s_brev_b32 s1, 16
	s_waitcnt vmcnt(0)
	v_lshlrev_b16_e32 v5, 8, v4
	v_lshlrev_b32_e32 v4, 25, v4
	v_lshrrev_b32_e32 v6, 4, v4
	v_and_or_b32 v7, v5, s0, 0.5
	v_or_b32_e32 v6, 0x70000000, v6
	v_add_f32_e32 v7, -0.5, v7
	v_mul_f32_e32 v6, 0x7800000, v6
	v_cmp_gt_u32_e32 vcc, s1, v4
	v_bfe_i32 v5, v5, 0, 16
	v_cndmask_b32_e32 v4, v6, v7, vcc
	s_brev_b32 s0, 1
	v_and_or_b32 v4, v5, s0, v4
	v_cvt_i32_f32_e32 v4, v4
.LBB31_1016:
	s_mov_b64 s[60:61], 0
	s_mov_b64 s[0:1], -1
.LBB31_1017:
	s_andn2_b64 vcc, exec, s[60:61]
	s_cbranch_vccnz .LBB31_1030
; %bb.1018:
	s_cmp_gt_i32 s63, 14
	s_cbranch_scc0 .LBB31_1021
; %bb.1019:
	s_cmp_eq_u32 s63, 15
	s_cbranch_scc0 .LBB31_1024
; %bb.1020:
	global_load_ushort v4, v[2:3], off
	s_mov_b64 s[0:1], -1
	s_mov_b64 s[58:59], 0
	s_waitcnt vmcnt(0)
	v_lshlrev_b32_e32 v4, 16, v4
	v_cvt_i32_f32_e32 v4, v4
	s_branch .LBB31_1025
.LBB31_1021:
	s_mov_b64 s[60:61], -1
                                        ; implicit-def: $vgpr4
	s_branch .LBB31_1026
.LBB31_1022:
	s_andn2_saveexec_b64 s[0:1], s[0:1]
	s_cbranch_execz .LBB31_1003
.LBB31_1023:
	v_cmp_ne_u16_e32 vcc, 0, v5
	s_andn2_b64 s[60:61], s[60:61], exec
	s_and_b64 s[64:65], vcc, exec
	s_or_b64 s[60:61], s[60:61], s[64:65]
	s_or_b64 exec, exec, s[0:1]
	v_mov_b32_e32 v4, 0
	s_and_saveexec_b64 s[0:1], s[60:61]
	s_cbranch_execnz .LBB31_1004
	s_branch .LBB31_1005
.LBB31_1024:
	s_mov_b64 s[58:59], -1
                                        ; implicit-def: $vgpr4
.LBB31_1025:
	s_mov_b64 s[60:61], 0
.LBB31_1026:
	s_and_b64 vcc, exec, s[60:61]
	s_cbranch_vccz .LBB31_1030
; %bb.1027:
	s_cmp_eq_u32 s63, 11
	s_cbranch_scc0 .LBB31_1029
; %bb.1028:
	global_load_ubyte v4, v[2:3], off
	s_mov_b64 s[0:1], -1
	s_mov_b64 s[58:59], 0
	s_waitcnt vmcnt(0)
	v_cmp_ne_u16_e32 vcc, 0, v4
	v_cndmask_b32_e64 v4, 0, 1, vcc
	s_branch .LBB31_1030
.LBB31_1029:
	s_mov_b64 s[58:59], -1
                                        ; implicit-def: $vgpr4
.LBB31_1030:
	s_mov_b64 s[60:61], 0
.LBB31_1031:
	s_and_b64 vcc, exec, s[60:61]
	s_cbranch_vccz .LBB31_1080
; %bb.1032:
	s_and_b32 s60, 0xffff, s62
	s_cmp_lt_i32 s60, 5
	s_cbranch_scc1 .LBB31_1037
; %bb.1033:
	s_cmp_lt_i32 s60, 8
	s_cbranch_scc1 .LBB31_1038
; %bb.1034:
	;; [unrolled: 3-line block ×3, first 2 shown]
	s_cmp_gt_i32 s60, 9
	s_cbranch_scc0 .LBB31_1040
; %bb.1036:
	global_load_dwordx2 v[4:5], v[2:3], off
	s_mov_b64 s[0:1], 0
	s_waitcnt vmcnt(0)
	v_cvt_i32_f64_e32 v4, v[4:5]
	s_branch .LBB31_1041
.LBB31_1037:
	s_mov_b64 s[0:1], -1
                                        ; implicit-def: $vgpr4
	s_branch .LBB31_1059
.LBB31_1038:
	s_mov_b64 s[0:1], -1
                                        ; implicit-def: $vgpr4
	s_branch .LBB31_1047
.LBB31_1039:
	s_mov_b64 s[0:1], -1
                                        ; implicit-def: $vgpr4
	s_branch .LBB31_1044
.LBB31_1040:
	s_mov_b64 s[0:1], -1
                                        ; implicit-def: $vgpr4
.LBB31_1041:
	s_andn2_b64 vcc, exec, s[0:1]
	s_cbranch_vccnz .LBB31_1043
; %bb.1042:
	global_load_dword v4, v[2:3], off
	s_waitcnt vmcnt(0)
	v_cvt_i32_f32_e32 v4, v4
.LBB31_1043:
	s_mov_b64 s[0:1], 0
.LBB31_1044:
	s_andn2_b64 vcc, exec, s[0:1]
	s_cbranch_vccnz .LBB31_1046
; %bb.1045:
	global_load_dword v4, v[2:3], off
	s_waitcnt vmcnt(0)
	v_cvt_i16_f16_e32 v4, v4
.LBB31_1046:
	s_mov_b64 s[0:1], 0
.LBB31_1047:
	s_andn2_b64 vcc, exec, s[0:1]
	s_cbranch_vccnz .LBB31_1058
; %bb.1048:
	s_cmp_lt_i32 s60, 6
	s_cbranch_scc1 .LBB31_1051
; %bb.1049:
	s_cmp_gt_i32 s60, 6
	s_cbranch_scc0 .LBB31_1052
; %bb.1050:
	global_load_dwordx2 v[4:5], v[2:3], off
	s_mov_b64 s[0:1], 0
	s_waitcnt vmcnt(0)
	v_cvt_i32_f64_e32 v4, v[4:5]
	s_branch .LBB31_1053
.LBB31_1051:
	s_mov_b64 s[0:1], -1
                                        ; implicit-def: $vgpr4
	s_branch .LBB31_1056
.LBB31_1052:
	s_mov_b64 s[0:1], -1
                                        ; implicit-def: $vgpr4
.LBB31_1053:
	s_andn2_b64 vcc, exec, s[0:1]
	s_cbranch_vccnz .LBB31_1055
; %bb.1054:
	global_load_dword v4, v[2:3], off
	s_waitcnt vmcnt(0)
	v_cvt_i32_f32_e32 v4, v4
.LBB31_1055:
	s_mov_b64 s[0:1], 0
.LBB31_1056:
	s_andn2_b64 vcc, exec, s[0:1]
	s_cbranch_vccnz .LBB31_1058
; %bb.1057:
	global_load_ushort v4, v[2:3], off
	s_waitcnt vmcnt(0)
	v_cvt_i16_f16_e32 v4, v4
.LBB31_1058:
	s_mov_b64 s[0:1], 0
.LBB31_1059:
	s_andn2_b64 vcc, exec, s[0:1]
	s_cbranch_vccnz .LBB31_1079
; %bb.1060:
	s_cmp_lt_i32 s60, 2
	s_cbranch_scc1 .LBB31_1064
; %bb.1061:
	s_cmp_lt_i32 s60, 3
	s_cbranch_scc1 .LBB31_1065
; %bb.1062:
	s_cmp_gt_i32 s60, 3
	s_cbranch_scc0 .LBB31_1066
; %bb.1063:
	global_load_dwordx2 v[4:5], v[2:3], off
	s_mov_b64 s[0:1], 0
	s_branch .LBB31_1067
.LBB31_1064:
	s_mov_b64 s[0:1], -1
                                        ; implicit-def: $vgpr4
	s_branch .LBB31_1073
.LBB31_1065:
	s_mov_b64 s[0:1], -1
                                        ; implicit-def: $vgpr4
	s_branch .LBB31_1070
.LBB31_1066:
	s_mov_b64 s[0:1], -1
                                        ; implicit-def: $vgpr4
.LBB31_1067:
	s_andn2_b64 vcc, exec, s[0:1]
	s_cbranch_vccnz .LBB31_1069
; %bb.1068:
	global_load_dword v4, v[2:3], off
.LBB31_1069:
	s_mov_b64 s[0:1], 0
.LBB31_1070:
	s_andn2_b64 vcc, exec, s[0:1]
	s_cbranch_vccnz .LBB31_1072
; %bb.1071:
	global_load_ushort v4, v[2:3], off
.LBB31_1072:
	s_mov_b64 s[0:1], 0
.LBB31_1073:
	s_andn2_b64 vcc, exec, s[0:1]
	s_cbranch_vccnz .LBB31_1079
; %bb.1074:
	s_cmp_gt_i32 s60, 0
	s_cbranch_scc0 .LBB31_1076
; %bb.1075:
	global_load_ubyte v4, v[2:3], off
	s_mov_b64 s[0:1], 0
	s_branch .LBB31_1077
.LBB31_1076:
	s_mov_b64 s[0:1], -1
                                        ; implicit-def: $vgpr4
.LBB31_1077:
	s_andn2_b64 vcc, exec, s[0:1]
	s_cbranch_vccnz .LBB31_1079
; %bb.1078:
	global_load_ubyte v4, v[2:3], off
.LBB31_1079:
	s_mov_b64 s[0:1], -1
.LBB31_1080:
	s_andn2_b64 vcc, exec, s[0:1]
	s_cbranch_vccnz .LBB31_1085
; %bb.1081:
	s_cmp_lt_i32 s14, 1
	s_mov_b64 s[0:1], 0
	s_cbranch_scc1 .LBB31_1086
; %bb.1082:
	s_cmp_gt_i32 s14, 1
	s_cbranch_scc0 .LBB31_1087
; %bb.1083:
	s_cmp_eq_u32 s14, 2
	s_cbranch_scc0 .LBB31_1088
; %bb.1084:
	s_waitcnt vmcnt(0)
	v_cmp_le_i16_sdwa s[60:61], sext(v1), sext(v4) src0_sel:BYTE_0 src1_sel:BYTE_0
	s_mov_b64 s[62:63], 0
	s_branch .LBB31_1089
.LBB31_1085:
	s_mov_b64 s[62:63], 0
                                        ; implicit-def: $vgpr8
	s_mov_b64 s[0:1], s[50:51]
	s_branch .LBB31_1221
.LBB31_1086:
	s_mov_b64 s[64:65], -1
                                        ; implicit-def: $sgpr60_sgpr61
	s_mov_b64 s[62:63], 0
	s_branch .LBB31_1093
.LBB31_1087:
	s_mov_b64 s[64:65], -1
	s_mov_b64 s[62:63], 0
                                        ; implicit-def: $sgpr60_sgpr61
	s_branch .LBB31_1090
.LBB31_1088:
	s_mov_b64 s[62:63], -1
                                        ; implicit-def: $sgpr60_sgpr61
.LBB31_1089:
	s_mov_b64 s[64:65], 0
.LBB31_1090:
	s_and_b64 vcc, exec, s[64:65]
	s_cbranch_vccz .LBB31_1092
; %bb.1091:
	s_waitcnt vmcnt(0)
	v_cmp_gt_i16_sdwa s[64:65], sext(v1), sext(v4) src0_sel:BYTE_0 src1_sel:BYTE_0
	s_andn2_b64 s[60:61], s[60:61], exec
	s_and_b64 s[64:65], s[64:65], exec
	s_or_b64 s[60:61], s[60:61], s[64:65]
.LBB31_1092:
	s_mov_b64 s[64:65], 0
.LBB31_1093:
	s_and_b64 vcc, exec, s[64:65]
	s_cbranch_vccz .LBB31_1104
; %bb.1094:
	s_cmp_lg_u32 s14, 0
	s_mov_b64 s[0:1], -1
	s_cselect_b64 s[62:63], -1, 0
	s_andn2_b64 vcc, exec, s[62:63]
	s_cbranch_vccz .LBB31_1105
.LBB31_1095:
	s_andn2_b64 vcc, exec, s[0:1]
	s_cbranch_vccnz .LBB31_1097
.LBB31_1096:
	s_waitcnt vmcnt(0)
	v_cmp_ge_i16_sdwa s[0:1], sext(v1), sext(v4) src0_sel:BYTE_0 src1_sel:BYTE_0
	s_andn2_b64 s[60:61], s[60:61], exec
	s_and_b64 s[0:1], s[0:1], exec
	s_or_b64 s[60:61], s[60:61], s[0:1]
.LBB31_1097:
	v_mov_b32_e32 v1, s9
	s_and_b32 s69, s15, 0xff
	v_add_co_u32_e32 v0, vcc, s8, v0
	s_cmp_lt_i32 s69, 11
	v_addc_co_u32_e32 v1, vcc, 0, v1, vcc
	s_cbranch_scc1 .LBB31_1106
; %bb.1098:
	s_and_b32 s74, 0xffff, s69
	s_cmp_gt_i32 s74, 25
	s_cbranch_scc0 .LBB31_1107
; %bb.1099:
	s_cmp_gt_i32 s74, 28
	s_cbranch_scc0 .LBB31_1108
; %bb.1100:
	;; [unrolled: 3-line block ×4, first 2 shown]
	s_mov_b64 s[64:65], 0
	s_mov_b64 s[0:1], -1
	s_cmp_eq_u32 s74, 46
	s_mov_b64 s[62:63], 0
	s_cbranch_scc0 .LBB31_1111
; %bb.1103:
	v_cndmask_b32_e64 v2, 0, 1.0, s[60:61]
	v_bfe_u32 v3, v2, 16, 1
	s_movk_i32 s0, 0x7fff
	v_add3_u32 v2, v2, v3, s0
	v_lshrrev_b32_e32 v2, 16, v2
	global_store_dword v[0:1], v2, off
	s_mov_b64 s[62:63], -1
	s_mov_b64 s[0:1], 0
	s_branch .LBB31_1111
.LBB31_1104:
	s_andn2_b64 vcc, exec, s[62:63]
	s_cbranch_vccnz .LBB31_1095
.LBB31_1105:
	s_waitcnt vmcnt(0)
	v_cmp_lt_i16_sdwa s[62:63], sext(v1), sext(v4) src0_sel:BYTE_0 src1_sel:BYTE_0
	s_andn2_b64 s[60:61], s[60:61], exec
	s_and_b64 s[62:63], s[62:63], exec
	s_or_b64 s[60:61], s[60:61], s[62:63]
	s_cbranch_execz .LBB31_1096
	s_branch .LBB31_1097
.LBB31_1106:
	s_mov_b64 s[64:65], -1
	s_mov_b64 s[62:63], 0
	s_mov_b64 s[0:1], s[50:51]
	s_branch .LBB31_1180
.LBB31_1107:
	s_mov_b64 s[64:65], -1
	s_mov_b64 s[62:63], 0
	s_mov_b64 s[0:1], s[50:51]
	s_branch .LBB31_1138
.LBB31_1108:
	s_mov_b64 s[64:65], -1
	s_mov_b64 s[62:63], 0
	s_mov_b64 s[0:1], s[50:51]
	s_branch .LBB31_1121
.LBB31_1109:
	s_mov_b64 s[64:65], -1
	s_mov_b64 s[62:63], 0
	s_mov_b64 s[0:1], s[50:51]
	s_branch .LBB31_1117
.LBB31_1110:
	s_mov_b64 s[64:65], -1
	s_mov_b64 s[62:63], 0
	s_mov_b64 s[0:1], s[50:51]
.LBB31_1111:
	s_and_b64 vcc, exec, s[64:65]
	s_cbranch_vccz .LBB31_1116
; %bb.1112:
	s_cmp_eq_u32 s74, 44
	s_mov_b64 s[0:1], -1
	s_cbranch_scc0 .LBB31_1116
; %bb.1113:
	v_cndmask_b32_e64 v3, 0, 1.0, s[60:61]
	v_lshrrev_b32_e32 v2, 23, v3
	s_movk_i32 s0, 0xff
	v_cmp_ne_u32_e32 vcc, s0, v2
	s_waitcnt vmcnt(0)
	v_mov_b32_e32 v4, 0xff
	s_and_saveexec_b64 s[62:63], vcc
; %bb.1114:
	s_mov_b32 s0, 0x3fffff
	v_and_b32_e32 v4, 0x400000, v3
	v_and_or_b32 v3, v3, s0, v2
	v_cmp_ne_u32_e32 vcc, 0, v4
	v_cmp_ne_u32_e64 s[0:1], 0, v3
	s_and_b64 s[0:1], vcc, s[0:1]
	v_cndmask_b32_e64 v3, 0, 1, s[0:1]
	v_add_u32_e32 v4, v2, v3
; %bb.1115:
	s_or_b64 exec, exec, s[62:63]
	s_mov_b64 s[62:63], -1
	s_mov_b64 s[0:1], 0
	global_store_byte v[0:1], v4, off
.LBB31_1116:
	s_mov_b64 s[64:65], 0
.LBB31_1117:
	s_and_b64 vcc, exec, s[64:65]
	s_cbranch_vccz .LBB31_1120
; %bb.1118:
	s_cmp_eq_u32 s74, 29
	s_mov_b64 s[0:1], -1
	s_cbranch_scc0 .LBB31_1120
; %bb.1119:
	s_mov_b32 s0, 0
	v_cndmask_b32_e64 v2, 0, 1, s[60:61]
	v_mov_b32_e32 v3, s0
	global_store_dwordx2 v[0:1], v[2:3], off
	s_mov_b64 s[62:63], -1
	s_mov_b64 s[0:1], 0
.LBB31_1120:
	s_mov_b64 s[64:65], 0
.LBB31_1121:
	s_and_b64 vcc, exec, s[64:65]
	s_cbranch_vccz .LBB31_1137
; %bb.1122:
	s_cmp_lt_i32 s74, 27
	s_mov_b64 s[62:63], -1
	s_cbranch_scc1 .LBB31_1128
; %bb.1123:
	s_cmp_gt_i32 s74, 27
	s_cbranch_scc0 .LBB31_1125
; %bb.1124:
	v_cndmask_b32_e64 v2, 0, 1, s[60:61]
	s_mov_b64 s[62:63], 0
	global_store_dword v[0:1], v2, off
.LBB31_1125:
	s_andn2_b64 vcc, exec, s[62:63]
	s_cbranch_vccnz .LBB31_1127
; %bb.1126:
	v_cndmask_b32_e64 v2, 0, 1, s[60:61]
	global_store_short v[0:1], v2, off
.LBB31_1127:
	s_mov_b64 s[62:63], 0
.LBB31_1128:
	s_andn2_b64 vcc, exec, s[62:63]
	s_cbranch_vccnz .LBB31_1136
; %bb.1129:
	v_cndmask_b32_e64 v3, 0, 1.0, s[60:61]
	s_mov_b32 s62, 0x43800000
	v_cmp_gt_u32_e32 vcc, s62, v3
	s_waitcnt vmcnt(0)
	v_mov_b32_e32 v4, 0x80
	s_and_saveexec_b64 s[62:63], vcc
	s_cbranch_execz .LBB31_1135
; %bb.1130:
	s_mov_b32 s64, 0x3bffffff
	v_cmp_lt_u32_e32 vcc, s64, v3
	s_mov_b64 s[64:65], 0
                                        ; implicit-def: $vgpr2
	s_and_saveexec_b64 s[66:67], vcc
	s_xor_b64 s[66:67], exec, s[66:67]
	s_cbranch_execz .LBB31_1249
; %bb.1131:
	v_bfe_u32 v2, v3, 20, 1
	s_mov_b32 s75, 0x487ffff
	v_add3_u32 v2, v3, v2, s75
	s_mov_b64 s[64:65], exec
	v_lshrrev_b32_e32 v2, 20, v2
                                        ; implicit-def: $vgpr3
	s_andn2_saveexec_b64 s[66:67], s[66:67]
	s_cbranch_execnz .LBB31_1250
.LBB31_1132:
	s_or_b64 exec, exec, s[66:67]
	v_mov_b32_e32 v4, 0
	s_and_saveexec_b64 s[66:67], s[64:65]
.LBB31_1133:
	v_mov_b32_e32 v4, v2
.LBB31_1134:
	s_or_b64 exec, exec, s[66:67]
.LBB31_1135:
	s_or_b64 exec, exec, s[62:63]
	global_store_byte v[0:1], v4, off
.LBB31_1136:
	s_mov_b64 s[62:63], -1
.LBB31_1137:
	s_mov_b64 s[64:65], 0
.LBB31_1138:
	s_and_b64 vcc, exec, s[64:65]
	s_cbranch_vccz .LBB31_1179
; %bb.1139:
	s_cmp_gt_i32 s74, 22
	s_mov_b64 s[64:65], -1
	s_cbranch_scc0 .LBB31_1171
; %bb.1140:
	s_cmp_lt_i32 s74, 24
	s_mov_b64 s[62:63], -1
	s_cbranch_scc1 .LBB31_1160
; %bb.1141:
	s_cmp_gt_i32 s74, 24
	s_cbranch_scc0 .LBB31_1149
; %bb.1142:
	v_cndmask_b32_e64 v3, 0, 1.0, s[60:61]
	s_mov_b32 s62, 0x47800000
	v_cmp_gt_u32_e32 vcc, s62, v3
	s_waitcnt vmcnt(0)
	v_mov_b32_e32 v4, 0x80
	s_and_saveexec_b64 s[62:63], vcc
	s_cbranch_execz .LBB31_1148
; %bb.1143:
	s_mov_b32 s64, 0x37ffffff
	v_cmp_lt_u32_e32 vcc, s64, v3
	s_mov_b64 s[64:65], 0
                                        ; implicit-def: $vgpr2
	s_and_saveexec_b64 s[66:67], vcc
	s_xor_b64 s[66:67], exec, s[66:67]
	s_cbranch_execz .LBB31_2335
; %bb.1144:
	v_bfe_u32 v2, v3, 21, 1
	s_mov_b32 s75, 0x88fffff
	v_add3_u32 v2, v3, v2, s75
	s_mov_b64 s[64:65], exec
	v_lshrrev_b32_e32 v2, 21, v2
                                        ; implicit-def: $vgpr3
	s_andn2_saveexec_b64 s[66:67], s[66:67]
	s_cbranch_execnz .LBB31_2336
.LBB31_1145:
	s_or_b64 exec, exec, s[66:67]
	v_mov_b32_e32 v4, 0
	s_and_saveexec_b64 s[66:67], s[64:65]
.LBB31_1146:
	v_mov_b32_e32 v4, v2
.LBB31_1147:
	s_or_b64 exec, exec, s[66:67]
.LBB31_1148:
	s_or_b64 exec, exec, s[62:63]
	s_mov_b64 s[62:63], 0
	global_store_byte v[0:1], v4, off
.LBB31_1149:
	s_and_b64 vcc, exec, s[62:63]
	s_cbranch_vccz .LBB31_1159
; %bb.1150:
	v_cndmask_b32_e64 v2, 0, 1.0, s[60:61]
	s_mov_b32 s62, 0x43f00000
	v_cmp_gt_u32_e32 vcc, s62, v2
                                        ; implicit-def: $vgpr3
	s_and_saveexec_b64 s[62:63], vcc
	s_xor_b64 s[62:63], exec, s[62:63]
	s_cbranch_execz .LBB31_1156
; %bb.1151:
	s_mov_b32 s64, 0x3c7fffff
	v_cmp_lt_u32_e32 vcc, s64, v2
                                        ; implicit-def: $vgpr3
	s_and_saveexec_b64 s[64:65], vcc
	s_xor_b64 s[64:65], exec, s[64:65]
	s_cbranch_execz .LBB31_1153
; %bb.1152:
	v_bfe_u32 v3, v2, 20, 1
	s_mov_b32 s66, 0x407ffff
	v_add3_u32 v2, v2, v3, s66
	v_lshrrev_b32_e32 v3, 20, v2
	v_and_b32_e32 v2, 0xff00000, v2
	s_mov_b32 s66, 0x7f00000
	s_waitcnt vmcnt(0)
	v_mov_b32_e32 v4, 0x7e
	v_cmp_ne_u32_e32 vcc, s66, v2
	v_cndmask_b32_e32 v3, v4, v3, vcc
                                        ; implicit-def: $vgpr2
.LBB31_1153:
	s_andn2_saveexec_b64 s[64:65], s[64:65]
; %bb.1154:
	v_add_f32_e32 v3, 0x46800000, v2
; %bb.1155:
	s_or_b64 exec, exec, s[64:65]
                                        ; implicit-def: $vgpr2
.LBB31_1156:
	s_andn2_saveexec_b64 s[62:63], s[62:63]
	s_cbranch_execz .LBB31_1158
; %bb.1157:
	s_mov_b32 s64, 0x7f800000
	v_mov_b32_e32 v3, 0x7e
	s_waitcnt vmcnt(0)
	v_mov_b32_e32 v4, 0x7f
	v_cmp_lt_u32_e32 vcc, s64, v2
	v_cndmask_b32_e32 v3, v3, v4, vcc
.LBB31_1158:
	s_or_b64 exec, exec, s[62:63]
	global_store_byte v[0:1], v3, off
.LBB31_1159:
	s_mov_b64 s[62:63], 0
.LBB31_1160:
	s_andn2_b64 vcc, exec, s[62:63]
	s_cbranch_vccnz .LBB31_1170
; %bb.1161:
	v_cndmask_b32_e64 v2, 0, 1.0, s[60:61]
	s_mov_b32 s62, 0x47800000
	v_cmp_gt_u32_e32 vcc, s62, v2
                                        ; implicit-def: $vgpr3
	s_and_saveexec_b64 s[62:63], vcc
	s_xor_b64 s[62:63], exec, s[62:63]
	s_cbranch_execz .LBB31_1167
; %bb.1162:
	s_mov_b32 s64, 0x387fffff
	v_cmp_lt_u32_e32 vcc, s64, v2
                                        ; implicit-def: $vgpr3
	s_and_saveexec_b64 s[64:65], vcc
	s_xor_b64 s[64:65], exec, s[64:65]
; %bb.1163:
	v_bfe_u32 v3, v2, 21, 1
	s_mov_b32 s66, 0x80fffff
	v_add3_u32 v2, v2, v3, s66
	v_lshrrev_b32_e32 v3, 21, v2
                                        ; implicit-def: $vgpr2
; %bb.1164:
	s_andn2_saveexec_b64 s[64:65], s[64:65]
; %bb.1165:
	v_add_f32_e32 v3, 0x43000000, v2
; %bb.1166:
	s_or_b64 exec, exec, s[64:65]
                                        ; implicit-def: $vgpr2
.LBB31_1167:
	s_andn2_saveexec_b64 s[62:63], s[62:63]
	s_cbranch_execz .LBB31_1169
; %bb.1168:
	s_mov_b32 s64, 0x7f800000
	v_mov_b32_e32 v3, 0x7c
	s_waitcnt vmcnt(0)
	v_mov_b32_e32 v4, 0x7f
	v_cmp_lt_u32_e32 vcc, s64, v2
	v_cndmask_b32_e32 v3, v3, v4, vcc
.LBB31_1169:
	s_or_b64 exec, exec, s[62:63]
	global_store_byte v[0:1], v3, off
.LBB31_1170:
	s_mov_b64 s[64:65], 0
	s_mov_b64 s[62:63], -1
.LBB31_1171:
	s_andn2_b64 vcc, exec, s[64:65]
	s_cbranch_vccnz .LBB31_1179
; %bb.1172:
	s_cmp_gt_i32 s74, 14
	s_mov_b64 s[64:65], -1
	s_cbranch_scc0 .LBB31_1176
; %bb.1173:
	s_cmp_eq_u32 s74, 15
	s_mov_b64 s[0:1], -1
	s_cbranch_scc0 .LBB31_1175
; %bb.1174:
	v_cndmask_b32_e64 v2, 0, 1.0, s[60:61]
	v_bfe_u32 v3, v2, 16, 1
	s_movk_i32 s0, 0x7fff
	v_add3_u32 v2, v2, v3, s0
	global_store_short_d16_hi v[0:1], v2, off
	s_mov_b64 s[62:63], -1
	s_mov_b64 s[0:1], 0
.LBB31_1175:
	s_mov_b64 s[64:65], 0
.LBB31_1176:
	s_and_b64 vcc, exec, s[64:65]
	s_cbranch_vccz .LBB31_1179
; %bb.1177:
	s_cmp_eq_u32 s74, 11
	s_mov_b64 s[0:1], -1
	s_cbranch_scc0 .LBB31_1179
; %bb.1178:
	v_cndmask_b32_e64 v2, 0, 1, s[60:61]
	s_mov_b64 s[62:63], -1
	s_mov_b64 s[0:1], 0
	global_store_byte v[0:1], v2, off
.LBB31_1179:
	s_mov_b64 s[64:65], 0
.LBB31_1180:
	s_and_b64 vcc, exec, s[64:65]
	s_cbranch_vccz .LBB31_1219
; %bb.1181:
	s_and_b32 s64, 0xffff, s69
	s_cmp_lt_i32 s64, 5
	s_mov_b64 s[62:63], -1
	s_cbranch_scc1 .LBB31_1202
; %bb.1182:
	s_cmp_lt_i32 s64, 8
	s_cbranch_scc1 .LBB31_1192
; %bb.1183:
	s_cmp_lt_i32 s64, 9
	s_cbranch_scc1 .LBB31_1189
; %bb.1184:
	s_cmp_gt_i32 s64, 9
	s_cbranch_scc0 .LBB31_1186
; %bb.1185:
	v_cndmask_b32_e64 v2, 0, 1, s[60:61]
	v_cvt_f64_u32_e32 v[2:3], v2
	s_waitcnt vmcnt(0)
	v_mov_b32_e32 v4, 0
	v_mov_b32_e32 v5, v4
	s_mov_b64 s[62:63], 0
	global_store_dwordx4 v[0:1], v[2:5], off
.LBB31_1186:
	s_andn2_b64 vcc, exec, s[62:63]
	s_cbranch_vccnz .LBB31_1188
; %bb.1187:
	v_cndmask_b32_e64 v2, 0, 1.0, s[60:61]
	v_mov_b32_e32 v3, 0
	global_store_dwordx2 v[0:1], v[2:3], off
.LBB31_1188:
	s_mov_b64 s[62:63], 0
.LBB31_1189:
	s_andn2_b64 vcc, exec, s[62:63]
	s_cbranch_vccnz .LBB31_1191
; %bb.1190:
	v_cndmask_b32_e64 v2, 0, 1.0, s[60:61]
	v_cvt_f16_f32_e32 v2, v2
	global_store_dword v[0:1], v2, off
.LBB31_1191:
	s_mov_b64 s[62:63], 0
.LBB31_1192:
	s_andn2_b64 vcc, exec, s[62:63]
	s_cbranch_vccnz .LBB31_1201
; %bb.1193:
	s_cmp_lt_i32 s64, 6
	s_mov_b64 s[62:63], -1
	s_cbranch_scc1 .LBB31_1199
; %bb.1194:
	s_cmp_gt_i32 s64, 6
	s_cbranch_scc0 .LBB31_1196
; %bb.1195:
	v_cndmask_b32_e64 v2, 0, 1, s[60:61]
	v_cvt_f64_u32_e32 v[2:3], v2
	s_mov_b64 s[62:63], 0
	global_store_dwordx2 v[0:1], v[2:3], off
.LBB31_1196:
	s_andn2_b64 vcc, exec, s[62:63]
	s_cbranch_vccnz .LBB31_1198
; %bb.1197:
	v_cndmask_b32_e64 v2, 0, 1.0, s[60:61]
	global_store_dword v[0:1], v2, off
.LBB31_1198:
	s_mov_b64 s[62:63], 0
.LBB31_1199:
	s_andn2_b64 vcc, exec, s[62:63]
	s_cbranch_vccnz .LBB31_1201
; %bb.1200:
	v_cndmask_b32_e64 v2, 0, 1.0, s[60:61]
	v_cvt_f16_f32_e32 v2, v2
	global_store_short v[0:1], v2, off
.LBB31_1201:
	s_mov_b64 s[62:63], 0
.LBB31_1202:
	s_andn2_b64 vcc, exec, s[62:63]
	s_cbranch_vccnz .LBB31_1218
; %bb.1203:
	s_cmp_lt_i32 s64, 2
	s_mov_b64 s[62:63], -1
	s_cbranch_scc1 .LBB31_1213
; %bb.1204:
	s_cmp_lt_i32 s64, 3
	s_cbranch_scc1 .LBB31_1210
; %bb.1205:
	s_cmp_gt_i32 s64, 3
	s_cbranch_scc0 .LBB31_1207
; %bb.1206:
	s_mov_b32 s62, 0
	v_cndmask_b32_e64 v2, 0, 1, s[60:61]
	v_mov_b32_e32 v3, s62
	s_mov_b64 s[62:63], 0
	global_store_dwordx2 v[0:1], v[2:3], off
.LBB31_1207:
	s_andn2_b64 vcc, exec, s[62:63]
	s_cbranch_vccnz .LBB31_1209
; %bb.1208:
	v_cndmask_b32_e64 v2, 0, 1, s[60:61]
	global_store_dword v[0:1], v2, off
.LBB31_1209:
	s_mov_b64 s[62:63], 0
.LBB31_1210:
	s_andn2_b64 vcc, exec, s[62:63]
	s_cbranch_vccnz .LBB31_1212
; %bb.1211:
	v_cndmask_b32_e64 v2, 0, 1, s[60:61]
	global_store_short v[0:1], v2, off
.LBB31_1212:
	s_mov_b64 s[62:63], 0
.LBB31_1213:
	s_andn2_b64 vcc, exec, s[62:63]
	s_cbranch_vccnz .LBB31_1218
; %bb.1214:
	s_mov_b64 s[62:63], -1
	s_cmp_gt_i32 s64, 0
	v_cndmask_b32_e64 v2, 0, 1, s[60:61]
	s_cbranch_scc0 .LBB31_1216
; %bb.1215:
	s_mov_b64 s[62:63], 0
	global_store_byte v[0:1], v2, off
.LBB31_1216:
	s_andn2_b64 vcc, exec, s[62:63]
	s_cbranch_vccnz .LBB31_1218
; %bb.1217:
	global_store_byte v[0:1], v2, off
.LBB31_1218:
	s_mov_b64 s[62:63], -1
.LBB31_1219:
	s_andn2_b64 vcc, exec, s[62:63]
	s_cbranch_vccnz .LBB31_1231
; %bb.1220:
	v_add_u32_e32 v8, 0x80, v8
	s_mov_b64 s[62:63], -1
.LBB31_1221:
	s_andn2_b64 s[60:61], s[50:51], exec
	s_and_b64 s[0:1], s[0:1], exec
	s_or_b64 s[60:61], s[60:61], s[0:1]
	s_andn2_b64 s[0:1], s[48:49], exec
	s_and_b64 s[58:59], s[58:59], exec
	s_or_b64 s[58:59], s[0:1], s[58:59]
	;; [unrolled: 3-line block ×3, first 2 shown]
	s_orn2_b64 s[66:67], s[62:63], exec
.LBB31_1222:
	s_or_b64 exec, exec, s[54:55]
	s_mov_b64 s[62:63], 0
	s_mov_b64 s[56:57], 0
	;; [unrolled: 1-line block ×3, first 2 shown]
                                        ; implicit-def: $sgpr74
                                        ; implicit-def: $vgpr4_vgpr5
                                        ; implicit-def: $vgpr0
                                        ; implicit-def: $vgpr3
                                        ; implicit-def: $vgpr1
	s_and_saveexec_b64 s[54:55], s[66:67]
	s_cbranch_execz .LBB31_1313
; %bb.1223:
	v_cmp_gt_i32_e32 vcc, s68, v8
	s_mov_b64 s[66:67], s[0:1]
	s_mov_b64 s[68:69], 0
                                        ; implicit-def: $sgpr74
                                        ; implicit-def: $vgpr4_vgpr5
                                        ; implicit-def: $vgpr0
                                        ; implicit-def: $vgpr3
                                        ; implicit-def: $vgpr1
	s_and_saveexec_b64 s[56:57], vcc
	s_cbranch_execz .LBB31_1312
; %bb.1224:
	s_andn2_b64 vcc, exec, s[24:25]
	s_cbranch_vccnz .LBB31_1230
; %bb.1225:
	s_andn2_b64 vcc, exec, s[36:37]
	s_cbranch_vccnz .LBB31_1232
; %bb.1226:
	s_add_i32 s36, s73, 1
	s_and_b32 s62, s36, 30
	s_add_u32 s36, s2, 0xffffffe8
	s_addc_u32 s37, s3, -1
	v_mov_b32_e32 v3, 0
	s_waitcnt vmcnt(0)
	v_mov_b32_e32 v5, 0
	v_mov_b32_e32 v0, 0
	;; [unrolled: 1-line block ×3, first 2 shown]
.LBB31_1227:                            ; =>This Inner Loop Header: Depth=1
	s_load_dwordx4 s[64:67], s[36:37], 0x1c
	s_load_dwordx2 s[68:69], s[36:37], 0x2c
	s_load_dwordx2 s[74:75], s[36:37], 0xec
	s_load_dwordx4 s[76:79], s[36:37], 0xdc
	s_add_u32 s36, s36, 24
	s_waitcnt lgkmcnt(0)
	v_mul_hi_u32 v2, s65, v1
	s_addc_u32 s37, s37, 0
	s_add_i32 s62, s62, -2
	s_cmp_eq_u32 s62, 0
	v_add_u32_e32 v2, v1, v2
	v_lshrrev_b32_e32 v2, s66, v2
	v_mul_lo_u32 v4, v2, s64
	v_mul_hi_u32 v6, s68, v2
	v_sub_u32_e32 v4, v1, v4
	v_add_u32_e32 v1, v2, v6
	v_lshrrev_b32_e32 v1, s69, v1
	v_mul_lo_u32 v9, v1, s67
	v_mul_lo_u32 v6, v4, s76
	;; [unrolled: 1-line block ×4, first 2 shown]
	v_sub_u32_e32 v2, v2, v9
	v_mul_lo_u32 v9, v2, s79
	v_mul_lo_u32 v10, v2, s74
	;; [unrolled: 1-line block ×3, first 2 shown]
	v_add3_u32 v0, v6, v0, v9
	v_add3_u32 v5, v7, v5, v10
	v_add3_u32 v3, v4, v3, v2
	s_cbranch_scc0 .LBB31_1227
; %bb.1228:
	s_bitcmp1_b32 s73, 0
	s_cselect_b64 s[62:63], -1, 0
	s_and_b64 vcc, exec, s[62:63]
	s_cbranch_vccnz .LBB31_1233
; %bb.1229:
	s_load_dwordx2 s[62:63], s[36:37], 0x1c
	s_load_dword s66, s[36:37], 0x24
	s_load_dwordx2 s[64:65], s[36:37], 0xdc
	s_waitcnt lgkmcnt(0)
	v_mul_hi_u32 v2, s63, v1
	v_add_u32_e32 v2, v1, v2
	v_lshrrev_b32_e32 v2, s66, v2
	v_mul_lo_u32 v2, v2, s62
	s_load_dword s62, s[36:37], 0xe4
	v_sub_u32_e32 v2, v1, v2
	v_mad_u64_u32 v[0:1], s[36:37], v2, s64, v[0:1]
	v_mad_u64_u32 v[5:6], s[36:37], v2, s65, v[5:6]
	s_waitcnt lgkmcnt(0)
	v_mad_u64_u32 v[3:4], s[36:37], v2, s62, v[3:4]
	s_branch .LBB31_1233
.LBB31_1230:
	s_mov_b64 s[36:37], -1
                                        ; implicit-def: $vgpr0
                                        ; implicit-def: $vgpr5
                                        ; implicit-def: $vgpr3
	s_branch .LBB31_1234
.LBB31_1231:
	s_mov_b64 s[62:63], 0
	s_branch .LBB31_961
.LBB31_1232:
	v_mov_b32_e32 v0, 0
	s_waitcnt vmcnt(0)
	v_mov_b32_e32 v5, 0
	v_mov_b32_e32 v3, 0
.LBB31_1233:
	s_mov_b64 s[36:37], 0
.LBB31_1234:
	s_andn2_b64 vcc, exec, s[36:37]
	s_cbranch_vccnz .LBB31_1237
; %bb.1235:
	v_mul_hi_u32 v0, s17, v8
	s_andn2_b64 vcc, exec, s[34:35]
	v_add_u32_e32 v0, v8, v0
	s_waitcnt vmcnt(0)
	v_lshrrev_b32_e32 v1, s18, v0
	v_mul_lo_u32 v0, v1, s16
	v_sub_u32_e32 v2, v8, v0
	v_mul_lo_u32 v0, v2, s20
	v_mul_lo_u32 v5, v2, s21
	;; [unrolled: 1-line block ×3, first 2 shown]
	s_cbranch_vccnz .LBB31_1237
; %bb.1236:
	v_mul_hi_u32 v2, s30, v1
	v_add_u32_e32 v2, v1, v2
	v_lshrrev_b32_e32 v2, s31, v2
	v_mul_lo_u32 v2, v2, s19
	v_sub_u32_e32 v2, v1, v2
	v_mad_u64_u32 v[0:1], s[16:17], v2, s23, v[0:1]
	v_mad_u64_u32 v[5:6], s[16:17], v2, s28, v[5:6]
	;; [unrolled: 1-line block ×3, first 2 shown]
.LBB31_1237:
	s_waitcnt vmcnt(0)
	v_mov_b32_e32 v1, s11
	s_and_b32 s74, s72, 0xff
	v_add_co_u32_e32 v4, vcc, s10, v5
	s_cmp_lt_i32 s74, 11
	v_addc_co_u32_e32 v5, vcc, 0, v1, vcc
	s_cbranch_scc1 .LBB31_1244
; %bb.1238:
	s_and_b32 s22, 0xffff, s74
	s_cmp_gt_i32 s22, 25
	s_mov_b64 s[16:17], 0
	s_cbranch_scc0 .LBB31_1245
; %bb.1239:
	s_cmp_gt_i32 s22, 28
	s_cbranch_scc0 .LBB31_1246
; %bb.1240:
	s_cmp_gt_i32 s22, 43
	;; [unrolled: 3-line block ×3, first 2 shown]
	s_cbranch_scc0 .LBB31_1248
; %bb.1242:
	s_cmp_eq_u32 s22, 46
	s_mov_b64 s[20:21], 0
	s_cbranch_scc0 .LBB31_1251
; %bb.1243:
	global_load_dword v1, v[4:5], off
	s_mov_b64 s[10:11], 0
	s_mov_b64 s[18:19], -1
	s_waitcnt vmcnt(0)
	v_lshlrev_b32_e32 v1, 16, v1
	v_cvt_i32_f32_e32 v1, v1
	s_branch .LBB31_1252
.LBB31_1244:
	s_mov_b64 s[20:21], -1
	s_mov_b64 s[18:19], 0
	s_mov_b64 s[16:17], 0
	;; [unrolled: 1-line block ×3, first 2 shown]
                                        ; implicit-def: $vgpr1
	s_branch .LBB31_1311
.LBB31_1245:
	s_mov_b64 s[20:21], -1
	s_mov_b64 s[18:19], 0
	s_mov_b64 s[10:11], s[0:1]
                                        ; implicit-def: $vgpr1
	s_branch .LBB31_1279
.LBB31_1246:
	s_mov_b64 s[20:21], -1
	s_mov_b64 s[18:19], 0
	s_mov_b64 s[10:11], s[0:1]
                                        ; implicit-def: $vgpr1
	s_branch .LBB31_1262
.LBB31_1247:
	s_mov_b64 s[20:21], -1
	s_mov_b64 s[18:19], 0
	s_mov_b64 s[10:11], s[0:1]
                                        ; implicit-def: $vgpr1
	s_branch .LBB31_1257
.LBB31_1248:
	s_mov_b64 s[20:21], -1
	s_mov_b64 s[18:19], 0
	s_mov_b64 s[10:11], s[0:1]
                                        ; implicit-def: $vgpr1
	s_branch .LBB31_1252
.LBB31_1249:
	s_andn2_saveexec_b64 s[66:67], s[66:67]
	s_cbranch_execz .LBB31_1132
.LBB31_1250:
	v_add_f32_e32 v2, 0x46000000, v3
	v_and_b32_e32 v2, 0xff, v2
	v_cmp_ne_u32_e32 vcc, 0, v2
	s_andn2_b64 s[64:65], s[64:65], exec
	s_and_b64 s[76:77], vcc, exec
	s_or_b64 s[64:65], s[64:65], s[76:77]
	s_or_b64 exec, exec, s[66:67]
	v_mov_b32_e32 v4, 0
	s_and_saveexec_b64 s[66:67], s[64:65]
	s_cbranch_execnz .LBB31_1133
	s_branch .LBB31_1134
.LBB31_1251:
	s_mov_b64 s[10:11], -1
                                        ; implicit-def: $vgpr1
	s_mov_b64 s[18:19], 0
.LBB31_1252:
	s_and_b64 vcc, exec, s[20:21]
	s_cbranch_vccz .LBB31_1256
; %bb.1253:
	s_cmp_eq_u32 s22, 44
	s_cbranch_scc0 .LBB31_1255
; %bb.1254:
	global_load_ubyte v1, v[4:5], off
	s_mov_b64 s[10:11], 0
	s_mov_b64 s[18:19], -1
	s_waitcnt vmcnt(0)
	v_lshlrev_b32_e32 v2, 23, v1
	v_cvt_i32_f32_e32 v2, v2
	v_cmp_ne_u32_e32 vcc, 0, v1
	v_cndmask_b32_e32 v1, 0, v2, vcc
	s_branch .LBB31_1256
.LBB31_1255:
	s_mov_b64 s[10:11], -1
                                        ; implicit-def: $vgpr1
.LBB31_1256:
	s_mov_b64 s[20:21], 0
.LBB31_1257:
	s_and_b64 vcc, exec, s[20:21]
	s_cbranch_vccz .LBB31_1261
; %bb.1258:
	s_cmp_eq_u32 s22, 29
	s_cbranch_scc0 .LBB31_1260
; %bb.1259:
	global_load_dwordx2 v[1:2], v[4:5], off
	s_mov_b64 s[10:11], 0
	s_mov_b64 s[18:19], -1
	s_branch .LBB31_1261
.LBB31_1260:
	s_mov_b64 s[10:11], -1
                                        ; implicit-def: $vgpr1
.LBB31_1261:
	s_mov_b64 s[20:21], 0
.LBB31_1262:
	s_and_b64 vcc, exec, s[20:21]
	s_cbranch_vccz .LBB31_1278
; %bb.1263:
	s_cmp_lt_i32 s22, 27
	s_cbranch_scc1 .LBB31_1266
; %bb.1264:
	s_cmp_gt_i32 s22, 27
	s_cbranch_scc0 .LBB31_1267
; %bb.1265:
	global_load_dword v1, v[4:5], off
	s_mov_b64 s[18:19], 0
	s_branch .LBB31_1268
.LBB31_1266:
	s_mov_b64 s[18:19], -1
                                        ; implicit-def: $vgpr1
	s_branch .LBB31_1271
.LBB31_1267:
	s_mov_b64 s[18:19], -1
                                        ; implicit-def: $vgpr1
.LBB31_1268:
	s_andn2_b64 vcc, exec, s[18:19]
	s_cbranch_vccnz .LBB31_1270
; %bb.1269:
	global_load_ushort v1, v[4:5], off
.LBB31_1270:
	s_mov_b64 s[18:19], 0
.LBB31_1271:
	s_andn2_b64 vcc, exec, s[18:19]
	s_cbranch_vccnz .LBB31_1277
; %bb.1272:
	global_load_ubyte v2, v[4:5], off
	s_movk_i32 s18, 0x7f
	s_mov_b64 s[20:21], 0
	s_waitcnt vmcnt(0)
	v_cmp_lt_i16_e32 vcc, s18, v2
	s_and_saveexec_b64 s[18:19], vcc
	s_xor_b64 s[18:19], exec, s[18:19]
	s_cbranch_execz .LBB31_1289
; %bb.1273:
	s_movk_i32 s20, 0x80
	v_cmp_ne_u16_e32 vcc, s20, v2
	s_and_b64 s[20:21], vcc, exec
	s_andn2_saveexec_b64 s[18:19], s[18:19]
	s_cbranch_execnz .LBB31_1290
.LBB31_1274:
	s_or_b64 exec, exec, s[18:19]
	v_mov_b32_e32 v1, 0
	s_and_saveexec_b64 s[18:19], s[20:21]
	s_cbranch_execz .LBB31_1276
.LBB31_1275:
	v_lshlrev_b32_e32 v1, 24, v2
	v_and_b32_e32 v2, 0xffff, v2
	v_and_b32_e32 v6, 7, v2
	v_ffbh_u32_e32 v8, v6
	v_min_u32_e32 v8, 32, v8
	v_subrev_u32_e32 v9, 28, v8
	v_bfe_u32 v7, v2, 3, 4
	v_lshlrev_b32_e32 v2, v9, v2
	v_sub_u32_e32 v8, 29, v8
	v_and_b32_e32 v2, 7, v2
	v_cmp_eq_u32_e32 vcc, 0, v7
	v_cndmask_b32_e32 v7, v7, v8, vcc
	v_cndmask_b32_e32 v2, v6, v2, vcc
	v_mov_b32_e32 v6, 0x3b800000
	v_lshlrev_b32_e32 v2, 20, v2
	v_and_b32_e32 v1, 0x80000000, v1
	v_lshl_add_u32 v6, v7, 23, v6
	v_or3_b32 v1, v1, v6, v2
	v_cvt_i32_f32_e32 v1, v1
.LBB31_1276:
	s_or_b64 exec, exec, s[18:19]
.LBB31_1277:
	s_mov_b64 s[18:19], -1
.LBB31_1278:
	s_mov_b64 s[20:21], 0
.LBB31_1279:
	s_and_b64 vcc, exec, s[20:21]
	s_cbranch_vccz .LBB31_1310
; %bb.1280:
	s_cmp_gt_i32 s22, 22
	s_cbranch_scc0 .LBB31_1288
; %bb.1281:
	s_cmp_lt_i32 s22, 24
	s_cbranch_scc1 .LBB31_1291
; %bb.1282:
	s_cmp_gt_i32 s22, 24
	s_cbranch_scc0 .LBB31_1292
; %bb.1283:
	global_load_ubyte v2, v[4:5], off
	s_movk_i32 s16, 0x7f
	s_mov_b64 s[18:19], 0
	s_waitcnt vmcnt(0)
	v_cmp_lt_i16_e32 vcc, s16, v2
	s_and_saveexec_b64 s[16:17], vcc
	s_xor_b64 s[16:17], exec, s[16:17]
	s_cbranch_execz .LBB31_1304
; %bb.1284:
	s_movk_i32 s18, 0x80
	v_cmp_ne_u16_e32 vcc, s18, v2
	s_and_b64 s[18:19], vcc, exec
	s_andn2_saveexec_b64 s[16:17], s[16:17]
	s_cbranch_execnz .LBB31_1305
.LBB31_1285:
	s_or_b64 exec, exec, s[16:17]
	v_mov_b32_e32 v1, 0
	s_and_saveexec_b64 s[16:17], s[18:19]
	s_cbranch_execz .LBB31_1287
.LBB31_1286:
	v_lshlrev_b32_e32 v1, 24, v2
	v_and_b32_e32 v2, 0xffff, v2
	v_and_b32_e32 v6, 3, v2
	v_ffbh_u32_e32 v8, v6
	v_min_u32_e32 v8, 32, v8
	v_subrev_u32_e32 v9, 29, v8
	v_bfe_u32 v7, v2, 2, 5
	v_lshlrev_b32_e32 v2, v9, v2
	v_sub_u32_e32 v8, 30, v8
	v_and_b32_e32 v2, 3, v2
	v_cmp_eq_u32_e32 vcc, 0, v7
	v_cndmask_b32_e32 v7, v7, v8, vcc
	v_cndmask_b32_e32 v2, v6, v2, vcc
	v_mov_b32_e32 v6, 0x37800000
	v_lshlrev_b32_e32 v2, 21, v2
	v_and_b32_e32 v1, 0x80000000, v1
	v_lshl_add_u32 v6, v7, 23, v6
	v_or3_b32 v1, v1, v6, v2
	v_cvt_i32_f32_e32 v1, v1
.LBB31_1287:
	s_or_b64 exec, exec, s[16:17]
	s_mov_b64 s[16:17], 0
	s_branch .LBB31_1293
.LBB31_1288:
	s_mov_b64 s[16:17], -1
                                        ; implicit-def: $vgpr1
	s_branch .LBB31_1299
.LBB31_1289:
	s_andn2_saveexec_b64 s[18:19], s[18:19]
	s_cbranch_execz .LBB31_1274
.LBB31_1290:
	v_cmp_ne_u16_e32 vcc, 0, v2
	s_andn2_b64 s[20:21], s[20:21], exec
	s_and_b64 s[28:29], vcc, exec
	s_or_b64 s[20:21], s[20:21], s[28:29]
	s_or_b64 exec, exec, s[18:19]
	v_mov_b32_e32 v1, 0
	s_and_saveexec_b64 s[18:19], s[20:21]
	s_cbranch_execnz .LBB31_1275
	s_branch .LBB31_1276
.LBB31_1291:
	s_mov_b64 s[16:17], -1
                                        ; implicit-def: $vgpr1
	s_branch .LBB31_1296
.LBB31_1292:
	s_mov_b64 s[16:17], -1
                                        ; implicit-def: $vgpr1
.LBB31_1293:
	s_and_b64 vcc, exec, s[16:17]
	s_cbranch_vccz .LBB31_1295
; %bb.1294:
	global_load_ubyte v1, v[4:5], off
	s_mov_b32 s16, 0x7f800000
	s_waitcnt vmcnt(0)
	v_lshlrev_b32_e32 v1, 24, v1
	v_and_b32_e32 v2, 0x7f000000, v1
	v_ffbh_u32_e32 v6, v2
	v_min_u32_e32 v6, 32, v6
	v_sub_u32_e64 v6, v6, 4 clamp
	v_lshlrev_b32_e32 v8, v6, v2
	v_lshlrev_b32_e32 v6, 23, v6
	v_lshrrev_b32_e32 v8, 4, v8
	v_add_u32_e32 v7, 0x1000000, v2
	v_sub_u32_e32 v6, v8, v6
	v_ashrrev_i32_e32 v7, 8, v7
	v_add_u32_e32 v6, 0x3c000000, v6
	v_and_or_b32 v6, v7, s16, v6
	v_cmp_ne_u32_e32 vcc, 0, v2
	v_cndmask_b32_e32 v2, 0, v6, vcc
	s_brev_b32 s16, 1
	v_and_or_b32 v1, v1, s16, v2
	v_cvt_i32_f32_e32 v1, v1
.LBB31_1295:
	s_mov_b64 s[16:17], 0
.LBB31_1296:
	s_andn2_b64 vcc, exec, s[16:17]
	s_cbranch_vccnz .LBB31_1298
; %bb.1297:
	global_load_ubyte v1, v[4:5], off
	s_movk_i32 s16, 0x7f00
	s_brev_b32 s17, 16
	s_waitcnt vmcnt(0)
	v_lshlrev_b16_e32 v2, 8, v1
	v_lshlrev_b32_e32 v1, 25, v1
	v_lshrrev_b32_e32 v6, 4, v1
	v_and_or_b32 v7, v2, s16, 0.5
	v_or_b32_e32 v6, 0x70000000, v6
	v_add_f32_e32 v7, -0.5, v7
	v_mul_f32_e32 v6, 0x7800000, v6
	v_cmp_gt_u32_e32 vcc, s17, v1
	v_bfe_i32 v2, v2, 0, 16
	v_cndmask_b32_e32 v1, v6, v7, vcc
	s_brev_b32 s16, 1
	v_and_or_b32 v1, v2, s16, v1
	v_cvt_i32_f32_e32 v1, v1
.LBB31_1298:
	s_mov_b64 s[16:17], 0
	s_mov_b64 s[18:19], -1
.LBB31_1299:
	s_andn2_b64 vcc, exec, s[16:17]
	s_mov_b64 s[16:17], 0
	s_cbranch_vccnz .LBB31_1310
; %bb.1300:
	s_cmp_gt_i32 s22, 14
	s_cbranch_scc0 .LBB31_1303
; %bb.1301:
	s_cmp_eq_u32 s22, 15
	s_cbranch_scc0 .LBB31_1306
; %bb.1302:
	global_load_ushort v1, v[4:5], off
	s_mov_b64 s[10:11], 0
	s_mov_b64 s[18:19], -1
	s_waitcnt vmcnt(0)
	v_lshlrev_b32_e32 v1, 16, v1
	v_cvt_i32_f32_e32 v1, v1
	s_branch .LBB31_1307
.LBB31_1303:
	s_mov_b64 s[20:21], -1
                                        ; implicit-def: $vgpr1
	s_branch .LBB31_1308
.LBB31_1304:
	s_andn2_saveexec_b64 s[16:17], s[16:17]
	s_cbranch_execz .LBB31_1285
.LBB31_1305:
	v_cmp_ne_u16_e32 vcc, 0, v2
	s_andn2_b64 s[18:19], s[18:19], exec
	s_and_b64 s[20:21], vcc, exec
	s_or_b64 s[18:19], s[18:19], s[20:21]
	s_or_b64 exec, exec, s[16:17]
	v_mov_b32_e32 v1, 0
	s_and_saveexec_b64 s[16:17], s[18:19]
	s_cbranch_execnz .LBB31_1286
	s_branch .LBB31_1287
.LBB31_1306:
	s_mov_b64 s[10:11], -1
                                        ; implicit-def: $vgpr1
.LBB31_1307:
	s_mov_b64 s[20:21], 0
.LBB31_1308:
	s_and_b64 vcc, exec, s[20:21]
	s_cbranch_vccz .LBB31_1310
; %bb.1309:
	s_cmp_lg_u32 s22, 11
	s_cselect_b64 s[20:21], -1, 0
	s_andn2_b64 s[10:11], s[10:11], exec
	s_and_b64 s[20:21], s[20:21], exec
	s_mov_b64 s[16:17], -1
	s_or_b64 s[10:11], s[10:11], s[20:21]
.LBB31_1310:
	s_mov_b64 s[20:21], 0
.LBB31_1311:
	s_and_b64 s[62:63], s[16:17], exec
	s_andn2_b64 s[16:17], s[0:1], exec
	s_and_b64 s[10:11], s[10:11], exec
	s_and_b64 s[64:65], s[18:19], exec
	s_and_b64 s[68:69], s[20:21], exec
	s_or_b64 s[66:67], s[16:17], s[10:11]
.LBB31_1312:
	s_or_b64 exec, exec, s[56:57]
	s_andn2_b64 s[0:1], s[0:1], exec
	s_and_b64 s[10:11], s[66:67], exec
	s_and_b64 s[64:65], s[64:65], exec
	;; [unrolled: 1-line block ×4, first 2 shown]
	s_or_b64 s[0:1], s[0:1], s[10:11]
.LBB31_1313:
	s_or_b64 exec, exec, s[54:55]
	s_andn2_b64 s[10:11], s[50:51], exec
	s_and_b64 s[16:17], s[60:61], exec
	s_or_b64 s[50:51], s[10:11], s[16:17]
	s_andn2_b64 s[10:11], s[48:49], exec
	s_and_b64 s[16:17], s[58:59], exec
	s_or_b64 s[48:49], s[10:11], s[16:17]
	s_andn2_b64 s[10:11], s[46:47], exec
	s_and_b64 s[0:1], s[0:1], exec
	s_and_b64 s[58:59], s[64:65], exec
	;; [unrolled: 1-line block ×4, first 2 shown]
	s_or_b64 s[46:47], s[10:11], s[0:1]
.LBB31_1314:
	s_or_b64 exec, exec, s[52:53]
	s_andn2_b64 s[0:1], s[38:39], exec
	s_and_b64 s[10:11], s[50:51], exec
	s_or_b64 s[38:39], s[0:1], s[10:11]
	s_andn2_b64 s[0:1], s[40:41], exec
	s_and_b64 s[10:11], s[48:49], exec
	s_or_b64 s[40:41], s[0:1], s[10:11]
	s_andn2_b64 s[0:1], s[42:43], exec
	s_and_b64 s[10:11], s[46:47], exec
	s_and_b64 s[50:51], s[58:59], exec
	;; [unrolled: 1-line block ×4, first 2 shown]
	s_or_b64 s[42:43], s[0:1], s[10:11]
	s_or_b64 exec, exec, s[44:45]
	s_mov_b64 s[10:11], 0
	s_and_saveexec_b64 s[0:1], s[42:43]
	s_cbranch_execz .LBB31_411
.LBB31_1315:
	s_mov_b64 s[10:11], exec
	s_andn2_b64 s[48:49], s[48:49], exec
	s_trap 2
	s_or_b64 exec, exec, s[0:1]
	s_and_saveexec_b64 s[0:1], s[48:49]
	s_xor_b64 s[0:1], exec, s[0:1]
	s_cbranch_execnz .LBB31_412
.LBB31_1316:
	s_or_b64 exec, exec, s[0:1]
	s_and_saveexec_b64 s[0:1], s[52:53]
	s_cbranch_execz .LBB31_1362
.LBB31_1317:
	s_sext_i32_i16 s16, s74
	s_cmp_lt_i32 s16, 5
	s_cbranch_scc1 .LBB31_1322
; %bb.1318:
	s_cmp_lt_i32 s16, 8
	s_cbranch_scc1 .LBB31_1323
; %bb.1319:
	;; [unrolled: 3-line block ×3, first 2 shown]
	s_cmp_gt_i32 s16, 9
	s_cbranch_scc0 .LBB31_1325
; %bb.1321:
	s_waitcnt vmcnt(0)
	global_load_dwordx2 v[1:2], v[4:5], off
	s_mov_b64 s[16:17], 0
	s_waitcnt vmcnt(0)
	v_cvt_i32_f64_e32 v1, v[1:2]
	s_branch .LBB31_1326
.LBB31_1322:
                                        ; implicit-def: $vgpr1
	s_branch .LBB31_1343
.LBB31_1323:
                                        ; implicit-def: $vgpr1
	s_branch .LBB31_1332
.LBB31_1324:
	s_mov_b64 s[16:17], -1
                                        ; implicit-def: $vgpr1
	s_branch .LBB31_1329
.LBB31_1325:
	s_mov_b64 s[16:17], -1
                                        ; implicit-def: $vgpr1
.LBB31_1326:
	s_andn2_b64 vcc, exec, s[16:17]
	s_cbranch_vccnz .LBB31_1328
; %bb.1327:
	s_waitcnt vmcnt(0)
	global_load_dword v1, v[4:5], off
	s_waitcnt vmcnt(0)
	v_cvt_i32_f32_e32 v1, v1
.LBB31_1328:
	s_mov_b64 s[16:17], 0
.LBB31_1329:
	s_andn2_b64 vcc, exec, s[16:17]
	s_cbranch_vccnz .LBB31_1331
; %bb.1330:
	s_waitcnt vmcnt(0)
	global_load_dword v1, v[4:5], off
	s_waitcnt vmcnt(0)
	v_cvt_i16_f16_e32 v1, v1
.LBB31_1331:
	s_cbranch_execnz .LBB31_1342
.LBB31_1332:
	s_sext_i32_i16 s16, s74
	s_cmp_lt_i32 s16, 6
	s_cbranch_scc1 .LBB31_1335
; %bb.1333:
	s_cmp_gt_i32 s16, 6
	s_cbranch_scc0 .LBB31_1336
; %bb.1334:
	s_waitcnt vmcnt(0)
	global_load_dwordx2 v[1:2], v[4:5], off
	s_mov_b64 s[16:17], 0
	s_waitcnt vmcnt(0)
	v_cvt_i32_f64_e32 v1, v[1:2]
	s_branch .LBB31_1337
.LBB31_1335:
	s_mov_b64 s[16:17], -1
                                        ; implicit-def: $vgpr1
	s_branch .LBB31_1340
.LBB31_1336:
	s_mov_b64 s[16:17], -1
                                        ; implicit-def: $vgpr1
.LBB31_1337:
	s_andn2_b64 vcc, exec, s[16:17]
	s_cbranch_vccnz .LBB31_1339
; %bb.1338:
	s_waitcnt vmcnt(0)
	global_load_dword v1, v[4:5], off
	s_waitcnt vmcnt(0)
	v_cvt_i32_f32_e32 v1, v1
.LBB31_1339:
	s_mov_b64 s[16:17], 0
.LBB31_1340:
	s_andn2_b64 vcc, exec, s[16:17]
	s_cbranch_vccnz .LBB31_1342
; %bb.1341:
	s_waitcnt vmcnt(0)
	global_load_ushort v1, v[4:5], off
	s_waitcnt vmcnt(0)
	v_cvt_i16_f16_e32 v1, v1
.LBB31_1342:
	s_cbranch_execnz .LBB31_1361
.LBB31_1343:
	s_sext_i32_i16 s16, s74
	s_cmp_lt_i32 s16, 2
	s_cbranch_scc1 .LBB31_1347
; %bb.1344:
	s_cmp_lt_i32 s16, 3
	s_cbranch_scc1 .LBB31_1348
; %bb.1345:
	s_cmp_gt_i32 s16, 3
	s_cbranch_scc0 .LBB31_1349
; %bb.1346:
	s_waitcnt vmcnt(0)
	global_load_dwordx2 v[1:2], v[4:5], off
	s_mov_b64 s[16:17], 0
	s_branch .LBB31_1350
.LBB31_1347:
                                        ; implicit-def: $vgpr1
	s_branch .LBB31_1356
.LBB31_1348:
	s_mov_b64 s[16:17], -1
                                        ; implicit-def: $vgpr1
	s_branch .LBB31_1353
.LBB31_1349:
	s_mov_b64 s[16:17], -1
                                        ; implicit-def: $vgpr1
.LBB31_1350:
	s_andn2_b64 vcc, exec, s[16:17]
	s_cbranch_vccnz .LBB31_1352
; %bb.1351:
	s_waitcnt vmcnt(0)
	global_load_dword v1, v[4:5], off
.LBB31_1352:
	s_mov_b64 s[16:17], 0
.LBB31_1353:
	s_andn2_b64 vcc, exec, s[16:17]
	s_cbranch_vccnz .LBB31_1355
; %bb.1354:
	s_waitcnt vmcnt(0)
	global_load_ushort v1, v[4:5], off
.LBB31_1355:
	s_cbranch_execnz .LBB31_1361
.LBB31_1356:
	s_sext_i32_i16 s16, s74
	s_cmp_gt_i32 s16, 0
	s_cbranch_scc0 .LBB31_1358
; %bb.1357:
	s_waitcnt vmcnt(0)
	global_load_ubyte v1, v[4:5], off
	s_mov_b64 s[16:17], 0
	s_branch .LBB31_1359
.LBB31_1358:
	s_mov_b64 s[16:17], -1
                                        ; implicit-def: $vgpr1
.LBB31_1359:
	s_andn2_b64 vcc, exec, s[16:17]
	s_cbranch_vccnz .LBB31_1361
; %bb.1360:
	s_waitcnt vmcnt(0)
	global_load_ubyte v1, v[4:5], off
.LBB31_1361:
	s_or_b64 s[50:51], s[50:51], exec
.LBB31_1362:
	s_or_b64 exec, exec, s[0:1]
	s_mov_b64 s[16:17], 0
	s_mov_b64 s[20:21], 0
	;; [unrolled: 1-line block ×3, first 2 shown]
                                        ; implicit-def: $sgpr22
                                        ; implicit-def: $vgpr4_vgpr5
                                        ; implicit-def: $vgpr6
	s_and_saveexec_b64 s[0:1], s[50:51]
	s_cbranch_execz .LBB31_1370
; %bb.1363:
	s_waitcnt vmcnt(0)
	v_mov_b32_e32 v2, s13
	s_and_b32 s22, s71, 0xff
	v_add_co_u32_e32 v4, vcc, s12, v3
	s_cmp_lt_i32 s22, 11
	v_addc_co_u32_e32 v5, vcc, 0, v2, vcc
	s_cbranch_scc1 .LBB31_1373
; %bb.1364:
	s_and_b32 s23, 0xffff, s22
	s_cmp_gt_i32 s23, 25
	s_cbranch_scc0 .LBB31_1374
; %bb.1365:
	s_cmp_gt_i32 s23, 28
	s_cbranch_scc0 .LBB31_1375
; %bb.1366:
	;; [unrolled: 3-line block ×4, first 2 shown]
	s_cmp_eq_u32 s23, 46
	s_cbranch_scc0 .LBB31_1378
; %bb.1369:
	global_load_dword v2, v[4:5], off
	s_mov_b64 s[12:13], 0
	s_mov_b64 s[18:19], -1
	s_waitcnt vmcnt(0)
	v_lshlrev_b32_e32 v2, 16, v2
	v_cvt_i32_f32_e32 v6, v2
	s_branch .LBB31_1380
.LBB31_1370:
	s_or_b64 exec, exec, s[0:1]
	s_and_saveexec_b64 s[0:1], s[40:41]
	s_cbranch_execnz .LBB31_1439
.LBB31_1371:
	s_or_b64 exec, exec, s[0:1]
	s_and_saveexec_b64 s[0:1], s[16:17]
	s_xor_b64 s[0:1], exec, s[0:1]
	s_cbranch_execz .LBB31_1440
.LBB31_1372:
	s_waitcnt vmcnt(0)
	global_load_ubyte v2, v[4:5], off
	s_or_b64 s[18:19], s[18:19], exec
	s_waitcnt vmcnt(0)
	v_cmp_ne_u16_e32 vcc, 0, v2
	v_cndmask_b32_e64 v6, 0, 1, vcc
	s_or_b64 exec, exec, s[0:1]
	s_and_saveexec_b64 s[0:1], s[20:21]
	s_cbranch_execz .LBB31_1486
	s_branch .LBB31_1441
.LBB31_1373:
	s_mov_b64 s[20:21], -1
                                        ; implicit-def: $vgpr6
	s_mov_b64 s[12:13], s[40:41]
	s_branch .LBB31_1438
.LBB31_1374:
	s_mov_b64 s[12:13], s[40:41]
                                        ; implicit-def: $vgpr6
	s_cbranch_execnz .LBB31_1407
	s_branch .LBB31_1437
.LBB31_1375:
	s_mov_b64 s[20:21], -1
	s_mov_b64 s[12:13], s[40:41]
                                        ; implicit-def: $vgpr6
	s_branch .LBB31_1390
.LBB31_1376:
	s_mov_b64 s[20:21], -1
	s_mov_b64 s[12:13], s[40:41]
                                        ; implicit-def: $vgpr6
	s_branch .LBB31_1385
.LBB31_1377:
	s_mov_b64 s[20:21], -1
	s_mov_b64 s[12:13], s[40:41]
	s_branch .LBB31_1379
.LBB31_1378:
	s_mov_b64 s[12:13], -1
.LBB31_1379:
                                        ; implicit-def: $vgpr6
.LBB31_1380:
	s_and_b64 vcc, exec, s[20:21]
	s_cbranch_vccz .LBB31_1384
; %bb.1381:
	s_cmp_eq_u32 s23, 44
	s_cbranch_scc0 .LBB31_1383
; %bb.1382:
	global_load_ubyte v2, v[4:5], off
	s_mov_b64 s[12:13], 0
	s_mov_b64 s[18:19], -1
	s_waitcnt vmcnt(0)
	v_lshlrev_b32_e32 v3, 23, v2
	v_cvt_i32_f32_e32 v3, v3
	v_cmp_ne_u32_e32 vcc, 0, v2
	v_cndmask_b32_e32 v6, 0, v3, vcc
	s_branch .LBB31_1384
.LBB31_1383:
	s_mov_b64 s[12:13], -1
                                        ; implicit-def: $vgpr6
.LBB31_1384:
	s_mov_b64 s[20:21], 0
.LBB31_1385:
	s_and_b64 vcc, exec, s[20:21]
	s_cbranch_vccz .LBB31_1389
; %bb.1386:
	s_cmp_eq_u32 s23, 29
	s_cbranch_scc0 .LBB31_1388
; %bb.1387:
	global_load_dwordx2 v[6:7], v[4:5], off
	s_mov_b64 s[12:13], 0
	s_mov_b64 s[18:19], -1
	s_branch .LBB31_1389
.LBB31_1388:
	s_mov_b64 s[12:13], -1
                                        ; implicit-def: $vgpr6
.LBB31_1389:
	s_mov_b64 s[20:21], 0
.LBB31_1390:
	s_and_b64 vcc, exec, s[20:21]
	s_cbranch_vccz .LBB31_1406
; %bb.1391:
	s_cmp_lt_i32 s23, 27
	s_cbranch_scc1 .LBB31_1394
; %bb.1392:
	s_cmp_gt_i32 s23, 27
	s_cbranch_scc0 .LBB31_1395
; %bb.1393:
	global_load_dword v6, v[4:5], off
	s_mov_b64 s[18:19], 0
	s_branch .LBB31_1396
.LBB31_1394:
	s_mov_b64 s[18:19], -1
                                        ; implicit-def: $vgpr6
	s_branch .LBB31_1399
.LBB31_1395:
	s_mov_b64 s[18:19], -1
                                        ; implicit-def: $vgpr6
.LBB31_1396:
	s_andn2_b64 vcc, exec, s[18:19]
	s_cbranch_vccnz .LBB31_1398
; %bb.1397:
	global_load_ushort v6, v[4:5], off
.LBB31_1398:
	s_mov_b64 s[18:19], 0
.LBB31_1399:
	s_andn2_b64 vcc, exec, s[18:19]
	s_cbranch_vccnz .LBB31_1405
; %bb.1400:
	global_load_ubyte v2, v[4:5], off
	s_movk_i32 s18, 0x7f
	s_mov_b64 s[20:21], 0
	s_waitcnt vmcnt(0)
	v_cmp_lt_i16_e32 vcc, s18, v2
	s_and_saveexec_b64 s[18:19], vcc
	s_xor_b64 s[18:19], exec, s[18:19]
	s_cbranch_execz .LBB31_1416
; %bb.1401:
	s_movk_i32 s20, 0x80
	v_cmp_ne_u16_e32 vcc, s20, v2
	s_and_b64 s[20:21], vcc, exec
	s_andn2_saveexec_b64 s[18:19], s[18:19]
	s_cbranch_execnz .LBB31_1417
.LBB31_1402:
	s_or_b64 exec, exec, s[18:19]
	v_mov_b32_e32 v6, 0
	s_and_saveexec_b64 s[18:19], s[20:21]
	s_cbranch_execz .LBB31_1404
.LBB31_1403:
	v_lshlrev_b32_e32 v3, 24, v2
	v_and_b32_e32 v2, 0xffff, v2
	v_and_b32_e32 v6, 7, v2
	v_ffbh_u32_e32 v8, v6
	v_min_u32_e32 v8, 32, v8
	v_subrev_u32_e32 v9, 28, v8
	v_bfe_u32 v7, v2, 3, 4
	v_lshlrev_b32_e32 v2, v9, v2
	v_sub_u32_e32 v8, 29, v8
	v_and_b32_e32 v2, 7, v2
	v_cmp_eq_u32_e32 vcc, 0, v7
	v_cndmask_b32_e32 v7, v7, v8, vcc
	v_cndmask_b32_e32 v2, v6, v2, vcc
	v_mov_b32_e32 v6, 0x3b800000
	v_lshlrev_b32_e32 v2, 20, v2
	v_and_b32_e32 v3, 0x80000000, v3
	v_lshl_add_u32 v6, v7, 23, v6
	v_or3_b32 v2, v3, v6, v2
	v_cvt_i32_f32_e32 v6, v2
.LBB31_1404:
	s_or_b64 exec, exec, s[18:19]
.LBB31_1405:
	s_mov_b64 s[18:19], -1
.LBB31_1406:
	s_branch .LBB31_1437
.LBB31_1407:
	s_cmp_gt_i32 s23, 22
	s_cbranch_scc0 .LBB31_1415
; %bb.1408:
	s_cmp_lt_i32 s23, 24
	s_cbranch_scc1 .LBB31_1418
; %bb.1409:
	s_cmp_gt_i32 s23, 24
	s_cbranch_scc0 .LBB31_1419
; %bb.1410:
	global_load_ubyte v2, v[4:5], off
	s_movk_i32 s16, 0x7f
	s_mov_b64 s[18:19], 0
	s_waitcnt vmcnt(0)
	v_cmp_lt_i16_e32 vcc, s16, v2
	s_and_saveexec_b64 s[16:17], vcc
	s_xor_b64 s[16:17], exec, s[16:17]
	s_cbranch_execz .LBB31_1431
; %bb.1411:
	s_movk_i32 s18, 0x80
	v_cmp_ne_u16_e32 vcc, s18, v2
	s_and_b64 s[18:19], vcc, exec
	s_andn2_saveexec_b64 s[16:17], s[16:17]
	s_cbranch_execnz .LBB31_1432
.LBB31_1412:
	s_or_b64 exec, exec, s[16:17]
	v_mov_b32_e32 v6, 0
	s_and_saveexec_b64 s[16:17], s[18:19]
	s_cbranch_execz .LBB31_1414
.LBB31_1413:
	v_lshlrev_b32_e32 v3, 24, v2
	v_and_b32_e32 v2, 0xffff, v2
	v_and_b32_e32 v6, 3, v2
	v_ffbh_u32_e32 v8, v6
	v_min_u32_e32 v8, 32, v8
	v_subrev_u32_e32 v9, 29, v8
	v_bfe_u32 v7, v2, 2, 5
	v_lshlrev_b32_e32 v2, v9, v2
	v_sub_u32_e32 v8, 30, v8
	v_and_b32_e32 v2, 3, v2
	v_cmp_eq_u32_e32 vcc, 0, v7
	v_cndmask_b32_e32 v7, v7, v8, vcc
	v_cndmask_b32_e32 v2, v6, v2, vcc
	v_mov_b32_e32 v6, 0x37800000
	v_lshlrev_b32_e32 v2, 21, v2
	v_and_b32_e32 v3, 0x80000000, v3
	v_lshl_add_u32 v6, v7, 23, v6
	v_or3_b32 v2, v3, v6, v2
	v_cvt_i32_f32_e32 v6, v2
.LBB31_1414:
	s_or_b64 exec, exec, s[16:17]
	s_mov_b64 s[16:17], 0
	s_branch .LBB31_1420
.LBB31_1415:
	s_mov_b64 s[16:17], -1
                                        ; implicit-def: $vgpr6
	s_branch .LBB31_1426
.LBB31_1416:
	s_andn2_saveexec_b64 s[18:19], s[18:19]
	s_cbranch_execz .LBB31_1402
.LBB31_1417:
	v_cmp_ne_u16_e32 vcc, 0, v2
	s_andn2_b64 s[20:21], s[20:21], exec
	s_and_b64 s[28:29], vcc, exec
	s_or_b64 s[20:21], s[20:21], s[28:29]
	s_or_b64 exec, exec, s[18:19]
	v_mov_b32_e32 v6, 0
	s_and_saveexec_b64 s[18:19], s[20:21]
	s_cbranch_execnz .LBB31_1403
	s_branch .LBB31_1404
.LBB31_1418:
	s_mov_b64 s[16:17], -1
                                        ; implicit-def: $vgpr6
	s_branch .LBB31_1423
.LBB31_1419:
	s_mov_b64 s[16:17], -1
                                        ; implicit-def: $vgpr6
.LBB31_1420:
	s_and_b64 vcc, exec, s[16:17]
	s_cbranch_vccz .LBB31_1422
; %bb.1421:
	global_load_ubyte v2, v[4:5], off
	s_mov_b32 s16, 0x7f800000
	s_waitcnt vmcnt(0)
	v_lshlrev_b32_e32 v2, 24, v2
	v_and_b32_e32 v3, 0x7f000000, v2
	v_ffbh_u32_e32 v6, v3
	v_min_u32_e32 v6, 32, v6
	v_sub_u32_e64 v6, v6, 4 clamp
	v_lshlrev_b32_e32 v8, v6, v3
	v_lshlrev_b32_e32 v6, 23, v6
	v_lshrrev_b32_e32 v8, 4, v8
	v_add_u32_e32 v7, 0x1000000, v3
	v_sub_u32_e32 v6, v8, v6
	v_ashrrev_i32_e32 v7, 8, v7
	v_add_u32_e32 v6, 0x3c000000, v6
	v_and_or_b32 v6, v7, s16, v6
	v_cmp_ne_u32_e32 vcc, 0, v3
	v_cndmask_b32_e32 v3, 0, v6, vcc
	s_brev_b32 s16, 1
	v_and_or_b32 v2, v2, s16, v3
	v_cvt_i32_f32_e32 v6, v2
.LBB31_1422:
	s_mov_b64 s[16:17], 0
.LBB31_1423:
	s_andn2_b64 vcc, exec, s[16:17]
	s_cbranch_vccnz .LBB31_1425
; %bb.1424:
	global_load_ubyte v2, v[4:5], off
	s_movk_i32 s16, 0x7f00
	s_brev_b32 s17, 16
	s_waitcnt vmcnt(0)
	v_lshlrev_b16_e32 v3, 8, v2
	v_lshlrev_b32_e32 v2, 25, v2
	v_lshrrev_b32_e32 v6, 4, v2
	v_and_or_b32 v7, v3, s16, 0.5
	v_or_b32_e32 v6, 0x70000000, v6
	v_add_f32_e32 v7, -0.5, v7
	v_mul_f32_e32 v6, 0x7800000, v6
	v_cmp_gt_u32_e32 vcc, s17, v2
	v_bfe_i32 v3, v3, 0, 16
	v_cndmask_b32_e32 v2, v6, v7, vcc
	s_brev_b32 s16, 1
	v_and_or_b32 v2, v3, s16, v2
	v_cvt_i32_f32_e32 v6, v2
.LBB31_1425:
	s_mov_b64 s[16:17], 0
	s_mov_b64 s[18:19], -1
.LBB31_1426:
	s_andn2_b64 vcc, exec, s[16:17]
	s_mov_b64 s[16:17], 0
	s_cbranch_vccnz .LBB31_1437
; %bb.1427:
	s_cmp_gt_i32 s23, 14
	s_cbranch_scc0 .LBB31_1430
; %bb.1428:
	s_cmp_eq_u32 s23, 15
	s_cbranch_scc0 .LBB31_1433
; %bb.1429:
	global_load_ushort v2, v[4:5], off
	s_mov_b64 s[12:13], 0
	s_mov_b64 s[18:19], -1
	s_waitcnt vmcnt(0)
	v_lshlrev_b32_e32 v2, 16, v2
	v_cvt_i32_f32_e32 v6, v2
	s_branch .LBB31_1434
.LBB31_1430:
	s_mov_b64 s[20:21], -1
                                        ; implicit-def: $vgpr6
	s_branch .LBB31_1435
.LBB31_1431:
	s_andn2_saveexec_b64 s[16:17], s[16:17]
	s_cbranch_execz .LBB31_1412
.LBB31_1432:
	v_cmp_ne_u16_e32 vcc, 0, v2
	s_andn2_b64 s[18:19], s[18:19], exec
	s_and_b64 s[20:21], vcc, exec
	s_or_b64 s[18:19], s[18:19], s[20:21]
	s_or_b64 exec, exec, s[16:17]
	v_mov_b32_e32 v6, 0
	s_and_saveexec_b64 s[16:17], s[18:19]
	s_cbranch_execnz .LBB31_1413
	s_branch .LBB31_1414
.LBB31_1433:
	s_mov_b64 s[12:13], -1
                                        ; implicit-def: $vgpr6
.LBB31_1434:
	s_mov_b64 s[20:21], 0
.LBB31_1435:
	s_and_b64 vcc, exec, s[20:21]
	s_cbranch_vccz .LBB31_1437
; %bb.1436:
	s_cmp_lg_u32 s23, 11
	s_cselect_b64 s[20:21], -1, 0
	s_andn2_b64 s[12:13], s[12:13], exec
	s_and_b64 s[20:21], s[20:21], exec
	s_mov_b64 s[16:17], -1
	s_or_b64 s[12:13], s[12:13], s[20:21]
.LBB31_1437:
	s_mov_b64 s[20:21], 0
.LBB31_1438:
	s_andn2_b64 s[28:29], s[40:41], exec
	s_and_b64 s[12:13], s[12:13], exec
	s_and_b64 s[18:19], s[18:19], exec
	;; [unrolled: 1-line block ×4, first 2 shown]
	s_or_b64 s[40:41], s[28:29], s[12:13]
	s_or_b64 exec, exec, s[0:1]
	s_and_saveexec_b64 s[0:1], s[40:41]
	s_cbranch_execz .LBB31_1371
.LBB31_1439:
	s_or_b64 s[10:11], s[10:11], exec
	s_andn2_b64 s[16:17], s[16:17], exec
	s_trap 2
	s_or_b64 exec, exec, s[0:1]
	s_and_saveexec_b64 s[0:1], s[16:17]
	s_xor_b64 s[0:1], exec, s[0:1]
	s_cbranch_execnz .LBB31_1372
.LBB31_1440:
	s_or_b64 exec, exec, s[0:1]
	s_and_saveexec_b64 s[0:1], s[20:21]
	s_cbranch_execz .LBB31_1486
.LBB31_1441:
	s_sext_i32_i16 s12, s22
	s_cmp_lt_i32 s12, 5
	s_cbranch_scc1 .LBB31_1446
; %bb.1442:
	s_cmp_lt_i32 s12, 8
	s_cbranch_scc1 .LBB31_1447
; %bb.1443:
	;; [unrolled: 3-line block ×3, first 2 shown]
	s_cmp_gt_i32 s12, 9
	s_cbranch_scc0 .LBB31_1449
; %bb.1445:
	s_waitcnt vmcnt(0)
	global_load_dwordx2 v[2:3], v[4:5], off
	s_mov_b64 s[12:13], 0
	s_waitcnt vmcnt(0)
	v_cvt_i32_f64_e32 v6, v[2:3]
	s_branch .LBB31_1450
.LBB31_1446:
                                        ; implicit-def: $vgpr6
	s_branch .LBB31_1467
.LBB31_1447:
                                        ; implicit-def: $vgpr6
	s_branch .LBB31_1456
.LBB31_1448:
	s_mov_b64 s[12:13], -1
                                        ; implicit-def: $vgpr6
	s_branch .LBB31_1453
.LBB31_1449:
	s_mov_b64 s[12:13], -1
                                        ; implicit-def: $vgpr6
.LBB31_1450:
	s_andn2_b64 vcc, exec, s[12:13]
	s_cbranch_vccnz .LBB31_1452
; %bb.1451:
	s_waitcnt vmcnt(0)
	global_load_dword v2, v[4:5], off
	s_waitcnt vmcnt(0)
	v_cvt_i32_f32_e32 v6, v2
.LBB31_1452:
	s_mov_b64 s[12:13], 0
.LBB31_1453:
	s_andn2_b64 vcc, exec, s[12:13]
	s_cbranch_vccnz .LBB31_1455
; %bb.1454:
	s_waitcnt vmcnt(0)
	global_load_dword v2, v[4:5], off
	s_waitcnt vmcnt(0)
	v_cvt_i16_f16_e32 v6, v2
.LBB31_1455:
	s_cbranch_execnz .LBB31_1466
.LBB31_1456:
	s_sext_i32_i16 s12, s22
	s_cmp_lt_i32 s12, 6
	s_cbranch_scc1 .LBB31_1459
; %bb.1457:
	s_cmp_gt_i32 s12, 6
	s_cbranch_scc0 .LBB31_1460
; %bb.1458:
	s_waitcnt vmcnt(0)
	global_load_dwordx2 v[2:3], v[4:5], off
	s_mov_b64 s[12:13], 0
	s_waitcnt vmcnt(0)
	v_cvt_i32_f64_e32 v6, v[2:3]
	s_branch .LBB31_1461
.LBB31_1459:
	s_mov_b64 s[12:13], -1
                                        ; implicit-def: $vgpr6
	s_branch .LBB31_1464
.LBB31_1460:
	s_mov_b64 s[12:13], -1
                                        ; implicit-def: $vgpr6
.LBB31_1461:
	s_andn2_b64 vcc, exec, s[12:13]
	s_cbranch_vccnz .LBB31_1463
; %bb.1462:
	s_waitcnt vmcnt(0)
	global_load_dword v2, v[4:5], off
	s_waitcnt vmcnt(0)
	v_cvt_i32_f32_e32 v6, v2
.LBB31_1463:
	s_mov_b64 s[12:13], 0
.LBB31_1464:
	s_andn2_b64 vcc, exec, s[12:13]
	s_cbranch_vccnz .LBB31_1466
; %bb.1465:
	s_waitcnt vmcnt(0)
	global_load_ushort v2, v[4:5], off
	s_waitcnt vmcnt(0)
	v_cvt_i16_f16_e32 v6, v2
.LBB31_1466:
	s_cbranch_execnz .LBB31_1485
.LBB31_1467:
	s_sext_i32_i16 s12, s22
	s_cmp_lt_i32 s12, 2
	s_cbranch_scc1 .LBB31_1471
; %bb.1468:
	s_cmp_lt_i32 s12, 3
	s_cbranch_scc1 .LBB31_1472
; %bb.1469:
	s_cmp_gt_i32 s12, 3
	s_cbranch_scc0 .LBB31_1473
; %bb.1470:
	s_waitcnt vmcnt(0)
	global_load_dwordx2 v[6:7], v[4:5], off
	s_mov_b64 s[12:13], 0
	s_branch .LBB31_1474
.LBB31_1471:
                                        ; implicit-def: $vgpr6
	s_branch .LBB31_1480
.LBB31_1472:
	s_mov_b64 s[12:13], -1
                                        ; implicit-def: $vgpr6
	s_branch .LBB31_1477
.LBB31_1473:
	s_mov_b64 s[12:13], -1
                                        ; implicit-def: $vgpr6
.LBB31_1474:
	s_andn2_b64 vcc, exec, s[12:13]
	s_cbranch_vccnz .LBB31_1476
; %bb.1475:
	s_waitcnt vmcnt(0)
	global_load_dword v6, v[4:5], off
.LBB31_1476:
	s_mov_b64 s[12:13], 0
.LBB31_1477:
	s_andn2_b64 vcc, exec, s[12:13]
	s_cbranch_vccnz .LBB31_1479
; %bb.1478:
	s_waitcnt vmcnt(0)
	global_load_ushort v6, v[4:5], off
.LBB31_1479:
	s_cbranch_execnz .LBB31_1485
.LBB31_1480:
	s_sext_i32_i16 s12, s22
	s_cmp_gt_i32 s12, 0
	s_cbranch_scc0 .LBB31_1482
; %bb.1481:
	s_waitcnt vmcnt(0)
	global_load_ubyte v6, v[4:5], off
	s_mov_b64 s[12:13], 0
	s_branch .LBB31_1483
.LBB31_1482:
	s_mov_b64 s[12:13], -1
                                        ; implicit-def: $vgpr6
.LBB31_1483:
	s_andn2_b64 vcc, exec, s[12:13]
	s_cbranch_vccnz .LBB31_1485
; %bb.1484:
	s_waitcnt vmcnt(0)
	global_load_ubyte v6, v[4:5], off
.LBB31_1485:
	s_or_b64 s[18:19], s[18:19], exec
.LBB31_1486:
	s_or_b64 exec, exec, s[0:1]
	s_mov_b64 s[22:23], 0
	s_mov_b64 s[20:21], 0
                                        ; implicit-def: $sgpr12_sgpr13
                                        ; implicit-def: $sgpr28
                                        ; implicit-def: $vgpr2_vgpr3
	s_and_saveexec_b64 s[16:17], s[18:19]
	s_cbranch_execz .LBB31_1491
; %bb.1487:
	s_cmp_lt_i32 s14, 1
	s_mov_b64 s[0:1], 0
	s_cbranch_scc1 .LBB31_1494
; %bb.1488:
	s_cmp_gt_i32 s14, 1
	s_cbranch_scc0 .LBB31_1495
; %bb.1489:
	s_cmp_eq_u32 s14, 2
	s_cbranch_scc0 .LBB31_1496
; %bb.1490:
	s_waitcnt vmcnt(0)
	v_cmp_le_i16_sdwa s[12:13], sext(v1), sext(v6) src0_sel:BYTE_0 src1_sel:BYTE_0
	s_mov_b64 s[18:19], 0
	s_branch .LBB31_1498
.LBB31_1491:
	s_or_b64 exec, exec, s[16:17]
	s_and_saveexec_b64 s[0:1], s[38:39]
	s_cbranch_execnz .LBB31_1583
.LBB31_1492:
	s_or_b64 exec, exec, s[0:1]
	s_and_saveexec_b64 s[0:1], s[22:23]
	s_xor_b64 s[0:1], exec, s[0:1]
	s_cbranch_execz .LBB31_1584
.LBB31_1493:
	v_cndmask_b32_e64 v0, 0, 1, s[12:13]
	s_waitcnt vmcnt(0)
	global_store_byte v[2:3], v0, off
	s_or_b64 exec, exec, s[0:1]
	s_and_saveexec_b64 s[0:1], s[20:21]
	s_xor_b64 s[0:1], exec, s[0:1]
	s_cbranch_execz .LBB31_1622
	s_branch .LBB31_1585
.LBB31_1494:
                                        ; implicit-def: $sgpr12_sgpr13
	s_mov_b64 s[18:19], 0
	s_cbranch_execnz .LBB31_1501
	s_branch .LBB31_1502
.LBB31_1495:
	s_mov_b64 s[20:21], -1
	s_mov_b64 s[18:19], 0
	s_branch .LBB31_1497
.LBB31_1496:
	s_mov_b64 s[18:19], -1
.LBB31_1497:
                                        ; implicit-def: $sgpr12_sgpr13
.LBB31_1498:
	s_and_b64 vcc, exec, s[20:21]
	s_cbranch_vccz .LBB31_1500
; %bb.1499:
	s_waitcnt vmcnt(0)
	v_cmp_gt_i16_sdwa s[20:21], sext(v1), sext(v6) src0_sel:BYTE_0 src1_sel:BYTE_0
	s_andn2_b64 s[12:13], s[12:13], exec
	s_and_b64 s[20:21], s[20:21], exec
	s_or_b64 s[12:13], s[12:13], s[20:21]
.LBB31_1500:
	s_branch .LBB31_1502
.LBB31_1501:
	s_cmp_lg_u32 s14, 0
	s_mov_b64 s[0:1], -1
	s_cselect_b64 s[18:19], -1, 0
.LBB31_1502:
	s_andn2_b64 vcc, exec, s[18:19]
	s_cbranch_vccnz .LBB31_1504
; %bb.1503:
	s_waitcnt vmcnt(0)
	v_cmp_lt_i16_sdwa s[18:19], sext(v1), sext(v6) src0_sel:BYTE_0 src1_sel:BYTE_0
	s_andn2_b64 s[12:13], s[12:13], exec
	s_and_b64 s[18:19], s[18:19], exec
	s_or_b64 s[12:13], s[12:13], s[18:19]
	s_cbranch_execz .LBB31_1505
	s_branch .LBB31_1506
.LBB31_1504:
	s_andn2_b64 vcc, exec, s[0:1]
	s_cbranch_vccnz .LBB31_1506
.LBB31_1505:
	s_waitcnt vmcnt(0)
	v_cmp_ge_i16_sdwa s[0:1], sext(v1), sext(v6) src0_sel:BYTE_0 src1_sel:BYTE_0
	s_andn2_b64 s[12:13], s[12:13], exec
	s_and_b64 s[0:1], s[0:1], exec
	s_or_b64 s[12:13], s[12:13], s[0:1]
.LBB31_1506:
	s_waitcnt vmcnt(0)
	v_mov_b32_e32 v1, s9
	s_and_b32 s28, s15, 0xff
	v_add_co_u32_e32 v2, vcc, s8, v0
	s_cmp_lt_i32 s28, 11
	v_addc_co_u32_e32 v3, vcc, 0, v1, vcc
	s_cbranch_scc1 .LBB31_1580
; %bb.1507:
	s_and_b32 s22, 0xffff, s28
	s_mov_b64 s[14:15], -1
	s_cmp_gt_i32 s22, 25
	s_mov_b64 s[0:1], s[38:39]
	s_cbranch_scc0 .LBB31_1540
; %bb.1508:
	s_mov_b64 s[8:9], -1
	s_cmp_gt_i32 s22, 28
	s_mov_b64 s[0:1], s[38:39]
	s_cbranch_scc0 .LBB31_1524
; %bb.1509:
	s_cmp_gt_i32 s22, 43
	s_mov_b64 s[0:1], s[38:39]
	s_cbranch_scc0 .LBB31_1520
; %bb.1510:
	s_cmp_gt_i32 s22, 45
	s_mov_b64 s[0:1], s[38:39]
	s_cbranch_scc0 .LBB31_1514
; %bb.1511:
	s_cmp_eq_u32 s22, 46
	s_mov_b64 s[0:1], -1
	s_cbranch_scc0 .LBB31_1513
; %bb.1512:
	v_cndmask_b32_e64 v0, 0, 1.0, s[12:13]
	v_bfe_u32 v1, v0, 16, 1
	s_movk_i32 s0, 0x7fff
	v_add3_u32 v0, v0, v1, s0
	v_lshrrev_b32_e32 v0, 16, v0
	global_store_dword v[2:3], v0, off
	s_mov_b64 s[0:1], 0
.LBB31_1513:
	s_mov_b64 s[8:9], 0
.LBB31_1514:
	s_and_b64 vcc, exec, s[8:9]
	s_cbranch_vccz .LBB31_1519
; %bb.1515:
	s_cmp_eq_u32 s22, 44
	s_mov_b64 s[0:1], -1
	s_cbranch_scc0 .LBB31_1519
; %bb.1516:
	v_cndmask_b32_e64 v1, 0, 1.0, s[12:13]
	v_lshrrev_b32_e32 v0, 23, v1
	s_movk_i32 s0, 0xff
	v_cmp_ne_u32_e32 vcc, s0, v0
	v_mov_b32_e32 v4, 0xff
	s_and_saveexec_b64 s[8:9], vcc
; %bb.1517:
	s_mov_b32 s0, 0x3fffff
	v_and_b32_e32 v4, 0x400000, v1
	v_and_or_b32 v1, v1, s0, v0
	v_cmp_ne_u32_e32 vcc, 0, v4
	v_cmp_ne_u32_e64 s[0:1], 0, v1
	s_and_b64 s[0:1], vcc, s[0:1]
	v_cndmask_b32_e64 v1, 0, 1, s[0:1]
	v_add_u32_e32 v4, v0, v1
; %bb.1518:
	s_or_b64 exec, exec, s[8:9]
	s_mov_b64 s[0:1], 0
	global_store_byte v[2:3], v4, off
.LBB31_1519:
	s_mov_b64 s[8:9], 0
.LBB31_1520:
	s_and_b64 vcc, exec, s[8:9]
	s_cbranch_vccz .LBB31_1523
; %bb.1521:
	s_cmp_eq_u32 s22, 29
	s_mov_b64 s[0:1], -1
	s_cbranch_scc0 .LBB31_1523
; %bb.1522:
	s_mov_b32 s0, 0
	v_cndmask_b32_e64 v0, 0, 1, s[12:13]
	v_mov_b32_e32 v1, s0
	global_store_dwordx2 v[2:3], v[0:1], off
	s_mov_b64 s[0:1], 0
.LBB31_1523:
	s_mov_b64 s[8:9], 0
.LBB31_1524:
	s_and_b64 vcc, exec, s[8:9]
	s_cbranch_vccz .LBB31_1539
; %bb.1525:
	s_cmp_lt_i32 s22, 27
	s_mov_b64 s[8:9], -1
	s_cbranch_scc1 .LBB31_1531
; %bb.1526:
	s_cmp_gt_i32 s22, 27
	s_cbranch_scc0 .LBB31_1528
; %bb.1527:
	v_cndmask_b32_e64 v0, 0, 1, s[12:13]
	s_mov_b64 s[8:9], 0
	global_store_dword v[2:3], v0, off
.LBB31_1528:
	s_andn2_b64 vcc, exec, s[8:9]
	s_cbranch_vccnz .LBB31_1530
; %bb.1529:
	v_cndmask_b32_e64 v0, 0, 1, s[12:13]
	global_store_short v[2:3], v0, off
.LBB31_1530:
	s_mov_b64 s[8:9], 0
.LBB31_1531:
	s_andn2_b64 vcc, exec, s[8:9]
	s_cbranch_vccnz .LBB31_1539
; %bb.1532:
	v_cndmask_b32_e64 v1, 0, 1.0, s[12:13]
	s_mov_b32 s8, 0x43800000
	v_cmp_gt_u32_e32 vcc, s8, v1
	v_mov_b32_e32 v4, 0x80
	s_and_saveexec_b64 s[8:9], vcc
	s_cbranch_execz .LBB31_1538
; %bb.1533:
	s_mov_b32 s14, 0x3bffffff
	v_cmp_lt_u32_e32 vcc, s14, v1
	s_mov_b64 s[14:15], 0
                                        ; implicit-def: $vgpr0
	s_and_saveexec_b64 s[18:19], vcc
	s_xor_b64 s[18:19], exec, s[18:19]
	s_cbranch_execz .LBB31_1681
; %bb.1534:
	v_bfe_u32 v0, v1, 20, 1
	s_mov_b32 s20, 0x487ffff
	v_add3_u32 v0, v1, v0, s20
	s_mov_b64 s[14:15], exec
	v_lshrrev_b32_e32 v0, 20, v0
                                        ; implicit-def: $vgpr1
	s_andn2_saveexec_b64 s[18:19], s[18:19]
	s_cbranch_execnz .LBB31_1682
.LBB31_1535:
	s_or_b64 exec, exec, s[18:19]
	v_mov_b32_e32 v4, 0
	s_and_saveexec_b64 s[18:19], s[14:15]
.LBB31_1536:
	v_mov_b32_e32 v4, v0
.LBB31_1537:
	s_or_b64 exec, exec, s[18:19]
.LBB31_1538:
	s_or_b64 exec, exec, s[8:9]
	global_store_byte v[2:3], v4, off
.LBB31_1539:
	s_mov_b64 s[14:15], 0
.LBB31_1540:
	s_mov_b64 s[8:9], 0
	s_and_b64 vcc, exec, s[14:15]
	s_cbranch_vccz .LBB31_1581
; %bb.1541:
	s_cmp_gt_i32 s22, 22
	s_mov_b64 s[14:15], -1
	s_cbranch_scc0 .LBB31_1573
; %bb.1542:
	s_cmp_lt_i32 s22, 24
	s_cbranch_scc1 .LBB31_1562
; %bb.1543:
	s_cmp_gt_i32 s22, 24
	s_cbranch_scc0 .LBB31_1551
; %bb.1544:
	v_cndmask_b32_e64 v1, 0, 1.0, s[12:13]
	s_mov_b32 s14, 0x47800000
	v_cmp_gt_u32_e32 vcc, s14, v1
	v_mov_b32_e32 v4, 0x80
	s_and_saveexec_b64 s[14:15], vcc
	s_cbranch_execz .LBB31_1550
; %bb.1545:
	s_mov_b32 s18, 0x37ffffff
	v_cmp_lt_u32_e32 vcc, s18, v1
	s_mov_b64 s[18:19], 0
                                        ; implicit-def: $vgpr0
	s_and_saveexec_b64 s[20:21], vcc
	s_xor_b64 s[20:21], exec, s[20:21]
	s_cbranch_execz .LBB31_1801
; %bb.1546:
	v_bfe_u32 v0, v1, 21, 1
	s_mov_b32 s23, 0x88fffff
	v_add3_u32 v0, v1, v0, s23
	s_mov_b64 s[18:19], exec
	v_lshrrev_b32_e32 v0, 21, v0
                                        ; implicit-def: $vgpr1
	s_andn2_saveexec_b64 s[20:21], s[20:21]
	s_cbranch_execnz .LBB31_1802
.LBB31_1547:
	s_or_b64 exec, exec, s[20:21]
	v_mov_b32_e32 v4, 0
	s_and_saveexec_b64 s[20:21], s[18:19]
.LBB31_1548:
	v_mov_b32_e32 v4, v0
.LBB31_1549:
	s_or_b64 exec, exec, s[20:21]
.LBB31_1550:
	s_or_b64 exec, exec, s[14:15]
	s_mov_b64 s[14:15], 0
	global_store_byte v[2:3], v4, off
.LBB31_1551:
	s_and_b64 vcc, exec, s[14:15]
	s_cbranch_vccz .LBB31_1561
; %bb.1552:
	v_cndmask_b32_e64 v0, 0, 1.0, s[12:13]
	s_mov_b32 s14, 0x43f00000
	v_cmp_gt_u32_e32 vcc, s14, v0
                                        ; implicit-def: $vgpr1
	s_and_saveexec_b64 s[14:15], vcc
	s_xor_b64 s[14:15], exec, s[14:15]
	s_cbranch_execz .LBB31_1558
; %bb.1553:
	s_mov_b32 s18, 0x3c7fffff
	v_cmp_lt_u32_e32 vcc, s18, v0
                                        ; implicit-def: $vgpr1
	s_and_saveexec_b64 s[18:19], vcc
	s_xor_b64 s[18:19], exec, s[18:19]
; %bb.1554:
	v_bfe_u32 v1, v0, 20, 1
	s_mov_b32 s20, 0x407ffff
	v_add3_u32 v0, v0, v1, s20
	v_lshrrev_b32_e32 v1, 20, v0
	v_and_b32_e32 v0, 0xff00000, v0
	s_mov_b32 s20, 0x7f00000
	v_mov_b32_e32 v4, 0x7e
	v_cmp_ne_u32_e32 vcc, s20, v0
	v_cndmask_b32_e32 v1, v4, v1, vcc
                                        ; implicit-def: $vgpr0
; %bb.1555:
	s_andn2_saveexec_b64 s[18:19], s[18:19]
; %bb.1556:
	v_add_f32_e32 v1, 0x46800000, v0
; %bb.1557:
	s_or_b64 exec, exec, s[18:19]
                                        ; implicit-def: $vgpr0
.LBB31_1558:
	s_andn2_saveexec_b64 s[14:15], s[14:15]
; %bb.1559:
	s_mov_b32 s18, 0x7f800000
	v_mov_b32_e32 v1, 0x7e
	v_mov_b32_e32 v4, 0x7f
	v_cmp_lt_u32_e32 vcc, s18, v0
	v_cndmask_b32_e32 v1, v1, v4, vcc
; %bb.1560:
	s_or_b64 exec, exec, s[14:15]
	global_store_byte v[2:3], v1, off
.LBB31_1561:
	s_mov_b64 s[14:15], 0
.LBB31_1562:
	s_andn2_b64 vcc, exec, s[14:15]
	s_cbranch_vccnz .LBB31_1572
; %bb.1563:
	v_cndmask_b32_e64 v0, 0, 1.0, s[12:13]
	s_mov_b32 s14, 0x47800000
	v_cmp_gt_u32_e32 vcc, s14, v0
                                        ; implicit-def: $vgpr1
	s_and_saveexec_b64 s[14:15], vcc
	s_xor_b64 s[14:15], exec, s[14:15]
	s_cbranch_execz .LBB31_1569
; %bb.1564:
	s_mov_b32 s18, 0x387fffff
	v_cmp_lt_u32_e32 vcc, s18, v0
                                        ; implicit-def: $vgpr1
	s_and_saveexec_b64 s[18:19], vcc
	s_xor_b64 s[18:19], exec, s[18:19]
; %bb.1565:
	v_bfe_u32 v1, v0, 21, 1
	s_mov_b32 s20, 0x80fffff
	v_add3_u32 v0, v0, v1, s20
	v_lshrrev_b32_e32 v1, 21, v0
                                        ; implicit-def: $vgpr0
; %bb.1566:
	s_andn2_saveexec_b64 s[18:19], s[18:19]
; %bb.1567:
	v_add_f32_e32 v1, 0x43000000, v0
; %bb.1568:
	s_or_b64 exec, exec, s[18:19]
                                        ; implicit-def: $vgpr0
.LBB31_1569:
	s_andn2_saveexec_b64 s[14:15], s[14:15]
; %bb.1570:
	s_mov_b32 s18, 0x7f800000
	v_mov_b32_e32 v1, 0x7c
	v_mov_b32_e32 v4, 0x7f
	v_cmp_lt_u32_e32 vcc, s18, v0
	v_cndmask_b32_e32 v1, v1, v4, vcc
; %bb.1571:
	s_or_b64 exec, exec, s[14:15]
	global_store_byte v[2:3], v1, off
.LBB31_1572:
	s_mov_b64 s[14:15], 0
.LBB31_1573:
	s_andn2_b64 vcc, exec, s[14:15]
	s_mov_b64 s[14:15], 0
	s_cbranch_vccnz .LBB31_1582
; %bb.1574:
	s_cmp_gt_i32 s22, 14
	s_mov_b64 s[18:19], -1
	s_cbranch_scc0 .LBB31_1578
; %bb.1575:
	s_cmp_eq_u32 s22, 15
	s_mov_b64 s[0:1], -1
	s_cbranch_scc0 .LBB31_1577
; %bb.1576:
	v_cndmask_b32_e64 v0, 0, 1.0, s[12:13]
	v_bfe_u32 v1, v0, 16, 1
	s_movk_i32 s0, 0x7fff
	v_add3_u32 v0, v0, v1, s0
	global_store_short_d16_hi v[2:3], v0, off
	s_mov_b64 s[0:1], 0
.LBB31_1577:
	s_mov_b64 s[18:19], 0
.LBB31_1578:
	s_and_b64 vcc, exec, s[18:19]
	s_cbranch_vccz .LBB31_1582
; %bb.1579:
	s_cmp_lg_u32 s22, 11
	s_cselect_b64 s[18:19], -1, 0
	s_andn2_b64 s[0:1], s[0:1], exec
	s_and_b64 s[18:19], s[18:19], exec
	s_mov_b64 s[14:15], -1
	s_or_b64 s[0:1], s[0:1], s[18:19]
	s_branch .LBB31_1582
.LBB31_1580:
	s_mov_b64 s[14:15], 0
	s_mov_b64 s[8:9], -1
	s_mov_b64 s[0:1], s[38:39]
	s_branch .LBB31_1582
.LBB31_1581:
	s_mov_b64 s[14:15], 0
.LBB31_1582:
	s_and_b64 s[20:21], s[8:9], exec
	s_andn2_b64 s[8:9], s[38:39], exec
	s_and_b64 s[0:1], s[0:1], exec
	s_and_b64 s[22:23], s[14:15], exec
	s_or_b64 s[38:39], s[8:9], s[0:1]
	s_or_b64 exec, exec, s[16:17]
	s_and_saveexec_b64 s[0:1], s[38:39]
	s_cbranch_execz .LBB31_1492
.LBB31_1583:
	s_or_b64 s[10:11], s[10:11], exec
	s_andn2_b64 s[22:23], s[22:23], exec
	s_trap 2
	s_or_b64 exec, exec, s[0:1]
	s_and_saveexec_b64 s[0:1], s[22:23]
	s_xor_b64 s[0:1], exec, s[0:1]
	s_cbranch_execnz .LBB31_1493
.LBB31_1584:
	s_or_b64 exec, exec, s[0:1]
	s_and_saveexec_b64 s[0:1], s[20:21]
	s_xor_b64 s[0:1], exec, s[0:1]
	s_cbranch_execz .LBB31_1622
.LBB31_1585:
	s_sext_i32_i16 s14, s28
	s_cmp_lt_i32 s14, 5
	s_mov_b64 s[8:9], -1
	s_cbranch_scc1 .LBB31_1606
; %bb.1586:
	s_cmp_lt_i32 s14, 8
	s_cbranch_scc1 .LBB31_1596
; %bb.1587:
	s_cmp_lt_i32 s14, 9
	s_cbranch_scc1 .LBB31_1593
; %bb.1588:
	s_cmp_gt_i32 s14, 9
	s_cbranch_scc0 .LBB31_1590
; %bb.1589:
	v_cndmask_b32_e64 v0, 0, 1, s[12:13]
	s_waitcnt vmcnt(0)
	v_cvt_f64_u32_e32 v[4:5], v0
	v_mov_b32_e32 v6, 0
	v_mov_b32_e32 v7, v6
	s_mov_b64 s[8:9], 0
	global_store_dwordx4 v[2:3], v[4:7], off
.LBB31_1590:
	s_andn2_b64 vcc, exec, s[8:9]
	s_cbranch_vccnz .LBB31_1592
; %bb.1591:
	v_cndmask_b32_e64 v0, 0, 1.0, s[12:13]
	s_waitcnt vmcnt(0)
	v_mov_b32_e32 v1, 0
	global_store_dwordx2 v[2:3], v[0:1], off
.LBB31_1592:
	s_mov_b64 s[8:9], 0
.LBB31_1593:
	s_andn2_b64 vcc, exec, s[8:9]
	s_cbranch_vccnz .LBB31_1595
; %bb.1594:
	v_cndmask_b32_e64 v0, 0, 1.0, s[12:13]
	v_cvt_f16_f32_e32 v0, v0
	s_waitcnt vmcnt(0)
	global_store_dword v[2:3], v0, off
.LBB31_1595:
	s_mov_b64 s[8:9], 0
.LBB31_1596:
	s_andn2_b64 vcc, exec, s[8:9]
	s_cbranch_vccnz .LBB31_1605
; %bb.1597:
	s_sext_i32_i16 s14, s28
	s_cmp_lt_i32 s14, 6
	s_mov_b64 s[8:9], -1
	s_cbranch_scc1 .LBB31_1603
; %bb.1598:
	s_cmp_gt_i32 s14, 6
	s_cbranch_scc0 .LBB31_1600
; %bb.1599:
	v_cndmask_b32_e64 v0, 0, 1, s[12:13]
	s_waitcnt vmcnt(0)
	v_cvt_f64_u32_e32 v[0:1], v0
	s_mov_b64 s[8:9], 0
	global_store_dwordx2 v[2:3], v[0:1], off
.LBB31_1600:
	s_andn2_b64 vcc, exec, s[8:9]
	s_cbranch_vccnz .LBB31_1602
; %bb.1601:
	v_cndmask_b32_e64 v0, 0, 1.0, s[12:13]
	s_waitcnt vmcnt(0)
	global_store_dword v[2:3], v0, off
.LBB31_1602:
	s_mov_b64 s[8:9], 0
.LBB31_1603:
	s_andn2_b64 vcc, exec, s[8:9]
	s_cbranch_vccnz .LBB31_1605
; %bb.1604:
	v_cndmask_b32_e64 v0, 0, 1.0, s[12:13]
	v_cvt_f16_f32_e32 v0, v0
	s_waitcnt vmcnt(0)
	global_store_short v[2:3], v0, off
.LBB31_1605:
	s_mov_b64 s[8:9], 0
.LBB31_1606:
	s_andn2_b64 vcc, exec, s[8:9]
	s_cbranch_vccnz .LBB31_1622
; %bb.1607:
	s_sext_i32_i16 s14, s28
	s_cmp_lt_i32 s14, 2
	s_mov_b64 s[8:9], -1
	s_cbranch_scc1 .LBB31_1617
; %bb.1608:
	s_cmp_lt_i32 s14, 3
	s_cbranch_scc1 .LBB31_1614
; %bb.1609:
	s_cmp_gt_i32 s14, 3
	s_cbranch_scc0 .LBB31_1611
; %bb.1610:
	s_mov_b32 s8, 0
	v_cndmask_b32_e64 v0, 0, 1, s[12:13]
	s_waitcnt vmcnt(0)
	v_mov_b32_e32 v1, s8
	s_mov_b64 s[8:9], 0
	global_store_dwordx2 v[2:3], v[0:1], off
.LBB31_1611:
	s_andn2_b64 vcc, exec, s[8:9]
	s_cbranch_vccnz .LBB31_1613
; %bb.1612:
	v_cndmask_b32_e64 v0, 0, 1, s[12:13]
	s_waitcnt vmcnt(0)
	global_store_dword v[2:3], v0, off
.LBB31_1613:
	s_mov_b64 s[8:9], 0
.LBB31_1614:
	s_andn2_b64 vcc, exec, s[8:9]
	s_cbranch_vccnz .LBB31_1616
; %bb.1615:
	v_cndmask_b32_e64 v0, 0, 1, s[12:13]
	s_waitcnt vmcnt(0)
	global_store_short v[2:3], v0, off
.LBB31_1616:
	s_mov_b64 s[8:9], 0
.LBB31_1617:
	s_andn2_b64 vcc, exec, s[8:9]
	s_cbranch_vccnz .LBB31_1622
; %bb.1618:
	s_sext_i32_i16 s14, s28
	s_mov_b64 s[8:9], -1
	s_cmp_gt_i32 s14, 0
	v_cndmask_b32_e64 v0, 0, 1, s[12:13]
	s_cbranch_scc0 .LBB31_1620
; %bb.1619:
	s_mov_b64 s[8:9], 0
	s_waitcnt vmcnt(0)
	global_store_byte v[2:3], v0, off
.LBB31_1620:
	s_andn2_b64 vcc, exec, s[8:9]
	s_cbranch_vccnz .LBB31_1622
; %bb.1621:
	s_waitcnt vmcnt(0)
	global_store_byte v[2:3], v0, off
.LBB31_1622:
	s_or_b64 exec, exec, s[0:1]
	s_and_b64 s[12:13], s[10:11], exec
                                        ; implicit-def: $vgpr23
                                        ; implicit-def: $vgpr8
.LBB31_1623:
	s_or_saveexec_b64 s[14:15], s[26:27]
	s_mov_b64 s[0:1], 0
                                        ; implicit-def: $sgpr10_sgpr11
                                        ; implicit-def: $vgpr0_vgpr1
                                        ; implicit-def: $sgpr26
	s_xor_b64 exec, exec, s[14:15]
	s_cbranch_execz .LBB31_2726
; %bb.1624:
	v_cndmask_b32_e64 v0, 0, 1, s[24:25]
	v_cmp_ne_u32_e64 s[0:1], 1, v0
	s_andn2_b64 vcc, exec, s[24:25]
	s_cbranch_vccnz .LBB31_1630
; %bb.1625:
	s_cmp_lg_u32 s33, 0
	s_cbranch_scc0 .LBB31_1631
; %bb.1626:
	s_min_u32 s8, s70, 15
	s_add_i32 s6, s8, 1
	s_and_b32 s9, s6, 30
	s_add_u32 s6, s2, 0xffffffe8
	s_addc_u32 s7, s3, -1
	v_mov_b32_e32 v19, 0
	v_mov_b32_e32 v21, 0
	s_waitcnt vmcnt(0)
	v_mov_b32_e32 v6, 0
	v_mov_b32_e32 v0, v8
.LBB31_1627:                            ; =>This Inner Loop Header: Depth=1
	s_load_dwordx4 s[16:19], s[6:7], 0x1c
	s_load_dwordx2 s[10:11], s[6:7], 0x2c
	s_load_dwordx2 s[24:25], s[6:7], 0xec
	s_load_dwordx4 s[20:23], s[6:7], 0xdc
	s_add_u32 s6, s6, 24
	s_waitcnt lgkmcnt(0)
	v_mul_hi_u32 v1, s17, v0
	s_addc_u32 s7, s7, 0
	s_add_i32 s9, s9, -2
	s_cmp_lg_u32 s9, 0
	v_add_u32_e32 v1, v0, v1
	v_lshrrev_b32_e32 v1, s18, v1
	v_mul_lo_u32 v2, v1, s16
	v_mul_hi_u32 v3, s10, v1
	v_sub_u32_e32 v2, v0, v2
	v_add_u32_e32 v0, v1, v3
	v_lshrrev_b32_e32 v0, s11, v0
	v_mul_lo_u32 v5, v0, s19
	v_mul_lo_u32 v3, v2, s20
	;; [unrolled: 1-line block ×4, first 2 shown]
	v_sub_u32_e32 v1, v1, v5
	v_mul_lo_u32 v5, v1, s23
	v_mul_lo_u32 v7, v1, s24
	;; [unrolled: 1-line block ×3, first 2 shown]
	v_add3_u32 v6, v3, v6, v5
	v_add3_u32 v21, v4, v21, v7
	v_add3_u32 v19, v2, v19, v1
	s_cbranch_scc1 .LBB31_1627
; %bb.1628:
	s_bitcmp1_b32 s8, 0
	s_cselect_b64 s[8:9], -1, 0
	s_and_b64 vcc, exec, s[8:9]
	s_cbranch_vccnz .LBB31_1632
; %bb.1629:
	s_load_dwordx2 s[8:9], s[6:7], 0x1c
	s_load_dword s16, s[6:7], 0x24
	s_load_dwordx2 s[10:11], s[6:7], 0xdc
	s_waitcnt lgkmcnt(0)
	v_mul_hi_u32 v1, s9, v0
	v_add_u32_e32 v1, v0, v1
	v_lshrrev_b32_e32 v1, s16, v1
	v_mul_lo_u32 v1, v1, s8
	s_load_dword s8, s[6:7], 0xe4
	v_sub_u32_e32 v0, v0, v1
	v_mad_u64_u32 v[6:7], s[6:7], v0, s10, v[6:7]
	v_mad_u64_u32 v[21:22], s[6:7], v0, s11, v[21:22]
	s_waitcnt lgkmcnt(0)
	v_mad_u64_u32 v[19:20], s[6:7], v0, s8, v[19:20]
	s_cbranch_execz .LBB31_1633
	s_branch .LBB31_1635
.LBB31_1630:
                                        ; implicit-def: $vgpr6
                                        ; implicit-def: $vgpr21
                                        ; implicit-def: $vgpr19
	s_branch .LBB31_1633
.LBB31_1631:
	s_waitcnt vmcnt(0)
	v_mov_b32_e32 v6, 0
	v_mov_b32_e32 v21, 0
	;; [unrolled: 1-line block ×3, first 2 shown]
.LBB31_1632:
	s_cbranch_execnz .LBB31_1635
.LBB31_1633:
	s_load_dwordx4 s[8:11], s[2:3], 0x4
	s_load_dwordx4 s[16:19], s[2:3], 0xc4
	s_cmp_lt_u32 s33, 2
	s_waitcnt lgkmcnt(0)
	v_mul_hi_u32 v0, s9, v8
	v_add_u32_e32 v0, v8, v0
	v_lshrrev_b32_e32 v0, s10, v0
	s_waitcnt vmcnt(0)
	v_mul_lo_u32 v1, v0, s8
	v_sub_u32_e32 v1, v8, v1
	v_mul_lo_u32 v6, v1, s16
	v_mul_lo_u32 v21, v1, s17
	;; [unrolled: 1-line block ×3, first 2 shown]
	s_cbranch_scc1 .LBB31_1635
; %bb.1634:
	s_load_dwordx4 s[8:11], s[2:3], 0x10
	s_load_dwordx4 s[16:19], s[2:3], 0xd0
	s_waitcnt lgkmcnt(0)
	v_mul_hi_u32 v1, s9, v0
	v_add_u32_e32 v1, v0, v1
	v_lshrrev_b32_e32 v1, s10, v1
	v_mul_lo_u32 v1, v1, s8
	v_sub_u32_e32 v0, v0, v1
	v_mad_u64_u32 v[6:7], s[6:7], v0, s16, v[6:7]
	v_mad_u64_u32 v[21:22], s[6:7], v0, s17, v[21:22]
	;; [unrolled: 1-line block ×3, first 2 shown]
.LBB31_1635:
	s_and_b64 vcc, exec, s[0:1]
	v_add_u32_e32 v0, 0x80, v8
	s_cbranch_vccnz .LBB31_1641
; %bb.1636:
	s_cmp_lg_u32 s33, 0
	s_cbranch_scc0 .LBB31_1642
; %bb.1637:
	s_min_u32 s8, s70, 15
	s_add_i32 s6, s8, 1
	s_and_b32 s9, s6, 30
	s_add_u32 s6, s2, 0xffffffe8
	s_addc_u32 s7, s3, -1
	v_mov_b32_e32 v15, 0
	v_mov_b32_e32 v17, 0
	s_waitcnt vmcnt(0)
	v_mov_b32_e32 v4, 0
	v_mov_b32_e32 v1, v0
.LBB31_1638:                            ; =>This Inner Loop Header: Depth=1
	s_load_dwordx4 s[16:19], s[6:7], 0x1c
	s_load_dwordx2 s[10:11], s[6:7], 0x2c
	s_load_dwordx2 s[24:25], s[6:7], 0xec
	s_load_dwordx4 s[20:23], s[6:7], 0xdc
	s_add_u32 s6, s6, 24
	s_waitcnt lgkmcnt(0)
	v_mul_hi_u32 v2, s17, v1
	s_addc_u32 s7, s7, 0
	s_add_i32 s9, s9, -2
	s_cmp_lg_u32 s9, 0
	v_add_u32_e32 v2, v1, v2
	v_lshrrev_b32_e32 v2, s18, v2
	v_mul_lo_u32 v3, v2, s16
	v_mul_hi_u32 v5, s10, v2
	v_sub_u32_e32 v3, v1, v3
	v_add_u32_e32 v1, v2, v5
	v_lshrrev_b32_e32 v1, s11, v1
	v_mul_lo_u32 v9, v1, s19
	v_mul_lo_u32 v5, v3, s20
	;; [unrolled: 1-line block ×4, first 2 shown]
	v_sub_u32_e32 v2, v2, v9
	v_mul_lo_u32 v9, v2, s23
	v_mul_lo_u32 v10, v2, s24
	;; [unrolled: 1-line block ×3, first 2 shown]
	v_add3_u32 v4, v5, v4, v9
	v_add3_u32 v17, v7, v17, v10
	;; [unrolled: 1-line block ×3, first 2 shown]
	s_cbranch_scc1 .LBB31_1638
; %bb.1639:
	s_bitcmp1_b32 s8, 0
	s_cselect_b64 s[8:9], -1, 0
	s_and_b64 vcc, exec, s[8:9]
	s_cbranch_vccnz .LBB31_1643
; %bb.1640:
	s_load_dwordx2 s[8:9], s[6:7], 0x1c
	s_load_dword s16, s[6:7], 0x24
	s_load_dwordx2 s[10:11], s[6:7], 0xdc
	s_waitcnt lgkmcnt(0)
	v_mul_hi_u32 v2, s9, v1
	v_add_u32_e32 v2, v1, v2
	v_lshrrev_b32_e32 v2, s16, v2
	v_mul_lo_u32 v2, v2, s8
	s_load_dword s8, s[6:7], 0xe4
	v_sub_u32_e32 v1, v1, v2
	v_mad_u64_u32 v[4:5], s[6:7], v1, s10, v[4:5]
	v_mad_u64_u32 v[17:18], s[6:7], v1, s11, v[17:18]
	s_waitcnt lgkmcnt(0)
	v_mad_u64_u32 v[15:16], s[6:7], v1, s8, v[15:16]
	s_cbranch_execz .LBB31_1644
	s_branch .LBB31_1646
.LBB31_1641:
                                        ; implicit-def: $vgpr4
                                        ; implicit-def: $vgpr17
                                        ; implicit-def: $vgpr15
	s_branch .LBB31_1644
.LBB31_1642:
	s_waitcnt vmcnt(0)
	v_mov_b32_e32 v4, 0
	v_mov_b32_e32 v17, 0
	;; [unrolled: 1-line block ×3, first 2 shown]
.LBB31_1643:
	s_cbranch_execnz .LBB31_1646
.LBB31_1644:
	s_load_dwordx4 s[8:11], s[2:3], 0x4
	s_load_dwordx4 s[16:19], s[2:3], 0xc4
	s_cmp_lt_u32 s33, 2
	s_waitcnt vmcnt(0) lgkmcnt(0)
	v_mul_hi_u32 v1, s9, v0
	v_add_u32_e32 v1, v0, v1
	v_lshrrev_b32_e32 v1, s10, v1
	v_mul_lo_u32 v2, v1, s8
	v_sub_u32_e32 v0, v0, v2
	v_mul_lo_u32 v4, v0, s16
	v_mul_lo_u32 v17, v0, s17
	;; [unrolled: 1-line block ×3, first 2 shown]
	s_cbranch_scc1 .LBB31_1646
; %bb.1645:
	s_load_dwordx4 s[8:11], s[2:3], 0x10
	s_load_dwordx4 s[16:19], s[2:3], 0xd0
	s_waitcnt lgkmcnt(0)
	v_mul_hi_u32 v0, s9, v1
	v_add_u32_e32 v0, v1, v0
	v_lshrrev_b32_e32 v0, s10, v0
	v_mul_lo_u32 v0, v0, s8
	v_sub_u32_e32 v0, v1, v0
	v_mad_u64_u32 v[4:5], s[6:7], v0, s16, v[4:5]
	v_mad_u64_u32 v[17:18], s[6:7], v0, s17, v[17:18]
	;; [unrolled: 1-line block ×3, first 2 shown]
.LBB31_1646:
	s_and_b64 vcc, exec, s[0:1]
	v_add_u32_e32 v0, 0x100, v8
	s_cbranch_vccnz .LBB31_1652
; %bb.1647:
	s_cmp_lg_u32 s33, 0
	s_cbranch_scc0 .LBB31_1653
; %bb.1648:
	s_min_u32 s8, s70, 15
	s_add_i32 s6, s8, 1
	s_and_b32 s9, s6, 30
	s_add_u32 s6, s2, 0xffffffe8
	s_addc_u32 s7, s3, -1
	v_mov_b32_e32 v11, 0
	v_mov_b32_e32 v13, 0
	s_waitcnt vmcnt(0)
	v_mov_b32_e32 v2, 0
	v_mov_b32_e32 v1, v0
.LBB31_1649:                            ; =>This Inner Loop Header: Depth=1
	s_load_dwordx4 s[16:19], s[6:7], 0x1c
	s_load_dwordx2 s[10:11], s[6:7], 0x2c
	s_load_dwordx2 s[24:25], s[6:7], 0xec
	s_load_dwordx4 s[20:23], s[6:7], 0xdc
	s_add_u32 s6, s6, 24
	s_waitcnt lgkmcnt(0)
	v_mul_hi_u32 v3, s17, v1
	s_addc_u32 s7, s7, 0
	s_add_i32 s9, s9, -2
	s_cmp_lg_u32 s9, 0
	v_add_u32_e32 v3, v1, v3
	v_lshrrev_b32_e32 v3, s18, v3
	v_mul_lo_u32 v5, v3, s16
	v_mul_hi_u32 v7, s10, v3
	v_sub_u32_e32 v5, v1, v5
	v_add_u32_e32 v1, v3, v7
	v_lshrrev_b32_e32 v1, s11, v1
	v_mul_lo_u32 v9, v1, s19
	v_mul_lo_u32 v7, v5, s20
	;; [unrolled: 1-line block ×4, first 2 shown]
	v_sub_u32_e32 v3, v3, v9
	v_mul_lo_u32 v9, v3, s23
	v_mul_lo_u32 v10, v3, s24
	;; [unrolled: 1-line block ×3, first 2 shown]
	v_add3_u32 v2, v7, v2, v9
	v_add3_u32 v13, v8, v13, v10
	;; [unrolled: 1-line block ×3, first 2 shown]
	s_cbranch_scc1 .LBB31_1649
; %bb.1650:
	s_bitcmp1_b32 s8, 0
	s_cselect_b64 s[8:9], -1, 0
	s_and_b64 vcc, exec, s[8:9]
	s_cbranch_vccnz .LBB31_1654
; %bb.1651:
	s_load_dwordx2 s[8:9], s[6:7], 0x1c
	s_load_dword s16, s[6:7], 0x24
	s_load_dwordx2 s[10:11], s[6:7], 0xdc
	s_waitcnt lgkmcnt(0)
	v_mul_hi_u32 v3, s9, v1
	v_add_u32_e32 v3, v1, v3
	v_lshrrev_b32_e32 v3, s16, v3
	v_mul_lo_u32 v3, v3, s8
	s_load_dword s8, s[6:7], 0xe4
	v_sub_u32_e32 v1, v1, v3
	v_mad_u64_u32 v[2:3], s[6:7], v1, s10, v[2:3]
	v_mad_u64_u32 v[13:14], s[6:7], v1, s11, v[13:14]
	s_waitcnt lgkmcnt(0)
	v_mad_u64_u32 v[11:12], s[6:7], v1, s8, v[11:12]
	s_cbranch_execz .LBB31_1655
	s_branch .LBB31_1657
.LBB31_1652:
                                        ; implicit-def: $vgpr2
                                        ; implicit-def: $vgpr13
                                        ; implicit-def: $vgpr11
	s_branch .LBB31_1655
.LBB31_1653:
	s_waitcnt vmcnt(0)
	v_mov_b32_e32 v2, 0
	v_mov_b32_e32 v13, 0
	;; [unrolled: 1-line block ×3, first 2 shown]
.LBB31_1654:
	s_cbranch_execnz .LBB31_1657
.LBB31_1655:
	s_load_dwordx4 s[8:11], s[2:3], 0x4
	s_load_dwordx4 s[16:19], s[2:3], 0xc4
	s_cmp_lt_u32 s33, 2
	s_waitcnt vmcnt(0) lgkmcnt(0)
	v_mul_hi_u32 v1, s9, v0
	v_add_u32_e32 v1, v0, v1
	v_lshrrev_b32_e32 v1, s10, v1
	v_mul_lo_u32 v2, v1, s8
	v_sub_u32_e32 v0, v0, v2
	v_mul_lo_u32 v2, v0, s16
	v_mul_lo_u32 v13, v0, s17
	;; [unrolled: 1-line block ×3, first 2 shown]
	s_cbranch_scc1 .LBB31_1657
; %bb.1656:
	s_load_dwordx4 s[8:11], s[2:3], 0x10
	s_load_dwordx4 s[16:19], s[2:3], 0xd0
	s_waitcnt lgkmcnt(0)
	v_mul_hi_u32 v0, s9, v1
	v_add_u32_e32 v0, v1, v0
	v_lshrrev_b32_e32 v0, s10, v0
	v_mul_lo_u32 v0, v0, s8
	v_sub_u32_e32 v0, v1, v0
	v_mad_u64_u32 v[2:3], s[6:7], v0, s16, v[2:3]
	v_mad_u64_u32 v[13:14], s[6:7], v0, s17, v[13:14]
	;; [unrolled: 1-line block ×3, first 2 shown]
.LBB31_1657:
	s_and_b64 vcc, exec, s[0:1]
	s_cbranch_vccnz .LBB31_1663
; %bb.1658:
	s_cmp_lg_u32 s33, 0
	s_cbranch_scc0 .LBB31_1664
; %bb.1659:
	s_min_u32 s6, s70, 15
	s_add_i32 s0, s6, 1
	s_and_b32 s7, s0, 30
	s_add_u32 s0, s2, 0xffffffe8
	s_addc_u32 s1, s3, -1
	s_waitcnt vmcnt(0)
	v_mov_b32_e32 v7, 0
	v_mov_b32_e32 v9, 0
	;; [unrolled: 1-line block ×4, first 2 shown]
.LBB31_1660:                            ; =>This Inner Loop Header: Depth=1
	s_load_dwordx4 s[8:11], s[0:1], 0x1c
	s_load_dwordx2 s[20:21], s[0:1], 0x2c
	s_load_dwordx2 s[22:23], s[0:1], 0xec
	s_load_dwordx4 s[16:19], s[0:1], 0xdc
	s_add_u32 s0, s0, 24
	s_waitcnt lgkmcnt(0)
	v_mul_hi_u32 v3, s9, v1
	s_addc_u32 s1, s1, 0
	s_add_i32 s7, s7, -2
	s_cmp_lg_u32 s7, 0
	v_add_u32_e32 v3, v1, v3
	v_lshrrev_b32_e32 v3, s10, v3
	v_mul_lo_u32 v5, v3, s8
	v_mul_hi_u32 v8, s20, v3
	v_sub_u32_e32 v5, v1, v5
	v_add_u32_e32 v1, v3, v8
	v_lshrrev_b32_e32 v1, s21, v1
	v_mul_lo_u32 v12, v1, s11
	v_mul_lo_u32 v8, v5, s16
	;; [unrolled: 1-line block ×4, first 2 shown]
	v_sub_u32_e32 v3, v3, v12
	v_mul_lo_u32 v12, v3, s19
	v_mul_lo_u32 v14, v3, s22
	;; [unrolled: 1-line block ×3, first 2 shown]
	v_add3_u32 v0, v8, v0, v12
	v_add3_u32 v9, v10, v9, v14
	;; [unrolled: 1-line block ×3, first 2 shown]
	s_cbranch_scc1 .LBB31_1660
; %bb.1661:
	s_bitcmp1_b32 s6, 0
	s_cselect_b64 s[6:7], -1, 0
	s_and_b64 vcc, exec, s[6:7]
	s_cbranch_vccnz .LBB31_1665
; %bb.1662:
	s_load_dwordx2 s[6:7], s[0:1], 0x1c
	s_load_dword s10, s[0:1], 0x24
	s_load_dwordx2 s[8:9], s[0:1], 0xdc
	s_waitcnt lgkmcnt(0)
	v_mul_hi_u32 v3, s7, v1
	v_add_u32_e32 v3, v1, v3
	v_lshrrev_b32_e32 v3, s10, v3
	v_mul_lo_u32 v3, v3, s6
	s_load_dword s6, s[0:1], 0xe4
	v_sub_u32_e32 v3, v1, v3
	v_mad_u64_u32 v[0:1], s[0:1], v3, s8, v[0:1]
	v_mad_u64_u32 v[9:10], s[0:1], v3, s9, v[9:10]
	s_waitcnt lgkmcnt(0)
	v_mad_u64_u32 v[7:8], s[0:1], v3, s6, v[7:8]
	s_cbranch_execz .LBB31_1666
	s_branch .LBB31_1668
.LBB31_1663:
                                        ; implicit-def: $vgpr0
                                        ; implicit-def: $vgpr9
                                        ; implicit-def: $vgpr7
	s_branch .LBB31_1666
.LBB31_1664:
	v_mov_b32_e32 v0, 0
	v_mov_b32_e32 v9, 0
	s_waitcnt vmcnt(0)
	v_mov_b32_e32 v7, 0
.LBB31_1665:
	s_cbranch_execnz .LBB31_1668
.LBB31_1666:
	s_load_dwordx4 s[8:11], s[2:3], 0x4
	s_load_dwordx4 s[16:19], s[2:3], 0xc4
	s_cmp_lt_u32 s33, 2
	s_waitcnt lgkmcnt(0)
	v_mul_hi_u32 v0, s9, v23
	v_add_u32_e32 v0, v23, v0
	s_waitcnt vmcnt(0)
	v_lshrrev_b32_e32 v1, s10, v0
	v_mul_lo_u32 v0, v1, s8
	v_sub_u32_e32 v3, v23, v0
	v_mul_lo_u32 v0, v3, s16
	v_mul_lo_u32 v9, v3, s17
	;; [unrolled: 1-line block ×3, first 2 shown]
	s_cbranch_scc1 .LBB31_1668
; %bb.1667:
	s_load_dwordx4 s[8:11], s[2:3], 0x10
	s_load_dwordx4 s[16:19], s[2:3], 0xd0
	s_waitcnt lgkmcnt(0)
	v_mul_hi_u32 v3, s9, v1
	v_add_u32_e32 v3, v1, v3
	v_lshrrev_b32_e32 v3, s10, v3
	v_mul_lo_u32 v3, v3, s8
	v_sub_u32_e32 v3, v1, v3
	v_mad_u64_u32 v[0:1], s[0:1], v3, s16, v[0:1]
	v_mad_u64_u32 v[9:10], s[0:1], v3, s17, v[9:10]
	;; [unrolled: 1-line block ×3, first 2 shown]
.LBB31_1668:
	s_load_dwordx4 s[8:11], s[2:3], 0x188
	s_load_dword s22, s[4:5], 0x1ac
	s_waitcnt vmcnt(0) lgkmcnt(0)
	v_mov_b32_e32 v1, s11
	s_bfe_u32 s18, s22, 0x80008
	v_add_co_u32_e32 v22, vcc, s10, v21
	s_cmp_lt_i32 s18, 11
	v_addc_co_u32_e32 v23, vcc, 0, v1, vcc
	s_cbranch_scc1 .LBB31_1675
; %bb.1669:
	s_and_b32 s19, 0xffff, s18
	s_cmp_gt_i32 s19, 25
	s_mov_b64 s[6:7], 0
	s_cbranch_scc0 .LBB31_1677
; %bb.1670:
	s_cmp_gt_i32 s19, 28
	s_cbranch_scc0 .LBB31_1678
; %bb.1671:
	s_cmp_gt_i32 s19, 43
	;; [unrolled: 3-line block ×3, first 2 shown]
	s_cbranch_scc0 .LBB31_1680
; %bb.1673:
	s_cmp_eq_u32 s19, 46
	s_mov_b64 s[4:5], 0
	s_cbranch_scc0 .LBB31_1683
; %bb.1674:
	global_load_dword v1, v[22:23], off
	s_mov_b64 s[0:1], 0
	s_mov_b64 s[16:17], -1
	s_waitcnt vmcnt(0)
	v_lshlrev_b32_e32 v1, 16, v1
	v_cvt_i32_f32_e32 v20, v1
	s_branch .LBB31_1684
.LBB31_1675:
	s_mov_b64 s[16:17], 0
                                        ; implicit-def: $vgpr20
	s_mov_b64 s[4:5], s[12:13]
	s_cbranch_execnz .LBB31_1742
.LBB31_1676:
	s_andn2_b64 vcc, exec, s[16:17]
	s_cbranch_vccz .LBB31_1787
	s_branch .LBB31_2723
.LBB31_1677:
	s_mov_b64 s[16:17], 0
	s_mov_b64 s[0:1], 0
                                        ; implicit-def: $vgpr20
	s_cbranch_execnz .LBB31_1709
	s_branch .LBB31_1738
.LBB31_1678:
	s_mov_b64 s[16:17], 0
	s_mov_b64 s[0:1], 0
                                        ; implicit-def: $vgpr20
	s_cbranch_execz .LBB31_1708
	s_branch .LBB31_1693
.LBB31_1679:
	s_mov_b64 s[16:17], 0
	s_mov_b64 s[0:1], 0
                                        ; implicit-def: $vgpr20
	s_cbranch_execnz .LBB31_1689
	s_branch .LBB31_1692
.LBB31_1680:
	s_mov_b64 s[4:5], -1
	s_mov_b64 s[16:17], 0
	s_mov_b64 s[0:1], 0
                                        ; implicit-def: $vgpr20
	s_branch .LBB31_1684
.LBB31_1681:
	s_andn2_saveexec_b64 s[18:19], s[18:19]
	s_cbranch_execz .LBB31_1535
.LBB31_1682:
	v_add_f32_e32 v0, 0x46000000, v1
	v_and_b32_e32 v0, 0xff, v0
	v_cmp_ne_u32_e32 vcc, 0, v0
	s_andn2_b64 s[14:15], s[14:15], exec
	s_and_b64 s[20:21], vcc, exec
	s_or_b64 s[14:15], s[14:15], s[20:21]
	s_or_b64 exec, exec, s[18:19]
	v_mov_b32_e32 v4, 0
	s_and_saveexec_b64 s[18:19], s[14:15]
	s_cbranch_execnz .LBB31_1536
	s_branch .LBB31_1537
.LBB31_1683:
	s_mov_b64 s[0:1], -1
                                        ; implicit-def: $vgpr20
	s_mov_b64 s[16:17], 0
.LBB31_1684:
	s_and_b64 vcc, exec, s[4:5]
	s_cbranch_vccz .LBB31_1687
; %bb.1685:
	s_cmp_eq_u32 s19, 44
	s_cbranch_scc0 .LBB31_1688
; %bb.1686:
	global_load_ubyte v1, v[22:23], off
	s_mov_b64 s[0:1], 0
	s_mov_b64 s[16:17], -1
	s_waitcnt vmcnt(0)
	v_lshlrev_b32_e32 v3, 23, v1
	v_cvt_i32_f32_e32 v3, v3
	v_cmp_ne_u32_e32 vcc, 0, v1
	v_cndmask_b32_e32 v20, 0, v3, vcc
.LBB31_1687:
	s_branch .LBB31_1692
.LBB31_1688:
	s_mov_b64 s[0:1], -1
                                        ; implicit-def: $vgpr20
	s_branch .LBB31_1692
.LBB31_1689:
	s_cmp_eq_u32 s19, 29
	s_cbranch_scc0 .LBB31_1691
; %bb.1690:
	global_load_dwordx2 v[20:21], v[22:23], off
	s_mov_b64 s[0:1], 0
	s_mov_b64 s[16:17], -1
	s_branch .LBB31_1692
.LBB31_1691:
	s_mov_b64 s[0:1], -1
                                        ; implicit-def: $vgpr20
.LBB31_1692:
	s_branch .LBB31_1708
.LBB31_1693:
	s_cmp_lt_i32 s19, 27
	s_cbranch_scc1 .LBB31_1696
; %bb.1694:
	s_cmp_gt_i32 s19, 27
	s_cbranch_scc0 .LBB31_1697
; %bb.1695:
	global_load_dword v20, v[22:23], off
	s_mov_b64 s[4:5], 0
	s_branch .LBB31_1698
.LBB31_1696:
	s_mov_b64 s[4:5], -1
                                        ; implicit-def: $vgpr20
	s_branch .LBB31_1701
.LBB31_1697:
	s_mov_b64 s[4:5], -1
                                        ; implicit-def: $vgpr20
.LBB31_1698:
	s_andn2_b64 vcc, exec, s[4:5]
	s_cbranch_vccnz .LBB31_1700
; %bb.1699:
	global_load_ushort v20, v[22:23], off
.LBB31_1700:
	s_mov_b64 s[4:5], 0
.LBB31_1701:
	s_andn2_b64 vcc, exec, s[4:5]
	s_cbranch_vccnz .LBB31_1707
; %bb.1702:
	global_load_ubyte v1, v[22:23], off
	s_movk_i32 s4, 0x7f
	s_mov_b64 s[16:17], 0
	s_waitcnt vmcnt(0)
	v_cmp_lt_i16_e32 vcc, s4, v1
	s_and_saveexec_b64 s[4:5], vcc
	s_xor_b64 s[4:5], exec, s[4:5]
	s_cbranch_execz .LBB31_1718
; %bb.1703:
	s_movk_i32 s16, 0x80
	v_cmp_ne_u16_e32 vcc, s16, v1
	s_and_b64 s[16:17], vcc, exec
	s_andn2_saveexec_b64 s[4:5], s[4:5]
	s_cbranch_execnz .LBB31_1719
.LBB31_1704:
	s_or_b64 exec, exec, s[4:5]
	v_mov_b32_e32 v20, 0
	s_and_saveexec_b64 s[4:5], s[16:17]
	s_cbranch_execz .LBB31_1706
.LBB31_1705:
	v_lshlrev_b32_e32 v3, 24, v1
	v_and_b32_e32 v1, 0xffff, v1
	v_and_b32_e32 v5, 7, v1
	v_ffbh_u32_e32 v10, v5
	v_min_u32_e32 v10, 32, v10
	v_subrev_u32_e32 v12, 28, v10
	v_bfe_u32 v8, v1, 3, 4
	v_lshlrev_b32_e32 v1, v12, v1
	v_sub_u32_e32 v10, 29, v10
	v_and_b32_e32 v1, 7, v1
	v_cmp_eq_u32_e32 vcc, 0, v8
	v_cndmask_b32_e32 v8, v8, v10, vcc
	v_cndmask_b32_e32 v1, v5, v1, vcc
	v_mov_b32_e32 v5, 0x3b800000
	v_lshlrev_b32_e32 v1, 20, v1
	v_and_b32_e32 v3, 0x80000000, v3
	v_lshl_add_u32 v5, v8, 23, v5
	v_or3_b32 v1, v3, v5, v1
	v_cvt_i32_f32_e32 v20, v1
.LBB31_1706:
	s_or_b64 exec, exec, s[4:5]
.LBB31_1707:
	s_mov_b64 s[16:17], -1
.LBB31_1708:
	s_branch .LBB31_1738
.LBB31_1709:
	s_cmp_gt_i32 s19, 22
	s_cbranch_scc0 .LBB31_1717
; %bb.1710:
	s_cmp_lt_i32 s19, 24
	s_cbranch_scc1 .LBB31_1720
; %bb.1711:
	s_cmp_gt_i32 s19, 24
	s_cbranch_scc0 .LBB31_1721
; %bb.1712:
	global_load_ubyte v1, v[22:23], off
	s_movk_i32 s4, 0x7f
	s_waitcnt vmcnt(0)
	v_cmp_lt_i16_e32 vcc, s4, v1
	s_and_saveexec_b64 s[4:5], vcc
	s_xor_b64 s[4:5], exec, s[4:5]
	s_cbranch_execz .LBB31_1732
; %bb.1713:
	s_movk_i32 s6, 0x80
	v_cmp_ne_u16_e32 vcc, s6, v1
	s_and_b64 s[6:7], vcc, exec
	s_andn2_saveexec_b64 s[4:5], s[4:5]
	s_cbranch_execnz .LBB31_1733
.LBB31_1714:
	s_or_b64 exec, exec, s[4:5]
	v_mov_b32_e32 v20, 0
	s_and_saveexec_b64 s[4:5], s[6:7]
	s_cbranch_execz .LBB31_1716
.LBB31_1715:
	v_lshlrev_b32_e32 v3, 24, v1
	v_and_b32_e32 v1, 0xffff, v1
	v_and_b32_e32 v5, 3, v1
	v_ffbh_u32_e32 v10, v5
	v_min_u32_e32 v10, 32, v10
	v_subrev_u32_e32 v12, 29, v10
	v_bfe_u32 v8, v1, 2, 5
	v_lshlrev_b32_e32 v1, v12, v1
	v_sub_u32_e32 v10, 30, v10
	v_and_b32_e32 v1, 3, v1
	v_cmp_eq_u32_e32 vcc, 0, v8
	v_cndmask_b32_e32 v8, v8, v10, vcc
	v_cndmask_b32_e32 v1, v5, v1, vcc
	v_mov_b32_e32 v5, 0x37800000
	v_lshlrev_b32_e32 v1, 21, v1
	v_and_b32_e32 v3, 0x80000000, v3
	v_lshl_add_u32 v5, v8, 23, v5
	v_or3_b32 v1, v3, v5, v1
	v_cvt_i32_f32_e32 v20, v1
.LBB31_1716:
	s_or_b64 exec, exec, s[4:5]
	s_mov_b64 s[4:5], 0
	s_branch .LBB31_1722
.LBB31_1717:
                                        ; implicit-def: $vgpr20
	s_mov_b64 s[6:7], 0
	s_branch .LBB31_1728
.LBB31_1718:
	s_andn2_saveexec_b64 s[4:5], s[4:5]
	s_cbranch_execz .LBB31_1704
.LBB31_1719:
	v_cmp_ne_u16_e32 vcc, 0, v1
	s_andn2_b64 s[16:17], s[16:17], exec
	s_and_b64 s[20:21], vcc, exec
	s_or_b64 s[16:17], s[16:17], s[20:21]
	s_or_b64 exec, exec, s[4:5]
	v_mov_b32_e32 v20, 0
	s_and_saveexec_b64 s[4:5], s[16:17]
	s_cbranch_execnz .LBB31_1705
	s_branch .LBB31_1706
.LBB31_1720:
	s_mov_b64 s[4:5], -1
                                        ; implicit-def: $vgpr20
	s_branch .LBB31_1725
.LBB31_1721:
	s_mov_b64 s[4:5], -1
                                        ; implicit-def: $vgpr20
.LBB31_1722:
	s_and_b64 vcc, exec, s[4:5]
	s_cbranch_vccz .LBB31_1724
; %bb.1723:
	global_load_ubyte v1, v[22:23], off
	s_mov_b32 s4, 0x7f800000
	s_waitcnt vmcnt(0)
	v_lshlrev_b32_e32 v1, 24, v1
	v_and_b32_e32 v3, 0x7f000000, v1
	v_ffbh_u32_e32 v5, v3
	v_min_u32_e32 v5, 32, v5
	v_sub_u32_e64 v5, v5, 4 clamp
	v_lshlrev_b32_e32 v10, v5, v3
	v_lshlrev_b32_e32 v5, 23, v5
	v_lshrrev_b32_e32 v10, 4, v10
	v_add_u32_e32 v8, 0x1000000, v3
	v_sub_u32_e32 v5, v10, v5
	v_ashrrev_i32_e32 v8, 8, v8
	v_add_u32_e32 v5, 0x3c000000, v5
	v_and_or_b32 v5, v8, s4, v5
	v_cmp_ne_u32_e32 vcc, 0, v3
	v_cndmask_b32_e32 v3, 0, v5, vcc
	s_brev_b32 s4, 1
	v_and_or_b32 v1, v1, s4, v3
	v_cvt_i32_f32_e32 v20, v1
.LBB31_1724:
	s_mov_b64 s[4:5], 0
.LBB31_1725:
	s_andn2_b64 vcc, exec, s[4:5]
	s_cbranch_vccnz .LBB31_1727
; %bb.1726:
	global_load_ubyte v1, v[22:23], off
	s_movk_i32 s4, 0x7f00
	s_brev_b32 s5, 16
	s_waitcnt vmcnt(0)
	v_lshlrev_b16_e32 v3, 8, v1
	v_lshlrev_b32_e32 v1, 25, v1
	v_lshrrev_b32_e32 v5, 4, v1
	v_and_or_b32 v8, v3, s4, 0.5
	v_or_b32_e32 v5, 0x70000000, v5
	v_add_f32_e32 v8, -0.5, v8
	v_mul_f32_e32 v5, 0x7800000, v5
	v_cmp_gt_u32_e32 vcc, s5, v1
	v_bfe_i32 v3, v3, 0, 16
	v_cndmask_b32_e32 v1, v5, v8, vcc
	s_brev_b32 s4, 1
	v_and_or_b32 v1, v3, s4, v1
	v_cvt_i32_f32_e32 v20, v1
.LBB31_1727:
	s_mov_b64 s[16:17], -1
	s_mov_b64 s[6:7], 0
	s_cbranch_execnz .LBB31_1738
.LBB31_1728:
	s_cmp_gt_i32 s19, 14
	s_cbranch_scc0 .LBB31_1731
; %bb.1729:
	s_cmp_eq_u32 s19, 15
	s_cbranch_scc0 .LBB31_1734
; %bb.1730:
	global_load_ushort v1, v[22:23], off
	s_mov_b64 s[0:1], 0
	s_mov_b64 s[16:17], -1
	s_waitcnt vmcnt(0)
	v_lshlrev_b32_e32 v1, 16, v1
	v_cvt_i32_f32_e32 v20, v1
	s_branch .LBB31_1735
.LBB31_1731:
	s_mov_b64 s[4:5], -1
                                        ; implicit-def: $vgpr20
	s_branch .LBB31_1736
.LBB31_1732:
	s_andn2_saveexec_b64 s[4:5], s[4:5]
	s_cbranch_execz .LBB31_1714
.LBB31_1733:
	v_cmp_ne_u16_e32 vcc, 0, v1
	s_andn2_b64 s[6:7], s[6:7], exec
	s_and_b64 s[16:17], vcc, exec
	s_or_b64 s[6:7], s[6:7], s[16:17]
	s_or_b64 exec, exec, s[4:5]
	v_mov_b32_e32 v20, 0
	s_and_saveexec_b64 s[4:5], s[6:7]
	s_cbranch_execnz .LBB31_1715
	s_branch .LBB31_1716
.LBB31_1734:
	s_mov_b64 s[0:1], -1
                                        ; implicit-def: $vgpr20
.LBB31_1735:
	s_mov_b64 s[4:5], 0
.LBB31_1736:
	s_and_b64 vcc, exec, s[4:5]
	s_cbranch_vccz .LBB31_1738
; %bb.1737:
	s_cmp_lg_u32 s19, 11
	s_mov_b64 s[6:7], -1
	s_cselect_b64 s[0:1], -1, 0
.LBB31_1738:
	s_and_b64 vcc, exec, s[0:1]
	s_mov_b64 s[4:5], s[12:13]
	s_cbranch_vccnz .LBB31_1799
; %bb.1739:
	s_andn2_b64 vcc, exec, s[6:7]
	s_cbranch_vccnz .LBB31_1741
.LBB31_1740:
	global_load_ubyte v1, v[22:23], off
	s_mov_b64 s[16:17], -1
	s_waitcnt vmcnt(0)
	v_cmp_ne_u16_e32 vcc, 0, v1
	v_cndmask_b32_e64 v20, 0, 1, vcc
.LBB31_1741:
	s_branch .LBB31_1676
.LBB31_1742:
	s_and_b32 s6, 0xffff, s18
	s_cmp_lt_i32 s6, 5
	s_cbranch_scc1 .LBB31_1747
; %bb.1743:
	s_cmp_lt_i32 s6, 8
	s_cbranch_scc1 .LBB31_1748
; %bb.1744:
	;; [unrolled: 3-line block ×3, first 2 shown]
	s_cmp_gt_i32 s6, 9
	s_cbranch_scc0 .LBB31_1750
; %bb.1746:
	global_load_dwordx2 v[20:21], v[22:23], off
	s_mov_b64 s[0:1], 0
	s_waitcnt vmcnt(0)
	v_cvt_i32_f64_e32 v20, v[20:21]
	s_branch .LBB31_1751
.LBB31_1747:
                                        ; implicit-def: $vgpr20
	s_branch .LBB31_1768
.LBB31_1748:
                                        ; implicit-def: $vgpr20
	s_branch .LBB31_1757
.LBB31_1749:
	s_mov_b64 s[0:1], -1
                                        ; implicit-def: $vgpr20
	s_branch .LBB31_1754
.LBB31_1750:
	s_mov_b64 s[0:1], -1
                                        ; implicit-def: $vgpr20
.LBB31_1751:
	s_andn2_b64 vcc, exec, s[0:1]
	s_cbranch_vccnz .LBB31_1753
; %bb.1752:
	global_load_dword v1, v[22:23], off
	s_waitcnt vmcnt(0)
	v_cvt_i32_f32_e32 v20, v1
.LBB31_1753:
	s_mov_b64 s[0:1], 0
.LBB31_1754:
	s_andn2_b64 vcc, exec, s[0:1]
	s_cbranch_vccnz .LBB31_1756
; %bb.1755:
	global_load_dword v1, v[22:23], off
	s_waitcnt vmcnt(0)
	v_cvt_i16_f16_e32 v20, v1
.LBB31_1756:
	s_cbranch_execnz .LBB31_1767
.LBB31_1757:
	s_cmp_lt_i32 s6, 6
	s_cbranch_scc1 .LBB31_1760
; %bb.1758:
	s_cmp_gt_i32 s6, 6
	s_cbranch_scc0 .LBB31_1761
; %bb.1759:
	global_load_dwordx2 v[20:21], v[22:23], off
	s_mov_b64 s[0:1], 0
	s_waitcnt vmcnt(0)
	v_cvt_i32_f64_e32 v20, v[20:21]
	s_branch .LBB31_1762
.LBB31_1760:
	s_mov_b64 s[0:1], -1
                                        ; implicit-def: $vgpr20
	s_branch .LBB31_1765
.LBB31_1761:
	s_mov_b64 s[0:1], -1
                                        ; implicit-def: $vgpr20
.LBB31_1762:
	s_andn2_b64 vcc, exec, s[0:1]
	s_cbranch_vccnz .LBB31_1764
; %bb.1763:
	global_load_dword v1, v[22:23], off
	s_waitcnt vmcnt(0)
	v_cvt_i32_f32_e32 v20, v1
.LBB31_1764:
	s_mov_b64 s[0:1], 0
.LBB31_1765:
	s_andn2_b64 vcc, exec, s[0:1]
	s_cbranch_vccnz .LBB31_1767
; %bb.1766:
	global_load_ushort v1, v[22:23], off
	s_waitcnt vmcnt(0)
	v_cvt_i16_f16_e32 v20, v1
.LBB31_1767:
	s_cbranch_execnz .LBB31_1786
.LBB31_1768:
	s_cmp_lt_i32 s6, 2
	s_cbranch_scc1 .LBB31_1772
; %bb.1769:
	s_cmp_lt_i32 s6, 3
	s_cbranch_scc1 .LBB31_1773
; %bb.1770:
	s_cmp_gt_i32 s6, 3
	s_cbranch_scc0 .LBB31_1774
; %bb.1771:
	global_load_dwordx2 v[20:21], v[22:23], off
	s_mov_b64 s[0:1], 0
	s_branch .LBB31_1775
.LBB31_1772:
                                        ; implicit-def: $vgpr20
	s_branch .LBB31_1781
.LBB31_1773:
	s_mov_b64 s[0:1], -1
                                        ; implicit-def: $vgpr20
	s_branch .LBB31_1778
.LBB31_1774:
	s_mov_b64 s[0:1], -1
                                        ; implicit-def: $vgpr20
.LBB31_1775:
	s_andn2_b64 vcc, exec, s[0:1]
	s_cbranch_vccnz .LBB31_1777
; %bb.1776:
	global_load_dword v20, v[22:23], off
.LBB31_1777:
	s_mov_b64 s[0:1], 0
.LBB31_1778:
	s_andn2_b64 vcc, exec, s[0:1]
	s_cbranch_vccnz .LBB31_1780
; %bb.1779:
	global_load_ushort v20, v[22:23], off
.LBB31_1780:
	s_cbranch_execnz .LBB31_1786
.LBB31_1781:
	s_cmp_gt_i32 s6, 0
	s_cbranch_scc0 .LBB31_1783
; %bb.1782:
	global_load_ubyte v20, v[22:23], off
	s_mov_b64 s[0:1], 0
	s_branch .LBB31_1784
.LBB31_1783:
	s_mov_b64 s[0:1], -1
                                        ; implicit-def: $vgpr20
.LBB31_1784:
	s_andn2_b64 vcc, exec, s[0:1]
	s_cbranch_vccnz .LBB31_1786
; %bb.1785:
	global_load_ubyte v20, v[22:23], off
.LBB31_1786:
.LBB31_1787:
	s_load_dwordx2 s[0:1], s[2:3], 0x198
	s_bfe_u32 s23, s22, 0x80010
	s_cmp_lt_i32 s23, 11
	s_waitcnt lgkmcnt(0)
	v_mov_b32_e32 v1, s1
	v_add_co_u32_e32 v18, vcc, s0, v19
	v_addc_co_u32_e32 v19, vcc, 0, v1, vcc
	s_cbranch_scc1 .LBB31_1794
; %bb.1788:
	s_and_b32 s24, 0xffff, s23
	s_cmp_gt_i32 s24, 25
	s_mov_b64 s[16:17], 0
	s_cbranch_scc0 .LBB31_1796
; %bb.1789:
	s_cmp_gt_i32 s24, 28
	s_cbranch_scc0 .LBB31_1797
; %bb.1790:
	s_cmp_gt_i32 s24, 43
	;; [unrolled: 3-line block ×3, first 2 shown]
	s_cbranch_scc0 .LBB31_1800
; %bb.1792:
	s_cmp_eq_u32 s24, 46
	s_mov_b64 s[20:21], 0
	s_cbranch_scc0 .LBB31_1803
; %bb.1793:
	global_load_dword v1, v[18:19], off
	s_mov_b64 s[6:7], 0
	s_mov_b64 s[18:19], -1
	s_waitcnt vmcnt(0)
	v_lshlrev_b32_e32 v1, 16, v1
	v_cvt_i32_f32_e32 v21, v1
	s_branch .LBB31_1804
.LBB31_1794:
	s_mov_b64 s[18:19], 0
                                        ; implicit-def: $vgpr21
	s_cbranch_execnz .LBB31_1865
.LBB31_1795:
	s_andn2_b64 vcc, exec, s[18:19]
	s_cbranch_vccnz .LBB31_2723
	s_branch .LBB31_1912
.LBB31_1796:
	s_mov_b64 s[18:19], 0
	s_mov_b64 s[6:7], 0
                                        ; implicit-def: $vgpr21
	s_cbranch_execnz .LBB31_1831
	s_branch .LBB31_1861
.LBB31_1797:
	s_mov_b64 s[20:21], -1
	s_mov_b64 s[18:19], 0
	s_mov_b64 s[6:7], 0
                                        ; implicit-def: $vgpr21
	s_branch .LBB31_1814
.LBB31_1798:
	s_mov_b64 s[20:21], -1
	s_mov_b64 s[18:19], 0
	s_mov_b64 s[6:7], 0
                                        ; implicit-def: $vgpr21
	s_branch .LBB31_1809
.LBB31_1799:
	s_or_b64 s[4:5], s[12:13], exec
	s_trap 2
	s_cbranch_execz .LBB31_1740
	s_branch .LBB31_1741
.LBB31_1800:
	s_mov_b64 s[20:21], -1
	s_mov_b64 s[18:19], 0
	s_mov_b64 s[6:7], 0
                                        ; implicit-def: $vgpr21
	s_branch .LBB31_1804
.LBB31_1801:
	s_andn2_saveexec_b64 s[20:21], s[20:21]
	s_cbranch_execz .LBB31_1547
.LBB31_1802:
	v_add_f32_e32 v0, 0x42800000, v1
	v_and_b32_e32 v0, 0xff, v0
	v_cmp_ne_u32_e32 vcc, 0, v0
	s_andn2_b64 s[18:19], s[18:19], exec
	s_and_b64 s[30:31], vcc, exec
	s_or_b64 s[18:19], s[18:19], s[30:31]
	s_or_b64 exec, exec, s[20:21]
	v_mov_b32_e32 v4, 0
	s_and_saveexec_b64 s[20:21], s[18:19]
	s_cbranch_execnz .LBB31_1548
	s_branch .LBB31_1549
.LBB31_1803:
	s_mov_b64 s[6:7], -1
                                        ; implicit-def: $vgpr21
	s_mov_b64 s[18:19], 0
.LBB31_1804:
	s_and_b64 vcc, exec, s[20:21]
	s_cbranch_vccz .LBB31_1808
; %bb.1805:
	s_cmp_eq_u32 s24, 44
	s_cbranch_scc0 .LBB31_1807
; %bb.1806:
	global_load_ubyte v1, v[18:19], off
	s_mov_b64 s[6:7], 0
	s_mov_b64 s[18:19], -1
	s_waitcnt vmcnt(0)
	v_lshlrev_b32_e32 v3, 23, v1
	v_cvt_i32_f32_e32 v3, v3
	v_cmp_ne_u32_e32 vcc, 0, v1
	v_cndmask_b32_e32 v21, 0, v3, vcc
	s_branch .LBB31_1808
.LBB31_1807:
	s_mov_b64 s[6:7], -1
                                        ; implicit-def: $vgpr21
.LBB31_1808:
	s_mov_b64 s[20:21], 0
.LBB31_1809:
	s_and_b64 vcc, exec, s[20:21]
	s_cbranch_vccz .LBB31_1813
; %bb.1810:
	s_cmp_eq_u32 s24, 29
	s_cbranch_scc0 .LBB31_1812
; %bb.1811:
	global_load_dwordx2 v[21:22], v[18:19], off
	s_mov_b64 s[6:7], 0
	s_mov_b64 s[18:19], -1
	s_branch .LBB31_1813
.LBB31_1812:
	s_mov_b64 s[6:7], -1
                                        ; implicit-def: $vgpr21
.LBB31_1813:
	s_mov_b64 s[20:21], 0
.LBB31_1814:
	s_and_b64 vcc, exec, s[20:21]
	s_cbranch_vccz .LBB31_1830
; %bb.1815:
	s_cmp_lt_i32 s24, 27
	s_cbranch_scc1 .LBB31_1818
; %bb.1816:
	s_cmp_gt_i32 s24, 27
	s_cbranch_scc0 .LBB31_1819
; %bb.1817:
	global_load_dword v21, v[18:19], off
	s_mov_b64 s[18:19], 0
	s_branch .LBB31_1820
.LBB31_1818:
	s_mov_b64 s[18:19], -1
                                        ; implicit-def: $vgpr21
	s_branch .LBB31_1823
.LBB31_1819:
	s_mov_b64 s[18:19], -1
                                        ; implicit-def: $vgpr21
.LBB31_1820:
	s_andn2_b64 vcc, exec, s[18:19]
	s_cbranch_vccnz .LBB31_1822
; %bb.1821:
	global_load_ushort v21, v[18:19], off
.LBB31_1822:
	s_mov_b64 s[18:19], 0
.LBB31_1823:
	s_andn2_b64 vcc, exec, s[18:19]
	s_cbranch_vccnz .LBB31_1829
; %bb.1824:
	global_load_ubyte v1, v[18:19], off
	s_movk_i32 s18, 0x7f
	s_mov_b64 s[20:21], 0
	s_waitcnt vmcnt(0)
	v_cmp_lt_i16_e32 vcc, s18, v1
	s_and_saveexec_b64 s[18:19], vcc
	s_xor_b64 s[18:19], exec, s[18:19]
	s_cbranch_execz .LBB31_1840
; %bb.1825:
	s_movk_i32 s20, 0x80
	v_cmp_ne_u16_e32 vcc, s20, v1
	s_and_b64 s[20:21], vcc, exec
	s_andn2_saveexec_b64 s[18:19], s[18:19]
	s_cbranch_execnz .LBB31_1841
.LBB31_1826:
	s_or_b64 exec, exec, s[18:19]
	v_mov_b32_e32 v21, 0
	s_and_saveexec_b64 s[18:19], s[20:21]
	s_cbranch_execz .LBB31_1828
.LBB31_1827:
	v_lshlrev_b32_e32 v3, 24, v1
	v_and_b32_e32 v1, 0xffff, v1
	v_and_b32_e32 v5, 7, v1
	v_ffbh_u32_e32 v10, v5
	v_min_u32_e32 v10, 32, v10
	v_subrev_u32_e32 v12, 28, v10
	v_bfe_u32 v8, v1, 3, 4
	v_lshlrev_b32_e32 v1, v12, v1
	v_sub_u32_e32 v10, 29, v10
	v_and_b32_e32 v1, 7, v1
	v_cmp_eq_u32_e32 vcc, 0, v8
	v_cndmask_b32_e32 v8, v8, v10, vcc
	v_cndmask_b32_e32 v1, v5, v1, vcc
	v_mov_b32_e32 v5, 0x3b800000
	v_lshlrev_b32_e32 v1, 20, v1
	v_and_b32_e32 v3, 0x80000000, v3
	v_lshl_add_u32 v5, v8, 23, v5
	v_or3_b32 v1, v3, v5, v1
	v_cvt_i32_f32_e32 v21, v1
.LBB31_1828:
	s_or_b64 exec, exec, s[18:19]
.LBB31_1829:
	s_mov_b64 s[18:19], -1
.LBB31_1830:
	s_branch .LBB31_1861
.LBB31_1831:
	s_cmp_gt_i32 s24, 22
	s_cbranch_scc0 .LBB31_1839
; %bb.1832:
	s_cmp_lt_i32 s24, 24
	s_cbranch_scc1 .LBB31_1842
; %bb.1833:
	s_cmp_gt_i32 s24, 24
	s_cbranch_scc0 .LBB31_1843
; %bb.1834:
	global_load_ubyte v1, v[18:19], off
	s_movk_i32 s16, 0x7f
	s_mov_b64 s[18:19], 0
	s_waitcnt vmcnt(0)
	v_cmp_lt_i16_e32 vcc, s16, v1
	s_and_saveexec_b64 s[16:17], vcc
	s_xor_b64 s[16:17], exec, s[16:17]
	s_cbranch_execz .LBB31_1855
; %bb.1835:
	s_movk_i32 s18, 0x80
	v_cmp_ne_u16_e32 vcc, s18, v1
	s_and_b64 s[18:19], vcc, exec
	s_andn2_saveexec_b64 s[16:17], s[16:17]
	s_cbranch_execnz .LBB31_1856
.LBB31_1836:
	s_or_b64 exec, exec, s[16:17]
	v_mov_b32_e32 v21, 0
	s_and_saveexec_b64 s[16:17], s[18:19]
	s_cbranch_execz .LBB31_1838
.LBB31_1837:
	v_lshlrev_b32_e32 v3, 24, v1
	v_and_b32_e32 v1, 0xffff, v1
	v_and_b32_e32 v5, 3, v1
	v_ffbh_u32_e32 v10, v5
	v_min_u32_e32 v10, 32, v10
	v_subrev_u32_e32 v12, 29, v10
	v_bfe_u32 v8, v1, 2, 5
	v_lshlrev_b32_e32 v1, v12, v1
	v_sub_u32_e32 v10, 30, v10
	v_and_b32_e32 v1, 3, v1
	v_cmp_eq_u32_e32 vcc, 0, v8
	v_cndmask_b32_e32 v8, v8, v10, vcc
	v_cndmask_b32_e32 v1, v5, v1, vcc
	v_mov_b32_e32 v5, 0x37800000
	v_lshlrev_b32_e32 v1, 21, v1
	v_and_b32_e32 v3, 0x80000000, v3
	v_lshl_add_u32 v5, v8, 23, v5
	v_or3_b32 v1, v3, v5, v1
	v_cvt_i32_f32_e32 v21, v1
.LBB31_1838:
	s_or_b64 exec, exec, s[16:17]
	s_mov_b64 s[16:17], 0
	s_branch .LBB31_1844
.LBB31_1839:
	s_mov_b64 s[16:17], -1
                                        ; implicit-def: $vgpr21
	s_branch .LBB31_1850
.LBB31_1840:
	s_andn2_saveexec_b64 s[18:19], s[18:19]
	s_cbranch_execz .LBB31_1826
.LBB31_1841:
	v_cmp_ne_u16_e32 vcc, 0, v1
	s_andn2_b64 s[20:21], s[20:21], exec
	s_and_b64 s[26:27], vcc, exec
	s_or_b64 s[20:21], s[20:21], s[26:27]
	s_or_b64 exec, exec, s[18:19]
	v_mov_b32_e32 v21, 0
	s_and_saveexec_b64 s[18:19], s[20:21]
	s_cbranch_execnz .LBB31_1827
	s_branch .LBB31_1828
.LBB31_1842:
	s_mov_b64 s[16:17], -1
                                        ; implicit-def: $vgpr21
	s_branch .LBB31_1847
.LBB31_1843:
	s_mov_b64 s[16:17], -1
                                        ; implicit-def: $vgpr21
.LBB31_1844:
	s_and_b64 vcc, exec, s[16:17]
	s_cbranch_vccz .LBB31_1846
; %bb.1845:
	global_load_ubyte v1, v[18:19], off
	s_mov_b32 s16, 0x7f800000
	s_waitcnt vmcnt(0)
	v_lshlrev_b32_e32 v1, 24, v1
	v_and_b32_e32 v3, 0x7f000000, v1
	v_ffbh_u32_e32 v5, v3
	v_min_u32_e32 v5, 32, v5
	v_sub_u32_e64 v5, v5, 4 clamp
	v_lshlrev_b32_e32 v10, v5, v3
	v_lshlrev_b32_e32 v5, 23, v5
	v_lshrrev_b32_e32 v10, 4, v10
	v_add_u32_e32 v8, 0x1000000, v3
	v_sub_u32_e32 v5, v10, v5
	v_ashrrev_i32_e32 v8, 8, v8
	v_add_u32_e32 v5, 0x3c000000, v5
	v_and_or_b32 v5, v8, s16, v5
	v_cmp_ne_u32_e32 vcc, 0, v3
	v_cndmask_b32_e32 v3, 0, v5, vcc
	s_brev_b32 s16, 1
	v_and_or_b32 v1, v1, s16, v3
	v_cvt_i32_f32_e32 v21, v1
.LBB31_1846:
	s_mov_b64 s[16:17], 0
.LBB31_1847:
	s_andn2_b64 vcc, exec, s[16:17]
	s_cbranch_vccnz .LBB31_1849
; %bb.1848:
	global_load_ubyte v1, v[18:19], off
	s_movk_i32 s16, 0x7f00
	s_brev_b32 s17, 16
	s_waitcnt vmcnt(0)
	v_lshlrev_b16_e32 v3, 8, v1
	v_lshlrev_b32_e32 v1, 25, v1
	v_lshrrev_b32_e32 v5, 4, v1
	v_and_or_b32 v8, v3, s16, 0.5
	v_or_b32_e32 v5, 0x70000000, v5
	v_add_f32_e32 v8, -0.5, v8
	v_mul_f32_e32 v5, 0x7800000, v5
	v_cmp_gt_u32_e32 vcc, s17, v1
	v_bfe_i32 v3, v3, 0, 16
	v_cndmask_b32_e32 v1, v5, v8, vcc
	s_brev_b32 s16, 1
	v_and_or_b32 v1, v3, s16, v1
	v_cvt_i32_f32_e32 v21, v1
.LBB31_1849:
	s_mov_b64 s[16:17], 0
	s_mov_b64 s[18:19], -1
.LBB31_1850:
	s_andn2_b64 vcc, exec, s[16:17]
	s_mov_b64 s[16:17], 0
	s_cbranch_vccnz .LBB31_1861
; %bb.1851:
	s_cmp_gt_i32 s24, 14
	s_cbranch_scc0 .LBB31_1854
; %bb.1852:
	s_cmp_eq_u32 s24, 15
	s_cbranch_scc0 .LBB31_1857
; %bb.1853:
	global_load_ushort v1, v[18:19], off
	s_mov_b64 s[6:7], 0
	s_mov_b64 s[18:19], -1
	s_waitcnt vmcnt(0)
	v_lshlrev_b32_e32 v1, 16, v1
	v_cvt_i32_f32_e32 v21, v1
	s_branch .LBB31_1858
.LBB31_1854:
	s_mov_b64 s[20:21], -1
                                        ; implicit-def: $vgpr21
	s_branch .LBB31_1859
.LBB31_1855:
	s_andn2_saveexec_b64 s[16:17], s[16:17]
	s_cbranch_execz .LBB31_1836
.LBB31_1856:
	v_cmp_ne_u16_e32 vcc, 0, v1
	s_andn2_b64 s[18:19], s[18:19], exec
	s_and_b64 s[20:21], vcc, exec
	s_or_b64 s[18:19], s[18:19], s[20:21]
	s_or_b64 exec, exec, s[16:17]
	v_mov_b32_e32 v21, 0
	s_and_saveexec_b64 s[16:17], s[18:19]
	s_cbranch_execnz .LBB31_1837
	s_branch .LBB31_1838
.LBB31_1857:
	s_mov_b64 s[6:7], -1
                                        ; implicit-def: $vgpr21
.LBB31_1858:
	s_mov_b64 s[20:21], 0
.LBB31_1859:
	s_and_b64 vcc, exec, s[20:21]
	s_cbranch_vccz .LBB31_1861
; %bb.1860:
	s_cmp_lg_u32 s24, 11
	s_mov_b64 s[16:17], -1
	s_cselect_b64 s[6:7], -1, 0
.LBB31_1861:
	s_and_b64 vcc, exec, s[6:7]
	s_cbranch_vccnz .LBB31_1940
; %bb.1862:
	s_andn2_b64 vcc, exec, s[16:17]
	s_cbranch_vccnz .LBB31_1864
.LBB31_1863:
	global_load_ubyte v1, v[18:19], off
	s_mov_b64 s[18:19], -1
	s_waitcnt vmcnt(0)
	v_cmp_ne_u16_e32 vcc, 0, v1
	v_cndmask_b32_e64 v21, 0, 1, vcc
.LBB31_1864:
	s_branch .LBB31_1795
.LBB31_1865:
	s_and_b32 s16, 0xffff, s23
	s_cmp_lt_i32 s16, 5
	s_cbranch_scc1 .LBB31_1870
; %bb.1866:
	s_cmp_lt_i32 s16, 8
	s_cbranch_scc1 .LBB31_1871
; %bb.1867:
	;; [unrolled: 3-line block ×3, first 2 shown]
	s_cmp_gt_i32 s16, 9
	s_cbranch_scc0 .LBB31_1873
; %bb.1869:
	global_load_dwordx2 v[21:22], v[18:19], off
	s_mov_b64 s[6:7], 0
	s_waitcnt vmcnt(0)
	v_cvt_i32_f64_e32 v21, v[21:22]
	s_branch .LBB31_1874
.LBB31_1870:
                                        ; implicit-def: $vgpr21
	s_branch .LBB31_1892
.LBB31_1871:
	s_mov_b64 s[6:7], -1
                                        ; implicit-def: $vgpr21
	s_branch .LBB31_1880
.LBB31_1872:
	s_mov_b64 s[6:7], -1
                                        ; implicit-def: $vgpr21
	s_branch .LBB31_1877
.LBB31_1873:
	s_mov_b64 s[6:7], -1
                                        ; implicit-def: $vgpr21
.LBB31_1874:
	s_andn2_b64 vcc, exec, s[6:7]
	s_cbranch_vccnz .LBB31_1876
; %bb.1875:
	global_load_dword v1, v[18:19], off
	s_waitcnt vmcnt(0)
	v_cvt_i32_f32_e32 v21, v1
.LBB31_1876:
	s_mov_b64 s[6:7], 0
.LBB31_1877:
	s_andn2_b64 vcc, exec, s[6:7]
	s_cbranch_vccnz .LBB31_1879
; %bb.1878:
	global_load_dword v1, v[18:19], off
	s_waitcnt vmcnt(0)
	v_cvt_i16_f16_e32 v21, v1
.LBB31_1879:
	s_mov_b64 s[6:7], 0
.LBB31_1880:
	s_andn2_b64 vcc, exec, s[6:7]
	s_cbranch_vccnz .LBB31_1891
; %bb.1881:
	s_cmp_lt_i32 s16, 6
	s_cbranch_scc1 .LBB31_1884
; %bb.1882:
	s_cmp_gt_i32 s16, 6
	s_cbranch_scc0 .LBB31_1885
; %bb.1883:
	global_load_dwordx2 v[21:22], v[18:19], off
	s_mov_b64 s[6:7], 0
	s_waitcnt vmcnt(0)
	v_cvt_i32_f64_e32 v21, v[21:22]
	s_branch .LBB31_1886
.LBB31_1884:
	s_mov_b64 s[6:7], -1
                                        ; implicit-def: $vgpr21
	s_branch .LBB31_1889
.LBB31_1885:
	s_mov_b64 s[6:7], -1
                                        ; implicit-def: $vgpr21
.LBB31_1886:
	s_andn2_b64 vcc, exec, s[6:7]
	s_cbranch_vccnz .LBB31_1888
; %bb.1887:
	global_load_dword v1, v[18:19], off
	s_waitcnt vmcnt(0)
	v_cvt_i32_f32_e32 v21, v1
.LBB31_1888:
	s_mov_b64 s[6:7], 0
.LBB31_1889:
	s_andn2_b64 vcc, exec, s[6:7]
	s_cbranch_vccnz .LBB31_1891
; %bb.1890:
	global_load_ushort v1, v[18:19], off
	s_waitcnt vmcnt(0)
	v_cvt_i16_f16_e32 v21, v1
.LBB31_1891:
	s_cbranch_execnz .LBB31_1911
.LBB31_1892:
	s_cmp_lt_i32 s16, 2
	s_cbranch_scc1 .LBB31_1896
; %bb.1893:
	s_cmp_lt_i32 s16, 3
	s_cbranch_scc1 .LBB31_1897
; %bb.1894:
	s_cmp_gt_i32 s16, 3
	s_cbranch_scc0 .LBB31_1898
; %bb.1895:
	global_load_dwordx2 v[21:22], v[18:19], off
	s_mov_b64 s[6:7], 0
	s_branch .LBB31_1899
.LBB31_1896:
	s_mov_b64 s[6:7], -1
                                        ; implicit-def: $vgpr21
	s_branch .LBB31_1905
.LBB31_1897:
	s_mov_b64 s[6:7], -1
                                        ; implicit-def: $vgpr21
	s_branch .LBB31_1902
.LBB31_1898:
	s_mov_b64 s[6:7], -1
                                        ; implicit-def: $vgpr21
.LBB31_1899:
	s_andn2_b64 vcc, exec, s[6:7]
	s_cbranch_vccnz .LBB31_1901
; %bb.1900:
	global_load_dword v21, v[18:19], off
.LBB31_1901:
	s_mov_b64 s[6:7], 0
.LBB31_1902:
	s_andn2_b64 vcc, exec, s[6:7]
	s_cbranch_vccnz .LBB31_1904
; %bb.1903:
	global_load_ushort v21, v[18:19], off
.LBB31_1904:
	s_mov_b64 s[6:7], 0
.LBB31_1905:
	s_andn2_b64 vcc, exec, s[6:7]
	s_cbranch_vccnz .LBB31_1911
; %bb.1906:
	s_cmp_gt_i32 s16, 0
	s_cbranch_scc0 .LBB31_1908
; %bb.1907:
	global_load_ubyte v21, v[18:19], off
	s_mov_b64 s[6:7], 0
	s_branch .LBB31_1909
.LBB31_1908:
	s_mov_b64 s[6:7], -1
                                        ; implicit-def: $vgpr21
.LBB31_1909:
	s_andn2_b64 vcc, exec, s[6:7]
	s_cbranch_vccnz .LBB31_1911
; %bb.1910:
	global_load_ubyte v21, v[18:19], off
.LBB31_1911:
.LBB31_1912:
	s_load_dword s26, s[2:3], 0x1a0
	s_mov_b64 s[16:17], 0
	s_waitcnt lgkmcnt(0)
	s_cmp_lt_i32 s26, 1
	s_cbranch_scc1 .LBB31_1916
; %bb.1913:
	s_cmp_gt_i32 s26, 1
	s_cbranch_scc0 .LBB31_1917
; %bb.1914:
	s_cmp_eq_u32 s26, 2
	s_cbranch_scc0 .LBB31_1918
; %bb.1915:
	s_waitcnt vmcnt(0)
	v_cmp_le_i16_sdwa s[6:7], sext(v20), sext(v21) src0_sel:BYTE_0 src1_sel:BYTE_0
	s_mov_b64 s[18:19], 0
	s_branch .LBB31_1919
.LBB31_1916:
                                        ; implicit-def: $sgpr6_sgpr7
	s_mov_b64 s[18:19], 0
	s_cbranch_execnz .LBB31_1923
	s_branch .LBB31_1924
.LBB31_1917:
	s_mov_b64 s[20:21], -1
	s_mov_b64 s[18:19], 0
                                        ; implicit-def: $sgpr6_sgpr7
	s_branch .LBB31_1920
.LBB31_1918:
	s_mov_b64 s[18:19], -1
                                        ; implicit-def: $sgpr6_sgpr7
.LBB31_1919:
	s_mov_b64 s[20:21], 0
.LBB31_1920:
	s_and_b64 vcc, exec, s[20:21]
	s_cbranch_vccz .LBB31_1922
; %bb.1921:
	s_waitcnt vmcnt(0)
	v_cmp_gt_i16_sdwa s[20:21], sext(v20), sext(v21) src0_sel:BYTE_0 src1_sel:BYTE_0
	s_andn2_b64 s[6:7], s[6:7], exec
	s_and_b64 s[20:21], s[20:21], exec
	s_or_b64 s[6:7], s[6:7], s[20:21]
.LBB31_1922:
	s_branch .LBB31_1924
.LBB31_1923:
	s_cmp_lg_u32 s26, 0
	s_mov_b64 s[16:17], -1
	s_cselect_b64 s[18:19], -1, 0
.LBB31_1924:
	s_andn2_b64 vcc, exec, s[18:19]
	s_cbranch_vccnz .LBB31_1926
; %bb.1925:
	s_waitcnt vmcnt(0)
	v_cmp_lt_i16_sdwa s[18:19], sext(v20), sext(v21) src0_sel:BYTE_0 src1_sel:BYTE_0
	s_andn2_b64 s[6:7], s[6:7], exec
	s_and_b64 s[18:19], s[18:19], exec
	s_or_b64 s[6:7], s[6:7], s[18:19]
	s_cbranch_execz .LBB31_1927
	s_branch .LBB31_1928
.LBB31_1926:
	s_andn2_b64 vcc, exec, s[16:17]
	s_cbranch_vccnz .LBB31_1928
.LBB31_1927:
	s_waitcnt vmcnt(0)
	v_cmp_ge_i16_sdwa s[16:17], sext(v20), sext(v21) src0_sel:BYTE_0 src1_sel:BYTE_0
	s_andn2_b64 s[6:7], s[6:7], exec
	s_and_b64 s[16:17], s[16:17], exec
	s_or_b64 s[6:7], s[6:7], s[16:17]
.LBB31_1928:
	s_lshr_b32 s16, s22, 8
	s_lshr_b32 s24, s22, 16
	v_mov_b32_e32 v1, s11
	s_and_b32 s27, s16, 0xff
	v_add_co_u32_e32 v18, vcc, s10, v17
	s_cmp_lt_i32 s27, 11
	v_addc_co_u32_e32 v19, vcc, 0, v1, vcc
	s_cbranch_scc1 .LBB31_1935
; %bb.1929:
	s_and_b32 s25, 0xffff, s27
	s_cmp_gt_i32 s25, 25
	s_mov_b64 s[18:19], 0
	s_cbranch_scc0 .LBB31_1937
; %bb.1930:
	s_cmp_gt_i32 s25, 28
	s_cbranch_scc0 .LBB31_1938
; %bb.1931:
	s_cmp_gt_i32 s25, 43
	;; [unrolled: 3-line block ×3, first 2 shown]
	s_cbranch_scc0 .LBB31_1941
; %bb.1933:
	s_cmp_eq_u32 s25, 46
	s_mov_b64 s[22:23], 0
	s_cbranch_scc0 .LBB31_1942
; %bb.1934:
	global_load_dword v1, v[18:19], off
	s_mov_b64 s[16:17], 0
	s_mov_b64 s[20:21], -1
	s_waitcnt vmcnt(0)
	v_lshlrev_b32_e32 v1, 16, v1
	v_cvt_i32_f32_e32 v16, v1
	s_branch .LBB31_1943
.LBB31_1935:
	s_mov_b64 s[20:21], 0
                                        ; implicit-def: $vgpr16
	s_cbranch_execnz .LBB31_2005
.LBB31_1936:
	s_andn2_b64 vcc, exec, s[20:21]
	s_cbranch_vccnz .LBB31_2723
	s_branch .LBB31_2053
.LBB31_1937:
	s_mov_b64 s[22:23], -1
	s_mov_b64 s[20:21], 0
	s_mov_b64 s[16:17], 0
                                        ; implicit-def: $vgpr16
	s_branch .LBB31_1970
.LBB31_1938:
	s_mov_b64 s[22:23], -1
	s_mov_b64 s[20:21], 0
	s_mov_b64 s[16:17], 0
                                        ; implicit-def: $vgpr16
	s_branch .LBB31_1953
.LBB31_1939:
	s_mov_b64 s[22:23], -1
	s_mov_b64 s[20:21], 0
	s_mov_b64 s[16:17], 0
                                        ; implicit-def: $vgpr16
	s_branch .LBB31_1948
.LBB31_1940:
	s_trap 2
	s_or_b64 s[4:5], s[4:5], exec
	s_cbranch_execz .LBB31_1863
	s_branch .LBB31_1864
.LBB31_1941:
	s_mov_b64 s[22:23], -1
	s_mov_b64 s[20:21], 0
	s_mov_b64 s[16:17], 0
                                        ; implicit-def: $vgpr16
	s_branch .LBB31_1943
.LBB31_1942:
	s_mov_b64 s[16:17], -1
                                        ; implicit-def: $vgpr16
	s_mov_b64 s[20:21], 0
.LBB31_1943:
	s_and_b64 vcc, exec, s[22:23]
	s_cbranch_vccz .LBB31_1947
; %bb.1944:
	s_cmp_eq_u32 s25, 44
	s_cbranch_scc0 .LBB31_1946
; %bb.1945:
	global_load_ubyte v1, v[18:19], off
	s_mov_b64 s[16:17], 0
	s_mov_b64 s[20:21], -1
	s_waitcnt vmcnt(0)
	v_lshlrev_b32_e32 v3, 23, v1
	v_cvt_i32_f32_e32 v3, v3
	v_cmp_ne_u32_e32 vcc, 0, v1
	v_cndmask_b32_e32 v16, 0, v3, vcc
	s_branch .LBB31_1947
.LBB31_1946:
	s_mov_b64 s[16:17], -1
                                        ; implicit-def: $vgpr16
.LBB31_1947:
	s_mov_b64 s[22:23], 0
.LBB31_1948:
	s_and_b64 vcc, exec, s[22:23]
	s_cbranch_vccz .LBB31_1952
; %bb.1949:
	s_cmp_eq_u32 s25, 29
	s_cbranch_scc0 .LBB31_1951
; %bb.1950:
	global_load_dwordx2 v[16:17], v[18:19], off
	s_mov_b64 s[16:17], 0
	s_mov_b64 s[20:21], -1
	s_branch .LBB31_1952
.LBB31_1951:
	s_mov_b64 s[16:17], -1
                                        ; implicit-def: $vgpr16
.LBB31_1952:
	s_mov_b64 s[22:23], 0
.LBB31_1953:
	s_and_b64 vcc, exec, s[22:23]
	s_cbranch_vccz .LBB31_1969
; %bb.1954:
	s_cmp_lt_i32 s25, 27
	s_cbranch_scc1 .LBB31_1957
; %bb.1955:
	s_cmp_gt_i32 s25, 27
	s_cbranch_scc0 .LBB31_1958
; %bb.1956:
	global_load_dword v16, v[18:19], off
	s_mov_b64 s[20:21], 0
	s_branch .LBB31_1959
.LBB31_1957:
	s_mov_b64 s[20:21], -1
                                        ; implicit-def: $vgpr16
	s_branch .LBB31_1962
.LBB31_1958:
	s_mov_b64 s[20:21], -1
                                        ; implicit-def: $vgpr16
.LBB31_1959:
	s_andn2_b64 vcc, exec, s[20:21]
	s_cbranch_vccnz .LBB31_1961
; %bb.1960:
	global_load_ushort v16, v[18:19], off
.LBB31_1961:
	s_mov_b64 s[20:21], 0
.LBB31_1962:
	s_andn2_b64 vcc, exec, s[20:21]
	s_cbranch_vccnz .LBB31_1968
; %bb.1963:
	global_load_ubyte v1, v[18:19], off
	s_movk_i32 s20, 0x7f
	s_mov_b64 s[22:23], 0
	s_waitcnt vmcnt(0)
	v_cmp_lt_i16_e32 vcc, s20, v1
	s_and_saveexec_b64 s[20:21], vcc
	s_xor_b64 s[20:21], exec, s[20:21]
	s_cbranch_execz .LBB31_1980
; %bb.1964:
	s_movk_i32 s22, 0x80
	v_cmp_ne_u16_e32 vcc, s22, v1
	s_and_b64 s[22:23], vcc, exec
	s_andn2_saveexec_b64 s[20:21], s[20:21]
	s_cbranch_execnz .LBB31_1981
.LBB31_1965:
	s_or_b64 exec, exec, s[20:21]
	v_mov_b32_e32 v16, 0
	s_and_saveexec_b64 s[20:21], s[22:23]
	s_cbranch_execz .LBB31_1967
.LBB31_1966:
	v_lshlrev_b32_e32 v3, 24, v1
	v_and_b32_e32 v1, 0xffff, v1
	v_and_b32_e32 v5, 7, v1
	v_ffbh_u32_e32 v10, v5
	v_min_u32_e32 v10, 32, v10
	v_subrev_u32_e32 v12, 28, v10
	v_bfe_u32 v8, v1, 3, 4
	v_lshlrev_b32_e32 v1, v12, v1
	v_sub_u32_e32 v10, 29, v10
	v_and_b32_e32 v1, 7, v1
	v_cmp_eq_u32_e32 vcc, 0, v8
	v_cndmask_b32_e32 v8, v8, v10, vcc
	v_cndmask_b32_e32 v1, v5, v1, vcc
	v_mov_b32_e32 v5, 0x3b800000
	v_lshlrev_b32_e32 v1, 20, v1
	v_and_b32_e32 v3, 0x80000000, v3
	v_lshl_add_u32 v5, v8, 23, v5
	v_or3_b32 v1, v3, v5, v1
	v_cvt_i32_f32_e32 v16, v1
.LBB31_1967:
	s_or_b64 exec, exec, s[20:21]
.LBB31_1968:
	s_mov_b64 s[20:21], -1
.LBB31_1969:
	s_mov_b64 s[22:23], 0
.LBB31_1970:
	s_and_b64 vcc, exec, s[22:23]
	s_cbranch_vccz .LBB31_2001
; %bb.1971:
	s_cmp_gt_i32 s25, 22
	s_cbranch_scc0 .LBB31_1979
; %bb.1972:
	s_cmp_lt_i32 s25, 24
	s_cbranch_scc1 .LBB31_1982
; %bb.1973:
	s_cmp_gt_i32 s25, 24
	s_cbranch_scc0 .LBB31_1983
; %bb.1974:
	global_load_ubyte v1, v[18:19], off
	s_movk_i32 s18, 0x7f
	s_mov_b64 s[20:21], 0
	s_waitcnt vmcnt(0)
	v_cmp_lt_i16_e32 vcc, s18, v1
	s_and_saveexec_b64 s[18:19], vcc
	s_xor_b64 s[18:19], exec, s[18:19]
	s_cbranch_execz .LBB31_1995
; %bb.1975:
	s_movk_i32 s20, 0x80
	v_cmp_ne_u16_e32 vcc, s20, v1
	s_and_b64 s[20:21], vcc, exec
	s_andn2_saveexec_b64 s[18:19], s[18:19]
	s_cbranch_execnz .LBB31_1996
.LBB31_1976:
	s_or_b64 exec, exec, s[18:19]
	v_mov_b32_e32 v16, 0
	s_and_saveexec_b64 s[18:19], s[20:21]
	s_cbranch_execz .LBB31_1978
.LBB31_1977:
	v_lshlrev_b32_e32 v3, 24, v1
	v_and_b32_e32 v1, 0xffff, v1
	v_and_b32_e32 v5, 3, v1
	v_ffbh_u32_e32 v10, v5
	v_min_u32_e32 v10, 32, v10
	v_subrev_u32_e32 v12, 29, v10
	v_bfe_u32 v8, v1, 2, 5
	v_lshlrev_b32_e32 v1, v12, v1
	v_sub_u32_e32 v10, 30, v10
	v_and_b32_e32 v1, 3, v1
	v_cmp_eq_u32_e32 vcc, 0, v8
	v_cndmask_b32_e32 v8, v8, v10, vcc
	v_cndmask_b32_e32 v1, v5, v1, vcc
	v_mov_b32_e32 v5, 0x37800000
	v_lshlrev_b32_e32 v1, 21, v1
	v_and_b32_e32 v3, 0x80000000, v3
	v_lshl_add_u32 v5, v8, 23, v5
	v_or3_b32 v1, v3, v5, v1
	v_cvt_i32_f32_e32 v16, v1
.LBB31_1978:
	s_or_b64 exec, exec, s[18:19]
	s_mov_b64 s[18:19], 0
	s_branch .LBB31_1984
.LBB31_1979:
	s_mov_b64 s[18:19], -1
                                        ; implicit-def: $vgpr16
	s_branch .LBB31_1990
.LBB31_1980:
	s_andn2_saveexec_b64 s[20:21], s[20:21]
	s_cbranch_execz .LBB31_1965
.LBB31_1981:
	v_cmp_ne_u16_e32 vcc, 0, v1
	s_andn2_b64 s[22:23], s[22:23], exec
	s_and_b64 s[28:29], vcc, exec
	s_or_b64 s[22:23], s[22:23], s[28:29]
	s_or_b64 exec, exec, s[20:21]
	v_mov_b32_e32 v16, 0
	s_and_saveexec_b64 s[20:21], s[22:23]
	s_cbranch_execnz .LBB31_1966
	s_branch .LBB31_1967
.LBB31_1982:
	s_mov_b64 s[18:19], -1
                                        ; implicit-def: $vgpr16
	s_branch .LBB31_1987
.LBB31_1983:
	s_mov_b64 s[18:19], -1
                                        ; implicit-def: $vgpr16
.LBB31_1984:
	s_and_b64 vcc, exec, s[18:19]
	s_cbranch_vccz .LBB31_1986
; %bb.1985:
	global_load_ubyte v1, v[18:19], off
	s_mov_b32 s18, 0x7f800000
	s_waitcnt vmcnt(0)
	v_lshlrev_b32_e32 v1, 24, v1
	v_and_b32_e32 v3, 0x7f000000, v1
	v_ffbh_u32_e32 v5, v3
	v_min_u32_e32 v5, 32, v5
	v_sub_u32_e64 v5, v5, 4 clamp
	v_lshlrev_b32_e32 v10, v5, v3
	v_lshlrev_b32_e32 v5, 23, v5
	v_lshrrev_b32_e32 v10, 4, v10
	v_add_u32_e32 v8, 0x1000000, v3
	v_sub_u32_e32 v5, v10, v5
	v_ashrrev_i32_e32 v8, 8, v8
	v_add_u32_e32 v5, 0x3c000000, v5
	v_and_or_b32 v5, v8, s18, v5
	v_cmp_ne_u32_e32 vcc, 0, v3
	v_cndmask_b32_e32 v3, 0, v5, vcc
	s_brev_b32 s18, 1
	v_and_or_b32 v1, v1, s18, v3
	v_cvt_i32_f32_e32 v16, v1
.LBB31_1986:
	s_mov_b64 s[18:19], 0
.LBB31_1987:
	s_andn2_b64 vcc, exec, s[18:19]
	s_cbranch_vccnz .LBB31_1989
; %bb.1988:
	global_load_ubyte v1, v[18:19], off
	s_movk_i32 s18, 0x7f00
	s_brev_b32 s19, 16
	s_waitcnt vmcnt(0)
	v_lshlrev_b16_e32 v3, 8, v1
	v_lshlrev_b32_e32 v1, 25, v1
	v_lshrrev_b32_e32 v5, 4, v1
	v_and_or_b32 v8, v3, s18, 0.5
	v_or_b32_e32 v5, 0x70000000, v5
	v_add_f32_e32 v8, -0.5, v8
	v_mul_f32_e32 v5, 0x7800000, v5
	v_cmp_gt_u32_e32 vcc, s19, v1
	v_bfe_i32 v3, v3, 0, 16
	v_cndmask_b32_e32 v1, v5, v8, vcc
	s_brev_b32 s18, 1
	v_and_or_b32 v1, v3, s18, v1
	v_cvt_i32_f32_e32 v16, v1
.LBB31_1989:
	s_mov_b64 s[18:19], 0
	s_mov_b64 s[20:21], -1
.LBB31_1990:
	s_andn2_b64 vcc, exec, s[18:19]
	s_mov_b64 s[18:19], 0
	s_cbranch_vccnz .LBB31_2001
; %bb.1991:
	s_cmp_gt_i32 s25, 14
	s_cbranch_scc0 .LBB31_1994
; %bb.1992:
	s_cmp_eq_u32 s25, 15
	s_cbranch_scc0 .LBB31_1997
; %bb.1993:
	global_load_ushort v1, v[18:19], off
	s_mov_b64 s[16:17], 0
	s_mov_b64 s[20:21], -1
	s_waitcnt vmcnt(0)
	v_lshlrev_b32_e32 v1, 16, v1
	v_cvt_i32_f32_e32 v16, v1
	s_branch .LBB31_1998
.LBB31_1994:
	s_mov_b64 s[22:23], -1
                                        ; implicit-def: $vgpr16
	s_branch .LBB31_1999
.LBB31_1995:
	s_andn2_saveexec_b64 s[18:19], s[18:19]
	s_cbranch_execz .LBB31_1976
.LBB31_1996:
	v_cmp_ne_u16_e32 vcc, 0, v1
	s_andn2_b64 s[20:21], s[20:21], exec
	s_and_b64 s[22:23], vcc, exec
	s_or_b64 s[20:21], s[20:21], s[22:23]
	s_or_b64 exec, exec, s[18:19]
	v_mov_b32_e32 v16, 0
	s_and_saveexec_b64 s[18:19], s[20:21]
	s_cbranch_execnz .LBB31_1977
	s_branch .LBB31_1978
.LBB31_1997:
	s_mov_b64 s[16:17], -1
                                        ; implicit-def: $vgpr16
.LBB31_1998:
	s_mov_b64 s[22:23], 0
.LBB31_1999:
	s_and_b64 vcc, exec, s[22:23]
	s_cbranch_vccz .LBB31_2001
; %bb.2000:
	s_cmp_lg_u32 s25, 11
	s_mov_b64 s[18:19], -1
	s_cselect_b64 s[16:17], -1, 0
.LBB31_2001:
	s_and_b64 vcc, exec, s[16:17]
	s_cbranch_vccnz .LBB31_2064
; %bb.2002:
	s_andn2_b64 vcc, exec, s[18:19]
	s_cbranch_vccnz .LBB31_2004
.LBB31_2003:
	global_load_ubyte v1, v[18:19], off
	s_mov_b64 s[20:21], -1
	s_waitcnt vmcnt(0)
	v_cmp_ne_u16_e32 vcc, 0, v1
	v_cndmask_b32_e64 v16, 0, 1, vcc
.LBB31_2004:
	s_branch .LBB31_1936
.LBB31_2005:
	s_and_b32 s18, 0xffff, s27
	s_cmp_lt_i32 s18, 5
	s_cbranch_scc1 .LBB31_2010
; %bb.2006:
	s_cmp_lt_i32 s18, 8
	s_cbranch_scc1 .LBB31_2011
; %bb.2007:
	;; [unrolled: 3-line block ×3, first 2 shown]
	s_cmp_gt_i32 s18, 9
	s_cbranch_scc0 .LBB31_2013
; %bb.2009:
	global_load_dwordx2 v[16:17], v[18:19], off
	s_mov_b64 s[16:17], 0
	s_waitcnt vmcnt(0)
	v_cvt_i32_f64_e32 v16, v[16:17]
	s_branch .LBB31_2014
.LBB31_2010:
	s_mov_b64 s[16:17], -1
                                        ; implicit-def: $vgpr16
	s_branch .LBB31_2032
.LBB31_2011:
	s_mov_b64 s[16:17], -1
                                        ; implicit-def: $vgpr16
	s_branch .LBB31_2020
.LBB31_2012:
	s_mov_b64 s[16:17], -1
                                        ; implicit-def: $vgpr16
	s_branch .LBB31_2017
.LBB31_2013:
	s_mov_b64 s[16:17], -1
                                        ; implicit-def: $vgpr16
.LBB31_2014:
	s_andn2_b64 vcc, exec, s[16:17]
	s_cbranch_vccnz .LBB31_2016
; %bb.2015:
	global_load_dword v1, v[18:19], off
	s_waitcnt vmcnt(0)
	v_cvt_i32_f32_e32 v16, v1
.LBB31_2016:
	s_mov_b64 s[16:17], 0
.LBB31_2017:
	s_andn2_b64 vcc, exec, s[16:17]
	s_cbranch_vccnz .LBB31_2019
; %bb.2018:
	global_load_dword v1, v[18:19], off
	s_waitcnt vmcnt(0)
	v_cvt_i16_f16_e32 v16, v1
.LBB31_2019:
	s_mov_b64 s[16:17], 0
.LBB31_2020:
	s_andn2_b64 vcc, exec, s[16:17]
	s_cbranch_vccnz .LBB31_2031
; %bb.2021:
	s_cmp_lt_i32 s18, 6
	s_cbranch_scc1 .LBB31_2024
; %bb.2022:
	s_cmp_gt_i32 s18, 6
	s_cbranch_scc0 .LBB31_2025
; %bb.2023:
	global_load_dwordx2 v[16:17], v[18:19], off
	s_mov_b64 s[16:17], 0
	s_waitcnt vmcnt(0)
	v_cvt_i32_f64_e32 v16, v[16:17]
	s_branch .LBB31_2026
.LBB31_2024:
	s_mov_b64 s[16:17], -1
                                        ; implicit-def: $vgpr16
	s_branch .LBB31_2029
.LBB31_2025:
	s_mov_b64 s[16:17], -1
                                        ; implicit-def: $vgpr16
.LBB31_2026:
	s_andn2_b64 vcc, exec, s[16:17]
	s_cbranch_vccnz .LBB31_2028
; %bb.2027:
	global_load_dword v1, v[18:19], off
	s_waitcnt vmcnt(0)
	v_cvt_i32_f32_e32 v16, v1
.LBB31_2028:
	s_mov_b64 s[16:17], 0
.LBB31_2029:
	s_andn2_b64 vcc, exec, s[16:17]
	s_cbranch_vccnz .LBB31_2031
; %bb.2030:
	global_load_ushort v1, v[18:19], off
	s_waitcnt vmcnt(0)
	v_cvt_i16_f16_e32 v16, v1
.LBB31_2031:
	s_mov_b64 s[16:17], 0
.LBB31_2032:
	s_andn2_b64 vcc, exec, s[16:17]
	s_cbranch_vccnz .LBB31_2052
; %bb.2033:
	s_cmp_lt_i32 s18, 2
	s_cbranch_scc1 .LBB31_2037
; %bb.2034:
	s_cmp_lt_i32 s18, 3
	s_cbranch_scc1 .LBB31_2038
; %bb.2035:
	s_cmp_gt_i32 s18, 3
	s_cbranch_scc0 .LBB31_2039
; %bb.2036:
	global_load_dwordx2 v[16:17], v[18:19], off
	s_mov_b64 s[16:17], 0
	s_branch .LBB31_2040
.LBB31_2037:
	s_mov_b64 s[16:17], -1
                                        ; implicit-def: $vgpr16
	s_branch .LBB31_2046
.LBB31_2038:
	s_mov_b64 s[16:17], -1
                                        ; implicit-def: $vgpr16
	s_branch .LBB31_2043
.LBB31_2039:
	s_mov_b64 s[16:17], -1
                                        ; implicit-def: $vgpr16
.LBB31_2040:
	s_andn2_b64 vcc, exec, s[16:17]
	s_cbranch_vccnz .LBB31_2042
; %bb.2041:
	global_load_dword v16, v[18:19], off
.LBB31_2042:
	s_mov_b64 s[16:17], 0
.LBB31_2043:
	s_andn2_b64 vcc, exec, s[16:17]
	s_cbranch_vccnz .LBB31_2045
; %bb.2044:
	global_load_ushort v16, v[18:19], off
.LBB31_2045:
	s_mov_b64 s[16:17], 0
.LBB31_2046:
	s_andn2_b64 vcc, exec, s[16:17]
	s_cbranch_vccnz .LBB31_2052
; %bb.2047:
	s_cmp_gt_i32 s18, 0
	s_cbranch_scc0 .LBB31_2049
; %bb.2048:
	global_load_ubyte v16, v[18:19], off
	s_mov_b64 s[16:17], 0
	s_branch .LBB31_2050
.LBB31_2049:
	s_mov_b64 s[16:17], -1
                                        ; implicit-def: $vgpr16
.LBB31_2050:
	s_andn2_b64 vcc, exec, s[16:17]
	s_cbranch_vccnz .LBB31_2052
; %bb.2051:
	global_load_ubyte v16, v[18:19], off
.LBB31_2052:
.LBB31_2053:
	v_mov_b32_e32 v1, s1
	s_and_b32 s28, s24, 0xff
	v_add_co_u32_e32 v14, vcc, s0, v15
	s_cmp_lt_i32 s28, 11
	v_addc_co_u32_e32 v15, vcc, 0, v1, vcc
	s_cbranch_scc1 .LBB31_2060
; %bb.2054:
	s_and_b32 s24, 0xffff, s28
	s_cmp_gt_i32 s24, 25
	s_mov_b64 s[18:19], 0
	s_cbranch_scc0 .LBB31_2061
; %bb.2055:
	s_cmp_gt_i32 s24, 28
	s_cbranch_scc0 .LBB31_2062
; %bb.2056:
	s_cmp_gt_i32 s24, 43
	;; [unrolled: 3-line block ×3, first 2 shown]
	s_cbranch_scc0 .LBB31_2065
; %bb.2058:
	s_cmp_eq_u32 s24, 46
	s_mov_b64 s[22:23], 0
	s_cbranch_scc0 .LBB31_2066
; %bb.2059:
	global_load_dword v1, v[14:15], off
	s_mov_b64 s[16:17], 0
	s_mov_b64 s[20:21], -1
	s_waitcnt vmcnt(0)
	v_lshlrev_b32_e32 v1, 16, v1
	v_cvt_i32_f32_e32 v17, v1
	s_branch .LBB31_2067
.LBB31_2060:
	s_mov_b64 s[16:17], -1
	s_mov_b64 s[20:21], 0
                                        ; implicit-def: $vgpr17
	s_branch .LBB31_2129
.LBB31_2061:
	s_mov_b64 s[22:23], -1
	s_mov_b64 s[20:21], 0
	s_mov_b64 s[16:17], 0
                                        ; implicit-def: $vgpr17
	s_branch .LBB31_2094
.LBB31_2062:
	s_mov_b64 s[22:23], -1
	s_mov_b64 s[20:21], 0
	s_mov_b64 s[16:17], 0
                                        ; implicit-def: $vgpr17
	s_branch .LBB31_2077
.LBB31_2063:
	s_mov_b64 s[22:23], -1
	s_mov_b64 s[20:21], 0
	s_mov_b64 s[16:17], 0
                                        ; implicit-def: $vgpr17
	s_branch .LBB31_2072
.LBB31_2064:
	s_trap 2
	s_or_b64 s[4:5], s[4:5], exec
	s_cbranch_execz .LBB31_2003
	s_branch .LBB31_2004
.LBB31_2065:
	s_mov_b64 s[22:23], -1
	s_mov_b64 s[20:21], 0
	s_mov_b64 s[16:17], 0
                                        ; implicit-def: $vgpr17
	s_branch .LBB31_2067
.LBB31_2066:
	s_mov_b64 s[16:17], -1
                                        ; implicit-def: $vgpr17
	s_mov_b64 s[20:21], 0
.LBB31_2067:
	s_and_b64 vcc, exec, s[22:23]
	s_cbranch_vccz .LBB31_2071
; %bb.2068:
	s_cmp_eq_u32 s24, 44
	s_cbranch_scc0 .LBB31_2070
; %bb.2069:
	global_load_ubyte v1, v[14:15], off
	s_mov_b64 s[16:17], 0
	s_mov_b64 s[20:21], -1
	s_waitcnt vmcnt(0)
	v_lshlrev_b32_e32 v3, 23, v1
	v_cvt_i32_f32_e32 v3, v3
	v_cmp_ne_u32_e32 vcc, 0, v1
	v_cndmask_b32_e32 v17, 0, v3, vcc
	s_branch .LBB31_2071
.LBB31_2070:
	s_mov_b64 s[16:17], -1
                                        ; implicit-def: $vgpr17
.LBB31_2071:
	s_mov_b64 s[22:23], 0
.LBB31_2072:
	s_and_b64 vcc, exec, s[22:23]
	s_cbranch_vccz .LBB31_2076
; %bb.2073:
	s_cmp_eq_u32 s24, 29
	s_cbranch_scc0 .LBB31_2075
; %bb.2074:
	global_load_dwordx2 v[17:18], v[14:15], off
	s_mov_b64 s[16:17], 0
	s_mov_b64 s[20:21], -1
	s_branch .LBB31_2076
.LBB31_2075:
	s_mov_b64 s[16:17], -1
                                        ; implicit-def: $vgpr17
.LBB31_2076:
	s_mov_b64 s[22:23], 0
.LBB31_2077:
	s_and_b64 vcc, exec, s[22:23]
	s_cbranch_vccz .LBB31_2093
; %bb.2078:
	s_cmp_lt_i32 s24, 27
	s_cbranch_scc1 .LBB31_2081
; %bb.2079:
	s_cmp_gt_i32 s24, 27
	s_cbranch_scc0 .LBB31_2082
; %bb.2080:
	global_load_dword v17, v[14:15], off
	s_mov_b64 s[20:21], 0
	s_branch .LBB31_2083
.LBB31_2081:
	s_mov_b64 s[20:21], -1
                                        ; implicit-def: $vgpr17
	s_branch .LBB31_2086
.LBB31_2082:
	s_mov_b64 s[20:21], -1
                                        ; implicit-def: $vgpr17
.LBB31_2083:
	s_andn2_b64 vcc, exec, s[20:21]
	s_cbranch_vccnz .LBB31_2085
; %bb.2084:
	global_load_ushort v17, v[14:15], off
.LBB31_2085:
	s_mov_b64 s[20:21], 0
.LBB31_2086:
	s_andn2_b64 vcc, exec, s[20:21]
	s_cbranch_vccnz .LBB31_2092
; %bb.2087:
	global_load_ubyte v1, v[14:15], off
	s_movk_i32 s20, 0x7f
	s_mov_b64 s[22:23], 0
	s_waitcnt vmcnt(0)
	v_cmp_lt_i16_e32 vcc, s20, v1
	s_and_saveexec_b64 s[20:21], vcc
	s_xor_b64 s[20:21], exec, s[20:21]
	s_cbranch_execz .LBB31_2104
; %bb.2088:
	s_movk_i32 s22, 0x80
	v_cmp_ne_u16_e32 vcc, s22, v1
	s_and_b64 s[22:23], vcc, exec
	s_andn2_saveexec_b64 s[20:21], s[20:21]
	s_cbranch_execnz .LBB31_2105
.LBB31_2089:
	s_or_b64 exec, exec, s[20:21]
	v_mov_b32_e32 v17, 0
	s_and_saveexec_b64 s[20:21], s[22:23]
	s_cbranch_execz .LBB31_2091
.LBB31_2090:
	v_lshlrev_b32_e32 v3, 24, v1
	v_and_b32_e32 v1, 0xffff, v1
	v_and_b32_e32 v5, 7, v1
	v_ffbh_u32_e32 v10, v5
	v_min_u32_e32 v10, 32, v10
	v_subrev_u32_e32 v12, 28, v10
	v_bfe_u32 v8, v1, 3, 4
	v_lshlrev_b32_e32 v1, v12, v1
	v_sub_u32_e32 v10, 29, v10
	v_and_b32_e32 v1, 7, v1
	v_cmp_eq_u32_e32 vcc, 0, v8
	v_cndmask_b32_e32 v8, v8, v10, vcc
	v_cndmask_b32_e32 v1, v5, v1, vcc
	v_mov_b32_e32 v5, 0x3b800000
	v_lshlrev_b32_e32 v1, 20, v1
	v_and_b32_e32 v3, 0x80000000, v3
	v_lshl_add_u32 v5, v8, 23, v5
	v_or3_b32 v1, v3, v5, v1
	v_cvt_i32_f32_e32 v17, v1
.LBB31_2091:
	s_or_b64 exec, exec, s[20:21]
.LBB31_2092:
	s_mov_b64 s[20:21], -1
.LBB31_2093:
	s_mov_b64 s[22:23], 0
.LBB31_2094:
	s_and_b64 vcc, exec, s[22:23]
	s_cbranch_vccz .LBB31_2125
; %bb.2095:
	s_cmp_gt_i32 s24, 22
	s_cbranch_scc0 .LBB31_2103
; %bb.2096:
	s_cmp_lt_i32 s24, 24
	s_cbranch_scc1 .LBB31_2106
; %bb.2097:
	s_cmp_gt_i32 s24, 24
	s_cbranch_scc0 .LBB31_2107
; %bb.2098:
	global_load_ubyte v1, v[14:15], off
	s_movk_i32 s18, 0x7f
	s_mov_b64 s[20:21], 0
	s_waitcnt vmcnt(0)
	v_cmp_lt_i16_e32 vcc, s18, v1
	s_and_saveexec_b64 s[18:19], vcc
	s_xor_b64 s[18:19], exec, s[18:19]
	s_cbranch_execz .LBB31_2119
; %bb.2099:
	s_movk_i32 s20, 0x80
	v_cmp_ne_u16_e32 vcc, s20, v1
	s_and_b64 s[20:21], vcc, exec
	s_andn2_saveexec_b64 s[18:19], s[18:19]
	s_cbranch_execnz .LBB31_2120
.LBB31_2100:
	s_or_b64 exec, exec, s[18:19]
	v_mov_b32_e32 v17, 0
	s_and_saveexec_b64 s[18:19], s[20:21]
	s_cbranch_execz .LBB31_2102
.LBB31_2101:
	v_lshlrev_b32_e32 v3, 24, v1
	v_and_b32_e32 v1, 0xffff, v1
	v_and_b32_e32 v5, 3, v1
	v_ffbh_u32_e32 v10, v5
	v_min_u32_e32 v10, 32, v10
	v_subrev_u32_e32 v12, 29, v10
	v_bfe_u32 v8, v1, 2, 5
	v_lshlrev_b32_e32 v1, v12, v1
	v_sub_u32_e32 v10, 30, v10
	v_and_b32_e32 v1, 3, v1
	v_cmp_eq_u32_e32 vcc, 0, v8
	v_cndmask_b32_e32 v8, v8, v10, vcc
	v_cndmask_b32_e32 v1, v5, v1, vcc
	v_mov_b32_e32 v5, 0x37800000
	v_lshlrev_b32_e32 v1, 21, v1
	v_and_b32_e32 v3, 0x80000000, v3
	v_lshl_add_u32 v5, v8, 23, v5
	v_or3_b32 v1, v3, v5, v1
	v_cvt_i32_f32_e32 v17, v1
.LBB31_2102:
	s_or_b64 exec, exec, s[18:19]
	s_mov_b64 s[18:19], 0
	s_branch .LBB31_2108
.LBB31_2103:
	s_mov_b64 s[18:19], -1
                                        ; implicit-def: $vgpr17
	s_branch .LBB31_2114
.LBB31_2104:
	s_andn2_saveexec_b64 s[20:21], s[20:21]
	s_cbranch_execz .LBB31_2089
.LBB31_2105:
	v_cmp_ne_u16_e32 vcc, 0, v1
	s_andn2_b64 s[22:23], s[22:23], exec
	s_and_b64 s[30:31], vcc, exec
	s_or_b64 s[22:23], s[22:23], s[30:31]
	s_or_b64 exec, exec, s[20:21]
	v_mov_b32_e32 v17, 0
	s_and_saveexec_b64 s[20:21], s[22:23]
	s_cbranch_execnz .LBB31_2090
	s_branch .LBB31_2091
.LBB31_2106:
	s_mov_b64 s[18:19], -1
                                        ; implicit-def: $vgpr17
	s_branch .LBB31_2111
.LBB31_2107:
	s_mov_b64 s[18:19], -1
                                        ; implicit-def: $vgpr17
.LBB31_2108:
	s_and_b64 vcc, exec, s[18:19]
	s_cbranch_vccz .LBB31_2110
; %bb.2109:
	global_load_ubyte v1, v[14:15], off
	s_mov_b32 s18, 0x7f800000
	s_waitcnt vmcnt(0)
	v_lshlrev_b32_e32 v1, 24, v1
	v_and_b32_e32 v3, 0x7f000000, v1
	v_ffbh_u32_e32 v5, v3
	v_min_u32_e32 v5, 32, v5
	v_sub_u32_e64 v5, v5, 4 clamp
	v_lshlrev_b32_e32 v10, v5, v3
	v_lshlrev_b32_e32 v5, 23, v5
	v_lshrrev_b32_e32 v10, 4, v10
	v_add_u32_e32 v8, 0x1000000, v3
	v_sub_u32_e32 v5, v10, v5
	v_ashrrev_i32_e32 v8, 8, v8
	v_add_u32_e32 v5, 0x3c000000, v5
	v_and_or_b32 v5, v8, s18, v5
	v_cmp_ne_u32_e32 vcc, 0, v3
	v_cndmask_b32_e32 v3, 0, v5, vcc
	s_brev_b32 s18, 1
	v_and_or_b32 v1, v1, s18, v3
	v_cvt_i32_f32_e32 v17, v1
.LBB31_2110:
	s_mov_b64 s[18:19], 0
.LBB31_2111:
	s_andn2_b64 vcc, exec, s[18:19]
	s_cbranch_vccnz .LBB31_2113
; %bb.2112:
	global_load_ubyte v1, v[14:15], off
	s_movk_i32 s18, 0x7f00
	s_brev_b32 s19, 16
	s_waitcnt vmcnt(0)
	v_lshlrev_b16_e32 v3, 8, v1
	v_lshlrev_b32_e32 v1, 25, v1
	v_lshrrev_b32_e32 v5, 4, v1
	v_and_or_b32 v8, v3, s18, 0.5
	v_or_b32_e32 v5, 0x70000000, v5
	v_add_f32_e32 v8, -0.5, v8
	v_mul_f32_e32 v5, 0x7800000, v5
	v_cmp_gt_u32_e32 vcc, s19, v1
	v_bfe_i32 v3, v3, 0, 16
	v_cndmask_b32_e32 v1, v5, v8, vcc
	s_brev_b32 s18, 1
	v_and_or_b32 v1, v3, s18, v1
	v_cvt_i32_f32_e32 v17, v1
.LBB31_2113:
	s_mov_b64 s[18:19], 0
	s_mov_b64 s[20:21], -1
.LBB31_2114:
	s_andn2_b64 vcc, exec, s[18:19]
	s_mov_b64 s[18:19], 0
	s_cbranch_vccnz .LBB31_2125
; %bb.2115:
	s_cmp_gt_i32 s24, 14
	s_cbranch_scc0 .LBB31_2118
; %bb.2116:
	s_cmp_eq_u32 s24, 15
	s_cbranch_scc0 .LBB31_2121
; %bb.2117:
	global_load_ushort v1, v[14:15], off
	s_mov_b64 s[16:17], 0
	s_mov_b64 s[20:21], -1
	s_waitcnt vmcnt(0)
	v_lshlrev_b32_e32 v1, 16, v1
	v_cvt_i32_f32_e32 v17, v1
	s_branch .LBB31_2122
.LBB31_2118:
	s_mov_b64 s[22:23], -1
                                        ; implicit-def: $vgpr17
	s_branch .LBB31_2123
.LBB31_2119:
	s_andn2_saveexec_b64 s[18:19], s[18:19]
	s_cbranch_execz .LBB31_2100
.LBB31_2120:
	v_cmp_ne_u16_e32 vcc, 0, v1
	s_andn2_b64 s[20:21], s[20:21], exec
	s_and_b64 s[22:23], vcc, exec
	s_or_b64 s[20:21], s[20:21], s[22:23]
	s_or_b64 exec, exec, s[18:19]
	v_mov_b32_e32 v17, 0
	s_and_saveexec_b64 s[18:19], s[20:21]
	s_cbranch_execnz .LBB31_2101
	s_branch .LBB31_2102
.LBB31_2121:
	s_mov_b64 s[16:17], -1
                                        ; implicit-def: $vgpr17
.LBB31_2122:
	s_mov_b64 s[22:23], 0
.LBB31_2123:
	s_and_b64 vcc, exec, s[22:23]
	s_cbranch_vccz .LBB31_2125
; %bb.2124:
	s_cmp_lg_u32 s24, 11
	s_mov_b64 s[18:19], -1
	s_cselect_b64 s[16:17], -1, 0
.LBB31_2125:
	s_and_b64 vcc, exec, s[16:17]
	s_cbranch_vccnz .LBB31_2207
; %bb.2126:
	s_andn2_b64 vcc, exec, s[18:19]
	s_cbranch_vccnz .LBB31_2128
.LBB31_2127:
	global_load_ubyte v1, v[14:15], off
	s_mov_b64 s[20:21], -1
	s_waitcnt vmcnt(0)
	v_cmp_ne_u16_e32 vcc, 0, v1
	v_cndmask_b32_e64 v17, 0, 1, vcc
.LBB31_2128:
	s_mov_b64 s[16:17], 0
.LBB31_2129:
	s_and_b64 vcc, exec, s[16:17]
	s_cbranch_vccz .LBB31_2178
; %bb.2130:
	s_and_b32 s18, 0xffff, s28
	s_cmp_lt_i32 s18, 5
	s_cbranch_scc1 .LBB31_2135
; %bb.2131:
	s_cmp_lt_i32 s18, 8
	s_cbranch_scc1 .LBB31_2136
; %bb.2132:
	;; [unrolled: 3-line block ×3, first 2 shown]
	s_cmp_gt_i32 s18, 9
	s_cbranch_scc0 .LBB31_2138
; %bb.2134:
	global_load_dwordx2 v[17:18], v[14:15], off
	s_mov_b64 s[16:17], 0
	s_waitcnt vmcnt(0)
	v_cvt_i32_f64_e32 v17, v[17:18]
	s_branch .LBB31_2139
.LBB31_2135:
	s_mov_b64 s[16:17], -1
                                        ; implicit-def: $vgpr17
	s_branch .LBB31_2157
.LBB31_2136:
	s_mov_b64 s[16:17], -1
                                        ; implicit-def: $vgpr17
	s_branch .LBB31_2145
.LBB31_2137:
	s_mov_b64 s[16:17], -1
                                        ; implicit-def: $vgpr17
	s_branch .LBB31_2142
.LBB31_2138:
	s_mov_b64 s[16:17], -1
                                        ; implicit-def: $vgpr17
.LBB31_2139:
	s_andn2_b64 vcc, exec, s[16:17]
	s_cbranch_vccnz .LBB31_2141
; %bb.2140:
	global_load_dword v1, v[14:15], off
	s_waitcnt vmcnt(0)
	v_cvt_i32_f32_e32 v17, v1
.LBB31_2141:
	s_mov_b64 s[16:17], 0
.LBB31_2142:
	s_andn2_b64 vcc, exec, s[16:17]
	s_cbranch_vccnz .LBB31_2144
; %bb.2143:
	global_load_dword v1, v[14:15], off
	s_waitcnt vmcnt(0)
	v_cvt_i16_f16_e32 v17, v1
.LBB31_2144:
	s_mov_b64 s[16:17], 0
.LBB31_2145:
	s_andn2_b64 vcc, exec, s[16:17]
	s_cbranch_vccnz .LBB31_2156
; %bb.2146:
	s_cmp_lt_i32 s18, 6
	s_cbranch_scc1 .LBB31_2149
; %bb.2147:
	s_cmp_gt_i32 s18, 6
	s_cbranch_scc0 .LBB31_2150
; %bb.2148:
	global_load_dwordx2 v[17:18], v[14:15], off
	s_mov_b64 s[16:17], 0
	s_waitcnt vmcnt(0)
	v_cvt_i32_f64_e32 v17, v[17:18]
	s_branch .LBB31_2151
.LBB31_2149:
	s_mov_b64 s[16:17], -1
                                        ; implicit-def: $vgpr17
	s_branch .LBB31_2154
.LBB31_2150:
	s_mov_b64 s[16:17], -1
                                        ; implicit-def: $vgpr17
.LBB31_2151:
	s_andn2_b64 vcc, exec, s[16:17]
	s_cbranch_vccnz .LBB31_2153
; %bb.2152:
	global_load_dword v1, v[14:15], off
	s_waitcnt vmcnt(0)
	v_cvt_i32_f32_e32 v17, v1
.LBB31_2153:
	s_mov_b64 s[16:17], 0
.LBB31_2154:
	s_andn2_b64 vcc, exec, s[16:17]
	s_cbranch_vccnz .LBB31_2156
; %bb.2155:
	global_load_ushort v1, v[14:15], off
	s_waitcnt vmcnt(0)
	v_cvt_i16_f16_e32 v17, v1
.LBB31_2156:
	s_mov_b64 s[16:17], 0
.LBB31_2157:
	s_andn2_b64 vcc, exec, s[16:17]
	s_cbranch_vccnz .LBB31_2177
; %bb.2158:
	s_cmp_lt_i32 s18, 2
	s_cbranch_scc1 .LBB31_2162
; %bb.2159:
	s_cmp_lt_i32 s18, 3
	s_cbranch_scc1 .LBB31_2163
; %bb.2160:
	s_cmp_gt_i32 s18, 3
	s_cbranch_scc0 .LBB31_2164
; %bb.2161:
	global_load_dwordx2 v[17:18], v[14:15], off
	s_mov_b64 s[16:17], 0
	s_branch .LBB31_2165
.LBB31_2162:
	s_mov_b64 s[16:17], -1
                                        ; implicit-def: $vgpr17
	s_branch .LBB31_2171
.LBB31_2163:
	s_mov_b64 s[16:17], -1
                                        ; implicit-def: $vgpr17
	s_branch .LBB31_2168
.LBB31_2164:
	s_mov_b64 s[16:17], -1
                                        ; implicit-def: $vgpr17
.LBB31_2165:
	s_andn2_b64 vcc, exec, s[16:17]
	s_cbranch_vccnz .LBB31_2167
; %bb.2166:
	global_load_dword v17, v[14:15], off
.LBB31_2167:
	s_mov_b64 s[16:17], 0
.LBB31_2168:
	s_andn2_b64 vcc, exec, s[16:17]
	s_cbranch_vccnz .LBB31_2170
; %bb.2169:
	global_load_ushort v17, v[14:15], off
.LBB31_2170:
	s_mov_b64 s[16:17], 0
.LBB31_2171:
	s_andn2_b64 vcc, exec, s[16:17]
	s_cbranch_vccnz .LBB31_2177
; %bb.2172:
	s_cmp_gt_i32 s18, 0
	s_cbranch_scc0 .LBB31_2174
; %bb.2173:
	global_load_ubyte v17, v[14:15], off
	s_mov_b64 s[16:17], 0
	s_branch .LBB31_2175
.LBB31_2174:
	s_mov_b64 s[16:17], -1
                                        ; implicit-def: $vgpr17
.LBB31_2175:
	s_andn2_b64 vcc, exec, s[16:17]
	s_cbranch_vccnz .LBB31_2177
; %bb.2176:
	global_load_ubyte v17, v[14:15], off
.LBB31_2177:
	s_mov_b64 s[20:21], -1
.LBB31_2178:
	s_andn2_b64 vcc, exec, s[20:21]
	s_cbranch_vccnz .LBB31_2723
; %bb.2179:
	s_cmp_lt_i32 s26, 1
	s_mov_b64 s[18:19], 0
	s_cbranch_scc1 .LBB31_2183
; %bb.2180:
	s_cmp_gt_i32 s26, 1
	s_cbranch_scc0 .LBB31_2184
; %bb.2181:
	s_cmp_eq_u32 s26, 2
	s_cbranch_scc0 .LBB31_2185
; %bb.2182:
	s_waitcnt vmcnt(0)
	v_cmp_le_i16_sdwa s[16:17], sext(v16), sext(v17) src0_sel:BYTE_0 src1_sel:BYTE_0
	s_mov_b64 s[20:21], 0
	s_branch .LBB31_2186
.LBB31_2183:
	s_mov_b64 s[22:23], -1
                                        ; implicit-def: $sgpr16_sgpr17
	s_mov_b64 s[20:21], 0
	s_branch .LBB31_2190
.LBB31_2184:
	s_mov_b64 s[22:23], -1
	s_mov_b64 s[20:21], 0
                                        ; implicit-def: $sgpr16_sgpr17
	s_branch .LBB31_2187
.LBB31_2185:
	s_mov_b64 s[20:21], -1
                                        ; implicit-def: $sgpr16_sgpr17
.LBB31_2186:
	s_mov_b64 s[22:23], 0
.LBB31_2187:
	s_and_b64 vcc, exec, s[22:23]
	s_cbranch_vccz .LBB31_2189
; %bb.2188:
	s_waitcnt vmcnt(0)
	v_cmp_gt_i16_sdwa s[22:23], sext(v16), sext(v17) src0_sel:BYTE_0 src1_sel:BYTE_0
	s_andn2_b64 s[16:17], s[16:17], exec
	s_and_b64 s[22:23], s[22:23], exec
	s_or_b64 s[16:17], s[16:17], s[22:23]
.LBB31_2189:
	s_mov_b64 s[22:23], 0
.LBB31_2190:
	s_and_b64 vcc, exec, s[22:23]
	s_cbranch_vccz .LBB31_2201
; %bb.2191:
	s_cmp_lg_u32 s26, 0
	s_mov_b64 s[18:19], -1
	s_cselect_b64 s[20:21], -1, 0
	s_andn2_b64 vcc, exec, s[20:21]
	s_cbranch_vccz .LBB31_2202
.LBB31_2192:
	s_andn2_b64 vcc, exec, s[18:19]
	s_cbranch_vccnz .LBB31_2194
.LBB31_2193:
	s_waitcnt vmcnt(0)
	v_cmp_ge_i16_sdwa s[18:19], sext(v16), sext(v17) src0_sel:BYTE_0 src1_sel:BYTE_0
	s_andn2_b64 s[16:17], s[16:17], exec
	s_and_b64 s[18:19], s[18:19], exec
	s_or_b64 s[16:17], s[16:17], s[18:19]
.LBB31_2194:
	v_mov_b32_e32 v1, s11
	v_add_co_u32_e32 v14, vcc, s10, v13
	s_cmp_lt_i32 s27, 11
	v_addc_co_u32_e32 v15, vcc, 0, v1, vcc
	s_cbranch_scc1 .LBB31_2203
; %bb.2195:
	s_and_b32 s29, 0xffff, s27
	s_cmp_gt_i32 s29, 25
	s_mov_b64 s[20:21], 0
	s_cbranch_scc0 .LBB31_2204
; %bb.2196:
	s_cmp_gt_i32 s29, 28
	s_cbranch_scc0 .LBB31_2205
; %bb.2197:
	s_cmp_gt_i32 s29, 43
	;; [unrolled: 3-line block ×3, first 2 shown]
	s_cbranch_scc0 .LBB31_2208
; %bb.2199:
	s_cmp_eq_u32 s29, 46
	s_mov_b64 s[24:25], 0
	s_cbranch_scc0 .LBB31_2209
; %bb.2200:
	global_load_dword v1, v[14:15], off
	s_mov_b64 s[18:19], 0
	s_mov_b64 s[22:23], -1
	s_waitcnt vmcnt(0)
	v_lshlrev_b32_e32 v1, 16, v1
	v_cvt_i32_f32_e32 v12, v1
	s_branch .LBB31_2210
.LBB31_2201:
	s_andn2_b64 vcc, exec, s[20:21]
	s_cbranch_vccnz .LBB31_2192
.LBB31_2202:
	s_waitcnt vmcnt(0)
	v_cmp_lt_i16_sdwa s[20:21], sext(v16), sext(v17) src0_sel:BYTE_0 src1_sel:BYTE_0
	s_andn2_b64 s[16:17], s[16:17], exec
	s_and_b64 s[20:21], s[20:21], exec
	s_or_b64 s[16:17], s[16:17], s[20:21]
	s_cbranch_execz .LBB31_2193
	s_branch .LBB31_2194
.LBB31_2203:
	s_mov_b64 s[18:19], -1
	s_mov_b64 s[22:23], 0
                                        ; implicit-def: $vgpr12
	s_branch .LBB31_2272
.LBB31_2204:
	s_mov_b64 s[24:25], -1
	s_mov_b64 s[22:23], 0
	s_mov_b64 s[18:19], 0
                                        ; implicit-def: $vgpr12
	s_branch .LBB31_2237
.LBB31_2205:
	s_mov_b64 s[24:25], -1
	s_mov_b64 s[22:23], 0
	s_mov_b64 s[18:19], 0
                                        ; implicit-def: $vgpr12
	s_branch .LBB31_2220
.LBB31_2206:
	s_mov_b64 s[24:25], -1
	s_mov_b64 s[22:23], 0
	s_mov_b64 s[18:19], 0
                                        ; implicit-def: $vgpr12
	s_branch .LBB31_2215
.LBB31_2207:
	s_trap 2
	s_or_b64 s[4:5], s[4:5], exec
	s_cbranch_execz .LBB31_2127
	s_branch .LBB31_2128
.LBB31_2208:
	s_mov_b64 s[24:25], -1
	s_mov_b64 s[22:23], 0
	s_mov_b64 s[18:19], 0
                                        ; implicit-def: $vgpr12
	s_branch .LBB31_2210
.LBB31_2209:
	s_mov_b64 s[18:19], -1
                                        ; implicit-def: $vgpr12
	s_mov_b64 s[22:23], 0
.LBB31_2210:
	s_and_b64 vcc, exec, s[24:25]
	s_cbranch_vccz .LBB31_2214
; %bb.2211:
	s_cmp_eq_u32 s29, 44
	s_cbranch_scc0 .LBB31_2213
; %bb.2212:
	global_load_ubyte v1, v[14:15], off
	s_mov_b64 s[18:19], 0
	s_mov_b64 s[22:23], -1
	s_waitcnt vmcnt(0)
	v_lshlrev_b32_e32 v3, 23, v1
	v_cvt_i32_f32_e32 v3, v3
	v_cmp_ne_u32_e32 vcc, 0, v1
	v_cndmask_b32_e32 v12, 0, v3, vcc
	s_branch .LBB31_2214
.LBB31_2213:
	s_mov_b64 s[18:19], -1
                                        ; implicit-def: $vgpr12
.LBB31_2214:
	s_mov_b64 s[24:25], 0
.LBB31_2215:
	s_and_b64 vcc, exec, s[24:25]
	s_cbranch_vccz .LBB31_2219
; %bb.2216:
	s_cmp_eq_u32 s29, 29
	s_cbranch_scc0 .LBB31_2218
; %bb.2217:
	global_load_dwordx2 v[12:13], v[14:15], off
	s_mov_b64 s[18:19], 0
	s_mov_b64 s[22:23], -1
	s_branch .LBB31_2219
.LBB31_2218:
	s_mov_b64 s[18:19], -1
                                        ; implicit-def: $vgpr12
.LBB31_2219:
	s_mov_b64 s[24:25], 0
.LBB31_2220:
	s_and_b64 vcc, exec, s[24:25]
	s_cbranch_vccz .LBB31_2236
; %bb.2221:
	s_cmp_lt_i32 s29, 27
	s_cbranch_scc1 .LBB31_2224
; %bb.2222:
	s_cmp_gt_i32 s29, 27
	s_cbranch_scc0 .LBB31_2225
; %bb.2223:
	global_load_dword v12, v[14:15], off
	s_mov_b64 s[22:23], 0
	s_branch .LBB31_2226
.LBB31_2224:
	s_mov_b64 s[22:23], -1
                                        ; implicit-def: $vgpr12
	s_branch .LBB31_2229
.LBB31_2225:
	s_mov_b64 s[22:23], -1
                                        ; implicit-def: $vgpr12
.LBB31_2226:
	s_andn2_b64 vcc, exec, s[22:23]
	s_cbranch_vccnz .LBB31_2228
; %bb.2227:
	global_load_ushort v12, v[14:15], off
.LBB31_2228:
	s_mov_b64 s[22:23], 0
.LBB31_2229:
	s_andn2_b64 vcc, exec, s[22:23]
	s_cbranch_vccnz .LBB31_2235
; %bb.2230:
	global_load_ubyte v1, v[14:15], off
	s_movk_i32 s22, 0x7f
	s_mov_b64 s[24:25], 0
	s_waitcnt vmcnt(0)
	v_cmp_lt_i16_e32 vcc, s22, v1
	s_and_saveexec_b64 s[22:23], vcc
	s_xor_b64 s[22:23], exec, s[22:23]
	s_cbranch_execz .LBB31_2247
; %bb.2231:
	s_movk_i32 s24, 0x80
	v_cmp_ne_u16_e32 vcc, s24, v1
	s_and_b64 s[24:25], vcc, exec
	s_andn2_saveexec_b64 s[22:23], s[22:23]
	s_cbranch_execnz .LBB31_2248
.LBB31_2232:
	s_or_b64 exec, exec, s[22:23]
	v_mov_b32_e32 v12, 0
	s_and_saveexec_b64 s[22:23], s[24:25]
	s_cbranch_execz .LBB31_2234
.LBB31_2233:
	v_lshlrev_b32_e32 v3, 24, v1
	v_and_b32_e32 v1, 0xffff, v1
	v_and_b32_e32 v5, 7, v1
	v_ffbh_u32_e32 v10, v5
	v_min_u32_e32 v10, 32, v10
	v_subrev_u32_e32 v12, 28, v10
	v_bfe_u32 v8, v1, 3, 4
	v_lshlrev_b32_e32 v1, v12, v1
	v_sub_u32_e32 v10, 29, v10
	v_and_b32_e32 v1, 7, v1
	v_cmp_eq_u32_e32 vcc, 0, v8
	v_cndmask_b32_e32 v8, v8, v10, vcc
	v_cndmask_b32_e32 v1, v5, v1, vcc
	v_mov_b32_e32 v5, 0x3b800000
	v_lshlrev_b32_e32 v1, 20, v1
	v_and_b32_e32 v3, 0x80000000, v3
	v_lshl_add_u32 v5, v8, 23, v5
	v_or3_b32 v1, v3, v5, v1
	v_cvt_i32_f32_e32 v12, v1
.LBB31_2234:
	s_or_b64 exec, exec, s[22:23]
.LBB31_2235:
	s_mov_b64 s[22:23], -1
.LBB31_2236:
	s_mov_b64 s[24:25], 0
.LBB31_2237:
	s_and_b64 vcc, exec, s[24:25]
	s_cbranch_vccz .LBB31_2268
; %bb.2238:
	s_cmp_gt_i32 s29, 22
	s_cbranch_scc0 .LBB31_2246
; %bb.2239:
	s_cmp_lt_i32 s29, 24
	s_cbranch_scc1 .LBB31_2249
; %bb.2240:
	s_cmp_gt_i32 s29, 24
	s_cbranch_scc0 .LBB31_2250
; %bb.2241:
	global_load_ubyte v1, v[14:15], off
	s_movk_i32 s20, 0x7f
	s_mov_b64 s[22:23], 0
	s_waitcnt vmcnt(0)
	v_cmp_lt_i16_e32 vcc, s20, v1
	s_and_saveexec_b64 s[20:21], vcc
	s_xor_b64 s[20:21], exec, s[20:21]
	s_cbranch_execz .LBB31_2262
; %bb.2242:
	s_movk_i32 s22, 0x80
	v_cmp_ne_u16_e32 vcc, s22, v1
	s_and_b64 s[22:23], vcc, exec
	s_andn2_saveexec_b64 s[20:21], s[20:21]
	s_cbranch_execnz .LBB31_2263
.LBB31_2243:
	s_or_b64 exec, exec, s[20:21]
	v_mov_b32_e32 v12, 0
	s_and_saveexec_b64 s[20:21], s[22:23]
	s_cbranch_execz .LBB31_2245
.LBB31_2244:
	v_lshlrev_b32_e32 v3, 24, v1
	v_and_b32_e32 v1, 0xffff, v1
	v_and_b32_e32 v5, 3, v1
	v_ffbh_u32_e32 v10, v5
	v_min_u32_e32 v10, 32, v10
	v_subrev_u32_e32 v12, 29, v10
	v_bfe_u32 v8, v1, 2, 5
	v_lshlrev_b32_e32 v1, v12, v1
	v_sub_u32_e32 v10, 30, v10
	v_and_b32_e32 v1, 3, v1
	v_cmp_eq_u32_e32 vcc, 0, v8
	v_cndmask_b32_e32 v8, v8, v10, vcc
	v_cndmask_b32_e32 v1, v5, v1, vcc
	v_mov_b32_e32 v5, 0x37800000
	v_lshlrev_b32_e32 v1, 21, v1
	v_and_b32_e32 v3, 0x80000000, v3
	v_lshl_add_u32 v5, v8, 23, v5
	v_or3_b32 v1, v3, v5, v1
	v_cvt_i32_f32_e32 v12, v1
.LBB31_2245:
	s_or_b64 exec, exec, s[20:21]
	s_mov_b64 s[20:21], 0
	s_branch .LBB31_2251
.LBB31_2246:
	s_mov_b64 s[20:21], -1
                                        ; implicit-def: $vgpr12
	s_branch .LBB31_2257
.LBB31_2247:
	s_andn2_saveexec_b64 s[22:23], s[22:23]
	s_cbranch_execz .LBB31_2232
.LBB31_2248:
	v_cmp_ne_u16_e32 vcc, 0, v1
	s_andn2_b64 s[24:25], s[24:25], exec
	s_and_b64 s[30:31], vcc, exec
	s_or_b64 s[24:25], s[24:25], s[30:31]
	s_or_b64 exec, exec, s[22:23]
	v_mov_b32_e32 v12, 0
	s_and_saveexec_b64 s[22:23], s[24:25]
	s_cbranch_execnz .LBB31_2233
	s_branch .LBB31_2234
.LBB31_2249:
	s_mov_b64 s[20:21], -1
                                        ; implicit-def: $vgpr12
	s_branch .LBB31_2254
.LBB31_2250:
	s_mov_b64 s[20:21], -1
                                        ; implicit-def: $vgpr12
.LBB31_2251:
	s_and_b64 vcc, exec, s[20:21]
	s_cbranch_vccz .LBB31_2253
; %bb.2252:
	global_load_ubyte v1, v[14:15], off
	s_mov_b32 s20, 0x7f800000
	s_waitcnt vmcnt(0)
	v_lshlrev_b32_e32 v1, 24, v1
	v_and_b32_e32 v3, 0x7f000000, v1
	v_ffbh_u32_e32 v5, v3
	v_min_u32_e32 v5, 32, v5
	v_sub_u32_e64 v5, v5, 4 clamp
	v_lshlrev_b32_e32 v10, v5, v3
	v_lshlrev_b32_e32 v5, 23, v5
	v_lshrrev_b32_e32 v10, 4, v10
	v_add_u32_e32 v8, 0x1000000, v3
	v_sub_u32_e32 v5, v10, v5
	v_ashrrev_i32_e32 v8, 8, v8
	v_add_u32_e32 v5, 0x3c000000, v5
	v_and_or_b32 v5, v8, s20, v5
	v_cmp_ne_u32_e32 vcc, 0, v3
	v_cndmask_b32_e32 v3, 0, v5, vcc
	s_brev_b32 s20, 1
	v_and_or_b32 v1, v1, s20, v3
	v_cvt_i32_f32_e32 v12, v1
.LBB31_2253:
	s_mov_b64 s[20:21], 0
.LBB31_2254:
	s_andn2_b64 vcc, exec, s[20:21]
	s_cbranch_vccnz .LBB31_2256
; %bb.2255:
	global_load_ubyte v1, v[14:15], off
	s_movk_i32 s20, 0x7f00
	s_brev_b32 s21, 16
	s_waitcnt vmcnt(0)
	v_lshlrev_b16_e32 v3, 8, v1
	v_lshlrev_b32_e32 v1, 25, v1
	v_lshrrev_b32_e32 v5, 4, v1
	v_and_or_b32 v8, v3, s20, 0.5
	v_or_b32_e32 v5, 0x70000000, v5
	v_add_f32_e32 v8, -0.5, v8
	v_mul_f32_e32 v5, 0x7800000, v5
	v_cmp_gt_u32_e32 vcc, s21, v1
	v_bfe_i32 v3, v3, 0, 16
	v_cndmask_b32_e32 v1, v5, v8, vcc
	s_brev_b32 s20, 1
	v_and_or_b32 v1, v3, s20, v1
	v_cvt_i32_f32_e32 v12, v1
.LBB31_2256:
	s_mov_b64 s[20:21], 0
	s_mov_b64 s[22:23], -1
.LBB31_2257:
	s_andn2_b64 vcc, exec, s[20:21]
	s_mov_b64 s[20:21], 0
	s_cbranch_vccnz .LBB31_2268
; %bb.2258:
	s_cmp_gt_i32 s29, 14
	s_cbranch_scc0 .LBB31_2261
; %bb.2259:
	s_cmp_eq_u32 s29, 15
	s_cbranch_scc0 .LBB31_2264
; %bb.2260:
	global_load_ushort v1, v[14:15], off
	s_mov_b64 s[18:19], 0
	s_mov_b64 s[22:23], -1
	s_waitcnt vmcnt(0)
	v_lshlrev_b32_e32 v1, 16, v1
	v_cvt_i32_f32_e32 v12, v1
	s_branch .LBB31_2265
.LBB31_2261:
	s_mov_b64 s[24:25], -1
                                        ; implicit-def: $vgpr12
	s_branch .LBB31_2266
.LBB31_2262:
	s_andn2_saveexec_b64 s[20:21], s[20:21]
	s_cbranch_execz .LBB31_2243
.LBB31_2263:
	v_cmp_ne_u16_e32 vcc, 0, v1
	s_andn2_b64 s[22:23], s[22:23], exec
	s_and_b64 s[24:25], vcc, exec
	s_or_b64 s[22:23], s[22:23], s[24:25]
	s_or_b64 exec, exec, s[20:21]
	v_mov_b32_e32 v12, 0
	s_and_saveexec_b64 s[20:21], s[22:23]
	s_cbranch_execnz .LBB31_2244
	s_branch .LBB31_2245
.LBB31_2264:
	s_mov_b64 s[18:19], -1
                                        ; implicit-def: $vgpr12
.LBB31_2265:
	s_mov_b64 s[24:25], 0
.LBB31_2266:
	s_and_b64 vcc, exec, s[24:25]
	s_cbranch_vccz .LBB31_2268
; %bb.2267:
	s_cmp_lg_u32 s29, 11
	s_mov_b64 s[20:21], -1
	s_cselect_b64 s[18:19], -1, 0
.LBB31_2268:
	s_and_b64 vcc, exec, s[18:19]
	s_cbranch_vccnz .LBB31_2333
; %bb.2269:
	s_andn2_b64 vcc, exec, s[20:21]
	s_cbranch_vccnz .LBB31_2271
.LBB31_2270:
	global_load_ubyte v1, v[14:15], off
	s_mov_b64 s[22:23], -1
	s_waitcnt vmcnt(0)
	v_cmp_ne_u16_e32 vcc, 0, v1
	v_cndmask_b32_e64 v12, 0, 1, vcc
.LBB31_2271:
	s_mov_b64 s[18:19], 0
.LBB31_2272:
	s_and_b64 vcc, exec, s[18:19]
	s_cbranch_vccz .LBB31_2321
; %bb.2273:
	s_and_b32 s20, 0xffff, s27
	s_cmp_lt_i32 s20, 5
	s_cbranch_scc1 .LBB31_2278
; %bb.2274:
	s_cmp_lt_i32 s20, 8
	s_cbranch_scc1 .LBB31_2279
; %bb.2275:
	;; [unrolled: 3-line block ×3, first 2 shown]
	s_cmp_gt_i32 s20, 9
	s_cbranch_scc0 .LBB31_2281
; %bb.2277:
	global_load_dwordx2 v[12:13], v[14:15], off
	s_mov_b64 s[18:19], 0
	s_waitcnt vmcnt(0)
	v_cvt_i32_f64_e32 v12, v[12:13]
	s_branch .LBB31_2282
.LBB31_2278:
	s_mov_b64 s[18:19], -1
                                        ; implicit-def: $vgpr12
	s_branch .LBB31_2300
.LBB31_2279:
	s_mov_b64 s[18:19], -1
                                        ; implicit-def: $vgpr12
	s_branch .LBB31_2288
.LBB31_2280:
	s_mov_b64 s[18:19], -1
                                        ; implicit-def: $vgpr12
	s_branch .LBB31_2285
.LBB31_2281:
	s_mov_b64 s[18:19], -1
                                        ; implicit-def: $vgpr12
.LBB31_2282:
	s_andn2_b64 vcc, exec, s[18:19]
	s_cbranch_vccnz .LBB31_2284
; %bb.2283:
	global_load_dword v1, v[14:15], off
	s_waitcnt vmcnt(0)
	v_cvt_i32_f32_e32 v12, v1
.LBB31_2284:
	s_mov_b64 s[18:19], 0
.LBB31_2285:
	s_andn2_b64 vcc, exec, s[18:19]
	s_cbranch_vccnz .LBB31_2287
; %bb.2286:
	global_load_dword v1, v[14:15], off
	s_waitcnt vmcnt(0)
	v_cvt_i16_f16_e32 v12, v1
.LBB31_2287:
	s_mov_b64 s[18:19], 0
.LBB31_2288:
	s_andn2_b64 vcc, exec, s[18:19]
	s_cbranch_vccnz .LBB31_2299
; %bb.2289:
	s_cmp_lt_i32 s20, 6
	s_cbranch_scc1 .LBB31_2292
; %bb.2290:
	s_cmp_gt_i32 s20, 6
	s_cbranch_scc0 .LBB31_2293
; %bb.2291:
	global_load_dwordx2 v[12:13], v[14:15], off
	s_mov_b64 s[18:19], 0
	s_waitcnt vmcnt(0)
	v_cvt_i32_f64_e32 v12, v[12:13]
	s_branch .LBB31_2294
.LBB31_2292:
	s_mov_b64 s[18:19], -1
                                        ; implicit-def: $vgpr12
	s_branch .LBB31_2297
.LBB31_2293:
	s_mov_b64 s[18:19], -1
                                        ; implicit-def: $vgpr12
.LBB31_2294:
	s_andn2_b64 vcc, exec, s[18:19]
	s_cbranch_vccnz .LBB31_2296
; %bb.2295:
	global_load_dword v1, v[14:15], off
	s_waitcnt vmcnt(0)
	v_cvt_i32_f32_e32 v12, v1
.LBB31_2296:
	s_mov_b64 s[18:19], 0
.LBB31_2297:
	s_andn2_b64 vcc, exec, s[18:19]
	s_cbranch_vccnz .LBB31_2299
; %bb.2298:
	global_load_ushort v1, v[14:15], off
	s_waitcnt vmcnt(0)
	v_cvt_i16_f16_e32 v12, v1
.LBB31_2299:
	s_mov_b64 s[18:19], 0
.LBB31_2300:
	s_andn2_b64 vcc, exec, s[18:19]
	s_cbranch_vccnz .LBB31_2320
; %bb.2301:
	s_cmp_lt_i32 s20, 2
	s_cbranch_scc1 .LBB31_2305
; %bb.2302:
	s_cmp_lt_i32 s20, 3
	s_cbranch_scc1 .LBB31_2306
; %bb.2303:
	s_cmp_gt_i32 s20, 3
	s_cbranch_scc0 .LBB31_2307
; %bb.2304:
	global_load_dwordx2 v[12:13], v[14:15], off
	s_mov_b64 s[18:19], 0
	s_branch .LBB31_2308
.LBB31_2305:
	s_mov_b64 s[18:19], -1
                                        ; implicit-def: $vgpr12
	s_branch .LBB31_2314
.LBB31_2306:
	s_mov_b64 s[18:19], -1
                                        ; implicit-def: $vgpr12
	s_branch .LBB31_2311
.LBB31_2307:
	s_mov_b64 s[18:19], -1
                                        ; implicit-def: $vgpr12
.LBB31_2308:
	s_andn2_b64 vcc, exec, s[18:19]
	s_cbranch_vccnz .LBB31_2310
; %bb.2309:
	global_load_dword v12, v[14:15], off
.LBB31_2310:
	s_mov_b64 s[18:19], 0
.LBB31_2311:
	s_andn2_b64 vcc, exec, s[18:19]
	s_cbranch_vccnz .LBB31_2313
; %bb.2312:
	global_load_ushort v12, v[14:15], off
.LBB31_2313:
	s_mov_b64 s[18:19], 0
.LBB31_2314:
	s_andn2_b64 vcc, exec, s[18:19]
	s_cbranch_vccnz .LBB31_2320
; %bb.2315:
	s_cmp_gt_i32 s20, 0
	s_cbranch_scc0 .LBB31_2317
; %bb.2316:
	global_load_ubyte v12, v[14:15], off
	s_mov_b64 s[18:19], 0
	s_branch .LBB31_2318
.LBB31_2317:
	s_mov_b64 s[18:19], -1
                                        ; implicit-def: $vgpr12
.LBB31_2318:
	s_andn2_b64 vcc, exec, s[18:19]
	s_cbranch_vccnz .LBB31_2320
; %bb.2319:
	global_load_ubyte v12, v[14:15], off
.LBB31_2320:
	s_mov_b64 s[22:23], -1
.LBB31_2321:
	s_andn2_b64 vcc, exec, s[22:23]
	s_cbranch_vccnz .LBB31_2723
; %bb.2322:
	v_mov_b32_e32 v1, s1
	v_add_co_u32_e32 v10, vcc, s0, v11
	s_cmp_lt_i32 s28, 11
	v_addc_co_u32_e32 v11, vcc, 0, v1, vcc
	s_cbranch_scc1 .LBB31_2329
; %bb.2323:
	s_and_b32 s29, 0xffff, s28
	s_cmp_gt_i32 s29, 25
	s_mov_b64 s[20:21], 0
	s_cbranch_scc0 .LBB31_2330
; %bb.2324:
	s_cmp_gt_i32 s29, 28
	s_cbranch_scc0 .LBB31_2331
; %bb.2325:
	s_cmp_gt_i32 s29, 43
	;; [unrolled: 3-line block ×3, first 2 shown]
	s_cbranch_scc0 .LBB31_2334
; %bb.2327:
	s_cmp_eq_u32 s29, 46
	s_mov_b64 s[24:25], 0
	s_cbranch_scc0 .LBB31_2337
; %bb.2328:
	global_load_dword v1, v[10:11], off
	s_mov_b64 s[18:19], 0
	s_mov_b64 s[22:23], -1
	s_waitcnt vmcnt(0)
	v_lshlrev_b32_e32 v1, 16, v1
	v_cvt_i32_f32_e32 v13, v1
	s_branch .LBB31_2338
.LBB31_2329:
	s_mov_b64 s[18:19], -1
	s_mov_b64 s[22:23], 0
                                        ; implicit-def: $vgpr13
	s_branch .LBB31_2400
.LBB31_2330:
	s_mov_b64 s[24:25], -1
	s_mov_b64 s[22:23], 0
	s_mov_b64 s[18:19], 0
                                        ; implicit-def: $vgpr13
	s_branch .LBB31_2365
.LBB31_2331:
	s_mov_b64 s[24:25], -1
	s_mov_b64 s[22:23], 0
	s_mov_b64 s[18:19], 0
                                        ; implicit-def: $vgpr13
	s_branch .LBB31_2348
.LBB31_2332:
	s_mov_b64 s[24:25], -1
	s_mov_b64 s[22:23], 0
	s_mov_b64 s[18:19], 0
                                        ; implicit-def: $vgpr13
	s_branch .LBB31_2343
.LBB31_2333:
	s_trap 2
	s_or_b64 s[4:5], s[4:5], exec
	s_cbranch_execz .LBB31_2270
	s_branch .LBB31_2271
.LBB31_2334:
	s_mov_b64 s[24:25], -1
	s_mov_b64 s[22:23], 0
	s_mov_b64 s[18:19], 0
                                        ; implicit-def: $vgpr13
	s_branch .LBB31_2338
.LBB31_2335:
	s_andn2_saveexec_b64 s[66:67], s[66:67]
	s_cbranch_execz .LBB31_1145
.LBB31_2336:
	v_add_f32_e32 v2, 0x42800000, v3
	v_and_b32_e32 v2, 0xff, v2
	v_cmp_ne_u32_e32 vcc, 0, v2
	s_andn2_b64 s[64:65], s[64:65], exec
	s_and_b64 s[76:77], vcc, exec
	s_or_b64 s[64:65], s[64:65], s[76:77]
	s_or_b64 exec, exec, s[66:67]
	v_mov_b32_e32 v4, 0
	s_and_saveexec_b64 s[66:67], s[64:65]
	s_cbranch_execnz .LBB31_1146
	s_branch .LBB31_1147
.LBB31_2337:
	s_mov_b64 s[18:19], -1
                                        ; implicit-def: $vgpr13
	s_mov_b64 s[22:23], 0
.LBB31_2338:
	s_and_b64 vcc, exec, s[24:25]
	s_cbranch_vccz .LBB31_2342
; %bb.2339:
	s_cmp_eq_u32 s29, 44
	s_cbranch_scc0 .LBB31_2341
; %bb.2340:
	global_load_ubyte v1, v[10:11], off
	s_mov_b64 s[18:19], 0
	s_mov_b64 s[22:23], -1
	s_waitcnt vmcnt(0)
	v_lshlrev_b32_e32 v3, 23, v1
	v_cvt_i32_f32_e32 v3, v3
	v_cmp_ne_u32_e32 vcc, 0, v1
	v_cndmask_b32_e32 v13, 0, v3, vcc
	s_branch .LBB31_2342
.LBB31_2341:
	s_mov_b64 s[18:19], -1
                                        ; implicit-def: $vgpr13
.LBB31_2342:
	s_mov_b64 s[24:25], 0
.LBB31_2343:
	s_and_b64 vcc, exec, s[24:25]
	s_cbranch_vccz .LBB31_2347
; %bb.2344:
	s_cmp_eq_u32 s29, 29
	s_cbranch_scc0 .LBB31_2346
; %bb.2345:
	global_load_dwordx2 v[13:14], v[10:11], off
	s_mov_b64 s[18:19], 0
	s_mov_b64 s[22:23], -1
	s_branch .LBB31_2347
.LBB31_2346:
	s_mov_b64 s[18:19], -1
                                        ; implicit-def: $vgpr13
.LBB31_2347:
	s_mov_b64 s[24:25], 0
.LBB31_2348:
	s_and_b64 vcc, exec, s[24:25]
	s_cbranch_vccz .LBB31_2364
; %bb.2349:
	s_cmp_lt_i32 s29, 27
	s_cbranch_scc1 .LBB31_2352
; %bb.2350:
	s_cmp_gt_i32 s29, 27
	s_cbranch_scc0 .LBB31_2353
; %bb.2351:
	global_load_dword v13, v[10:11], off
	s_mov_b64 s[22:23], 0
	s_branch .LBB31_2354
.LBB31_2352:
	s_mov_b64 s[22:23], -1
                                        ; implicit-def: $vgpr13
	s_branch .LBB31_2357
.LBB31_2353:
	s_mov_b64 s[22:23], -1
                                        ; implicit-def: $vgpr13
.LBB31_2354:
	s_andn2_b64 vcc, exec, s[22:23]
	s_cbranch_vccnz .LBB31_2356
; %bb.2355:
	global_load_ushort v13, v[10:11], off
.LBB31_2356:
	s_mov_b64 s[22:23], 0
.LBB31_2357:
	s_andn2_b64 vcc, exec, s[22:23]
	s_cbranch_vccnz .LBB31_2363
; %bb.2358:
	global_load_ubyte v1, v[10:11], off
	s_movk_i32 s22, 0x7f
	s_mov_b64 s[24:25], 0
	s_waitcnt vmcnt(0)
	v_cmp_lt_i16_e32 vcc, s22, v1
	s_and_saveexec_b64 s[22:23], vcc
	s_xor_b64 s[22:23], exec, s[22:23]
	s_cbranch_execz .LBB31_2375
; %bb.2359:
	s_movk_i32 s24, 0x80
	v_cmp_ne_u16_e32 vcc, s24, v1
	s_and_b64 s[24:25], vcc, exec
	s_andn2_saveexec_b64 s[22:23], s[22:23]
	s_cbranch_execnz .LBB31_2376
.LBB31_2360:
	s_or_b64 exec, exec, s[22:23]
	v_mov_b32_e32 v13, 0
	s_and_saveexec_b64 s[22:23], s[24:25]
	s_cbranch_execz .LBB31_2362
.LBB31_2361:
	v_lshlrev_b32_e32 v3, 24, v1
	v_and_b32_e32 v1, 0xffff, v1
	v_and_b32_e32 v5, 7, v1
	v_ffbh_u32_e32 v13, v5
	v_min_u32_e32 v13, 32, v13
	v_subrev_u32_e32 v14, 28, v13
	v_bfe_u32 v8, v1, 3, 4
	v_lshlrev_b32_e32 v1, v14, v1
	v_sub_u32_e32 v13, 29, v13
	v_and_b32_e32 v1, 7, v1
	v_cmp_eq_u32_e32 vcc, 0, v8
	v_cndmask_b32_e32 v8, v8, v13, vcc
	v_cndmask_b32_e32 v1, v5, v1, vcc
	v_mov_b32_e32 v5, 0x3b800000
	v_lshlrev_b32_e32 v1, 20, v1
	v_and_b32_e32 v3, 0x80000000, v3
	v_lshl_add_u32 v5, v8, 23, v5
	v_or3_b32 v1, v3, v5, v1
	v_cvt_i32_f32_e32 v13, v1
.LBB31_2362:
	s_or_b64 exec, exec, s[22:23]
.LBB31_2363:
	s_mov_b64 s[22:23], -1
.LBB31_2364:
	s_mov_b64 s[24:25], 0
.LBB31_2365:
	s_and_b64 vcc, exec, s[24:25]
	s_cbranch_vccz .LBB31_2396
; %bb.2366:
	s_cmp_gt_i32 s29, 22
	s_cbranch_scc0 .LBB31_2374
; %bb.2367:
	s_cmp_lt_i32 s29, 24
	s_cbranch_scc1 .LBB31_2377
; %bb.2368:
	s_cmp_gt_i32 s29, 24
	s_cbranch_scc0 .LBB31_2378
; %bb.2369:
	global_load_ubyte v1, v[10:11], off
	s_movk_i32 s20, 0x7f
	s_mov_b64 s[22:23], 0
	s_waitcnt vmcnt(0)
	v_cmp_lt_i16_e32 vcc, s20, v1
	s_and_saveexec_b64 s[20:21], vcc
	s_xor_b64 s[20:21], exec, s[20:21]
	s_cbranch_execz .LBB31_2390
; %bb.2370:
	s_movk_i32 s22, 0x80
	v_cmp_ne_u16_e32 vcc, s22, v1
	s_and_b64 s[22:23], vcc, exec
	s_andn2_saveexec_b64 s[20:21], s[20:21]
	s_cbranch_execnz .LBB31_2391
.LBB31_2371:
	s_or_b64 exec, exec, s[20:21]
	v_mov_b32_e32 v13, 0
	s_and_saveexec_b64 s[20:21], s[22:23]
	s_cbranch_execz .LBB31_2373
.LBB31_2372:
	v_lshlrev_b32_e32 v3, 24, v1
	v_and_b32_e32 v1, 0xffff, v1
	v_and_b32_e32 v5, 3, v1
	v_ffbh_u32_e32 v13, v5
	v_min_u32_e32 v13, 32, v13
	v_subrev_u32_e32 v14, 29, v13
	v_bfe_u32 v8, v1, 2, 5
	v_lshlrev_b32_e32 v1, v14, v1
	v_sub_u32_e32 v13, 30, v13
	v_and_b32_e32 v1, 3, v1
	v_cmp_eq_u32_e32 vcc, 0, v8
	v_cndmask_b32_e32 v8, v8, v13, vcc
	v_cndmask_b32_e32 v1, v5, v1, vcc
	v_mov_b32_e32 v5, 0x37800000
	v_lshlrev_b32_e32 v1, 21, v1
	v_and_b32_e32 v3, 0x80000000, v3
	v_lshl_add_u32 v5, v8, 23, v5
	v_or3_b32 v1, v3, v5, v1
	v_cvt_i32_f32_e32 v13, v1
.LBB31_2373:
	s_or_b64 exec, exec, s[20:21]
	s_mov_b64 s[20:21], 0
	s_branch .LBB31_2379
.LBB31_2374:
	s_mov_b64 s[20:21], -1
                                        ; implicit-def: $vgpr13
	s_branch .LBB31_2385
.LBB31_2375:
	s_andn2_saveexec_b64 s[22:23], s[22:23]
	s_cbranch_execz .LBB31_2360
.LBB31_2376:
	v_cmp_ne_u16_e32 vcc, 0, v1
	s_andn2_b64 s[24:25], s[24:25], exec
	s_and_b64 s[30:31], vcc, exec
	s_or_b64 s[24:25], s[24:25], s[30:31]
	s_or_b64 exec, exec, s[22:23]
	v_mov_b32_e32 v13, 0
	s_and_saveexec_b64 s[22:23], s[24:25]
	s_cbranch_execnz .LBB31_2361
	s_branch .LBB31_2362
.LBB31_2377:
	s_mov_b64 s[20:21], -1
                                        ; implicit-def: $vgpr13
	s_branch .LBB31_2382
.LBB31_2378:
	s_mov_b64 s[20:21], -1
                                        ; implicit-def: $vgpr13
.LBB31_2379:
	s_and_b64 vcc, exec, s[20:21]
	s_cbranch_vccz .LBB31_2381
; %bb.2380:
	global_load_ubyte v1, v[10:11], off
	s_mov_b32 s20, 0x7f800000
	s_waitcnt vmcnt(0)
	v_lshlrev_b32_e32 v1, 24, v1
	v_and_b32_e32 v3, 0x7f000000, v1
	v_ffbh_u32_e32 v5, v3
	v_min_u32_e32 v5, 32, v5
	v_sub_u32_e64 v5, v5, 4 clamp
	v_lshlrev_b32_e32 v13, v5, v3
	v_lshlrev_b32_e32 v5, 23, v5
	v_lshrrev_b32_e32 v13, 4, v13
	v_add_u32_e32 v8, 0x1000000, v3
	v_sub_u32_e32 v5, v13, v5
	v_ashrrev_i32_e32 v8, 8, v8
	v_add_u32_e32 v5, 0x3c000000, v5
	v_and_or_b32 v5, v8, s20, v5
	v_cmp_ne_u32_e32 vcc, 0, v3
	v_cndmask_b32_e32 v3, 0, v5, vcc
	s_brev_b32 s20, 1
	v_and_or_b32 v1, v1, s20, v3
	v_cvt_i32_f32_e32 v13, v1
.LBB31_2381:
	s_mov_b64 s[20:21], 0
.LBB31_2382:
	s_andn2_b64 vcc, exec, s[20:21]
	s_cbranch_vccnz .LBB31_2384
; %bb.2383:
	global_load_ubyte v1, v[10:11], off
	s_movk_i32 s20, 0x7f00
	s_brev_b32 s21, 16
	s_waitcnt vmcnt(0)
	v_lshlrev_b16_e32 v3, 8, v1
	v_lshlrev_b32_e32 v1, 25, v1
	v_lshrrev_b32_e32 v5, 4, v1
	v_and_or_b32 v8, v3, s20, 0.5
	v_or_b32_e32 v5, 0x70000000, v5
	v_add_f32_e32 v8, -0.5, v8
	v_mul_f32_e32 v5, 0x7800000, v5
	v_cmp_gt_u32_e32 vcc, s21, v1
	v_bfe_i32 v3, v3, 0, 16
	v_cndmask_b32_e32 v1, v5, v8, vcc
	s_brev_b32 s20, 1
	v_and_or_b32 v1, v3, s20, v1
	v_cvt_i32_f32_e32 v13, v1
.LBB31_2384:
	s_mov_b64 s[20:21], 0
	s_mov_b64 s[22:23], -1
.LBB31_2385:
	s_andn2_b64 vcc, exec, s[20:21]
	s_mov_b64 s[20:21], 0
	s_cbranch_vccnz .LBB31_2396
; %bb.2386:
	s_cmp_gt_i32 s29, 14
	s_cbranch_scc0 .LBB31_2389
; %bb.2387:
	s_cmp_eq_u32 s29, 15
	s_cbranch_scc0 .LBB31_2392
; %bb.2388:
	global_load_ushort v1, v[10:11], off
	s_mov_b64 s[18:19], 0
	s_mov_b64 s[22:23], -1
	s_waitcnt vmcnt(0)
	v_lshlrev_b32_e32 v1, 16, v1
	v_cvt_i32_f32_e32 v13, v1
	s_branch .LBB31_2393
.LBB31_2389:
	s_mov_b64 s[24:25], -1
                                        ; implicit-def: $vgpr13
	s_branch .LBB31_2394
.LBB31_2390:
	s_andn2_saveexec_b64 s[20:21], s[20:21]
	s_cbranch_execz .LBB31_2371
.LBB31_2391:
	v_cmp_ne_u16_e32 vcc, 0, v1
	s_andn2_b64 s[22:23], s[22:23], exec
	s_and_b64 s[24:25], vcc, exec
	s_or_b64 s[22:23], s[22:23], s[24:25]
	s_or_b64 exec, exec, s[20:21]
	v_mov_b32_e32 v13, 0
	s_and_saveexec_b64 s[20:21], s[22:23]
	s_cbranch_execnz .LBB31_2372
	s_branch .LBB31_2373
.LBB31_2392:
	s_mov_b64 s[18:19], -1
                                        ; implicit-def: $vgpr13
.LBB31_2393:
	s_mov_b64 s[24:25], 0
.LBB31_2394:
	s_and_b64 vcc, exec, s[24:25]
	s_cbranch_vccz .LBB31_2396
; %bb.2395:
	s_cmp_lg_u32 s29, 11
	s_mov_b64 s[20:21], -1
	s_cselect_b64 s[18:19], -1, 0
.LBB31_2396:
	s_and_b64 vcc, exec, s[18:19]
	s_cbranch_vccnz .LBB31_2478
; %bb.2397:
	s_andn2_b64 vcc, exec, s[20:21]
	s_cbranch_vccnz .LBB31_2399
.LBB31_2398:
	global_load_ubyte v1, v[10:11], off
	s_mov_b64 s[22:23], -1
	s_waitcnt vmcnt(0)
	v_cmp_ne_u16_e32 vcc, 0, v1
	v_cndmask_b32_e64 v13, 0, 1, vcc
.LBB31_2399:
	s_mov_b64 s[18:19], 0
.LBB31_2400:
	s_and_b64 vcc, exec, s[18:19]
	s_cbranch_vccz .LBB31_2449
; %bb.2401:
	s_and_b32 s20, 0xffff, s28
	s_cmp_lt_i32 s20, 5
	s_cbranch_scc1 .LBB31_2406
; %bb.2402:
	s_cmp_lt_i32 s20, 8
	s_cbranch_scc1 .LBB31_2407
; %bb.2403:
	;; [unrolled: 3-line block ×3, first 2 shown]
	s_cmp_gt_i32 s20, 9
	s_cbranch_scc0 .LBB31_2409
; %bb.2405:
	global_load_dwordx2 v[13:14], v[10:11], off
	s_mov_b64 s[18:19], 0
	s_waitcnt vmcnt(0)
	v_cvt_i32_f64_e32 v13, v[13:14]
	s_branch .LBB31_2410
.LBB31_2406:
	s_mov_b64 s[18:19], -1
                                        ; implicit-def: $vgpr13
	s_branch .LBB31_2428
.LBB31_2407:
	s_mov_b64 s[18:19], -1
                                        ; implicit-def: $vgpr13
	s_branch .LBB31_2416
.LBB31_2408:
	s_mov_b64 s[18:19], -1
                                        ; implicit-def: $vgpr13
	s_branch .LBB31_2413
.LBB31_2409:
	s_mov_b64 s[18:19], -1
                                        ; implicit-def: $vgpr13
.LBB31_2410:
	s_andn2_b64 vcc, exec, s[18:19]
	s_cbranch_vccnz .LBB31_2412
; %bb.2411:
	global_load_dword v1, v[10:11], off
	s_waitcnt vmcnt(0)
	v_cvt_i32_f32_e32 v13, v1
.LBB31_2412:
	s_mov_b64 s[18:19], 0
.LBB31_2413:
	s_andn2_b64 vcc, exec, s[18:19]
	s_cbranch_vccnz .LBB31_2415
; %bb.2414:
	global_load_dword v1, v[10:11], off
	s_waitcnt vmcnt(0)
	v_cvt_i16_f16_e32 v13, v1
.LBB31_2415:
	s_mov_b64 s[18:19], 0
.LBB31_2416:
	s_andn2_b64 vcc, exec, s[18:19]
	s_cbranch_vccnz .LBB31_2427
; %bb.2417:
	s_cmp_lt_i32 s20, 6
	s_cbranch_scc1 .LBB31_2420
; %bb.2418:
	s_cmp_gt_i32 s20, 6
	s_cbranch_scc0 .LBB31_2421
; %bb.2419:
	global_load_dwordx2 v[13:14], v[10:11], off
	s_mov_b64 s[18:19], 0
	s_waitcnt vmcnt(0)
	v_cvt_i32_f64_e32 v13, v[13:14]
	s_branch .LBB31_2422
.LBB31_2420:
	s_mov_b64 s[18:19], -1
                                        ; implicit-def: $vgpr13
	s_branch .LBB31_2425
.LBB31_2421:
	s_mov_b64 s[18:19], -1
                                        ; implicit-def: $vgpr13
.LBB31_2422:
	s_andn2_b64 vcc, exec, s[18:19]
	s_cbranch_vccnz .LBB31_2424
; %bb.2423:
	global_load_dword v1, v[10:11], off
	s_waitcnt vmcnt(0)
	v_cvt_i32_f32_e32 v13, v1
.LBB31_2424:
	s_mov_b64 s[18:19], 0
.LBB31_2425:
	s_andn2_b64 vcc, exec, s[18:19]
	s_cbranch_vccnz .LBB31_2427
; %bb.2426:
	global_load_ushort v1, v[10:11], off
	s_waitcnt vmcnt(0)
	v_cvt_i16_f16_e32 v13, v1
.LBB31_2427:
	s_mov_b64 s[18:19], 0
.LBB31_2428:
	s_andn2_b64 vcc, exec, s[18:19]
	s_cbranch_vccnz .LBB31_2448
; %bb.2429:
	s_cmp_lt_i32 s20, 2
	s_cbranch_scc1 .LBB31_2433
; %bb.2430:
	s_cmp_lt_i32 s20, 3
	s_cbranch_scc1 .LBB31_2434
; %bb.2431:
	s_cmp_gt_i32 s20, 3
	s_cbranch_scc0 .LBB31_2435
; %bb.2432:
	global_load_dwordx2 v[13:14], v[10:11], off
	s_mov_b64 s[18:19], 0
	s_branch .LBB31_2436
.LBB31_2433:
	s_mov_b64 s[18:19], -1
                                        ; implicit-def: $vgpr13
	s_branch .LBB31_2442
.LBB31_2434:
	s_mov_b64 s[18:19], -1
                                        ; implicit-def: $vgpr13
	s_branch .LBB31_2439
.LBB31_2435:
	s_mov_b64 s[18:19], -1
                                        ; implicit-def: $vgpr13
.LBB31_2436:
	s_andn2_b64 vcc, exec, s[18:19]
	s_cbranch_vccnz .LBB31_2438
; %bb.2437:
	global_load_dword v13, v[10:11], off
.LBB31_2438:
	s_mov_b64 s[18:19], 0
.LBB31_2439:
	s_andn2_b64 vcc, exec, s[18:19]
	s_cbranch_vccnz .LBB31_2441
; %bb.2440:
	global_load_ushort v13, v[10:11], off
.LBB31_2441:
	s_mov_b64 s[18:19], 0
.LBB31_2442:
	s_andn2_b64 vcc, exec, s[18:19]
	s_cbranch_vccnz .LBB31_2448
; %bb.2443:
	s_cmp_gt_i32 s20, 0
	s_cbranch_scc0 .LBB31_2445
; %bb.2444:
	global_load_ubyte v13, v[10:11], off
	s_mov_b64 s[18:19], 0
	s_branch .LBB31_2446
.LBB31_2445:
	s_mov_b64 s[18:19], -1
                                        ; implicit-def: $vgpr13
.LBB31_2446:
	s_andn2_b64 vcc, exec, s[18:19]
	s_cbranch_vccnz .LBB31_2448
; %bb.2447:
	global_load_ubyte v13, v[10:11], off
.LBB31_2448:
	s_mov_b64 s[22:23], -1
.LBB31_2449:
	s_andn2_b64 vcc, exec, s[22:23]
	s_cbranch_vccnz .LBB31_2723
; %bb.2450:
	s_cmp_lt_i32 s26, 1
	s_mov_b64 s[20:21], 0
	s_cbranch_scc1 .LBB31_2454
; %bb.2451:
	s_cmp_gt_i32 s26, 1
	s_cbranch_scc0 .LBB31_2455
; %bb.2452:
	s_cmp_eq_u32 s26, 2
	s_cbranch_scc0 .LBB31_2456
; %bb.2453:
	s_waitcnt vmcnt(0)
	v_cmp_le_i16_sdwa s[18:19], sext(v12), sext(v13) src0_sel:BYTE_0 src1_sel:BYTE_0
	s_mov_b64 s[22:23], 0
	s_branch .LBB31_2457
.LBB31_2454:
	s_mov_b64 s[24:25], -1
                                        ; implicit-def: $sgpr18_sgpr19
	s_mov_b64 s[22:23], 0
	s_branch .LBB31_2461
.LBB31_2455:
	s_mov_b64 s[24:25], -1
	s_mov_b64 s[22:23], 0
                                        ; implicit-def: $sgpr18_sgpr19
	s_branch .LBB31_2458
.LBB31_2456:
	s_mov_b64 s[22:23], -1
                                        ; implicit-def: $sgpr18_sgpr19
.LBB31_2457:
	s_mov_b64 s[24:25], 0
.LBB31_2458:
	s_and_b64 vcc, exec, s[24:25]
	s_cbranch_vccz .LBB31_2460
; %bb.2459:
	s_waitcnt vmcnt(0)
	v_cmp_gt_i16_sdwa s[24:25], sext(v12), sext(v13) src0_sel:BYTE_0 src1_sel:BYTE_0
	s_andn2_b64 s[18:19], s[18:19], exec
	s_and_b64 s[24:25], s[24:25], exec
	s_or_b64 s[18:19], s[18:19], s[24:25]
.LBB31_2460:
	s_mov_b64 s[24:25], 0
.LBB31_2461:
	s_and_b64 vcc, exec, s[24:25]
	s_cbranch_vccz .LBB31_2472
; %bb.2462:
	s_cmp_lg_u32 s26, 0
	s_mov_b64 s[20:21], -1
	s_cselect_b64 s[22:23], -1, 0
	s_andn2_b64 vcc, exec, s[22:23]
	s_cbranch_vccz .LBB31_2473
.LBB31_2463:
	s_andn2_b64 vcc, exec, s[20:21]
	s_cbranch_vccnz .LBB31_2465
.LBB31_2464:
	s_waitcnt vmcnt(0)
	v_cmp_ge_i16_sdwa s[20:21], sext(v12), sext(v13) src0_sel:BYTE_0 src1_sel:BYTE_0
	s_andn2_b64 s[18:19], s[18:19], exec
	s_and_b64 s[20:21], s[20:21], exec
	s_or_b64 s[18:19], s[18:19], s[20:21]
.LBB31_2465:
	v_mov_b32_e32 v1, s11
	v_add_co_u32_e32 v10, vcc, s10, v9
	s_cmp_lt_i32 s27, 11
	v_addc_co_u32_e32 v11, vcc, 0, v1, vcc
	s_cbranch_scc1 .LBB31_2474
; %bb.2466:
	s_and_b32 s29, 0xffff, s27
	s_cmp_gt_i32 s29, 25
	s_mov_b64 s[20:21], 0
	s_cbranch_scc0 .LBB31_2475
; %bb.2467:
	s_cmp_gt_i32 s29, 28
	s_cbranch_scc0 .LBB31_2476
; %bb.2468:
	s_cmp_gt_i32 s29, 43
	;; [unrolled: 3-line block ×3, first 2 shown]
	s_cbranch_scc0 .LBB31_2479
; %bb.2470:
	s_cmp_eq_u32 s29, 46
	s_mov_b64 s[24:25], 0
	s_cbranch_scc0 .LBB31_2480
; %bb.2471:
	global_load_dword v1, v[10:11], off
	s_mov_b64 s[10:11], 0
	s_mov_b64 s[22:23], -1
	s_waitcnt vmcnt(0)
	v_lshlrev_b32_e32 v1, 16, v1
	v_cvt_i32_f32_e32 v8, v1
	s_branch .LBB31_2481
.LBB31_2472:
	s_andn2_b64 vcc, exec, s[22:23]
	s_cbranch_vccnz .LBB31_2463
.LBB31_2473:
	s_waitcnt vmcnt(0)
	v_cmp_lt_i16_sdwa s[22:23], sext(v12), sext(v13) src0_sel:BYTE_0 src1_sel:BYTE_0
	s_andn2_b64 s[18:19], s[18:19], exec
	s_and_b64 s[22:23], s[22:23], exec
	s_or_b64 s[18:19], s[18:19], s[22:23]
	s_cbranch_execz .LBB31_2464
	s_branch .LBB31_2465
.LBB31_2474:
	s_mov_b64 s[10:11], -1
	s_mov_b64 s[22:23], 0
                                        ; implicit-def: $vgpr8
	s_branch .LBB31_2543
.LBB31_2475:
	s_mov_b64 s[24:25], -1
	s_mov_b64 s[22:23], 0
	s_mov_b64 s[10:11], 0
                                        ; implicit-def: $vgpr8
	s_branch .LBB31_2508
.LBB31_2476:
	s_mov_b64 s[24:25], -1
	s_mov_b64 s[22:23], 0
	s_mov_b64 s[10:11], 0
                                        ; implicit-def: $vgpr8
	s_branch .LBB31_2491
.LBB31_2477:
	s_mov_b64 s[24:25], -1
	s_mov_b64 s[22:23], 0
	s_mov_b64 s[10:11], 0
                                        ; implicit-def: $vgpr8
	s_branch .LBB31_2486
.LBB31_2478:
	s_trap 2
	s_or_b64 s[4:5], s[4:5], exec
	s_cbranch_execz .LBB31_2398
	s_branch .LBB31_2399
.LBB31_2479:
	s_mov_b64 s[24:25], -1
	s_mov_b64 s[22:23], 0
	s_mov_b64 s[10:11], 0
                                        ; implicit-def: $vgpr8
	s_branch .LBB31_2481
.LBB31_2480:
	s_mov_b64 s[10:11], -1
                                        ; implicit-def: $vgpr8
	s_mov_b64 s[22:23], 0
.LBB31_2481:
	s_and_b64 vcc, exec, s[24:25]
	s_cbranch_vccz .LBB31_2485
; %bb.2482:
	s_cmp_eq_u32 s29, 44
	s_cbranch_scc0 .LBB31_2484
; %bb.2483:
	global_load_ubyte v1, v[10:11], off
	s_mov_b64 s[10:11], 0
	s_mov_b64 s[22:23], -1
	s_waitcnt vmcnt(0)
	v_lshlrev_b32_e32 v3, 23, v1
	v_cvt_i32_f32_e32 v3, v3
	v_cmp_ne_u32_e32 vcc, 0, v1
	v_cndmask_b32_e32 v8, 0, v3, vcc
	s_branch .LBB31_2485
.LBB31_2484:
	s_mov_b64 s[10:11], -1
                                        ; implicit-def: $vgpr8
.LBB31_2485:
	s_mov_b64 s[24:25], 0
.LBB31_2486:
	s_and_b64 vcc, exec, s[24:25]
	s_cbranch_vccz .LBB31_2490
; %bb.2487:
	s_cmp_eq_u32 s29, 29
	s_cbranch_scc0 .LBB31_2489
; %bb.2488:
	global_load_dwordx2 v[8:9], v[10:11], off
	s_mov_b64 s[10:11], 0
	s_mov_b64 s[22:23], -1
	s_branch .LBB31_2490
.LBB31_2489:
	s_mov_b64 s[10:11], -1
                                        ; implicit-def: $vgpr8
.LBB31_2490:
	s_mov_b64 s[24:25], 0
.LBB31_2491:
	s_and_b64 vcc, exec, s[24:25]
	s_cbranch_vccz .LBB31_2507
; %bb.2492:
	s_cmp_lt_i32 s29, 27
	s_cbranch_scc1 .LBB31_2495
; %bb.2493:
	s_cmp_gt_i32 s29, 27
	s_cbranch_scc0 .LBB31_2496
; %bb.2494:
	global_load_dword v8, v[10:11], off
	s_mov_b64 s[22:23], 0
	s_branch .LBB31_2497
.LBB31_2495:
	s_mov_b64 s[22:23], -1
                                        ; implicit-def: $vgpr8
	s_branch .LBB31_2500
.LBB31_2496:
	s_mov_b64 s[22:23], -1
                                        ; implicit-def: $vgpr8
.LBB31_2497:
	s_andn2_b64 vcc, exec, s[22:23]
	s_cbranch_vccnz .LBB31_2499
; %bb.2498:
	global_load_ushort v8, v[10:11], off
.LBB31_2499:
	s_mov_b64 s[22:23], 0
.LBB31_2500:
	s_andn2_b64 vcc, exec, s[22:23]
	s_cbranch_vccnz .LBB31_2506
; %bb.2501:
	global_load_ubyte v1, v[10:11], off
	s_movk_i32 s22, 0x7f
	s_mov_b64 s[24:25], 0
	s_waitcnt vmcnt(0)
	v_cmp_lt_i16_e32 vcc, s22, v1
	s_and_saveexec_b64 s[22:23], vcc
	s_xor_b64 s[22:23], exec, s[22:23]
	s_cbranch_execz .LBB31_2518
; %bb.2502:
	s_movk_i32 s24, 0x80
	v_cmp_ne_u16_e32 vcc, s24, v1
	s_and_b64 s[24:25], vcc, exec
	s_andn2_saveexec_b64 s[22:23], s[22:23]
	s_cbranch_execnz .LBB31_2519
.LBB31_2503:
	s_or_b64 exec, exec, s[22:23]
	v_mov_b32_e32 v8, 0
	s_and_saveexec_b64 s[22:23], s[24:25]
	s_cbranch_execz .LBB31_2505
.LBB31_2504:
	v_lshlrev_b32_e32 v3, 24, v1
	v_and_b32_e32 v1, 0xffff, v1
	v_and_b32_e32 v5, 7, v1
	v_ffbh_u32_e32 v9, v5
	v_min_u32_e32 v9, 32, v9
	v_subrev_u32_e32 v12, 28, v9
	v_bfe_u32 v8, v1, 3, 4
	v_lshlrev_b32_e32 v1, v12, v1
	v_sub_u32_e32 v9, 29, v9
	v_and_b32_e32 v1, 7, v1
	v_cmp_eq_u32_e32 vcc, 0, v8
	v_cndmask_b32_e32 v8, v8, v9, vcc
	v_cndmask_b32_e32 v1, v5, v1, vcc
	v_mov_b32_e32 v5, 0x3b800000
	v_lshlrev_b32_e32 v1, 20, v1
	v_and_b32_e32 v3, 0x80000000, v3
	v_lshl_add_u32 v5, v8, 23, v5
	v_or3_b32 v1, v3, v5, v1
	v_cvt_i32_f32_e32 v8, v1
.LBB31_2505:
	s_or_b64 exec, exec, s[22:23]
.LBB31_2506:
	s_mov_b64 s[22:23], -1
.LBB31_2507:
	s_mov_b64 s[24:25], 0
.LBB31_2508:
	s_and_b64 vcc, exec, s[24:25]
	s_cbranch_vccz .LBB31_2539
; %bb.2509:
	s_cmp_gt_i32 s29, 22
	s_cbranch_scc0 .LBB31_2517
; %bb.2510:
	s_cmp_lt_i32 s29, 24
	s_cbranch_scc1 .LBB31_2520
; %bb.2511:
	s_cmp_gt_i32 s29, 24
	s_cbranch_scc0 .LBB31_2521
; %bb.2512:
	global_load_ubyte v1, v[10:11], off
	s_movk_i32 s20, 0x7f
	s_mov_b64 s[22:23], 0
	s_waitcnt vmcnt(0)
	v_cmp_lt_i16_e32 vcc, s20, v1
	s_and_saveexec_b64 s[20:21], vcc
	s_xor_b64 s[20:21], exec, s[20:21]
	s_cbranch_execz .LBB31_2533
; %bb.2513:
	s_movk_i32 s22, 0x80
	v_cmp_ne_u16_e32 vcc, s22, v1
	s_and_b64 s[22:23], vcc, exec
	s_andn2_saveexec_b64 s[20:21], s[20:21]
	s_cbranch_execnz .LBB31_2534
.LBB31_2514:
	s_or_b64 exec, exec, s[20:21]
	v_mov_b32_e32 v8, 0
	s_and_saveexec_b64 s[20:21], s[22:23]
	s_cbranch_execz .LBB31_2516
.LBB31_2515:
	v_lshlrev_b32_e32 v3, 24, v1
	v_and_b32_e32 v1, 0xffff, v1
	v_and_b32_e32 v5, 3, v1
	v_ffbh_u32_e32 v9, v5
	v_min_u32_e32 v9, 32, v9
	v_subrev_u32_e32 v12, 29, v9
	v_bfe_u32 v8, v1, 2, 5
	v_lshlrev_b32_e32 v1, v12, v1
	v_sub_u32_e32 v9, 30, v9
	v_and_b32_e32 v1, 3, v1
	v_cmp_eq_u32_e32 vcc, 0, v8
	v_cndmask_b32_e32 v8, v8, v9, vcc
	v_cndmask_b32_e32 v1, v5, v1, vcc
	v_mov_b32_e32 v5, 0x37800000
	v_lshlrev_b32_e32 v1, 21, v1
	v_and_b32_e32 v3, 0x80000000, v3
	v_lshl_add_u32 v5, v8, 23, v5
	v_or3_b32 v1, v3, v5, v1
	v_cvt_i32_f32_e32 v8, v1
.LBB31_2516:
	s_or_b64 exec, exec, s[20:21]
	s_mov_b64 s[20:21], 0
	s_branch .LBB31_2522
.LBB31_2517:
	s_mov_b64 s[20:21], -1
                                        ; implicit-def: $vgpr8
	s_branch .LBB31_2528
.LBB31_2518:
	s_andn2_saveexec_b64 s[22:23], s[22:23]
	s_cbranch_execz .LBB31_2503
.LBB31_2519:
	v_cmp_ne_u16_e32 vcc, 0, v1
	s_andn2_b64 s[24:25], s[24:25], exec
	s_and_b64 s[30:31], vcc, exec
	s_or_b64 s[24:25], s[24:25], s[30:31]
	s_or_b64 exec, exec, s[22:23]
	v_mov_b32_e32 v8, 0
	s_and_saveexec_b64 s[22:23], s[24:25]
	s_cbranch_execnz .LBB31_2504
	s_branch .LBB31_2505
.LBB31_2520:
	s_mov_b64 s[20:21], -1
                                        ; implicit-def: $vgpr8
	s_branch .LBB31_2525
.LBB31_2521:
	s_mov_b64 s[20:21], -1
                                        ; implicit-def: $vgpr8
.LBB31_2522:
	s_and_b64 vcc, exec, s[20:21]
	s_cbranch_vccz .LBB31_2524
; %bb.2523:
	global_load_ubyte v1, v[10:11], off
	s_mov_b32 s20, 0x7f800000
	s_waitcnt vmcnt(0)
	v_lshlrev_b32_e32 v1, 24, v1
	v_and_b32_e32 v3, 0x7f000000, v1
	v_ffbh_u32_e32 v5, v3
	v_min_u32_e32 v5, 32, v5
	v_sub_u32_e64 v5, v5, 4 clamp
	v_lshlrev_b32_e32 v9, v5, v3
	v_lshlrev_b32_e32 v5, 23, v5
	v_lshrrev_b32_e32 v9, 4, v9
	v_add_u32_e32 v8, 0x1000000, v3
	v_sub_u32_e32 v5, v9, v5
	v_ashrrev_i32_e32 v8, 8, v8
	v_add_u32_e32 v5, 0x3c000000, v5
	v_and_or_b32 v5, v8, s20, v5
	v_cmp_ne_u32_e32 vcc, 0, v3
	v_cndmask_b32_e32 v3, 0, v5, vcc
	s_brev_b32 s20, 1
	v_and_or_b32 v1, v1, s20, v3
	v_cvt_i32_f32_e32 v8, v1
.LBB31_2524:
	s_mov_b64 s[20:21], 0
.LBB31_2525:
	s_andn2_b64 vcc, exec, s[20:21]
	s_cbranch_vccnz .LBB31_2527
; %bb.2526:
	global_load_ubyte v1, v[10:11], off
	s_movk_i32 s20, 0x7f00
	s_brev_b32 s21, 16
	s_waitcnt vmcnt(0)
	v_lshlrev_b16_e32 v3, 8, v1
	v_lshlrev_b32_e32 v1, 25, v1
	v_lshrrev_b32_e32 v5, 4, v1
	v_and_or_b32 v8, v3, s20, 0.5
	v_or_b32_e32 v5, 0x70000000, v5
	v_add_f32_e32 v8, -0.5, v8
	v_mul_f32_e32 v5, 0x7800000, v5
	v_cmp_gt_u32_e32 vcc, s21, v1
	v_bfe_i32 v3, v3, 0, 16
	v_cndmask_b32_e32 v1, v5, v8, vcc
	s_brev_b32 s20, 1
	v_and_or_b32 v1, v3, s20, v1
	v_cvt_i32_f32_e32 v8, v1
.LBB31_2527:
	s_mov_b64 s[20:21], 0
	s_mov_b64 s[22:23], -1
.LBB31_2528:
	s_andn2_b64 vcc, exec, s[20:21]
	s_mov_b64 s[20:21], 0
	s_cbranch_vccnz .LBB31_2539
; %bb.2529:
	s_cmp_gt_i32 s29, 14
	s_cbranch_scc0 .LBB31_2532
; %bb.2530:
	s_cmp_eq_u32 s29, 15
	s_cbranch_scc0 .LBB31_2535
; %bb.2531:
	global_load_ushort v1, v[10:11], off
	s_mov_b64 s[10:11], 0
	s_mov_b64 s[22:23], -1
	s_waitcnt vmcnt(0)
	v_lshlrev_b32_e32 v1, 16, v1
	v_cvt_i32_f32_e32 v8, v1
	s_branch .LBB31_2536
.LBB31_2532:
	s_mov_b64 s[24:25], -1
                                        ; implicit-def: $vgpr8
	s_branch .LBB31_2537
.LBB31_2533:
	s_andn2_saveexec_b64 s[20:21], s[20:21]
	s_cbranch_execz .LBB31_2514
.LBB31_2534:
	v_cmp_ne_u16_e32 vcc, 0, v1
	s_andn2_b64 s[22:23], s[22:23], exec
	s_and_b64 s[24:25], vcc, exec
	s_or_b64 s[22:23], s[22:23], s[24:25]
	s_or_b64 exec, exec, s[20:21]
	v_mov_b32_e32 v8, 0
	s_and_saveexec_b64 s[20:21], s[22:23]
	s_cbranch_execnz .LBB31_2515
	s_branch .LBB31_2516
.LBB31_2535:
	s_mov_b64 s[10:11], -1
                                        ; implicit-def: $vgpr8
.LBB31_2536:
	s_mov_b64 s[24:25], 0
.LBB31_2537:
	s_and_b64 vcc, exec, s[24:25]
	s_cbranch_vccz .LBB31_2539
; %bb.2538:
	s_cmp_lg_u32 s29, 11
	s_mov_b64 s[20:21], -1
	s_cselect_b64 s[10:11], -1, 0
.LBB31_2539:
	s_and_b64 vcc, exec, s[10:11]
	s_cbranch_vccnz .LBB31_2604
; %bb.2540:
	s_andn2_b64 vcc, exec, s[20:21]
	s_cbranch_vccnz .LBB31_2542
.LBB31_2541:
	global_load_ubyte v1, v[10:11], off
	s_mov_b64 s[22:23], -1
	s_waitcnt vmcnt(0)
	v_cmp_ne_u16_e32 vcc, 0, v1
	v_cndmask_b32_e64 v8, 0, 1, vcc
.LBB31_2542:
	s_mov_b64 s[10:11], 0
.LBB31_2543:
	s_and_b64 vcc, exec, s[10:11]
	s_cbranch_vccz .LBB31_2592
; %bb.2544:
	s_and_b32 s20, 0xffff, s27
	s_cmp_lt_i32 s20, 5
	s_cbranch_scc1 .LBB31_2549
; %bb.2545:
	s_cmp_lt_i32 s20, 8
	s_cbranch_scc1 .LBB31_2550
; %bb.2546:
	s_cmp_lt_i32 s20, 9
	s_cbranch_scc1 .LBB31_2551
; %bb.2547:
	s_cmp_gt_i32 s20, 9
	s_cbranch_scc0 .LBB31_2552
; %bb.2548:
	global_load_dwordx2 v[8:9], v[10:11], off
	s_mov_b64 s[10:11], 0
	s_waitcnt vmcnt(0)
	v_cvt_i32_f64_e32 v8, v[8:9]
	s_branch .LBB31_2553
.LBB31_2549:
	s_mov_b64 s[10:11], -1
                                        ; implicit-def: $vgpr8
	s_branch .LBB31_2571
.LBB31_2550:
	s_mov_b64 s[10:11], -1
                                        ; implicit-def: $vgpr8
	s_branch .LBB31_2559
.LBB31_2551:
	s_mov_b64 s[10:11], -1
                                        ; implicit-def: $vgpr8
	s_branch .LBB31_2556
.LBB31_2552:
	s_mov_b64 s[10:11], -1
                                        ; implicit-def: $vgpr8
.LBB31_2553:
	s_andn2_b64 vcc, exec, s[10:11]
	s_cbranch_vccnz .LBB31_2555
; %bb.2554:
	global_load_dword v1, v[10:11], off
	s_waitcnt vmcnt(0)
	v_cvt_i32_f32_e32 v8, v1
.LBB31_2555:
	s_mov_b64 s[10:11], 0
.LBB31_2556:
	s_andn2_b64 vcc, exec, s[10:11]
	s_cbranch_vccnz .LBB31_2558
; %bb.2557:
	global_load_dword v1, v[10:11], off
	s_waitcnt vmcnt(0)
	v_cvt_i16_f16_e32 v8, v1
.LBB31_2558:
	s_mov_b64 s[10:11], 0
.LBB31_2559:
	s_andn2_b64 vcc, exec, s[10:11]
	s_cbranch_vccnz .LBB31_2570
; %bb.2560:
	s_cmp_lt_i32 s20, 6
	s_cbranch_scc1 .LBB31_2563
; %bb.2561:
	s_cmp_gt_i32 s20, 6
	s_cbranch_scc0 .LBB31_2564
; %bb.2562:
	global_load_dwordx2 v[8:9], v[10:11], off
	s_mov_b64 s[10:11], 0
	s_waitcnt vmcnt(0)
	v_cvt_i32_f64_e32 v8, v[8:9]
	s_branch .LBB31_2565
.LBB31_2563:
	s_mov_b64 s[10:11], -1
                                        ; implicit-def: $vgpr8
	s_branch .LBB31_2568
.LBB31_2564:
	s_mov_b64 s[10:11], -1
                                        ; implicit-def: $vgpr8
.LBB31_2565:
	s_andn2_b64 vcc, exec, s[10:11]
	s_cbranch_vccnz .LBB31_2567
; %bb.2566:
	global_load_dword v1, v[10:11], off
	s_waitcnt vmcnt(0)
	v_cvt_i32_f32_e32 v8, v1
.LBB31_2567:
	s_mov_b64 s[10:11], 0
.LBB31_2568:
	s_andn2_b64 vcc, exec, s[10:11]
	s_cbranch_vccnz .LBB31_2570
; %bb.2569:
	global_load_ushort v1, v[10:11], off
	s_waitcnt vmcnt(0)
	v_cvt_i16_f16_e32 v8, v1
.LBB31_2570:
	s_mov_b64 s[10:11], 0
.LBB31_2571:
	s_andn2_b64 vcc, exec, s[10:11]
	s_cbranch_vccnz .LBB31_2591
; %bb.2572:
	s_cmp_lt_i32 s20, 2
	s_cbranch_scc1 .LBB31_2576
; %bb.2573:
	s_cmp_lt_i32 s20, 3
	s_cbranch_scc1 .LBB31_2577
; %bb.2574:
	s_cmp_gt_i32 s20, 3
	s_cbranch_scc0 .LBB31_2578
; %bb.2575:
	global_load_dwordx2 v[8:9], v[10:11], off
	s_mov_b64 s[10:11], 0
	s_branch .LBB31_2579
.LBB31_2576:
	s_mov_b64 s[10:11], -1
                                        ; implicit-def: $vgpr8
	s_branch .LBB31_2585
.LBB31_2577:
	s_mov_b64 s[10:11], -1
                                        ; implicit-def: $vgpr8
	s_branch .LBB31_2582
.LBB31_2578:
	s_mov_b64 s[10:11], -1
                                        ; implicit-def: $vgpr8
.LBB31_2579:
	s_andn2_b64 vcc, exec, s[10:11]
	s_cbranch_vccnz .LBB31_2581
; %bb.2580:
	global_load_dword v8, v[10:11], off
.LBB31_2581:
	s_mov_b64 s[10:11], 0
.LBB31_2582:
	s_andn2_b64 vcc, exec, s[10:11]
	s_cbranch_vccnz .LBB31_2584
; %bb.2583:
	global_load_ushort v8, v[10:11], off
.LBB31_2584:
	s_mov_b64 s[10:11], 0
.LBB31_2585:
	s_andn2_b64 vcc, exec, s[10:11]
	s_cbranch_vccnz .LBB31_2591
; %bb.2586:
	s_cmp_gt_i32 s20, 0
	s_cbranch_scc0 .LBB31_2588
; %bb.2587:
	global_load_ubyte v8, v[10:11], off
	s_mov_b64 s[10:11], 0
	s_branch .LBB31_2589
.LBB31_2588:
	s_mov_b64 s[10:11], -1
                                        ; implicit-def: $vgpr8
.LBB31_2589:
	s_andn2_b64 vcc, exec, s[10:11]
	s_cbranch_vccnz .LBB31_2591
; %bb.2590:
	global_load_ubyte v8, v[10:11], off
.LBB31_2591:
	s_mov_b64 s[22:23], -1
.LBB31_2592:
	s_andn2_b64 vcc, exec, s[22:23]
	s_cbranch_vccnz .LBB31_2723
; %bb.2593:
	v_mov_b32_e32 v1, s1
	s_waitcnt vmcnt(0)
	v_add_co_u32_e32 v9, vcc, s0, v7
	s_cmp_lt_i32 s28, 11
	v_addc_co_u32_e32 v10, vcc, 0, v1, vcc
	s_cbranch_scc1 .LBB31_2600
; %bb.2594:
	s_and_b32 s24, 0xffff, s28
	s_cmp_gt_i32 s24, 25
	s_mov_b64 s[10:11], 0
	s_cbranch_scc0 .LBB31_2601
; %bb.2595:
	s_cmp_gt_i32 s24, 28
	s_cbranch_scc0 .LBB31_2602
; %bb.2596:
	s_cmp_gt_i32 s24, 43
	;; [unrolled: 3-line block ×3, first 2 shown]
	s_cbranch_scc0 .LBB31_2605
; %bb.2598:
	s_cmp_eq_u32 s24, 46
	s_mov_b64 s[22:23], 0
	s_cbranch_scc0 .LBB31_2606
; %bb.2599:
	global_load_dword v1, v[9:10], off
	s_mov_b64 s[0:1], 0
	s_mov_b64 s[20:21], -1
	s_waitcnt vmcnt(0)
	v_lshlrev_b32_e32 v1, 16, v1
	v_cvt_i32_f32_e32 v11, v1
	s_branch .LBB31_2607
.LBB31_2600:
	s_mov_b64 s[0:1], -1
	s_mov_b64 s[20:21], 0
                                        ; implicit-def: $vgpr11
	s_branch .LBB31_2669
.LBB31_2601:
	s_mov_b64 s[22:23], -1
	s_mov_b64 s[20:21], 0
	s_mov_b64 s[0:1], 0
                                        ; implicit-def: $vgpr11
	s_branch .LBB31_2634
.LBB31_2602:
	s_mov_b64 s[22:23], -1
	s_mov_b64 s[20:21], 0
	s_mov_b64 s[0:1], 0
                                        ; implicit-def: $vgpr11
	s_branch .LBB31_2617
.LBB31_2603:
	s_mov_b64 s[22:23], -1
	s_mov_b64 s[20:21], 0
	s_mov_b64 s[0:1], 0
                                        ; implicit-def: $vgpr11
	s_branch .LBB31_2612
.LBB31_2604:
	s_trap 2
	s_or_b64 s[4:5], s[4:5], exec
	s_cbranch_execz .LBB31_2541
	s_branch .LBB31_2542
.LBB31_2605:
	s_mov_b64 s[22:23], -1
	s_mov_b64 s[20:21], 0
	s_mov_b64 s[0:1], 0
                                        ; implicit-def: $vgpr11
	s_branch .LBB31_2607
.LBB31_2606:
	s_mov_b64 s[0:1], -1
                                        ; implicit-def: $vgpr11
	s_mov_b64 s[20:21], 0
.LBB31_2607:
	s_and_b64 vcc, exec, s[22:23]
	s_cbranch_vccz .LBB31_2611
; %bb.2608:
	s_cmp_eq_u32 s24, 44
	s_cbranch_scc0 .LBB31_2610
; %bb.2609:
	global_load_ubyte v1, v[9:10], off
	s_mov_b64 s[0:1], 0
	s_mov_b64 s[20:21], -1
	s_waitcnt vmcnt(0)
	v_lshlrev_b32_e32 v3, 23, v1
	v_cvt_i32_f32_e32 v3, v3
	v_cmp_ne_u32_e32 vcc, 0, v1
	v_cndmask_b32_e32 v11, 0, v3, vcc
	s_branch .LBB31_2611
.LBB31_2610:
	s_mov_b64 s[0:1], -1
                                        ; implicit-def: $vgpr11
.LBB31_2611:
	s_mov_b64 s[22:23], 0
.LBB31_2612:
	s_and_b64 vcc, exec, s[22:23]
	s_cbranch_vccz .LBB31_2616
; %bb.2613:
	s_cmp_eq_u32 s24, 29
	s_cbranch_scc0 .LBB31_2615
; %bb.2614:
	global_load_dwordx2 v[11:12], v[9:10], off
	s_mov_b64 s[0:1], 0
	s_mov_b64 s[20:21], -1
	s_branch .LBB31_2616
.LBB31_2615:
	s_mov_b64 s[0:1], -1
                                        ; implicit-def: $vgpr11
.LBB31_2616:
	s_mov_b64 s[22:23], 0
.LBB31_2617:
	s_and_b64 vcc, exec, s[22:23]
	s_cbranch_vccz .LBB31_2633
; %bb.2618:
	s_cmp_lt_i32 s24, 27
	s_cbranch_scc1 .LBB31_2621
; %bb.2619:
	s_cmp_gt_i32 s24, 27
	s_cbranch_scc0 .LBB31_2622
; %bb.2620:
	global_load_dword v11, v[9:10], off
	s_mov_b64 s[20:21], 0
	s_branch .LBB31_2623
.LBB31_2621:
	s_mov_b64 s[20:21], -1
                                        ; implicit-def: $vgpr11
	s_branch .LBB31_2626
.LBB31_2622:
	s_mov_b64 s[20:21], -1
                                        ; implicit-def: $vgpr11
.LBB31_2623:
	s_andn2_b64 vcc, exec, s[20:21]
	s_cbranch_vccnz .LBB31_2625
; %bb.2624:
	global_load_ushort v11, v[9:10], off
.LBB31_2625:
	s_mov_b64 s[20:21], 0
.LBB31_2626:
	s_andn2_b64 vcc, exec, s[20:21]
	s_cbranch_vccnz .LBB31_2632
; %bb.2627:
	global_load_ubyte v1, v[9:10], off
	s_movk_i32 s20, 0x7f
	s_mov_b64 s[22:23], 0
	s_waitcnt vmcnt(0)
	v_cmp_lt_i16_e32 vcc, s20, v1
	s_and_saveexec_b64 s[20:21], vcc
	s_xor_b64 s[20:21], exec, s[20:21]
	s_cbranch_execz .LBB31_2644
; %bb.2628:
	s_movk_i32 s22, 0x80
	v_cmp_ne_u16_e32 vcc, s22, v1
	s_and_b64 s[22:23], vcc, exec
	s_andn2_saveexec_b64 s[20:21], s[20:21]
	s_cbranch_execnz .LBB31_2645
.LBB31_2629:
	s_or_b64 exec, exec, s[20:21]
	v_mov_b32_e32 v11, 0
	s_and_saveexec_b64 s[20:21], s[22:23]
	s_cbranch_execz .LBB31_2631
.LBB31_2630:
	v_lshlrev_b32_e32 v3, 24, v1
	v_and_b32_e32 v1, 0xffff, v1
	v_and_b32_e32 v5, 7, v1
	v_ffbh_u32_e32 v11, v5
	v_min_u32_e32 v11, 32, v11
	v_subrev_u32_e32 v12, 28, v11
	v_bfe_u32 v7, v1, 3, 4
	v_lshlrev_b32_e32 v1, v12, v1
	v_sub_u32_e32 v11, 29, v11
	v_and_b32_e32 v1, 7, v1
	v_cmp_eq_u32_e32 vcc, 0, v7
	v_cndmask_b32_e32 v7, v7, v11, vcc
	v_cndmask_b32_e32 v1, v5, v1, vcc
	v_mov_b32_e32 v5, 0x3b800000
	v_lshlrev_b32_e32 v1, 20, v1
	v_and_b32_e32 v3, 0x80000000, v3
	v_lshl_add_u32 v5, v7, 23, v5
	v_or3_b32 v1, v3, v5, v1
	v_cvt_i32_f32_e32 v11, v1
.LBB31_2631:
	s_or_b64 exec, exec, s[20:21]
.LBB31_2632:
	s_mov_b64 s[20:21], -1
.LBB31_2633:
	s_mov_b64 s[22:23], 0
.LBB31_2634:
	s_and_b64 vcc, exec, s[22:23]
	s_cbranch_vccz .LBB31_2665
; %bb.2635:
	s_cmp_gt_i32 s24, 22
	s_cbranch_scc0 .LBB31_2643
; %bb.2636:
	s_cmp_lt_i32 s24, 24
	s_cbranch_scc1 .LBB31_2646
; %bb.2637:
	s_cmp_gt_i32 s24, 24
	s_cbranch_scc0 .LBB31_2647
; %bb.2638:
	global_load_ubyte v1, v[9:10], off
	s_movk_i32 s10, 0x7f
	s_mov_b64 s[20:21], 0
	s_waitcnt vmcnt(0)
	v_cmp_lt_i16_e32 vcc, s10, v1
	s_and_saveexec_b64 s[10:11], vcc
	s_xor_b64 s[10:11], exec, s[10:11]
	s_cbranch_execz .LBB31_2659
; %bb.2639:
	s_movk_i32 s20, 0x80
	v_cmp_ne_u16_e32 vcc, s20, v1
	s_and_b64 s[20:21], vcc, exec
	s_andn2_saveexec_b64 s[10:11], s[10:11]
	s_cbranch_execnz .LBB31_2660
.LBB31_2640:
	s_or_b64 exec, exec, s[10:11]
	v_mov_b32_e32 v11, 0
	s_and_saveexec_b64 s[10:11], s[20:21]
	s_cbranch_execz .LBB31_2642
.LBB31_2641:
	v_lshlrev_b32_e32 v3, 24, v1
	v_and_b32_e32 v1, 0xffff, v1
	v_and_b32_e32 v5, 3, v1
	v_ffbh_u32_e32 v11, v5
	v_min_u32_e32 v11, 32, v11
	v_subrev_u32_e32 v12, 29, v11
	v_bfe_u32 v7, v1, 2, 5
	v_lshlrev_b32_e32 v1, v12, v1
	v_sub_u32_e32 v11, 30, v11
	v_and_b32_e32 v1, 3, v1
	v_cmp_eq_u32_e32 vcc, 0, v7
	v_cndmask_b32_e32 v7, v7, v11, vcc
	v_cndmask_b32_e32 v1, v5, v1, vcc
	v_mov_b32_e32 v5, 0x37800000
	v_lshlrev_b32_e32 v1, 21, v1
	v_and_b32_e32 v3, 0x80000000, v3
	v_lshl_add_u32 v5, v7, 23, v5
	v_or3_b32 v1, v3, v5, v1
	v_cvt_i32_f32_e32 v11, v1
.LBB31_2642:
	s_or_b64 exec, exec, s[10:11]
	s_mov_b64 s[10:11], 0
	s_branch .LBB31_2648
.LBB31_2643:
	s_mov_b64 s[10:11], -1
                                        ; implicit-def: $vgpr11
	s_branch .LBB31_2654
.LBB31_2644:
	s_andn2_saveexec_b64 s[20:21], s[20:21]
	s_cbranch_execz .LBB31_2629
.LBB31_2645:
	v_cmp_ne_u16_e32 vcc, 0, v1
	s_andn2_b64 s[22:23], s[22:23], exec
	s_and_b64 s[30:31], vcc, exec
	s_or_b64 s[22:23], s[22:23], s[30:31]
	s_or_b64 exec, exec, s[20:21]
	v_mov_b32_e32 v11, 0
	s_and_saveexec_b64 s[20:21], s[22:23]
	s_cbranch_execnz .LBB31_2630
	s_branch .LBB31_2631
.LBB31_2646:
	s_mov_b64 s[10:11], -1
                                        ; implicit-def: $vgpr11
	s_branch .LBB31_2651
.LBB31_2647:
	s_mov_b64 s[10:11], -1
                                        ; implicit-def: $vgpr11
.LBB31_2648:
	s_and_b64 vcc, exec, s[10:11]
	s_cbranch_vccz .LBB31_2650
; %bb.2649:
	global_load_ubyte v1, v[9:10], off
	s_mov_b32 s10, 0x7f800000
	s_waitcnt vmcnt(0)
	v_lshlrev_b32_e32 v1, 24, v1
	v_and_b32_e32 v3, 0x7f000000, v1
	v_ffbh_u32_e32 v5, v3
	v_min_u32_e32 v5, 32, v5
	v_sub_u32_e64 v5, v5, 4 clamp
	v_lshlrev_b32_e32 v11, v5, v3
	v_lshlrev_b32_e32 v5, 23, v5
	v_lshrrev_b32_e32 v11, 4, v11
	v_add_u32_e32 v7, 0x1000000, v3
	v_sub_u32_e32 v5, v11, v5
	v_ashrrev_i32_e32 v7, 8, v7
	v_add_u32_e32 v5, 0x3c000000, v5
	v_and_or_b32 v5, v7, s10, v5
	v_cmp_ne_u32_e32 vcc, 0, v3
	v_cndmask_b32_e32 v3, 0, v5, vcc
	s_brev_b32 s10, 1
	v_and_or_b32 v1, v1, s10, v3
	v_cvt_i32_f32_e32 v11, v1
.LBB31_2650:
	s_mov_b64 s[10:11], 0
.LBB31_2651:
	s_andn2_b64 vcc, exec, s[10:11]
	s_cbranch_vccnz .LBB31_2653
; %bb.2652:
	global_load_ubyte v1, v[9:10], off
	s_movk_i32 s10, 0x7f00
	s_brev_b32 s11, 16
	s_waitcnt vmcnt(0)
	v_lshlrev_b16_e32 v3, 8, v1
	v_lshlrev_b32_e32 v1, 25, v1
	v_lshrrev_b32_e32 v5, 4, v1
	v_and_or_b32 v7, v3, s10, 0.5
	v_or_b32_e32 v5, 0x70000000, v5
	v_add_f32_e32 v7, -0.5, v7
	v_mul_f32_e32 v5, 0x7800000, v5
	v_cmp_gt_u32_e32 vcc, s11, v1
	v_bfe_i32 v3, v3, 0, 16
	v_cndmask_b32_e32 v1, v5, v7, vcc
	s_brev_b32 s10, 1
	v_and_or_b32 v1, v3, s10, v1
	v_cvt_i32_f32_e32 v11, v1
.LBB31_2653:
	s_mov_b64 s[10:11], 0
	s_mov_b64 s[20:21], -1
.LBB31_2654:
	s_andn2_b64 vcc, exec, s[10:11]
	s_mov_b64 s[10:11], 0
	s_cbranch_vccnz .LBB31_2665
; %bb.2655:
	s_cmp_gt_i32 s24, 14
	s_cbranch_scc0 .LBB31_2658
; %bb.2656:
	s_cmp_eq_u32 s24, 15
	s_cbranch_scc0 .LBB31_2661
; %bb.2657:
	global_load_ushort v1, v[9:10], off
	s_mov_b64 s[0:1], 0
	s_mov_b64 s[20:21], -1
	s_waitcnt vmcnt(0)
	v_lshlrev_b32_e32 v1, 16, v1
	v_cvt_i32_f32_e32 v11, v1
	s_branch .LBB31_2662
.LBB31_2658:
	s_mov_b64 s[22:23], -1
                                        ; implicit-def: $vgpr11
	s_branch .LBB31_2663
.LBB31_2659:
	s_andn2_saveexec_b64 s[10:11], s[10:11]
	s_cbranch_execz .LBB31_2640
.LBB31_2660:
	v_cmp_ne_u16_e32 vcc, 0, v1
	s_andn2_b64 s[20:21], s[20:21], exec
	s_and_b64 s[22:23], vcc, exec
	s_or_b64 s[20:21], s[20:21], s[22:23]
	s_or_b64 exec, exec, s[10:11]
	v_mov_b32_e32 v11, 0
	s_and_saveexec_b64 s[10:11], s[20:21]
	s_cbranch_execnz .LBB31_2641
	s_branch .LBB31_2642
.LBB31_2661:
	s_mov_b64 s[0:1], -1
                                        ; implicit-def: $vgpr11
.LBB31_2662:
	s_mov_b64 s[22:23], 0
.LBB31_2663:
	s_and_b64 vcc, exec, s[22:23]
	s_cbranch_vccz .LBB31_2665
; %bb.2664:
	s_cmp_lg_u32 s24, 11
	s_mov_b64 s[10:11], -1
	s_cselect_b64 s[0:1], -1, 0
.LBB31_2665:
	s_and_b64 vcc, exec, s[0:1]
	s_cbranch_vccnz .LBB31_3217
; %bb.2666:
	s_andn2_b64 vcc, exec, s[10:11]
	s_cbranch_vccnz .LBB31_2668
.LBB31_2667:
	global_load_ubyte v1, v[9:10], off
	s_mov_b64 s[20:21], -1
	s_waitcnt vmcnt(0)
	v_cmp_ne_u16_e32 vcc, 0, v1
	v_cndmask_b32_e64 v11, 0, 1, vcc
.LBB31_2668:
	s_mov_b64 s[0:1], 0
.LBB31_2669:
	s_and_b64 vcc, exec, s[0:1]
	s_cbranch_vccz .LBB31_2718
; %bb.2670:
	s_and_b32 s10, 0xffff, s28
	s_cmp_lt_i32 s10, 5
	s_cbranch_scc1 .LBB31_2675
; %bb.2671:
	s_cmp_lt_i32 s10, 8
	s_cbranch_scc1 .LBB31_2676
; %bb.2672:
	;; [unrolled: 3-line block ×3, first 2 shown]
	s_cmp_gt_i32 s10, 9
	s_cbranch_scc0 .LBB31_2678
; %bb.2674:
	global_load_dwordx2 v[11:12], v[9:10], off
	s_mov_b64 s[0:1], 0
	s_waitcnt vmcnt(0)
	v_cvt_i32_f64_e32 v11, v[11:12]
	s_branch .LBB31_2679
.LBB31_2675:
	s_mov_b64 s[0:1], -1
                                        ; implicit-def: $vgpr11
	s_branch .LBB31_2697
.LBB31_2676:
	s_mov_b64 s[0:1], -1
                                        ; implicit-def: $vgpr11
	s_branch .LBB31_2685
.LBB31_2677:
	s_mov_b64 s[0:1], -1
                                        ; implicit-def: $vgpr11
	s_branch .LBB31_2682
.LBB31_2678:
	s_mov_b64 s[0:1], -1
                                        ; implicit-def: $vgpr11
.LBB31_2679:
	s_andn2_b64 vcc, exec, s[0:1]
	s_cbranch_vccnz .LBB31_2681
; %bb.2680:
	global_load_dword v1, v[9:10], off
	s_waitcnt vmcnt(0)
	v_cvt_i32_f32_e32 v11, v1
.LBB31_2681:
	s_mov_b64 s[0:1], 0
.LBB31_2682:
	s_andn2_b64 vcc, exec, s[0:1]
	s_cbranch_vccnz .LBB31_2684
; %bb.2683:
	global_load_dword v1, v[9:10], off
	s_waitcnt vmcnt(0)
	v_cvt_i16_f16_e32 v11, v1
.LBB31_2684:
	s_mov_b64 s[0:1], 0
.LBB31_2685:
	s_andn2_b64 vcc, exec, s[0:1]
	s_cbranch_vccnz .LBB31_2696
; %bb.2686:
	s_cmp_lt_i32 s10, 6
	s_cbranch_scc1 .LBB31_2689
; %bb.2687:
	s_cmp_gt_i32 s10, 6
	s_cbranch_scc0 .LBB31_2690
; %bb.2688:
	global_load_dwordx2 v[11:12], v[9:10], off
	s_mov_b64 s[0:1], 0
	s_waitcnt vmcnt(0)
	v_cvt_i32_f64_e32 v11, v[11:12]
	s_branch .LBB31_2691
.LBB31_2689:
	s_mov_b64 s[0:1], -1
                                        ; implicit-def: $vgpr11
	s_branch .LBB31_2694
.LBB31_2690:
	s_mov_b64 s[0:1], -1
                                        ; implicit-def: $vgpr11
.LBB31_2691:
	s_andn2_b64 vcc, exec, s[0:1]
	s_cbranch_vccnz .LBB31_2693
; %bb.2692:
	global_load_dword v1, v[9:10], off
	s_waitcnt vmcnt(0)
	v_cvt_i32_f32_e32 v11, v1
.LBB31_2693:
	s_mov_b64 s[0:1], 0
.LBB31_2694:
	s_andn2_b64 vcc, exec, s[0:1]
	s_cbranch_vccnz .LBB31_2696
; %bb.2695:
	global_load_ushort v1, v[9:10], off
	s_waitcnt vmcnt(0)
	v_cvt_i16_f16_e32 v11, v1
.LBB31_2696:
	s_mov_b64 s[0:1], 0
.LBB31_2697:
	s_andn2_b64 vcc, exec, s[0:1]
	s_cbranch_vccnz .LBB31_2717
; %bb.2698:
	s_cmp_lt_i32 s10, 2
	s_cbranch_scc1 .LBB31_2702
; %bb.2699:
	s_cmp_lt_i32 s10, 3
	s_cbranch_scc1 .LBB31_2703
; %bb.2700:
	s_cmp_gt_i32 s10, 3
	s_cbranch_scc0 .LBB31_2704
; %bb.2701:
	global_load_dwordx2 v[11:12], v[9:10], off
	s_mov_b64 s[0:1], 0
	s_branch .LBB31_2705
.LBB31_2702:
	s_mov_b64 s[0:1], -1
                                        ; implicit-def: $vgpr11
	s_branch .LBB31_2711
.LBB31_2703:
	s_mov_b64 s[0:1], -1
                                        ; implicit-def: $vgpr11
	s_branch .LBB31_2708
.LBB31_2704:
	s_mov_b64 s[0:1], -1
                                        ; implicit-def: $vgpr11
.LBB31_2705:
	s_andn2_b64 vcc, exec, s[0:1]
	s_cbranch_vccnz .LBB31_2707
; %bb.2706:
	global_load_dword v11, v[9:10], off
.LBB31_2707:
	s_mov_b64 s[0:1], 0
.LBB31_2708:
	s_andn2_b64 vcc, exec, s[0:1]
	s_cbranch_vccnz .LBB31_2710
; %bb.2709:
	global_load_ushort v11, v[9:10], off
.LBB31_2710:
	s_mov_b64 s[0:1], 0
.LBB31_2711:
	s_andn2_b64 vcc, exec, s[0:1]
	s_cbranch_vccnz .LBB31_2717
; %bb.2712:
	s_cmp_gt_i32 s10, 0
	s_cbranch_scc0 .LBB31_2714
; %bb.2713:
	global_load_ubyte v11, v[9:10], off
	s_mov_b64 s[0:1], 0
	s_branch .LBB31_2715
.LBB31_2714:
	s_mov_b64 s[0:1], -1
                                        ; implicit-def: $vgpr11
.LBB31_2715:
	s_andn2_b64 vcc, exec, s[0:1]
	s_cbranch_vccnz .LBB31_2717
; %bb.2716:
	global_load_ubyte v11, v[9:10], off
.LBB31_2717:
	s_mov_b64 s[20:21], -1
.LBB31_2718:
	s_andn2_b64 vcc, exec, s[20:21]
	s_cbranch_vccnz .LBB31_2723
; %bb.2719:
	s_cmp_lt_i32 s26, 1
	s_mov_b64 s[0:1], 0
	s_cbranch_scc1 .LBB31_2769
; %bb.2720:
	s_cmp_gt_i32 s26, 1
	s_cbranch_scc0 .LBB31_2770
; %bb.2721:
	s_cmp_eq_u32 s26, 2
	s_cbranch_scc0 .LBB31_2771
; %bb.2722:
	s_waitcnt vmcnt(0)
	v_cmp_le_i16_sdwa s[10:11], sext(v8), sext(v11) src0_sel:BYTE_0 src1_sel:BYTE_0
	s_mov_b64 s[20:21], 0
	s_branch .LBB31_2772
.LBB31_2723:
	s_mov_b64 s[0:1], 0
                                        ; implicit-def: $sgpr10_sgpr11
.LBB31_2724:
	s_mov_b64 s[2:3], 0
                                        ; implicit-def: $vgpr0_vgpr1
                                        ; implicit-def: $sgpr26
.LBB31_2725:
	s_and_b64 s[6:7], s[2:3], exec
	s_andn2_b64 s[2:3], s[12:13], exec
	s_and_b64 s[4:5], s[4:5], exec
	s_and_b64 s[0:1], s[0:1], exec
	s_or_b64 s[12:13], s[2:3], s[4:5]
.LBB31_2726:
	s_or_b64 exec, exec, s[14:15]
	s_and_saveexec_b64 s[2:3], s[12:13]
	s_cbranch_execz .LBB31_2729
; %bb.2727:
	; divergent unreachable
	s_or_b64 exec, exec, s[2:3]
	s_and_saveexec_b64 s[2:3], s[6:7]
	s_xor_b64 s[2:3], exec, s[2:3]
	s_cbranch_execnz .LBB31_2730
.LBB31_2728:
	s_or_b64 exec, exec, s[2:3]
	s_and_saveexec_b64 s[2:3], s[0:1]
	s_cbranch_execnz .LBB31_2731
	s_branch .LBB31_2768
.LBB31_2729:
	s_or_b64 exec, exec, s[2:3]
	s_and_saveexec_b64 s[2:3], s[6:7]
	s_xor_b64 s[2:3], exec, s[2:3]
	s_cbranch_execz .LBB31_2728
.LBB31_2730:
	s_waitcnt vmcnt(0)
	v_cndmask_b32_e64 v2, 0, 1, s[10:11]
	global_store_byte v[0:1], v2, off
	s_or_b64 exec, exec, s[2:3]
	s_and_saveexec_b64 s[2:3], s[0:1]
	s_cbranch_execz .LBB31_2768
.LBB31_2731:
	s_sext_i32_i16 s2, s26
	s_cmp_lt_i32 s2, 5
	s_mov_b64 s[0:1], -1
	s_cbranch_scc1 .LBB31_2752
; %bb.2732:
	s_cmp_lt_i32 s2, 8
	s_cbranch_scc1 .LBB31_2742
; %bb.2733:
	s_cmp_lt_i32 s2, 9
	s_cbranch_scc1 .LBB31_2739
; %bb.2734:
	s_cmp_gt_i32 s2, 9
	s_cbranch_scc0 .LBB31_2736
; %bb.2735:
	s_waitcnt vmcnt(0)
	v_cndmask_b32_e64 v2, 0, 1, s[10:11]
	v_cvt_f64_u32_e32 v[2:3], v2
	v_mov_b32_e32 v4, 0
	v_mov_b32_e32 v5, v4
	s_mov_b64 s[0:1], 0
	global_store_dwordx4 v[0:1], v[2:5], off
.LBB31_2736:
	s_andn2_b64 vcc, exec, s[0:1]
	s_cbranch_vccnz .LBB31_2738
; %bb.2737:
	s_waitcnt vmcnt(0)
	v_cndmask_b32_e64 v2, 0, 1.0, s[10:11]
	v_mov_b32_e32 v3, 0
	global_store_dwordx2 v[0:1], v[2:3], off
.LBB31_2738:
	s_mov_b64 s[0:1], 0
.LBB31_2739:
	s_andn2_b64 vcc, exec, s[0:1]
	s_cbranch_vccnz .LBB31_2741
; %bb.2740:
	s_waitcnt vmcnt(0)
	v_cndmask_b32_e64 v2, 0, 1.0, s[10:11]
	v_cvt_f16_f32_e32 v2, v2
	global_store_dword v[0:1], v2, off
.LBB31_2741:
	s_mov_b64 s[0:1], 0
.LBB31_2742:
	s_andn2_b64 vcc, exec, s[0:1]
	s_cbranch_vccnz .LBB31_2751
; %bb.2743:
	s_sext_i32_i16 s2, s26
	s_cmp_lt_i32 s2, 6
	s_mov_b64 s[0:1], -1
	s_cbranch_scc1 .LBB31_2749
; %bb.2744:
	s_cmp_gt_i32 s2, 6
	s_cbranch_scc0 .LBB31_2746
; %bb.2745:
	s_waitcnt vmcnt(0)
	v_cndmask_b32_e64 v2, 0, 1, s[10:11]
	v_cvt_f64_u32_e32 v[2:3], v2
	s_mov_b64 s[0:1], 0
	global_store_dwordx2 v[0:1], v[2:3], off
.LBB31_2746:
	s_andn2_b64 vcc, exec, s[0:1]
	s_cbranch_vccnz .LBB31_2748
; %bb.2747:
	s_waitcnt vmcnt(0)
	v_cndmask_b32_e64 v2, 0, 1.0, s[10:11]
	global_store_dword v[0:1], v2, off
.LBB31_2748:
	s_mov_b64 s[0:1], 0
.LBB31_2749:
	s_andn2_b64 vcc, exec, s[0:1]
	s_cbranch_vccnz .LBB31_2751
; %bb.2750:
	s_waitcnt vmcnt(0)
	v_cndmask_b32_e64 v2, 0, 1.0, s[10:11]
	v_cvt_f16_f32_e32 v2, v2
	global_store_short v[0:1], v2, off
.LBB31_2751:
	s_mov_b64 s[0:1], 0
.LBB31_2752:
	s_andn2_b64 vcc, exec, s[0:1]
	s_cbranch_vccnz .LBB31_2768
; %bb.2753:
	s_sext_i32_i16 s2, s26
	s_cmp_lt_i32 s2, 2
	s_mov_b64 s[0:1], -1
	s_cbranch_scc1 .LBB31_2763
; %bb.2754:
	s_cmp_lt_i32 s2, 3
	s_cbranch_scc1 .LBB31_2760
; %bb.2755:
	s_cmp_gt_i32 s2, 3
	s_cbranch_scc0 .LBB31_2757
; %bb.2756:
	s_mov_b32 s0, 0
	s_waitcnt vmcnt(0)
	v_cndmask_b32_e64 v2, 0, 1, s[10:11]
	v_mov_b32_e32 v3, s0
	global_store_dwordx2 v[0:1], v[2:3], off
	s_mov_b64 s[0:1], 0
.LBB31_2757:
	s_andn2_b64 vcc, exec, s[0:1]
	s_cbranch_vccnz .LBB31_2759
; %bb.2758:
	s_waitcnt vmcnt(0)
	v_cndmask_b32_e64 v2, 0, 1, s[10:11]
	global_store_dword v[0:1], v2, off
.LBB31_2759:
	s_mov_b64 s[0:1], 0
.LBB31_2760:
	s_andn2_b64 vcc, exec, s[0:1]
	s_cbranch_vccnz .LBB31_2762
; %bb.2761:
	s_waitcnt vmcnt(0)
	v_cndmask_b32_e64 v2, 0, 1, s[10:11]
	global_store_short v[0:1], v2, off
.LBB31_2762:
	s_mov_b64 s[0:1], 0
.LBB31_2763:
	s_andn2_b64 vcc, exec, s[0:1]
	s_cbranch_vccnz .LBB31_2768
; %bb.2764:
	s_sext_i32_i16 s0, s26
	s_cmp_gt_i32 s0, 0
	s_mov_b64 s[0:1], -1
	s_cbranch_scc0 .LBB31_2766
; %bb.2765:
	s_waitcnt vmcnt(0)
	v_cndmask_b32_e64 v2, 0, 1, s[10:11]
	global_store_byte v[0:1], v2, off
	s_mov_b64 s[0:1], 0
.LBB31_2766:
	s_andn2_b64 vcc, exec, s[0:1]
	s_cbranch_vccnz .LBB31_2768
; %bb.2767:
	s_waitcnt vmcnt(0)
	v_cndmask_b32_e64 v2, 0, 1, s[10:11]
	global_store_byte v[0:1], v2, off
	s_endpgm
.LBB31_2768:
	s_endpgm
.LBB31_2769:
	s_mov_b64 s[22:23], -1
                                        ; implicit-def: $sgpr10_sgpr11
	s_mov_b64 s[20:21], 0
	s_branch .LBB31_2776
.LBB31_2770:
	s_mov_b64 s[22:23], -1
	s_mov_b64 s[20:21], 0
                                        ; implicit-def: $sgpr10_sgpr11
	s_branch .LBB31_2773
.LBB31_2771:
	s_mov_b64 s[20:21], -1
                                        ; implicit-def: $sgpr10_sgpr11
.LBB31_2772:
	s_mov_b64 s[22:23], 0
.LBB31_2773:
	s_and_b64 vcc, exec, s[22:23]
	s_cbranch_vccz .LBB31_2775
; %bb.2774:
	s_waitcnt vmcnt(0)
	v_cmp_gt_i16_sdwa s[22:23], sext(v8), sext(v11) src0_sel:BYTE_0 src1_sel:BYTE_0
	s_andn2_b64 s[10:11], s[10:11], exec
	s_and_b64 s[22:23], s[22:23], exec
	s_or_b64 s[10:11], s[10:11], s[22:23]
.LBB31_2775:
	s_mov_b64 s[22:23], 0
.LBB31_2776:
	s_and_b64 vcc, exec, s[22:23]
	s_cbranch_vccz .LBB31_2858
; %bb.2777:
	s_cmp_lg_u32 s26, 0
	s_mov_b64 s[0:1], -1
	s_cselect_b64 s[20:21], -1, 0
	s_andn2_b64 vcc, exec, s[20:21]
	s_cbranch_vccz .LBB31_2859
.LBB31_2778:
	s_andn2_b64 vcc, exec, s[0:1]
	s_cbranch_vccnz .LBB31_2780
.LBB31_2779:
	s_waitcnt vmcnt(0)
	v_cmp_ge_i16_sdwa s[0:1], sext(v8), sext(v11) src0_sel:BYTE_0 src1_sel:BYTE_0
	s_andn2_b64 s[10:11], s[10:11], exec
	s_and_b64 s[0:1], s[0:1], exec
	s_or_b64 s[10:11], s[10:11], s[0:1]
.LBB31_2780:
	s_load_dword s0, s[2:3], 0x1a4
	v_mov_b32_e32 v1, s9
	v_add_co_u32_e32 v5, vcc, s8, v6
	v_addc_co_u32_e32 v6, vcc, 0, v1, vcc
	s_waitcnt lgkmcnt(0)
	s_and_b32 s26, s0, 0xff
	s_cmp_lt_i32 s26, 11
	s_cbranch_scc1 .LBB31_2860
; %bb.2781:
	s_and_b32 s27, 0xffff, s26
	s_mov_b64 s[22:23], -1
	s_mov_b64 s[2:3], 0
	s_cmp_gt_i32 s27, 25
	s_mov_b64 s[20:21], 0
	s_mov_b64 s[0:1], 0
	s_cbranch_scc0 .LBB31_2814
; %bb.2782:
	s_cmp_gt_i32 s27, 28
	s_cbranch_scc0 .LBB31_2797
; %bb.2783:
	s_cmp_gt_i32 s27, 43
	;; [unrolled: 3-line block ×3, first 2 shown]
	s_cbranch_scc0 .LBB31_2787
; %bb.2785:
	s_mov_b64 s[0:1], -1
	s_mov_b64 s[22:23], 0
	s_cmp_eq_u32 s27, 46
	s_cbranch_scc0 .LBB31_2787
; %bb.2786:
	v_cndmask_b32_e64 v1, 0, 1.0, s[6:7]
	v_bfe_u32 v3, v1, 16, 1
	s_movk_i32 s0, 0x7fff
	v_add3_u32 v1, v1, v3, s0
	v_lshrrev_b32_e32 v1, 16, v1
	global_store_dword v[5:6], v1, off
	s_mov_b64 s[0:1], 0
	s_mov_b64 s[20:21], -1
.LBB31_2787:
	s_and_b64 vcc, exec, s[22:23]
	s_cbranch_vccz .LBB31_2792
; %bb.2788:
	s_cmp_eq_u32 s27, 44
	s_mov_b64 s[0:1], -1
	s_cbranch_scc0 .LBB31_2792
; %bb.2789:
	v_cndmask_b32_e64 v3, 0, 1.0, s[6:7]
	v_lshrrev_b32_e32 v1, 23, v3
	s_movk_i32 s0, 0xff
	v_cmp_ne_u32_e32 vcc, s0, v1
	v_mov_b32_e32 v7, 0xff
	s_and_saveexec_b64 s[20:21], vcc
; %bb.2790:
	s_mov_b32 s0, 0x3fffff
	v_and_b32_e32 v7, 0x400000, v3
	v_and_or_b32 v3, v3, s0, v1
	v_cmp_ne_u32_e32 vcc, 0, v7
	v_cmp_ne_u32_e64 s[0:1], 0, v3
	s_and_b64 s[0:1], vcc, s[0:1]
	v_cndmask_b32_e64 v3, 0, 1, s[0:1]
	v_add_u32_e32 v7, v1, v3
; %bb.2791:
	s_or_b64 exec, exec, s[20:21]
	s_mov_b64 s[0:1], 0
	s_mov_b64 s[20:21], -1
	global_store_byte v[5:6], v7, off
.LBB31_2792:
	s_mov_b64 s[22:23], 0
.LBB31_2793:
	s_and_b64 vcc, exec, s[22:23]
	s_cbranch_vccz .LBB31_2796
; %bb.2794:
	s_cmp_eq_u32 s27, 29
	s_mov_b64 s[0:1], -1
	s_cbranch_scc0 .LBB31_2796
; %bb.2795:
	s_mov_b32 s0, 0
	v_cndmask_b32_e64 v7, 0, 1, s[6:7]
	v_mov_b32_e32 v8, s0
	global_store_dwordx2 v[5:6], v[7:8], off
	s_mov_b64 s[0:1], 0
	s_mov_b64 s[20:21], -1
.LBB31_2796:
	s_mov_b64 s[22:23], 0
.LBB31_2797:
	s_and_b64 vcc, exec, s[22:23]
	s_cbranch_vccz .LBB31_2813
; %bb.2798:
	s_cmp_lt_i32 s27, 27
	s_mov_b64 s[20:21], -1
	s_cbranch_scc1 .LBB31_2804
; %bb.2799:
	s_cmp_gt_i32 s27, 27
	s_cbranch_scc0 .LBB31_2801
; %bb.2800:
	v_cndmask_b32_e64 v1, 0, 1, s[6:7]
	s_mov_b64 s[20:21], 0
	global_store_dword v[5:6], v1, off
.LBB31_2801:
	s_andn2_b64 vcc, exec, s[20:21]
	s_cbranch_vccnz .LBB31_2803
; %bb.2802:
	v_cndmask_b32_e64 v1, 0, 1, s[6:7]
	global_store_short v[5:6], v1, off
.LBB31_2803:
	s_mov_b64 s[20:21], 0
.LBB31_2804:
	s_andn2_b64 vcc, exec, s[20:21]
	s_cbranch_vccnz .LBB31_2812
; %bb.2805:
	v_cndmask_b32_e64 v3, 0, 1.0, s[6:7]
	s_mov_b32 s20, 0x43800000
	v_cmp_gt_u32_e32 vcc, s20, v3
	v_mov_b32_e32 v7, 0x80
	s_and_saveexec_b64 s[20:21], vcc
	s_cbranch_execz .LBB31_2811
; %bb.2806:
	s_mov_b32 s22, 0x3bffffff
	v_cmp_lt_u32_e32 vcc, s22, v3
	s_mov_b64 s[22:23], 0
                                        ; implicit-def: $vgpr1
	s_and_saveexec_b64 s[24:25], vcc
	s_xor_b64 s[24:25], exec, s[24:25]
	s_cbranch_execz .LBB31_3218
; %bb.2807:
	v_bfe_u32 v1, v3, 20, 1
	s_mov_b32 s28, 0x487ffff
	v_add3_u32 v1, v3, v1, s28
	s_mov_b64 s[22:23], exec
	v_lshrrev_b32_e32 v1, 20, v1
                                        ; implicit-def: $vgpr3
	s_andn2_saveexec_b64 s[24:25], s[24:25]
	s_cbranch_execnz .LBB31_3219
.LBB31_2808:
	s_or_b64 exec, exec, s[24:25]
	v_mov_b32_e32 v7, 0
	s_and_saveexec_b64 s[24:25], s[22:23]
.LBB31_2809:
	v_mov_b32_e32 v7, v1
.LBB31_2810:
	s_or_b64 exec, exec, s[24:25]
.LBB31_2811:
	s_or_b64 exec, exec, s[20:21]
	global_store_byte v[5:6], v7, off
.LBB31_2812:
	s_mov_b64 s[20:21], -1
.LBB31_2813:
	s_mov_b64 s[22:23], 0
.LBB31_2814:
	s_and_b64 vcc, exec, s[22:23]
	s_cbranch_vccz .LBB31_2854
; %bb.2815:
	s_cmp_gt_i32 s27, 22
	s_mov_b64 s[2:3], -1
	s_cbranch_scc0 .LBB31_2847
; %bb.2816:
	s_cmp_lt_i32 s27, 24
	s_cbranch_scc1 .LBB31_2836
; %bb.2817:
	s_cmp_gt_i32 s27, 24
	s_cbranch_scc0 .LBB31_2825
; %bb.2818:
	v_cndmask_b32_e64 v3, 0, 1.0, s[6:7]
	s_mov_b32 s2, 0x47800000
	v_cmp_gt_u32_e32 vcc, s2, v3
	v_mov_b32_e32 v7, 0x80
	s_and_saveexec_b64 s[2:3], vcc
	s_cbranch_execz .LBB31_2824
; %bb.2819:
	s_mov_b32 s20, 0x37ffffff
	v_cmp_lt_u32_e32 vcc, s20, v3
	s_mov_b64 s[20:21], 0
                                        ; implicit-def: $vgpr1
	s_and_saveexec_b64 s[22:23], vcc
	s_xor_b64 s[22:23], exec, s[22:23]
	s_cbranch_execz .LBB31_3221
; %bb.2820:
	v_bfe_u32 v1, v3, 21, 1
	s_mov_b32 s24, 0x88fffff
	v_add3_u32 v1, v3, v1, s24
	s_mov_b64 s[20:21], exec
	v_lshrrev_b32_e32 v1, 21, v1
                                        ; implicit-def: $vgpr3
	s_andn2_saveexec_b64 s[22:23], s[22:23]
	s_cbranch_execnz .LBB31_3222
.LBB31_2821:
	s_or_b64 exec, exec, s[22:23]
	v_mov_b32_e32 v7, 0
	s_and_saveexec_b64 s[22:23], s[20:21]
.LBB31_2822:
	v_mov_b32_e32 v7, v1
.LBB31_2823:
	s_or_b64 exec, exec, s[22:23]
.LBB31_2824:
	s_or_b64 exec, exec, s[2:3]
	s_mov_b64 s[2:3], 0
	global_store_byte v[5:6], v7, off
.LBB31_2825:
	s_and_b64 vcc, exec, s[2:3]
	s_cbranch_vccz .LBB31_2835
; %bb.2826:
	v_cndmask_b32_e64 v1, 0, 1.0, s[6:7]
	s_mov_b32 s2, 0x43f00000
	v_cmp_gt_u32_e32 vcc, s2, v1
                                        ; implicit-def: $vgpr3
	s_and_saveexec_b64 s[2:3], vcc
	s_xor_b64 s[2:3], exec, s[2:3]
	s_cbranch_execz .LBB31_2832
; %bb.2827:
	s_mov_b32 s20, 0x3c7fffff
	v_cmp_lt_u32_e32 vcc, s20, v1
                                        ; implicit-def: $vgpr3
	s_and_saveexec_b64 s[20:21], vcc
	s_xor_b64 s[20:21], exec, s[20:21]
; %bb.2828:
	v_bfe_u32 v3, v1, 20, 1
	s_mov_b32 s22, 0x407ffff
	v_add3_u32 v1, v1, v3, s22
	v_lshrrev_b32_e32 v3, 20, v1
	v_and_b32_e32 v1, 0xff00000, v1
	s_mov_b32 s22, 0x7f00000
	v_mov_b32_e32 v7, 0x7e
	v_cmp_ne_u32_e32 vcc, s22, v1
	v_cndmask_b32_e32 v3, v7, v3, vcc
                                        ; implicit-def: $vgpr1
; %bb.2829:
	s_andn2_saveexec_b64 s[20:21], s[20:21]
; %bb.2830:
	v_add_f32_e32 v3, 0x46800000, v1
; %bb.2831:
	s_or_b64 exec, exec, s[20:21]
                                        ; implicit-def: $vgpr1
.LBB31_2832:
	s_andn2_saveexec_b64 s[2:3], s[2:3]
; %bb.2833:
	s_mov_b32 s20, 0x7f800000
	v_mov_b32_e32 v3, 0x7e
	v_mov_b32_e32 v7, 0x7f
	v_cmp_lt_u32_e32 vcc, s20, v1
	v_cndmask_b32_e32 v3, v3, v7, vcc
; %bb.2834:
	s_or_b64 exec, exec, s[2:3]
	global_store_byte v[5:6], v3, off
.LBB31_2835:
	s_mov_b64 s[2:3], 0
.LBB31_2836:
	s_andn2_b64 vcc, exec, s[2:3]
	s_cbranch_vccnz .LBB31_2846
; %bb.2837:
	v_cndmask_b32_e64 v1, 0, 1.0, s[6:7]
	s_mov_b32 s2, 0x47800000
	v_cmp_gt_u32_e32 vcc, s2, v1
                                        ; implicit-def: $vgpr3
	s_and_saveexec_b64 s[2:3], vcc
	s_xor_b64 s[2:3], exec, s[2:3]
	s_cbranch_execz .LBB31_2843
; %bb.2838:
	s_mov_b32 s20, 0x387fffff
	v_cmp_lt_u32_e32 vcc, s20, v1
                                        ; implicit-def: $vgpr3
	s_and_saveexec_b64 s[20:21], vcc
	s_xor_b64 s[20:21], exec, s[20:21]
; %bb.2839:
	v_bfe_u32 v3, v1, 21, 1
	s_mov_b32 s22, 0x80fffff
	v_add3_u32 v1, v1, v3, s22
	v_lshrrev_b32_e32 v3, 21, v1
                                        ; implicit-def: $vgpr1
; %bb.2840:
	s_andn2_saveexec_b64 s[20:21], s[20:21]
; %bb.2841:
	v_add_f32_e32 v3, 0x43000000, v1
; %bb.2842:
	s_or_b64 exec, exec, s[20:21]
                                        ; implicit-def: $vgpr1
.LBB31_2843:
	s_andn2_saveexec_b64 s[2:3], s[2:3]
; %bb.2844:
	s_mov_b32 s20, 0x7f800000
	v_mov_b32_e32 v3, 0x7c
	v_mov_b32_e32 v7, 0x7f
	v_cmp_lt_u32_e32 vcc, s20, v1
	v_cndmask_b32_e32 v3, v3, v7, vcc
; %bb.2845:
	s_or_b64 exec, exec, s[2:3]
	global_store_byte v[5:6], v3, off
.LBB31_2846:
	s_mov_b64 s[2:3], 0
	s_mov_b64 s[20:21], -1
.LBB31_2847:
	s_andn2_b64 vcc, exec, s[2:3]
	s_mov_b64 s[2:3], 0
	s_cbranch_vccnz .LBB31_2854
; %bb.2848:
	s_cmp_gt_i32 s27, 14
	s_mov_b64 s[22:23], -1
	s_cbranch_scc0 .LBB31_2852
; %bb.2849:
	s_cmp_eq_u32 s27, 15
	s_mov_b64 s[0:1], -1
	s_cbranch_scc0 .LBB31_2851
; %bb.2850:
	v_cndmask_b32_e64 v1, 0, 1.0, s[6:7]
	v_bfe_u32 v3, v1, 16, 1
	s_movk_i32 s0, 0x7fff
	v_add3_u32 v1, v1, v3, s0
	global_store_short_d16_hi v[5:6], v1, off
	s_mov_b64 s[0:1], 0
	s_mov_b64 s[20:21], -1
.LBB31_2851:
	s_mov_b64 s[22:23], 0
.LBB31_2852:
	s_and_b64 vcc, exec, s[22:23]
	s_cbranch_vccz .LBB31_2854
; %bb.2853:
	s_cmp_lg_u32 s27, 11
	s_mov_b64 s[2:3], -1
	s_cselect_b64 s[0:1], -1, 0
.LBB31_2854:
	s_and_b64 vcc, exec, s[0:1]
	s_cbranch_vccnz .LBB31_3220
; %bb.2855:
	s_andn2_b64 vcc, exec, s[2:3]
	s_cbranch_vccnz .LBB31_2857
.LBB31_2856:
	v_cndmask_b32_e64 v1, 0, 1, s[6:7]
	s_mov_b64 s[20:21], -1
	global_store_byte v[5:6], v1, off
.LBB31_2857:
	s_mov_b64 s[0:1], 0
	s_branch .LBB31_2861
.LBB31_2858:
	s_andn2_b64 vcc, exec, s[20:21]
	s_cbranch_vccnz .LBB31_2778
.LBB31_2859:
	s_waitcnt vmcnt(0)
	v_cmp_lt_i16_sdwa s[20:21], sext(v8), sext(v11) src0_sel:BYTE_0 src1_sel:BYTE_0
	s_andn2_b64 s[10:11], s[10:11], exec
	s_and_b64 s[20:21], s[20:21], exec
	s_or_b64 s[10:11], s[10:11], s[20:21]
	s_cbranch_execz .LBB31_2779
	s_branch .LBB31_2780
.LBB31_2860:
	s_mov_b64 s[0:1], -1
	s_mov_b64 s[20:21], 0
.LBB31_2861:
	s_and_b64 vcc, exec, s[0:1]
	s_cbranch_vccz .LBB31_2900
; %bb.2862:
	s_and_b32 s2, 0xffff, s26
	s_cmp_lt_i32 s2, 5
	s_mov_b64 s[0:1], -1
	s_cbranch_scc1 .LBB31_2883
; %bb.2863:
	s_cmp_lt_i32 s2, 8
	s_cbranch_scc1 .LBB31_2873
; %bb.2864:
	s_cmp_lt_i32 s2, 9
	s_cbranch_scc1 .LBB31_2870
; %bb.2865:
	s_cmp_gt_i32 s2, 9
	s_cbranch_scc0 .LBB31_2867
; %bb.2866:
	v_cndmask_b32_e64 v1, 0, 1, s[6:7]
	v_cvt_f64_u32_e32 v[7:8], v1
	v_mov_b32_e32 v9, 0
	v_mov_b32_e32 v10, v9
	s_mov_b64 s[0:1], 0
	global_store_dwordx4 v[5:6], v[7:10], off
.LBB31_2867:
	s_andn2_b64 vcc, exec, s[0:1]
	s_cbranch_vccnz .LBB31_2869
; %bb.2868:
	v_cndmask_b32_e64 v7, 0, 1.0, s[6:7]
	v_mov_b32_e32 v8, 0
	global_store_dwordx2 v[5:6], v[7:8], off
.LBB31_2869:
	s_mov_b64 s[0:1], 0
.LBB31_2870:
	s_andn2_b64 vcc, exec, s[0:1]
	s_cbranch_vccnz .LBB31_2872
; %bb.2871:
	v_cndmask_b32_e64 v1, 0, 1.0, s[6:7]
	v_cvt_f16_f32_e32 v1, v1
	global_store_dword v[5:6], v1, off
.LBB31_2872:
	s_mov_b64 s[0:1], 0
.LBB31_2873:
	s_andn2_b64 vcc, exec, s[0:1]
	s_cbranch_vccnz .LBB31_2882
; %bb.2874:
	s_cmp_lt_i32 s2, 6
	s_mov_b64 s[0:1], -1
	s_cbranch_scc1 .LBB31_2880
; %bb.2875:
	s_cmp_gt_i32 s2, 6
	s_cbranch_scc0 .LBB31_2877
; %bb.2876:
	v_cndmask_b32_e64 v1, 0, 1, s[6:7]
	v_cvt_f64_u32_e32 v[7:8], v1
	s_mov_b64 s[0:1], 0
	global_store_dwordx2 v[5:6], v[7:8], off
.LBB31_2877:
	s_andn2_b64 vcc, exec, s[0:1]
	s_cbranch_vccnz .LBB31_2879
; %bb.2878:
	v_cndmask_b32_e64 v1, 0, 1.0, s[6:7]
	global_store_dword v[5:6], v1, off
.LBB31_2879:
	s_mov_b64 s[0:1], 0
.LBB31_2880:
	s_andn2_b64 vcc, exec, s[0:1]
	s_cbranch_vccnz .LBB31_2882
; %bb.2881:
	v_cndmask_b32_e64 v1, 0, 1.0, s[6:7]
	v_cvt_f16_f32_e32 v1, v1
	global_store_short v[5:6], v1, off
.LBB31_2882:
	s_mov_b64 s[0:1], 0
.LBB31_2883:
	s_andn2_b64 vcc, exec, s[0:1]
	s_cbranch_vccnz .LBB31_2899
; %bb.2884:
	s_cmp_lt_i32 s2, 2
	s_mov_b64 s[0:1], -1
	s_cbranch_scc1 .LBB31_2894
; %bb.2885:
	s_cmp_lt_i32 s2, 3
	s_cbranch_scc1 .LBB31_2891
; %bb.2886:
	s_cmp_gt_i32 s2, 3
	s_cbranch_scc0 .LBB31_2888
; %bb.2887:
	s_mov_b32 s0, 0
	v_cndmask_b32_e64 v7, 0, 1, s[6:7]
	v_mov_b32_e32 v8, s0
	global_store_dwordx2 v[5:6], v[7:8], off
	s_mov_b64 s[0:1], 0
.LBB31_2888:
	s_andn2_b64 vcc, exec, s[0:1]
	s_cbranch_vccnz .LBB31_2890
; %bb.2889:
	v_cndmask_b32_e64 v1, 0, 1, s[6:7]
	global_store_dword v[5:6], v1, off
.LBB31_2890:
	s_mov_b64 s[0:1], 0
.LBB31_2891:
	s_andn2_b64 vcc, exec, s[0:1]
	s_cbranch_vccnz .LBB31_2893
; %bb.2892:
	v_cndmask_b32_e64 v1, 0, 1, s[6:7]
	global_store_short v[5:6], v1, off
.LBB31_2893:
	s_mov_b64 s[0:1], 0
.LBB31_2894:
	s_andn2_b64 vcc, exec, s[0:1]
	s_cbranch_vccnz .LBB31_2899
; %bb.2895:
	s_mov_b64 s[0:1], -1
	s_cmp_gt_i32 s2, 0
	v_cndmask_b32_e64 v1, 0, 1, s[6:7]
	s_cbranch_scc0 .LBB31_2897
; %bb.2896:
	global_store_byte v[5:6], v1, off
	s_mov_b64 s[0:1], 0
.LBB31_2897:
	s_andn2_b64 vcc, exec, s[0:1]
	s_cbranch_vccnz .LBB31_2899
; %bb.2898:
	global_store_byte v[5:6], v1, off
.LBB31_2899:
	s_mov_b64 s[20:21], -1
.LBB31_2900:
	s_andn2_b64 vcc, exec, s[20:21]
	s_cbranch_vccnz .LBB31_3215
; %bb.2901:
	v_mov_b32_e32 v1, s9
	s_and_b32 s24, 0xffff, s26
	v_add_co_u32_e32 v3, vcc, s8, v4
	s_cmp_lt_i32 s24, 11
	v_addc_co_u32_e32 v4, vcc, 0, v1, vcc
	s_cbranch_scc1 .LBB31_2979
; %bb.2902:
	s_mov_b64 s[20:21], -1
	s_mov_b64 s[2:3], 0
	s_cmp_gt_i32 s24, 25
	s_mov_b64 s[6:7], 0
	s_mov_b64 s[0:1], 0
	s_cbranch_scc0 .LBB31_2935
; %bb.2903:
	s_cmp_gt_i32 s24, 28
	s_cbranch_scc0 .LBB31_2918
; %bb.2904:
	s_cmp_gt_i32 s24, 43
	;; [unrolled: 3-line block ×3, first 2 shown]
	s_cbranch_scc0 .LBB31_2908
; %bb.2906:
	s_mov_b64 s[0:1], -1
	s_mov_b64 s[20:21], 0
	s_cmp_eq_u32 s24, 46
	s_cbranch_scc0 .LBB31_2908
; %bb.2907:
	v_cndmask_b32_e64 v1, 0, 1.0, s[16:17]
	v_bfe_u32 v5, v1, 16, 1
	s_movk_i32 s0, 0x7fff
	v_add3_u32 v1, v1, v5, s0
	v_lshrrev_b32_e32 v1, 16, v1
	global_store_dword v[3:4], v1, off
	s_mov_b64 s[0:1], 0
	s_mov_b64 s[6:7], -1
.LBB31_2908:
	s_and_b64 vcc, exec, s[20:21]
	s_cbranch_vccz .LBB31_2913
; %bb.2909:
	s_cmp_eq_u32 s24, 44
	s_mov_b64 s[0:1], -1
	s_cbranch_scc0 .LBB31_2913
; %bb.2910:
	v_cndmask_b32_e64 v5, 0, 1.0, s[16:17]
	v_lshrrev_b32_e32 v1, 23, v5
	s_movk_i32 s0, 0xff
	v_cmp_ne_u32_e32 vcc, s0, v1
	v_mov_b32_e32 v6, 0xff
	s_and_saveexec_b64 s[6:7], vcc
; %bb.2911:
	s_mov_b32 s0, 0x3fffff
	v_and_b32_e32 v6, 0x400000, v5
	v_and_or_b32 v5, v5, s0, v1
	v_cmp_ne_u32_e32 vcc, 0, v6
	v_cmp_ne_u32_e64 s[0:1], 0, v5
	s_and_b64 s[0:1], vcc, s[0:1]
	v_cndmask_b32_e64 v5, 0, 1, s[0:1]
	v_add_u32_e32 v6, v1, v5
; %bb.2912:
	s_or_b64 exec, exec, s[6:7]
	s_mov_b64 s[0:1], 0
	s_mov_b64 s[6:7], -1
	global_store_byte v[3:4], v6, off
.LBB31_2913:
	s_mov_b64 s[20:21], 0
.LBB31_2914:
	s_and_b64 vcc, exec, s[20:21]
	s_cbranch_vccz .LBB31_2917
; %bb.2915:
	s_cmp_eq_u32 s24, 29
	s_mov_b64 s[0:1], -1
	s_cbranch_scc0 .LBB31_2917
; %bb.2916:
	s_mov_b32 s0, 0
	v_cndmask_b32_e64 v5, 0, 1, s[16:17]
	v_mov_b32_e32 v6, s0
	global_store_dwordx2 v[3:4], v[5:6], off
	s_mov_b64 s[0:1], 0
	s_mov_b64 s[6:7], -1
.LBB31_2917:
	s_mov_b64 s[20:21], 0
.LBB31_2918:
	s_and_b64 vcc, exec, s[20:21]
	s_cbranch_vccz .LBB31_2934
; %bb.2919:
	s_cmp_lt_i32 s24, 27
	s_mov_b64 s[6:7], -1
	s_cbranch_scc1 .LBB31_2925
; %bb.2920:
	s_cmp_gt_i32 s24, 27
	s_cbranch_scc0 .LBB31_2922
; %bb.2921:
	v_cndmask_b32_e64 v1, 0, 1, s[16:17]
	s_mov_b64 s[6:7], 0
	global_store_dword v[3:4], v1, off
.LBB31_2922:
	s_andn2_b64 vcc, exec, s[6:7]
	s_cbranch_vccnz .LBB31_2924
; %bb.2923:
	v_cndmask_b32_e64 v1, 0, 1, s[16:17]
	global_store_short v[3:4], v1, off
.LBB31_2924:
	s_mov_b64 s[6:7], 0
.LBB31_2925:
	s_andn2_b64 vcc, exec, s[6:7]
	s_cbranch_vccnz .LBB31_2933
; %bb.2926:
	v_cndmask_b32_e64 v5, 0, 1.0, s[16:17]
	s_mov_b32 s6, 0x43800000
	v_cmp_gt_u32_e32 vcc, s6, v5
	v_mov_b32_e32 v6, 0x80
	s_and_saveexec_b64 s[6:7], vcc
	s_cbranch_execz .LBB31_2932
; %bb.2927:
	s_mov_b32 s20, 0x3bffffff
	v_cmp_lt_u32_e32 vcc, s20, v5
	s_mov_b64 s[20:21], 0
                                        ; implicit-def: $vgpr1
	s_and_saveexec_b64 s[22:23], vcc
	s_xor_b64 s[22:23], exec, s[22:23]
	s_cbranch_execz .LBB31_3223
; %bb.2928:
	v_bfe_u32 v1, v5, 20, 1
	s_mov_b32 s25, 0x487ffff
	v_add3_u32 v1, v5, v1, s25
	s_mov_b64 s[20:21], exec
	v_lshrrev_b32_e32 v1, 20, v1
                                        ; implicit-def: $vgpr5
	s_andn2_saveexec_b64 s[22:23], s[22:23]
	s_cbranch_execnz .LBB31_3224
.LBB31_2929:
	s_or_b64 exec, exec, s[22:23]
	v_mov_b32_e32 v6, 0
	s_and_saveexec_b64 s[22:23], s[20:21]
.LBB31_2930:
	v_mov_b32_e32 v6, v1
.LBB31_2931:
	s_or_b64 exec, exec, s[22:23]
.LBB31_2932:
	s_or_b64 exec, exec, s[6:7]
	global_store_byte v[3:4], v6, off
.LBB31_2933:
	s_mov_b64 s[6:7], -1
.LBB31_2934:
	s_mov_b64 s[20:21], 0
.LBB31_2935:
	s_and_b64 vcc, exec, s[20:21]
	s_cbranch_vccz .LBB31_2975
; %bb.2936:
	s_cmp_gt_i32 s24, 22
	s_mov_b64 s[2:3], -1
	s_cbranch_scc0 .LBB31_2968
; %bb.2937:
	s_cmp_lt_i32 s24, 24
	s_cbranch_scc1 .LBB31_2957
; %bb.2938:
	s_cmp_gt_i32 s24, 24
	s_cbranch_scc0 .LBB31_2946
; %bb.2939:
	v_cndmask_b32_e64 v5, 0, 1.0, s[16:17]
	s_mov_b32 s2, 0x47800000
	v_cmp_gt_u32_e32 vcc, s2, v5
	v_mov_b32_e32 v6, 0x80
	s_and_saveexec_b64 s[2:3], vcc
	s_cbranch_execz .LBB31_2945
; %bb.2940:
	s_mov_b32 s6, 0x37ffffff
	v_cmp_lt_u32_e32 vcc, s6, v5
	s_mov_b64 s[6:7], 0
                                        ; implicit-def: $vgpr1
	s_and_saveexec_b64 s[20:21], vcc
	s_xor_b64 s[20:21], exec, s[20:21]
	s_cbranch_execz .LBB31_3226
; %bb.2941:
	v_bfe_u32 v1, v5, 21, 1
	s_mov_b32 s22, 0x88fffff
	v_add3_u32 v1, v5, v1, s22
	s_mov_b64 s[6:7], exec
	v_lshrrev_b32_e32 v1, 21, v1
                                        ; implicit-def: $vgpr5
	s_andn2_saveexec_b64 s[20:21], s[20:21]
	s_cbranch_execnz .LBB31_3227
.LBB31_2942:
	s_or_b64 exec, exec, s[20:21]
	v_mov_b32_e32 v6, 0
	s_and_saveexec_b64 s[20:21], s[6:7]
.LBB31_2943:
	v_mov_b32_e32 v6, v1
.LBB31_2944:
	s_or_b64 exec, exec, s[20:21]
.LBB31_2945:
	s_or_b64 exec, exec, s[2:3]
	s_mov_b64 s[2:3], 0
	global_store_byte v[3:4], v6, off
.LBB31_2946:
	s_and_b64 vcc, exec, s[2:3]
	s_cbranch_vccz .LBB31_2956
; %bb.2947:
	v_cndmask_b32_e64 v1, 0, 1.0, s[16:17]
	s_mov_b32 s2, 0x43f00000
	v_cmp_gt_u32_e32 vcc, s2, v1
                                        ; implicit-def: $vgpr5
	s_and_saveexec_b64 s[2:3], vcc
	s_xor_b64 s[2:3], exec, s[2:3]
	s_cbranch_execz .LBB31_2953
; %bb.2948:
	s_mov_b32 s6, 0x3c7fffff
	v_cmp_lt_u32_e32 vcc, s6, v1
                                        ; implicit-def: $vgpr5
	s_and_saveexec_b64 s[6:7], vcc
	s_xor_b64 s[6:7], exec, s[6:7]
; %bb.2949:
	v_bfe_u32 v5, v1, 20, 1
	s_mov_b32 s20, 0x407ffff
	v_add3_u32 v1, v1, v5, s20
	v_lshrrev_b32_e32 v5, 20, v1
	v_and_b32_e32 v1, 0xff00000, v1
	s_mov_b32 s20, 0x7f00000
	v_mov_b32_e32 v6, 0x7e
	v_cmp_ne_u32_e32 vcc, s20, v1
	v_cndmask_b32_e32 v5, v6, v5, vcc
                                        ; implicit-def: $vgpr1
; %bb.2950:
	s_andn2_saveexec_b64 s[6:7], s[6:7]
; %bb.2951:
	v_add_f32_e32 v5, 0x46800000, v1
; %bb.2952:
	s_or_b64 exec, exec, s[6:7]
                                        ; implicit-def: $vgpr1
.LBB31_2953:
	s_andn2_saveexec_b64 s[2:3], s[2:3]
; %bb.2954:
	s_mov_b32 s6, 0x7f800000
	v_mov_b32_e32 v5, 0x7e
	v_mov_b32_e32 v6, 0x7f
	v_cmp_lt_u32_e32 vcc, s6, v1
	v_cndmask_b32_e32 v5, v5, v6, vcc
; %bb.2955:
	s_or_b64 exec, exec, s[2:3]
	global_store_byte v[3:4], v5, off
.LBB31_2956:
	s_mov_b64 s[2:3], 0
.LBB31_2957:
	s_andn2_b64 vcc, exec, s[2:3]
	s_cbranch_vccnz .LBB31_2967
; %bb.2958:
	v_cndmask_b32_e64 v1, 0, 1.0, s[16:17]
	s_mov_b32 s2, 0x47800000
	v_cmp_gt_u32_e32 vcc, s2, v1
                                        ; implicit-def: $vgpr5
	s_and_saveexec_b64 s[2:3], vcc
	s_xor_b64 s[2:3], exec, s[2:3]
	s_cbranch_execz .LBB31_2964
; %bb.2959:
	s_mov_b32 s6, 0x387fffff
	v_cmp_lt_u32_e32 vcc, s6, v1
                                        ; implicit-def: $vgpr5
	s_and_saveexec_b64 s[6:7], vcc
	s_xor_b64 s[6:7], exec, s[6:7]
; %bb.2960:
	v_bfe_u32 v5, v1, 21, 1
	s_mov_b32 s20, 0x80fffff
	v_add3_u32 v1, v1, v5, s20
	v_lshrrev_b32_e32 v5, 21, v1
                                        ; implicit-def: $vgpr1
; %bb.2961:
	s_andn2_saveexec_b64 s[6:7], s[6:7]
; %bb.2962:
	v_add_f32_e32 v5, 0x43000000, v1
; %bb.2963:
	s_or_b64 exec, exec, s[6:7]
                                        ; implicit-def: $vgpr1
.LBB31_2964:
	s_andn2_saveexec_b64 s[2:3], s[2:3]
; %bb.2965:
	s_mov_b32 s6, 0x7f800000
	v_mov_b32_e32 v5, 0x7c
	v_mov_b32_e32 v6, 0x7f
	v_cmp_lt_u32_e32 vcc, s6, v1
	v_cndmask_b32_e32 v5, v5, v6, vcc
; %bb.2966:
	s_or_b64 exec, exec, s[2:3]
	global_store_byte v[3:4], v5, off
.LBB31_2967:
	s_mov_b64 s[2:3], 0
	s_mov_b64 s[6:7], -1
.LBB31_2968:
	s_andn2_b64 vcc, exec, s[2:3]
	s_mov_b64 s[2:3], 0
	s_cbranch_vccnz .LBB31_2975
; %bb.2969:
	s_cmp_gt_i32 s24, 14
	s_mov_b64 s[20:21], -1
	s_cbranch_scc0 .LBB31_2973
; %bb.2970:
	s_cmp_eq_u32 s24, 15
	s_mov_b64 s[0:1], -1
	s_cbranch_scc0 .LBB31_2972
; %bb.2971:
	v_cndmask_b32_e64 v1, 0, 1.0, s[16:17]
	v_bfe_u32 v5, v1, 16, 1
	s_movk_i32 s0, 0x7fff
	v_add3_u32 v1, v1, v5, s0
	global_store_short_d16_hi v[3:4], v1, off
	s_mov_b64 s[0:1], 0
	s_mov_b64 s[6:7], -1
.LBB31_2972:
	s_mov_b64 s[20:21], 0
.LBB31_2973:
	s_and_b64 vcc, exec, s[20:21]
	s_cbranch_vccz .LBB31_2975
; %bb.2974:
	s_cmp_lg_u32 s24, 11
	s_mov_b64 s[2:3], -1
	s_cselect_b64 s[0:1], -1, 0
.LBB31_2975:
	s_and_b64 vcc, exec, s[0:1]
	s_cbranch_vccnz .LBB31_3225
; %bb.2976:
	s_andn2_b64 vcc, exec, s[2:3]
	s_cbranch_vccnz .LBB31_2978
.LBB31_2977:
	v_cndmask_b32_e64 v1, 0, 1, s[16:17]
	s_mov_b64 s[6:7], -1
	global_store_byte v[3:4], v1, off
.LBB31_2978:
	s_mov_b64 s[0:1], 0
	s_branch .LBB31_2980
.LBB31_2979:
	s_mov_b64 s[0:1], -1
	s_mov_b64 s[6:7], 0
.LBB31_2980:
	s_and_b64 vcc, exec, s[0:1]
	s_cbranch_vccz .LBB31_3019
; %bb.2981:
	s_cmp_lt_i32 s24, 5
	s_mov_b64 s[0:1], -1
	s_cbranch_scc1 .LBB31_3002
; %bb.2982:
	s_cmp_lt_i32 s24, 8
	s_cbranch_scc1 .LBB31_2992
; %bb.2983:
	s_cmp_lt_i32 s24, 9
	s_cbranch_scc1 .LBB31_2989
; %bb.2984:
	s_cmp_gt_i32 s24, 9
	s_cbranch_scc0 .LBB31_2986
; %bb.2985:
	v_cndmask_b32_e64 v1, 0, 1, s[16:17]
	v_cvt_f64_u32_e32 v[5:6], v1
	v_mov_b32_e32 v7, 0
	v_mov_b32_e32 v8, v7
	s_mov_b64 s[0:1], 0
	global_store_dwordx4 v[3:4], v[5:8], off
.LBB31_2986:
	s_andn2_b64 vcc, exec, s[0:1]
	s_cbranch_vccnz .LBB31_2988
; %bb.2987:
	v_cndmask_b32_e64 v5, 0, 1.0, s[16:17]
	v_mov_b32_e32 v6, 0
	global_store_dwordx2 v[3:4], v[5:6], off
.LBB31_2988:
	s_mov_b64 s[0:1], 0
.LBB31_2989:
	s_andn2_b64 vcc, exec, s[0:1]
	s_cbranch_vccnz .LBB31_2991
; %bb.2990:
	v_cndmask_b32_e64 v1, 0, 1.0, s[16:17]
	v_cvt_f16_f32_e32 v1, v1
	global_store_dword v[3:4], v1, off
.LBB31_2991:
	s_mov_b64 s[0:1], 0
.LBB31_2992:
	s_andn2_b64 vcc, exec, s[0:1]
	s_cbranch_vccnz .LBB31_3001
; %bb.2993:
	s_cmp_lt_i32 s24, 6
	s_mov_b64 s[0:1], -1
	s_cbranch_scc1 .LBB31_2999
; %bb.2994:
	s_cmp_gt_i32 s24, 6
	s_cbranch_scc0 .LBB31_2996
; %bb.2995:
	v_cndmask_b32_e64 v1, 0, 1, s[16:17]
	v_cvt_f64_u32_e32 v[5:6], v1
	s_mov_b64 s[0:1], 0
	global_store_dwordx2 v[3:4], v[5:6], off
.LBB31_2996:
	s_andn2_b64 vcc, exec, s[0:1]
	s_cbranch_vccnz .LBB31_2998
; %bb.2997:
	v_cndmask_b32_e64 v1, 0, 1.0, s[16:17]
	global_store_dword v[3:4], v1, off
.LBB31_2998:
	s_mov_b64 s[0:1], 0
.LBB31_2999:
	s_andn2_b64 vcc, exec, s[0:1]
	s_cbranch_vccnz .LBB31_3001
; %bb.3000:
	v_cndmask_b32_e64 v1, 0, 1.0, s[16:17]
	v_cvt_f16_f32_e32 v1, v1
	global_store_short v[3:4], v1, off
.LBB31_3001:
	s_mov_b64 s[0:1], 0
.LBB31_3002:
	s_andn2_b64 vcc, exec, s[0:1]
	s_cbranch_vccnz .LBB31_3018
; %bb.3003:
	s_cmp_lt_i32 s24, 2
	s_mov_b64 s[0:1], -1
	s_cbranch_scc1 .LBB31_3013
; %bb.3004:
	s_cmp_lt_i32 s24, 3
	s_cbranch_scc1 .LBB31_3010
; %bb.3005:
	s_cmp_gt_i32 s24, 3
	s_cbranch_scc0 .LBB31_3007
; %bb.3006:
	s_mov_b32 s0, 0
	v_cndmask_b32_e64 v5, 0, 1, s[16:17]
	v_mov_b32_e32 v6, s0
	global_store_dwordx2 v[3:4], v[5:6], off
	s_mov_b64 s[0:1], 0
.LBB31_3007:
	s_andn2_b64 vcc, exec, s[0:1]
	s_cbranch_vccnz .LBB31_3009
; %bb.3008:
	v_cndmask_b32_e64 v1, 0, 1, s[16:17]
	global_store_dword v[3:4], v1, off
.LBB31_3009:
	s_mov_b64 s[0:1], 0
.LBB31_3010:
	s_andn2_b64 vcc, exec, s[0:1]
	s_cbranch_vccnz .LBB31_3012
; %bb.3011:
	v_cndmask_b32_e64 v1, 0, 1, s[16:17]
	global_store_short v[3:4], v1, off
.LBB31_3012:
	s_mov_b64 s[0:1], 0
.LBB31_3013:
	s_andn2_b64 vcc, exec, s[0:1]
	s_cbranch_vccnz .LBB31_3018
; %bb.3014:
	s_mov_b64 s[0:1], -1
	s_cmp_gt_i32 s24, 0
	v_cndmask_b32_e64 v1, 0, 1, s[16:17]
	s_cbranch_scc0 .LBB31_3016
; %bb.3015:
	global_store_byte v[3:4], v1, off
	s_mov_b64 s[0:1], 0
.LBB31_3016:
	s_andn2_b64 vcc, exec, s[0:1]
	s_cbranch_vccnz .LBB31_3018
; %bb.3017:
	global_store_byte v[3:4], v1, off
.LBB31_3018:
	s_mov_b64 s[6:7], -1
.LBB31_3019:
	s_andn2_b64 vcc, exec, s[6:7]
	s_cbranch_vccnz .LBB31_3215
; %bb.3020:
	v_mov_b32_e32 v3, s9
	v_add_co_u32_e32 v1, vcc, s8, v2
	s_cmp_lt_i32 s24, 11
	v_addc_co_u32_e32 v2, vcc, 0, v3, vcc
	s_cbranch_scc1 .LBB31_3098
; %bb.3021:
	s_mov_b64 s[16:17], -1
	s_mov_b64 s[2:3], 0
	s_cmp_gt_i32 s24, 25
	s_mov_b64 s[6:7], 0
	s_mov_b64 s[0:1], 0
	s_cbranch_scc0 .LBB31_3054
; %bb.3022:
	s_cmp_gt_i32 s24, 28
	s_cbranch_scc0 .LBB31_3037
; %bb.3023:
	s_cmp_gt_i32 s24, 43
	;; [unrolled: 3-line block ×3, first 2 shown]
	s_cbranch_scc0 .LBB31_3027
; %bb.3025:
	s_mov_b64 s[0:1], -1
	s_mov_b64 s[16:17], 0
	s_cmp_eq_u32 s24, 46
	s_cbranch_scc0 .LBB31_3027
; %bb.3026:
	v_cndmask_b32_e64 v3, 0, 1.0, s[18:19]
	v_bfe_u32 v4, v3, 16, 1
	s_movk_i32 s0, 0x7fff
	v_add3_u32 v3, v3, v4, s0
	v_lshrrev_b32_e32 v3, 16, v3
	global_store_dword v[1:2], v3, off
	s_mov_b64 s[0:1], 0
	s_mov_b64 s[6:7], -1
.LBB31_3027:
	s_and_b64 vcc, exec, s[16:17]
	s_cbranch_vccz .LBB31_3032
; %bb.3028:
	s_cmp_eq_u32 s24, 44
	s_mov_b64 s[0:1], -1
	s_cbranch_scc0 .LBB31_3032
; %bb.3029:
	v_cndmask_b32_e64 v4, 0, 1.0, s[18:19]
	v_lshrrev_b32_e32 v3, 23, v4
	s_movk_i32 s0, 0xff
	v_cmp_ne_u32_e32 vcc, s0, v3
	v_mov_b32_e32 v5, 0xff
	s_and_saveexec_b64 s[6:7], vcc
; %bb.3030:
	s_mov_b32 s0, 0x3fffff
	v_and_b32_e32 v5, 0x400000, v4
	v_and_or_b32 v4, v4, s0, v3
	v_cmp_ne_u32_e32 vcc, 0, v5
	v_cmp_ne_u32_e64 s[0:1], 0, v4
	s_and_b64 s[0:1], vcc, s[0:1]
	v_cndmask_b32_e64 v4, 0, 1, s[0:1]
	v_add_u32_e32 v5, v3, v4
; %bb.3031:
	s_or_b64 exec, exec, s[6:7]
	s_mov_b64 s[0:1], 0
	s_mov_b64 s[6:7], -1
	global_store_byte v[1:2], v5, off
.LBB31_3032:
	s_mov_b64 s[16:17], 0
.LBB31_3033:
	s_and_b64 vcc, exec, s[16:17]
	s_cbranch_vccz .LBB31_3036
; %bb.3034:
	s_cmp_eq_u32 s24, 29
	s_mov_b64 s[0:1], -1
	s_cbranch_scc0 .LBB31_3036
; %bb.3035:
	s_mov_b32 s0, 0
	v_cndmask_b32_e64 v3, 0, 1, s[18:19]
	v_mov_b32_e32 v4, s0
	global_store_dwordx2 v[1:2], v[3:4], off
	s_mov_b64 s[0:1], 0
	s_mov_b64 s[6:7], -1
.LBB31_3036:
	s_mov_b64 s[16:17], 0
.LBB31_3037:
	s_and_b64 vcc, exec, s[16:17]
	s_cbranch_vccz .LBB31_3053
; %bb.3038:
	s_cmp_lt_i32 s24, 27
	s_mov_b64 s[6:7], -1
	s_cbranch_scc1 .LBB31_3044
; %bb.3039:
	s_cmp_gt_i32 s24, 27
	s_cbranch_scc0 .LBB31_3041
; %bb.3040:
	v_cndmask_b32_e64 v3, 0, 1, s[18:19]
	s_mov_b64 s[6:7], 0
	global_store_dword v[1:2], v3, off
.LBB31_3041:
	s_andn2_b64 vcc, exec, s[6:7]
	s_cbranch_vccnz .LBB31_3043
; %bb.3042:
	v_cndmask_b32_e64 v3, 0, 1, s[18:19]
	global_store_short v[1:2], v3, off
.LBB31_3043:
	s_mov_b64 s[6:7], 0
.LBB31_3044:
	s_andn2_b64 vcc, exec, s[6:7]
	s_cbranch_vccnz .LBB31_3052
; %bb.3045:
	v_cndmask_b32_e64 v4, 0, 1.0, s[18:19]
	s_mov_b32 s6, 0x43800000
	v_cmp_gt_u32_e32 vcc, s6, v4
	v_mov_b32_e32 v5, 0x80
	s_and_saveexec_b64 s[6:7], vcc
	s_cbranch_execz .LBB31_3051
; %bb.3046:
	s_mov_b32 s16, 0x3bffffff
	v_cmp_lt_u32_e32 vcc, s16, v4
	s_mov_b64 s[16:17], 0
                                        ; implicit-def: $vgpr3
	s_and_saveexec_b64 s[20:21], vcc
	s_xor_b64 s[20:21], exec, s[20:21]
	s_cbranch_execz .LBB31_3228
; %bb.3047:
	v_bfe_u32 v3, v4, 20, 1
	s_mov_b32 s22, 0x487ffff
	v_add3_u32 v3, v4, v3, s22
	s_mov_b64 s[16:17], exec
	v_lshrrev_b32_e32 v3, 20, v3
                                        ; implicit-def: $vgpr4
	s_andn2_saveexec_b64 s[20:21], s[20:21]
	s_cbranch_execnz .LBB31_3229
.LBB31_3048:
	s_or_b64 exec, exec, s[20:21]
	v_mov_b32_e32 v5, 0
	s_and_saveexec_b64 s[20:21], s[16:17]
.LBB31_3049:
	v_mov_b32_e32 v5, v3
.LBB31_3050:
	s_or_b64 exec, exec, s[20:21]
.LBB31_3051:
	s_or_b64 exec, exec, s[6:7]
	global_store_byte v[1:2], v5, off
.LBB31_3052:
	s_mov_b64 s[6:7], -1
.LBB31_3053:
	s_mov_b64 s[16:17], 0
.LBB31_3054:
	s_and_b64 vcc, exec, s[16:17]
	s_cbranch_vccz .LBB31_3094
; %bb.3055:
	s_cmp_gt_i32 s24, 22
	s_mov_b64 s[2:3], -1
	s_cbranch_scc0 .LBB31_3087
; %bb.3056:
	s_cmp_lt_i32 s24, 24
	s_cbranch_scc1 .LBB31_3076
; %bb.3057:
	s_cmp_gt_i32 s24, 24
	s_cbranch_scc0 .LBB31_3065
; %bb.3058:
	v_cndmask_b32_e64 v4, 0, 1.0, s[18:19]
	s_mov_b32 s2, 0x47800000
	v_cmp_gt_u32_e32 vcc, s2, v4
	v_mov_b32_e32 v5, 0x80
	s_and_saveexec_b64 s[2:3], vcc
	s_cbranch_execz .LBB31_3064
; %bb.3059:
	s_mov_b32 s6, 0x37ffffff
	v_cmp_lt_u32_e32 vcc, s6, v4
	s_mov_b64 s[6:7], 0
                                        ; implicit-def: $vgpr3
	s_and_saveexec_b64 s[16:17], vcc
	s_xor_b64 s[16:17], exec, s[16:17]
	s_cbranch_execz .LBB31_3231
; %bb.3060:
	v_bfe_u32 v3, v4, 21, 1
	s_mov_b32 s20, 0x88fffff
	v_add3_u32 v3, v4, v3, s20
	s_mov_b64 s[6:7], exec
	v_lshrrev_b32_e32 v3, 21, v3
                                        ; implicit-def: $vgpr4
	s_andn2_saveexec_b64 s[16:17], s[16:17]
	s_cbranch_execnz .LBB31_3232
.LBB31_3061:
	s_or_b64 exec, exec, s[16:17]
	v_mov_b32_e32 v5, 0
	s_and_saveexec_b64 s[16:17], s[6:7]
.LBB31_3062:
	v_mov_b32_e32 v5, v3
.LBB31_3063:
	s_or_b64 exec, exec, s[16:17]
.LBB31_3064:
	s_or_b64 exec, exec, s[2:3]
	s_mov_b64 s[2:3], 0
	global_store_byte v[1:2], v5, off
.LBB31_3065:
	s_and_b64 vcc, exec, s[2:3]
	s_cbranch_vccz .LBB31_3075
; %bb.3066:
	v_cndmask_b32_e64 v3, 0, 1.0, s[18:19]
	s_mov_b32 s2, 0x43f00000
	v_cmp_gt_u32_e32 vcc, s2, v3
                                        ; implicit-def: $vgpr4
	s_and_saveexec_b64 s[2:3], vcc
	s_xor_b64 s[2:3], exec, s[2:3]
	s_cbranch_execz .LBB31_3072
; %bb.3067:
	s_mov_b32 s6, 0x3c7fffff
	v_cmp_lt_u32_e32 vcc, s6, v3
                                        ; implicit-def: $vgpr4
	s_and_saveexec_b64 s[6:7], vcc
	s_xor_b64 s[6:7], exec, s[6:7]
; %bb.3068:
	v_bfe_u32 v4, v3, 20, 1
	s_mov_b32 s16, 0x407ffff
	v_add3_u32 v3, v3, v4, s16
	v_lshrrev_b32_e32 v4, 20, v3
	v_and_b32_e32 v3, 0xff00000, v3
	s_mov_b32 s16, 0x7f00000
	v_mov_b32_e32 v5, 0x7e
	v_cmp_ne_u32_e32 vcc, s16, v3
	v_cndmask_b32_e32 v4, v5, v4, vcc
                                        ; implicit-def: $vgpr3
; %bb.3069:
	s_andn2_saveexec_b64 s[6:7], s[6:7]
; %bb.3070:
	v_add_f32_e32 v4, 0x46800000, v3
; %bb.3071:
	s_or_b64 exec, exec, s[6:7]
                                        ; implicit-def: $vgpr3
.LBB31_3072:
	s_andn2_saveexec_b64 s[2:3], s[2:3]
; %bb.3073:
	s_mov_b32 s6, 0x7f800000
	v_mov_b32_e32 v4, 0x7e
	v_mov_b32_e32 v5, 0x7f
	v_cmp_lt_u32_e32 vcc, s6, v3
	v_cndmask_b32_e32 v4, v4, v5, vcc
; %bb.3074:
	s_or_b64 exec, exec, s[2:3]
	global_store_byte v[1:2], v4, off
.LBB31_3075:
	s_mov_b64 s[2:3], 0
.LBB31_3076:
	s_andn2_b64 vcc, exec, s[2:3]
	s_cbranch_vccnz .LBB31_3086
; %bb.3077:
	v_cndmask_b32_e64 v3, 0, 1.0, s[18:19]
	s_mov_b32 s2, 0x47800000
	v_cmp_gt_u32_e32 vcc, s2, v3
                                        ; implicit-def: $vgpr4
	s_and_saveexec_b64 s[2:3], vcc
	s_xor_b64 s[2:3], exec, s[2:3]
	s_cbranch_execz .LBB31_3083
; %bb.3078:
	s_mov_b32 s6, 0x387fffff
	v_cmp_lt_u32_e32 vcc, s6, v3
                                        ; implicit-def: $vgpr4
	s_and_saveexec_b64 s[6:7], vcc
	s_xor_b64 s[6:7], exec, s[6:7]
; %bb.3079:
	v_bfe_u32 v4, v3, 21, 1
	s_mov_b32 s16, 0x80fffff
	v_add3_u32 v3, v3, v4, s16
	v_lshrrev_b32_e32 v4, 21, v3
                                        ; implicit-def: $vgpr3
; %bb.3080:
	s_andn2_saveexec_b64 s[6:7], s[6:7]
; %bb.3081:
	v_add_f32_e32 v4, 0x43000000, v3
; %bb.3082:
	s_or_b64 exec, exec, s[6:7]
                                        ; implicit-def: $vgpr3
.LBB31_3083:
	s_andn2_saveexec_b64 s[2:3], s[2:3]
; %bb.3084:
	s_mov_b32 s6, 0x7f800000
	v_mov_b32_e32 v4, 0x7c
	v_mov_b32_e32 v5, 0x7f
	v_cmp_lt_u32_e32 vcc, s6, v3
	v_cndmask_b32_e32 v4, v4, v5, vcc
; %bb.3085:
	s_or_b64 exec, exec, s[2:3]
	global_store_byte v[1:2], v4, off
.LBB31_3086:
	s_mov_b64 s[2:3], 0
	s_mov_b64 s[6:7], -1
.LBB31_3087:
	s_andn2_b64 vcc, exec, s[2:3]
	s_mov_b64 s[2:3], 0
	s_cbranch_vccnz .LBB31_3094
; %bb.3088:
	s_cmp_gt_i32 s24, 14
	s_mov_b64 s[16:17], -1
	s_cbranch_scc0 .LBB31_3092
; %bb.3089:
	s_cmp_eq_u32 s24, 15
	s_mov_b64 s[0:1], -1
	s_cbranch_scc0 .LBB31_3091
; %bb.3090:
	v_cndmask_b32_e64 v3, 0, 1.0, s[18:19]
	v_bfe_u32 v4, v3, 16, 1
	s_movk_i32 s0, 0x7fff
	v_add3_u32 v3, v3, v4, s0
	global_store_short_d16_hi v[1:2], v3, off
	s_mov_b64 s[0:1], 0
	s_mov_b64 s[6:7], -1
.LBB31_3091:
	s_mov_b64 s[16:17], 0
.LBB31_3092:
	s_and_b64 vcc, exec, s[16:17]
	s_cbranch_vccz .LBB31_3094
; %bb.3093:
	s_cmp_lg_u32 s24, 11
	s_mov_b64 s[2:3], -1
	s_cselect_b64 s[0:1], -1, 0
.LBB31_3094:
	s_and_b64 vcc, exec, s[0:1]
	s_cbranch_vccnz .LBB31_3230
; %bb.3095:
	s_andn2_b64 vcc, exec, s[2:3]
	s_cbranch_vccnz .LBB31_3097
.LBB31_3096:
	v_cndmask_b32_e64 v3, 0, 1, s[18:19]
	s_mov_b64 s[6:7], -1
	global_store_byte v[1:2], v3, off
.LBB31_3097:
	s_mov_b64 s[0:1], 0
	s_branch .LBB31_3099
.LBB31_3098:
	s_mov_b64 s[0:1], -1
	s_mov_b64 s[6:7], 0
.LBB31_3099:
	s_and_b64 vcc, exec, s[0:1]
	s_cbranch_vccz .LBB31_3138
; %bb.3100:
	s_cmp_lt_i32 s24, 5
	s_mov_b64 s[0:1], -1
	s_cbranch_scc1 .LBB31_3121
; %bb.3101:
	s_cmp_lt_i32 s24, 8
	s_cbranch_scc1 .LBB31_3111
; %bb.3102:
	s_cmp_lt_i32 s24, 9
	s_cbranch_scc1 .LBB31_3108
; %bb.3103:
	s_cmp_gt_i32 s24, 9
	s_cbranch_scc0 .LBB31_3105
; %bb.3104:
	v_cndmask_b32_e64 v3, 0, 1, s[18:19]
	v_cvt_f64_u32_e32 v[3:4], v3
	v_mov_b32_e32 v5, 0
	v_mov_b32_e32 v6, v5
	s_mov_b64 s[0:1], 0
	global_store_dwordx4 v[1:2], v[3:6], off
.LBB31_3105:
	s_andn2_b64 vcc, exec, s[0:1]
	s_cbranch_vccnz .LBB31_3107
; %bb.3106:
	v_cndmask_b32_e64 v3, 0, 1.0, s[18:19]
	v_mov_b32_e32 v4, 0
	global_store_dwordx2 v[1:2], v[3:4], off
.LBB31_3107:
	s_mov_b64 s[0:1], 0
.LBB31_3108:
	s_andn2_b64 vcc, exec, s[0:1]
	s_cbranch_vccnz .LBB31_3110
; %bb.3109:
	v_cndmask_b32_e64 v3, 0, 1.0, s[18:19]
	v_cvt_f16_f32_e32 v3, v3
	global_store_dword v[1:2], v3, off
.LBB31_3110:
	s_mov_b64 s[0:1], 0
.LBB31_3111:
	s_andn2_b64 vcc, exec, s[0:1]
	s_cbranch_vccnz .LBB31_3120
; %bb.3112:
	s_cmp_lt_i32 s24, 6
	s_mov_b64 s[0:1], -1
	s_cbranch_scc1 .LBB31_3118
; %bb.3113:
	s_cmp_gt_i32 s24, 6
	s_cbranch_scc0 .LBB31_3115
; %bb.3114:
	v_cndmask_b32_e64 v3, 0, 1, s[18:19]
	v_cvt_f64_u32_e32 v[3:4], v3
	s_mov_b64 s[0:1], 0
	global_store_dwordx2 v[1:2], v[3:4], off
.LBB31_3115:
	s_andn2_b64 vcc, exec, s[0:1]
	s_cbranch_vccnz .LBB31_3117
; %bb.3116:
	v_cndmask_b32_e64 v3, 0, 1.0, s[18:19]
	global_store_dword v[1:2], v3, off
.LBB31_3117:
	s_mov_b64 s[0:1], 0
.LBB31_3118:
	s_andn2_b64 vcc, exec, s[0:1]
	s_cbranch_vccnz .LBB31_3120
; %bb.3119:
	v_cndmask_b32_e64 v3, 0, 1.0, s[18:19]
	v_cvt_f16_f32_e32 v3, v3
	global_store_short v[1:2], v3, off
.LBB31_3120:
	s_mov_b64 s[0:1], 0
.LBB31_3121:
	s_andn2_b64 vcc, exec, s[0:1]
	s_cbranch_vccnz .LBB31_3137
; %bb.3122:
	s_cmp_lt_i32 s24, 2
	s_mov_b64 s[0:1], -1
	s_cbranch_scc1 .LBB31_3132
; %bb.3123:
	s_cmp_lt_i32 s24, 3
	s_cbranch_scc1 .LBB31_3129
; %bb.3124:
	s_cmp_gt_i32 s24, 3
	s_cbranch_scc0 .LBB31_3126
; %bb.3125:
	s_mov_b32 s0, 0
	v_cndmask_b32_e64 v3, 0, 1, s[18:19]
	v_mov_b32_e32 v4, s0
	global_store_dwordx2 v[1:2], v[3:4], off
	s_mov_b64 s[0:1], 0
.LBB31_3126:
	s_andn2_b64 vcc, exec, s[0:1]
	s_cbranch_vccnz .LBB31_3128
; %bb.3127:
	v_cndmask_b32_e64 v3, 0, 1, s[18:19]
	global_store_dword v[1:2], v3, off
.LBB31_3128:
	s_mov_b64 s[0:1], 0
.LBB31_3129:
	s_andn2_b64 vcc, exec, s[0:1]
	s_cbranch_vccnz .LBB31_3131
; %bb.3130:
	v_cndmask_b32_e64 v3, 0, 1, s[18:19]
	global_store_short v[1:2], v3, off
.LBB31_3131:
	s_mov_b64 s[0:1], 0
.LBB31_3132:
	s_andn2_b64 vcc, exec, s[0:1]
	s_cbranch_vccnz .LBB31_3137
; %bb.3133:
	s_cmp_gt_i32 s24, 0
	s_mov_b64 s[0:1], -1
	s_cbranch_scc0 .LBB31_3135
; %bb.3134:
	v_cndmask_b32_e64 v3, 0, 1, s[18:19]
	global_store_byte v[1:2], v3, off
	s_mov_b64 s[0:1], 0
.LBB31_3135:
	s_andn2_b64 vcc, exec, s[0:1]
	s_cbranch_vccnz .LBB31_3137
; %bb.3136:
	v_cndmask_b32_e64 v3, 0, 1, s[18:19]
	global_store_byte v[1:2], v3, off
.LBB31_3137:
	s_mov_b64 s[6:7], -1
.LBB31_3138:
	s_andn2_b64 vcc, exec, s[6:7]
	s_cbranch_vccnz .LBB31_3215
; %bb.3139:
	v_mov_b32_e32 v1, s9
	v_add_co_u32_e32 v0, vcc, s8, v0
	s_cmp_lt_i32 s24, 11
	v_addc_co_u32_e32 v1, vcc, 0, v1, vcc
	s_cbranch_scc1 .LBB31_3216
; %bb.3140:
	s_mov_b64 s[6:7], -1
	s_mov_b64 s[2:3], 0
	s_cmp_gt_i32 s24, 25
	s_mov_b64 s[0:1], 0
	s_cbranch_scc0 .LBB31_3173
; %bb.3141:
	s_cmp_gt_i32 s24, 28
	s_cbranch_scc0 .LBB31_3157
; %bb.3142:
	s_cmp_gt_i32 s24, 43
	;; [unrolled: 3-line block ×3, first 2 shown]
	s_cbranch_scc0 .LBB31_3147
; %bb.3144:
	s_cmp_eq_u32 s24, 46
	s_mov_b64 s[0:1], -1
	s_cbranch_scc0 .LBB31_3146
; %bb.3145:
	v_cndmask_b32_e64 v2, 0, 1.0, s[10:11]
	v_bfe_u32 v3, v2, 16, 1
	s_movk_i32 s0, 0x7fff
	v_add3_u32 v2, v2, v3, s0
	v_lshrrev_b32_e32 v2, 16, v2
	global_store_dword v[0:1], v2, off
	s_mov_b64 s[0:1], 0
.LBB31_3146:
	s_mov_b64 s[6:7], 0
.LBB31_3147:
	s_and_b64 vcc, exec, s[6:7]
	s_cbranch_vccz .LBB31_3152
; %bb.3148:
	s_cmp_eq_u32 s24, 44
	s_mov_b64 s[0:1], -1
	s_cbranch_scc0 .LBB31_3152
; %bb.3149:
	v_cndmask_b32_e64 v3, 0, 1.0, s[10:11]
	v_lshrrev_b32_e32 v2, 23, v3
	s_movk_i32 s0, 0xff
	v_cmp_ne_u32_e32 vcc, s0, v2
	v_mov_b32_e32 v4, 0xff
	s_and_saveexec_b64 s[6:7], vcc
; %bb.3150:
	s_mov_b32 s0, 0x3fffff
	v_and_b32_e32 v4, 0x400000, v3
	v_and_or_b32 v3, v3, s0, v2
	v_cmp_ne_u32_e32 vcc, 0, v4
	v_cmp_ne_u32_e64 s[0:1], 0, v3
	s_and_b64 s[0:1], vcc, s[0:1]
	v_cndmask_b32_e64 v3, 0, 1, s[0:1]
	v_add_u32_e32 v4, v2, v3
; %bb.3151:
	s_or_b64 exec, exec, s[6:7]
	s_mov_b64 s[0:1], 0
	global_store_byte v[0:1], v4, off
.LBB31_3152:
	s_mov_b64 s[6:7], 0
.LBB31_3153:
	s_and_b64 vcc, exec, s[6:7]
	s_cbranch_vccz .LBB31_3156
; %bb.3154:
	s_cmp_eq_u32 s24, 29
	s_mov_b64 s[0:1], -1
	s_cbranch_scc0 .LBB31_3156
; %bb.3155:
	s_mov_b32 s0, 0
	v_cndmask_b32_e64 v2, 0, 1, s[10:11]
	v_mov_b32_e32 v3, s0
	global_store_dwordx2 v[0:1], v[2:3], off
	s_mov_b64 s[0:1], 0
.LBB31_3156:
	s_mov_b64 s[6:7], 0
.LBB31_3157:
	s_and_b64 vcc, exec, s[6:7]
	s_cbranch_vccz .LBB31_3172
; %bb.3158:
	s_cmp_lt_i32 s24, 27
	s_mov_b64 s[6:7], -1
	s_cbranch_scc1 .LBB31_3164
; %bb.3159:
	s_cmp_gt_i32 s24, 27
	v_cndmask_b32_e64 v2, 0, 1, s[10:11]
	s_cbranch_scc0 .LBB31_3161
; %bb.3160:
	global_store_dword v[0:1], v2, off
	s_mov_b64 s[6:7], 0
.LBB31_3161:
	s_andn2_b64 vcc, exec, s[6:7]
	s_cbranch_vccnz .LBB31_3163
; %bb.3162:
	global_store_short v[0:1], v2, off
.LBB31_3163:
	s_mov_b64 s[6:7], 0
.LBB31_3164:
	s_andn2_b64 vcc, exec, s[6:7]
	s_cbranch_vccnz .LBB31_3172
; %bb.3165:
	v_cndmask_b32_e64 v3, 0, 1.0, s[10:11]
	s_mov_b32 s6, 0x43800000
	v_cmp_gt_u32_e32 vcc, s6, v3
	v_mov_b32_e32 v4, 0x80
	s_and_saveexec_b64 s[6:7], vcc
	s_cbranch_execz .LBB31_3171
; %bb.3166:
	s_mov_b32 s8, 0x3bffffff
	v_cmp_lt_u32_e32 vcc, s8, v3
	s_mov_b64 s[8:9], 0
                                        ; implicit-def: $vgpr2
	s_and_saveexec_b64 s[16:17], vcc
	s_xor_b64 s[16:17], exec, s[16:17]
	s_cbranch_execz .LBB31_3233
; %bb.3167:
	v_bfe_u32 v2, v3, 20, 1
	s_mov_b32 s18, 0x487ffff
	v_add3_u32 v2, v3, v2, s18
	s_mov_b64 s[8:9], exec
	v_lshrrev_b32_e32 v2, 20, v2
                                        ; implicit-def: $vgpr3
	s_andn2_saveexec_b64 s[16:17], s[16:17]
	s_cbranch_execnz .LBB31_3234
.LBB31_3168:
	s_or_b64 exec, exec, s[16:17]
	v_mov_b32_e32 v4, 0
	s_and_saveexec_b64 s[16:17], s[8:9]
.LBB31_3169:
	v_mov_b32_e32 v4, v2
.LBB31_3170:
	s_or_b64 exec, exec, s[16:17]
.LBB31_3171:
	s_or_b64 exec, exec, s[6:7]
	global_store_byte v[0:1], v4, off
.LBB31_3172:
	s_mov_b64 s[6:7], 0
.LBB31_3173:
	s_and_b64 vcc, exec, s[6:7]
	s_cbranch_vccz .LBB31_3213
; %bb.3174:
	s_cmp_gt_i32 s24, 22
	s_mov_b64 s[2:3], -1
	s_cbranch_scc0 .LBB31_3206
; %bb.3175:
	s_cmp_lt_i32 s24, 24
	s_cbranch_scc1 .LBB31_3195
; %bb.3176:
	s_cmp_gt_i32 s24, 24
	s_cbranch_scc0 .LBB31_3184
; %bb.3177:
	v_cndmask_b32_e64 v3, 0, 1.0, s[10:11]
	s_mov_b32 s2, 0x47800000
	v_cmp_gt_u32_e32 vcc, s2, v3
	v_mov_b32_e32 v4, 0x80
	s_and_saveexec_b64 s[2:3], vcc
	s_cbranch_execz .LBB31_3183
; %bb.3178:
	s_mov_b32 s6, 0x37ffffff
	v_cmp_lt_u32_e32 vcc, s6, v3
	s_mov_b64 s[6:7], 0
                                        ; implicit-def: $vgpr2
	s_and_saveexec_b64 s[8:9], vcc
	s_xor_b64 s[8:9], exec, s[8:9]
	s_cbranch_execz .LBB31_3236
; %bb.3179:
	v_bfe_u32 v2, v3, 21, 1
	s_mov_b32 s16, 0x88fffff
	v_add3_u32 v2, v3, v2, s16
	s_mov_b64 s[6:7], exec
	v_lshrrev_b32_e32 v2, 21, v2
                                        ; implicit-def: $vgpr3
	s_andn2_saveexec_b64 s[8:9], s[8:9]
	s_cbranch_execnz .LBB31_3237
.LBB31_3180:
	s_or_b64 exec, exec, s[8:9]
	v_mov_b32_e32 v4, 0
	s_and_saveexec_b64 s[8:9], s[6:7]
.LBB31_3181:
	v_mov_b32_e32 v4, v2
.LBB31_3182:
	s_or_b64 exec, exec, s[8:9]
.LBB31_3183:
	s_or_b64 exec, exec, s[2:3]
	s_mov_b64 s[2:3], 0
	global_store_byte v[0:1], v4, off
.LBB31_3184:
	s_and_b64 vcc, exec, s[2:3]
	s_cbranch_vccz .LBB31_3194
; %bb.3185:
	v_cndmask_b32_e64 v2, 0, 1.0, s[10:11]
	s_mov_b32 s2, 0x43f00000
	v_cmp_gt_u32_e32 vcc, s2, v2
                                        ; implicit-def: $vgpr3
	s_and_saveexec_b64 s[2:3], vcc
	s_xor_b64 s[2:3], exec, s[2:3]
	s_cbranch_execz .LBB31_3191
; %bb.3186:
	s_mov_b32 s6, 0x3c7fffff
	v_cmp_lt_u32_e32 vcc, s6, v2
                                        ; implicit-def: $vgpr3
	s_and_saveexec_b64 s[6:7], vcc
	s_xor_b64 s[6:7], exec, s[6:7]
; %bb.3187:
	v_bfe_u32 v3, v2, 20, 1
	s_mov_b32 s8, 0x407ffff
	v_add3_u32 v2, v2, v3, s8
	v_lshrrev_b32_e32 v3, 20, v2
	v_and_b32_e32 v2, 0xff00000, v2
	s_mov_b32 s8, 0x7f00000
	v_mov_b32_e32 v4, 0x7e
	v_cmp_ne_u32_e32 vcc, s8, v2
	v_cndmask_b32_e32 v3, v4, v3, vcc
                                        ; implicit-def: $vgpr2
; %bb.3188:
	s_andn2_saveexec_b64 s[6:7], s[6:7]
; %bb.3189:
	v_add_f32_e32 v3, 0x46800000, v2
; %bb.3190:
	s_or_b64 exec, exec, s[6:7]
                                        ; implicit-def: $vgpr2
.LBB31_3191:
	s_andn2_saveexec_b64 s[2:3], s[2:3]
; %bb.3192:
	s_mov_b32 s6, 0x7f800000
	v_mov_b32_e32 v3, 0x7e
	v_mov_b32_e32 v4, 0x7f
	v_cmp_lt_u32_e32 vcc, s6, v2
	v_cndmask_b32_e32 v3, v3, v4, vcc
; %bb.3193:
	s_or_b64 exec, exec, s[2:3]
	global_store_byte v[0:1], v3, off
.LBB31_3194:
	s_mov_b64 s[2:3], 0
.LBB31_3195:
	s_andn2_b64 vcc, exec, s[2:3]
	s_cbranch_vccnz .LBB31_3205
; %bb.3196:
	v_cndmask_b32_e64 v2, 0, 1.0, s[10:11]
	s_mov_b32 s2, 0x47800000
	v_cmp_gt_u32_e32 vcc, s2, v2
                                        ; implicit-def: $vgpr3
	s_and_saveexec_b64 s[2:3], vcc
	s_xor_b64 s[2:3], exec, s[2:3]
	s_cbranch_execz .LBB31_3202
; %bb.3197:
	s_mov_b32 s6, 0x387fffff
	v_cmp_lt_u32_e32 vcc, s6, v2
                                        ; implicit-def: $vgpr3
	s_and_saveexec_b64 s[6:7], vcc
	s_xor_b64 s[6:7], exec, s[6:7]
; %bb.3198:
	v_bfe_u32 v3, v2, 21, 1
	s_mov_b32 s8, 0x80fffff
	v_add3_u32 v2, v2, v3, s8
	v_lshrrev_b32_e32 v3, 21, v2
                                        ; implicit-def: $vgpr2
; %bb.3199:
	s_andn2_saveexec_b64 s[6:7], s[6:7]
; %bb.3200:
	v_add_f32_e32 v3, 0x43000000, v2
; %bb.3201:
	s_or_b64 exec, exec, s[6:7]
                                        ; implicit-def: $vgpr2
.LBB31_3202:
	s_andn2_saveexec_b64 s[2:3], s[2:3]
; %bb.3203:
	s_mov_b32 s6, 0x7f800000
	v_mov_b32_e32 v3, 0x7c
	v_mov_b32_e32 v4, 0x7f
	v_cmp_lt_u32_e32 vcc, s6, v2
	v_cndmask_b32_e32 v3, v3, v4, vcc
; %bb.3204:
	s_or_b64 exec, exec, s[2:3]
	global_store_byte v[0:1], v3, off
.LBB31_3205:
	s_mov_b64 s[2:3], 0
.LBB31_3206:
	s_andn2_b64 vcc, exec, s[2:3]
	s_mov_b64 s[2:3], 0
	s_cbranch_vccnz .LBB31_3213
; %bb.3207:
	s_cmp_gt_i32 s24, 14
	s_mov_b64 s[6:7], -1
	s_cbranch_scc0 .LBB31_3211
; %bb.3208:
	s_cmp_eq_u32 s24, 15
	s_mov_b64 s[0:1], -1
	s_cbranch_scc0 .LBB31_3210
; %bb.3209:
	v_cndmask_b32_e64 v2, 0, 1.0, s[10:11]
	v_bfe_u32 v3, v2, 16, 1
	s_movk_i32 s0, 0x7fff
	v_add3_u32 v2, v2, v3, s0
	global_store_short_d16_hi v[0:1], v2, off
	s_mov_b64 s[0:1], 0
.LBB31_3210:
	s_mov_b64 s[6:7], 0
.LBB31_3211:
	s_and_b64 vcc, exec, s[6:7]
	s_cbranch_vccz .LBB31_3213
; %bb.3212:
	s_cmp_lg_u32 s24, 11
	s_mov_b64 s[2:3], -1
	s_cselect_b64 s[0:1], -1, 0
.LBB31_3213:
	s_and_b64 vcc, exec, s[0:1]
	s_cbranch_vccnz .LBB31_3235
.LBB31_3214:
	s_mov_b64 s[0:1], 0
	s_branch .LBB31_2725
.LBB31_3215:
	s_mov_b64 s[0:1], 0
	s_branch .LBB31_2724
.LBB31_3216:
	s_mov_b64 s[2:3], 0
	s_mov_b64 s[0:1], -1
	s_branch .LBB31_2725
.LBB31_3217:
	s_trap 2
	s_or_b64 s[4:5], s[4:5], exec
	s_cbranch_execz .LBB31_2667
	s_branch .LBB31_2668
.LBB31_3218:
	s_andn2_saveexec_b64 s[24:25], s[24:25]
	s_cbranch_execz .LBB31_2808
.LBB31_3219:
	v_add_f32_e32 v1, 0x46000000, v3
	v_and_b32_e32 v1, 0xff, v1
	v_cmp_ne_u32_e32 vcc, 0, v1
	s_andn2_b64 s[22:23], s[22:23], exec
	s_and_b64 s[28:29], vcc, exec
	s_or_b64 s[22:23], s[22:23], s[28:29]
	s_or_b64 exec, exec, s[24:25]
	v_mov_b32_e32 v7, 0
	s_and_saveexec_b64 s[24:25], s[22:23]
	s_cbranch_execnz .LBB31_2809
	s_branch .LBB31_2810
.LBB31_3220:
	s_trap 2
	s_or_b64 s[4:5], s[4:5], exec
	s_cbranch_execz .LBB31_2856
	s_branch .LBB31_2857
.LBB31_3221:
	s_andn2_saveexec_b64 s[22:23], s[22:23]
	s_cbranch_execz .LBB31_2821
.LBB31_3222:
	v_add_f32_e32 v1, 0x42800000, v3
	v_and_b32_e32 v1, 0xff, v1
	v_cmp_ne_u32_e32 vcc, 0, v1
	s_andn2_b64 s[20:21], s[20:21], exec
	s_and_b64 s[24:25], vcc, exec
	s_or_b64 s[20:21], s[20:21], s[24:25]
	s_or_b64 exec, exec, s[22:23]
	v_mov_b32_e32 v7, 0
	s_and_saveexec_b64 s[22:23], s[20:21]
	s_cbranch_execnz .LBB31_2822
	s_branch .LBB31_2823
.LBB31_3223:
	s_andn2_saveexec_b64 s[22:23], s[22:23]
	s_cbranch_execz .LBB31_2929
.LBB31_3224:
	v_add_f32_e32 v1, 0x46000000, v5
	v_and_b32_e32 v1, 0xff, v1
	v_cmp_ne_u32_e32 vcc, 0, v1
	s_andn2_b64 s[20:21], s[20:21], exec
	s_and_b64 s[28:29], vcc, exec
	s_or_b64 s[20:21], s[20:21], s[28:29]
	s_or_b64 exec, exec, s[22:23]
	v_mov_b32_e32 v6, 0
	s_and_saveexec_b64 s[22:23], s[20:21]
	s_cbranch_execnz .LBB31_2930
	s_branch .LBB31_2931
.LBB31_3225:
	s_trap 2
	s_or_b64 s[4:5], s[4:5], exec
	s_cbranch_execz .LBB31_2977
	s_branch .LBB31_2978
.LBB31_3226:
	s_andn2_saveexec_b64 s[20:21], s[20:21]
	s_cbranch_execz .LBB31_2942
.LBB31_3227:
	v_add_f32_e32 v1, 0x42800000, v5
	v_and_b32_e32 v1, 0xff, v1
	v_cmp_ne_u32_e32 vcc, 0, v1
	s_andn2_b64 s[6:7], s[6:7], exec
	s_and_b64 s[22:23], vcc, exec
	s_or_b64 s[6:7], s[6:7], s[22:23]
	s_or_b64 exec, exec, s[20:21]
	v_mov_b32_e32 v6, 0
	s_and_saveexec_b64 s[20:21], s[6:7]
	s_cbranch_execnz .LBB31_2943
	s_branch .LBB31_2944
.LBB31_3228:
	s_andn2_saveexec_b64 s[20:21], s[20:21]
	s_cbranch_execz .LBB31_3048
.LBB31_3229:
	v_add_f32_e32 v3, 0x46000000, v4
	v_and_b32_e32 v3, 0xff, v3
	v_cmp_ne_u32_e32 vcc, 0, v3
	s_andn2_b64 s[16:17], s[16:17], exec
	s_and_b64 s[22:23], vcc, exec
	s_or_b64 s[16:17], s[16:17], s[22:23]
	s_or_b64 exec, exec, s[20:21]
	v_mov_b32_e32 v5, 0
	s_and_saveexec_b64 s[20:21], s[16:17]
	s_cbranch_execnz .LBB31_3049
	s_branch .LBB31_3050
.LBB31_3230:
	s_trap 2
	s_or_b64 s[4:5], s[4:5], exec
	s_cbranch_execz .LBB31_3096
	s_branch .LBB31_3097
.LBB31_3231:
	s_andn2_saveexec_b64 s[16:17], s[16:17]
	s_cbranch_execz .LBB31_3061
.LBB31_3232:
	v_add_f32_e32 v3, 0x42800000, v4
	v_and_b32_e32 v3, 0xff, v3
	v_cmp_ne_u32_e32 vcc, 0, v3
	s_andn2_b64 s[6:7], s[6:7], exec
	s_and_b64 s[20:21], vcc, exec
	s_or_b64 s[6:7], s[6:7], s[20:21]
	s_or_b64 exec, exec, s[16:17]
	v_mov_b32_e32 v5, 0
	s_and_saveexec_b64 s[16:17], s[6:7]
	s_cbranch_execnz .LBB31_3062
	s_branch .LBB31_3063
.LBB31_3233:
	s_andn2_saveexec_b64 s[16:17], s[16:17]
	s_cbranch_execz .LBB31_3168
.LBB31_3234:
	v_add_f32_e32 v2, 0x46000000, v3
	v_and_b32_e32 v2, 0xff, v2
	v_cmp_ne_u32_e32 vcc, 0, v2
	s_andn2_b64 s[8:9], s[8:9], exec
	s_and_b64 s[18:19], vcc, exec
	s_or_b64 s[8:9], s[8:9], s[18:19]
	s_or_b64 exec, exec, s[16:17]
	v_mov_b32_e32 v4, 0
	s_and_saveexec_b64 s[16:17], s[8:9]
	s_cbranch_execnz .LBB31_3169
	s_branch .LBB31_3170
.LBB31_3235:
	s_mov_b64 s[2:3], 0
	s_or_b64 s[4:5], s[4:5], exec
	s_trap 2
	s_branch .LBB31_3214
.LBB31_3236:
	s_andn2_saveexec_b64 s[8:9], s[8:9]
	s_cbranch_execz .LBB31_3180
.LBB31_3237:
	v_add_f32_e32 v2, 0x42800000, v3
	v_and_b32_e32 v2, 0xff, v2
	v_cmp_ne_u32_e32 vcc, 0, v2
	s_andn2_b64 s[6:7], s[6:7], exec
	s_and_b64 s[16:17], vcc, exec
	s_or_b64 s[6:7], s[6:7], s[16:17]
	s_or_b64 exec, exec, s[8:9]
	v_mov_b32_e32 v4, 0
	s_and_saveexec_b64 s[8:9], s[6:7]
	s_cbranch_execnz .LBB31_3181
	s_branch .LBB31_3182
	.section	.rodata,"a",@progbits
	.p2align	6, 0x0
	.amdhsa_kernel _ZN2at6native32elementwise_kernel_manual_unrollILi128ELi4EZNS0_15gpu_kernel_implINS0_12_GLOBAL__N_114CompareFunctorIaEEEEvRNS_18TensorIteratorBaseERKT_EUlibE0_EEviT1_
		.amdhsa_group_segment_fixed_size 0
		.amdhsa_private_segment_fixed_size 0
		.amdhsa_kernarg_size 432
		.amdhsa_user_sgpr_count 6
		.amdhsa_user_sgpr_private_segment_buffer 1
		.amdhsa_user_sgpr_dispatch_ptr 0
		.amdhsa_user_sgpr_queue_ptr 0
		.amdhsa_user_sgpr_kernarg_segment_ptr 1
		.amdhsa_user_sgpr_dispatch_id 0
		.amdhsa_user_sgpr_flat_scratch_init 0
		.amdhsa_user_sgpr_private_segment_size 0
		.amdhsa_uses_dynamic_stack 0
		.amdhsa_system_sgpr_private_segment_wavefront_offset 0
		.amdhsa_system_sgpr_workgroup_id_x 1
		.amdhsa_system_sgpr_workgroup_id_y 0
		.amdhsa_system_sgpr_workgroup_id_z 0
		.amdhsa_system_sgpr_workgroup_info 0
		.amdhsa_system_vgpr_workitem_id 0
		.amdhsa_next_free_vgpr 24
		.amdhsa_next_free_sgpr 80
		.amdhsa_reserve_vcc 1
		.amdhsa_reserve_flat_scratch 0
		.amdhsa_float_round_mode_32 0
		.amdhsa_float_round_mode_16_64 0
		.amdhsa_float_denorm_mode_32 3
		.amdhsa_float_denorm_mode_16_64 3
		.amdhsa_dx10_clamp 1
		.amdhsa_ieee_mode 1
		.amdhsa_fp16_overflow 0
		.amdhsa_exception_fp_ieee_invalid_op 0
		.amdhsa_exception_fp_denorm_src 0
		.amdhsa_exception_fp_ieee_div_zero 0
		.amdhsa_exception_fp_ieee_overflow 0
		.amdhsa_exception_fp_ieee_underflow 0
		.amdhsa_exception_fp_ieee_inexact 0
		.amdhsa_exception_int_div_zero 0
	.end_amdhsa_kernel
	.section	.text._ZN2at6native32elementwise_kernel_manual_unrollILi128ELi4EZNS0_15gpu_kernel_implINS0_12_GLOBAL__N_114CompareFunctorIaEEEEvRNS_18TensorIteratorBaseERKT_EUlibE0_EEviT1_,"axG",@progbits,_ZN2at6native32elementwise_kernel_manual_unrollILi128ELi4EZNS0_15gpu_kernel_implINS0_12_GLOBAL__N_114CompareFunctorIaEEEEvRNS_18TensorIteratorBaseERKT_EUlibE0_EEviT1_,comdat
.Lfunc_end31:
	.size	_ZN2at6native32elementwise_kernel_manual_unrollILi128ELi4EZNS0_15gpu_kernel_implINS0_12_GLOBAL__N_114CompareFunctorIaEEEEvRNS_18TensorIteratorBaseERKT_EUlibE0_EEviT1_, .Lfunc_end31-_ZN2at6native32elementwise_kernel_manual_unrollILi128ELi4EZNS0_15gpu_kernel_implINS0_12_GLOBAL__N_114CompareFunctorIaEEEEvRNS_18TensorIteratorBaseERKT_EUlibE0_EEviT1_
                                        ; -- End function
	.set _ZN2at6native32elementwise_kernel_manual_unrollILi128ELi4EZNS0_15gpu_kernel_implINS0_12_GLOBAL__N_114CompareFunctorIaEEEEvRNS_18TensorIteratorBaseERKT_EUlibE0_EEviT1_.num_vgpr, 24
	.set _ZN2at6native32elementwise_kernel_manual_unrollILi128ELi4EZNS0_15gpu_kernel_implINS0_12_GLOBAL__N_114CompareFunctorIaEEEEvRNS_18TensorIteratorBaseERKT_EUlibE0_EEviT1_.num_agpr, 0
	.set _ZN2at6native32elementwise_kernel_manual_unrollILi128ELi4EZNS0_15gpu_kernel_implINS0_12_GLOBAL__N_114CompareFunctorIaEEEEvRNS_18TensorIteratorBaseERKT_EUlibE0_EEviT1_.numbered_sgpr, 80
	.set _ZN2at6native32elementwise_kernel_manual_unrollILi128ELi4EZNS0_15gpu_kernel_implINS0_12_GLOBAL__N_114CompareFunctorIaEEEEvRNS_18TensorIteratorBaseERKT_EUlibE0_EEviT1_.num_named_barrier, 0
	.set _ZN2at6native32elementwise_kernel_manual_unrollILi128ELi4EZNS0_15gpu_kernel_implINS0_12_GLOBAL__N_114CompareFunctorIaEEEEvRNS_18TensorIteratorBaseERKT_EUlibE0_EEviT1_.private_seg_size, 0
	.set _ZN2at6native32elementwise_kernel_manual_unrollILi128ELi4EZNS0_15gpu_kernel_implINS0_12_GLOBAL__N_114CompareFunctorIaEEEEvRNS_18TensorIteratorBaseERKT_EUlibE0_EEviT1_.uses_vcc, 1
	.set _ZN2at6native32elementwise_kernel_manual_unrollILi128ELi4EZNS0_15gpu_kernel_implINS0_12_GLOBAL__N_114CompareFunctorIaEEEEvRNS_18TensorIteratorBaseERKT_EUlibE0_EEviT1_.uses_flat_scratch, 0
	.set _ZN2at6native32elementwise_kernel_manual_unrollILi128ELi4EZNS0_15gpu_kernel_implINS0_12_GLOBAL__N_114CompareFunctorIaEEEEvRNS_18TensorIteratorBaseERKT_EUlibE0_EEviT1_.has_dyn_sized_stack, 0
	.set _ZN2at6native32elementwise_kernel_manual_unrollILi128ELi4EZNS0_15gpu_kernel_implINS0_12_GLOBAL__N_114CompareFunctorIaEEEEvRNS_18TensorIteratorBaseERKT_EUlibE0_EEviT1_.has_recursion, 0
	.set _ZN2at6native32elementwise_kernel_manual_unrollILi128ELi4EZNS0_15gpu_kernel_implINS0_12_GLOBAL__N_114CompareFunctorIaEEEEvRNS_18TensorIteratorBaseERKT_EUlibE0_EEviT1_.has_indirect_call, 0
	.section	.AMDGPU.csdata,"",@progbits
; Kernel info:
; codeLenInByte = 49312
; TotalNumSgprs: 84
; NumVgprs: 24
; ScratchSize: 0
; MemoryBound: 1
; FloatMode: 240
; IeeeMode: 1
; LDSByteSize: 0 bytes/workgroup (compile time only)
; SGPRBlocks: 10
; VGPRBlocks: 5
; NumSGPRsForWavesPerEU: 84
; NumVGPRsForWavesPerEU: 24
; Occupancy: 9
; WaveLimiterHint : 1
; COMPUTE_PGM_RSRC2:SCRATCH_EN: 0
; COMPUTE_PGM_RSRC2:USER_SGPR: 6
; COMPUTE_PGM_RSRC2:TRAP_HANDLER: 0
; COMPUTE_PGM_RSRC2:TGID_X_EN: 1
; COMPUTE_PGM_RSRC2:TGID_Y_EN: 0
; COMPUTE_PGM_RSRC2:TGID_Z_EN: 0
; COMPUTE_PGM_RSRC2:TIDIG_COMP_CNT: 0
	.section	.text._ZN2at6native29vectorized_elementwise_kernelILi16EZNS0_21compare_scalar_kernelIiEEvRNS_18TensorIteratorBaseENS0_12_GLOBAL__N_16OpTypeET_EUliE_St5arrayIPcLm2EEEEviT0_T1_,"axG",@progbits,_ZN2at6native29vectorized_elementwise_kernelILi16EZNS0_21compare_scalar_kernelIiEEvRNS_18TensorIteratorBaseENS0_12_GLOBAL__N_16OpTypeET_EUliE_St5arrayIPcLm2EEEEviT0_T1_,comdat
	.globl	_ZN2at6native29vectorized_elementwise_kernelILi16EZNS0_21compare_scalar_kernelIiEEvRNS_18TensorIteratorBaseENS0_12_GLOBAL__N_16OpTypeET_EUliE_St5arrayIPcLm2EEEEviT0_T1_ ; -- Begin function _ZN2at6native29vectorized_elementwise_kernelILi16EZNS0_21compare_scalar_kernelIiEEvRNS_18TensorIteratorBaseENS0_12_GLOBAL__N_16OpTypeET_EUliE_St5arrayIPcLm2EEEEviT0_T1_
	.p2align	8
	.type	_ZN2at6native29vectorized_elementwise_kernelILi16EZNS0_21compare_scalar_kernelIiEEvRNS_18TensorIteratorBaseENS0_12_GLOBAL__N_16OpTypeET_EUliE_St5arrayIPcLm2EEEEviT0_T1_,@function
_ZN2at6native29vectorized_elementwise_kernelILi16EZNS0_21compare_scalar_kernelIiEEvRNS_18TensorIteratorBaseENS0_12_GLOBAL__N_16OpTypeET_EUliE_St5arrayIPcLm2EEEEviT0_T1_: ; @_ZN2at6native29vectorized_elementwise_kernelILi16EZNS0_21compare_scalar_kernelIiEEvRNS_18TensorIteratorBaseENS0_12_GLOBAL__N_16OpTypeET_EUliE_St5arrayIPcLm2EEEEviT0_T1_
; %bb.0:
	s_load_dwordx8 s[8:15], s[4:5], 0x0
	s_lshl_b32 s2, s6, 12
	s_mov_b64 s[0:1], -1
	s_waitcnt lgkmcnt(0)
	s_sub_i32 s8, s8, s2
	s_cmpk_gt_i32 s8, 0xfff
	s_cbranch_scc0 .LBB32_211
; %bb.1:
	s_ashr_i32 s3, s2, 31
	s_lshl_b64 s[0:1], s[2:3], 2
	s_add_u32 s0, s14, s0
	s_addc_u32 s1, s15, s1
	v_lshlrev_b32_e32 v17, 6, v0
	global_load_dwordx4 v[1:4], v17, s[0:1] offset:48
	global_load_dwordx4 v[5:8], v17, s[0:1] offset:32
	;; [unrolled: 1-line block ×3, first 2 shown]
	global_load_dwordx4 v[13:16], v17, s[0:1]
	s_cmp_lt_i32 s9, 1
	s_mov_b64 s[4:5], 0
	s_cbranch_scc1 .LBB32_5
; %bb.2:
	s_cmp_gt_i32 s9, 1
	s_cbranch_scc0 .LBB32_6
; %bb.3:
	s_cmp_eq_u32 s9, 2
	s_cbranch_scc0 .LBB32_7
; %bb.4:
	s_waitcnt vmcnt(0)
	v_cmp_ge_i32_e64 s[0:1], s10, v13
	s_mov_b64 s[6:7], 0
	s_branch .LBB32_8
.LBB32_5:
                                        ; implicit-def: $sgpr0_sgpr1
	s_mov_b64 s[6:7], 0
	s_cbranch_execnz .LBB32_11
	s_branch .LBB32_12
.LBB32_6:
	s_mov_b64 s[6:7], 0
                                        ; implicit-def: $sgpr0_sgpr1
	s_cbranch_execnz .LBB32_9
	s_branch .LBB32_10
.LBB32_7:
	s_mov_b64 s[6:7], -1
                                        ; implicit-def: $sgpr0_sgpr1
.LBB32_8:
	s_branch .LBB32_10
.LBB32_9:
	s_waitcnt vmcnt(0)
	v_cmp_lt_i32_e32 vcc, s10, v13
	s_andn2_b64 s[0:1], s[0:1], exec
	s_and_b64 s[16:17], vcc, exec
	s_or_b64 s[0:1], s[0:1], s[16:17]
.LBB32_10:
	s_branch .LBB32_12
.LBB32_11:
	s_cmp_lg_u32 s9, 0
	s_mov_b64 s[4:5], -1
	s_cselect_b64 s[6:7], -1, 0
.LBB32_12:
	s_andn2_b64 vcc, exec, s[6:7]
	s_cbranch_vccz .LBB32_18
; %bb.13:
	s_andn2_b64 vcc, exec, s[4:5]
	s_cbranch_vccz .LBB32_19
.LBB32_14:
	s_cmp_lt_i32 s9, 1
	s_mov_b64 s[6:7], 0
	s_cbranch_scc1 .LBB32_20
.LBB32_15:
	s_cmp_gt_i32 s9, 1
	s_cbranch_scc0 .LBB32_21
; %bb.16:
	s_cmp_eq_u32 s9, 2
	s_cbranch_scc0 .LBB32_251
; %bb.17:
	s_waitcnt vmcnt(0)
	v_cmp_ge_i32_e64 s[4:5], s10, v14
	s_mov_b64 s[16:17], 0
	s_branch .LBB32_23
.LBB32_18:
	s_waitcnt vmcnt(0)
	v_cmp_gt_i32_e32 vcc, s10, v13
	s_andn2_b64 s[0:1], s[0:1], exec
	s_and_b64 s[6:7], vcc, exec
	s_or_b64 s[0:1], s[0:1], s[6:7]
	s_cbranch_execnz .LBB32_14
.LBB32_19:
	s_waitcnt vmcnt(0)
	v_cmp_le_i32_e32 vcc, s10, v13
	s_andn2_b64 s[0:1], s[0:1], exec
	s_and_b64 s[4:5], vcc, exec
	s_or_b64 s[0:1], s[0:1], s[4:5]
	s_cmp_lt_i32 s9, 1
	s_mov_b64 s[6:7], 0
	s_cbranch_scc0 .LBB32_15
.LBB32_20:
                                        ; implicit-def: $sgpr4_sgpr5
	s_mov_b64 s[16:17], 0
	s_cbranch_execnz .LBB32_24
	s_branch .LBB32_25
.LBB32_21:
	s_mov_b64 s[16:17], 0
                                        ; implicit-def: $sgpr4_sgpr5
	s_cbranch_execz .LBB32_23
; %bb.22:
	s_waitcnt vmcnt(0)
	v_cmp_lt_i32_e32 vcc, s10, v14
	s_andn2_b64 s[4:5], s[4:5], exec
	s_and_b64 s[18:19], vcc, exec
	s_or_b64 s[4:5], s[4:5], s[18:19]
.LBB32_23:
	s_branch .LBB32_25
.LBB32_24:
	s_cmp_lg_u32 s9, 0
	s_mov_b64 s[6:7], -1
	s_cselect_b64 s[16:17], -1, 0
.LBB32_25:
	s_andn2_b64 vcc, exec, s[16:17]
	s_cbranch_vccz .LBB32_31
; %bb.26:
	s_andn2_b64 vcc, exec, s[6:7]
	s_cbranch_vccz .LBB32_32
.LBB32_27:
	s_cmp_lt_i32 s9, 1
	s_mov_b64 s[16:17], 0
	s_cbranch_scc1 .LBB32_33
.LBB32_28:
	s_cmp_gt_i32 s9, 1
	s_cbranch_scc0 .LBB32_34
; %bb.29:
	s_cmp_eq_u32 s9, 2
	s_cbranch_scc0 .LBB32_252
; %bb.30:
	s_waitcnt vmcnt(0)
	v_cmp_ge_i32_e64 s[6:7], s10, v15
	s_mov_b64 s[18:19], 0
	s_branch .LBB32_36
.LBB32_31:
	s_waitcnt vmcnt(0)
	v_cmp_gt_i32_e32 vcc, s10, v14
	s_andn2_b64 s[4:5], s[4:5], exec
	s_and_b64 s[16:17], vcc, exec
	s_or_b64 s[4:5], s[4:5], s[16:17]
	s_cbranch_execnz .LBB32_27
.LBB32_32:
	s_waitcnt vmcnt(0)
	v_cmp_le_i32_e32 vcc, s10, v14
	s_andn2_b64 s[4:5], s[4:5], exec
	s_and_b64 s[6:7], vcc, exec
	s_or_b64 s[4:5], s[4:5], s[6:7]
	s_cmp_lt_i32 s9, 1
	s_mov_b64 s[16:17], 0
	s_cbranch_scc0 .LBB32_28
.LBB32_33:
                                        ; implicit-def: $sgpr6_sgpr7
	s_mov_b64 s[18:19], 0
	s_cbranch_execnz .LBB32_37
	s_branch .LBB32_38
.LBB32_34:
	s_mov_b64 s[18:19], 0
                                        ; implicit-def: $sgpr6_sgpr7
	s_cbranch_execz .LBB32_36
; %bb.35:
	s_waitcnt vmcnt(0)
	v_cmp_lt_i32_e32 vcc, s10, v15
	s_andn2_b64 s[6:7], s[6:7], exec
	s_and_b64 s[20:21], vcc, exec
	s_or_b64 s[6:7], s[6:7], s[20:21]
.LBB32_36:
	s_branch .LBB32_38
.LBB32_37:
	s_cmp_lg_u32 s9, 0
	s_mov_b64 s[16:17], -1
	s_cselect_b64 s[18:19], -1, 0
.LBB32_38:
	s_andn2_b64 vcc, exec, s[18:19]
	s_cbranch_vccz .LBB32_44
; %bb.39:
	s_andn2_b64 vcc, exec, s[16:17]
	s_cbranch_vccz .LBB32_45
.LBB32_40:
	s_cmp_lt_i32 s9, 1
	s_mov_b64 s[18:19], 0
	s_cbranch_scc1 .LBB32_46
.LBB32_41:
	s_cmp_gt_i32 s9, 1
	s_cbranch_scc0 .LBB32_47
; %bb.42:
	s_cmp_eq_u32 s9, 2
	s_cbranch_scc0 .LBB32_253
; %bb.43:
	s_waitcnt vmcnt(0)
	v_cmp_ge_i32_e64 s[16:17], s10, v16
	s_mov_b64 s[20:21], 0
	s_branch .LBB32_49
.LBB32_44:
	s_waitcnt vmcnt(0)
	v_cmp_gt_i32_e32 vcc, s10, v15
	s_andn2_b64 s[6:7], s[6:7], exec
	s_and_b64 s[18:19], vcc, exec
	s_or_b64 s[6:7], s[6:7], s[18:19]
	s_cbranch_execnz .LBB32_40
.LBB32_45:
	s_waitcnt vmcnt(0)
	v_cmp_le_i32_e32 vcc, s10, v15
	s_andn2_b64 s[6:7], s[6:7], exec
	s_and_b64 s[16:17], vcc, exec
	s_or_b64 s[6:7], s[6:7], s[16:17]
	s_cmp_lt_i32 s9, 1
	s_mov_b64 s[18:19], 0
	s_cbranch_scc0 .LBB32_41
.LBB32_46:
                                        ; implicit-def: $sgpr16_sgpr17
	s_mov_b64 s[20:21], 0
	s_cbranch_execnz .LBB32_50
	s_branch .LBB32_51
.LBB32_47:
	s_mov_b64 s[20:21], 0
                                        ; implicit-def: $sgpr16_sgpr17
	s_cbranch_execz .LBB32_49
; %bb.48:
	s_waitcnt vmcnt(0)
	v_cmp_lt_i32_e32 vcc, s10, v16
	s_andn2_b64 s[16:17], s[16:17], exec
	s_and_b64 s[22:23], vcc, exec
	s_or_b64 s[16:17], s[16:17], s[22:23]
.LBB32_49:
	s_branch .LBB32_51
.LBB32_50:
	s_cmp_lg_u32 s9, 0
	s_mov_b64 s[18:19], -1
	s_cselect_b64 s[20:21], -1, 0
.LBB32_51:
	s_andn2_b64 vcc, exec, s[20:21]
	s_cbranch_vccz .LBB32_57
; %bb.52:
	s_andn2_b64 vcc, exec, s[18:19]
	s_cbranch_vccz .LBB32_58
.LBB32_53:
	s_cmp_lt_i32 s9, 1
	s_mov_b64 s[20:21], 0
	s_cbranch_scc1 .LBB32_59
.LBB32_54:
	s_cmp_gt_i32 s9, 1
	s_cbranch_scc0 .LBB32_60
; %bb.55:
	s_cmp_eq_u32 s9, 2
	s_cbranch_scc0 .LBB32_254
; %bb.56:
	s_waitcnt vmcnt(1)
	v_cmp_ge_i32_e64 s[18:19], s10, v9
	s_mov_b64 s[22:23], 0
	s_branch .LBB32_62
.LBB32_57:
	s_waitcnt vmcnt(0)
	v_cmp_gt_i32_e32 vcc, s10, v16
	s_andn2_b64 s[16:17], s[16:17], exec
	s_and_b64 s[20:21], vcc, exec
	s_or_b64 s[16:17], s[16:17], s[20:21]
	s_cbranch_execnz .LBB32_53
.LBB32_58:
	s_waitcnt vmcnt(0)
	v_cmp_le_i32_e32 vcc, s10, v16
	s_andn2_b64 s[16:17], s[16:17], exec
	s_and_b64 s[18:19], vcc, exec
	s_or_b64 s[16:17], s[16:17], s[18:19]
	s_cmp_lt_i32 s9, 1
	s_mov_b64 s[20:21], 0
	s_cbranch_scc0 .LBB32_54
.LBB32_59:
                                        ; implicit-def: $sgpr18_sgpr19
	s_mov_b64 s[22:23], 0
	s_cbranch_execnz .LBB32_63
	s_branch .LBB32_64
.LBB32_60:
	s_mov_b64 s[22:23], 0
                                        ; implicit-def: $sgpr18_sgpr19
	s_cbranch_execz .LBB32_62
; %bb.61:
	s_waitcnt vmcnt(1)
	v_cmp_lt_i32_e32 vcc, s10, v9
	s_andn2_b64 s[18:19], s[18:19], exec
	s_and_b64 s[24:25], vcc, exec
	s_or_b64 s[18:19], s[18:19], s[24:25]
.LBB32_62:
	s_branch .LBB32_64
.LBB32_63:
	s_cmp_lg_u32 s9, 0
	s_mov_b64 s[20:21], -1
	s_cselect_b64 s[22:23], -1, 0
.LBB32_64:
	s_andn2_b64 vcc, exec, s[22:23]
	s_cbranch_vccz .LBB32_70
; %bb.65:
	s_andn2_b64 vcc, exec, s[20:21]
	s_cbranch_vccz .LBB32_71
.LBB32_66:
	s_cmp_lt_i32 s9, 1
	s_mov_b64 s[22:23], 0
	s_cbranch_scc1 .LBB32_72
.LBB32_67:
	s_cmp_gt_i32 s9, 1
	s_cbranch_scc0 .LBB32_73
; %bb.68:
	s_cmp_eq_u32 s9, 2
	s_cbranch_scc0 .LBB32_255
; %bb.69:
	s_waitcnt vmcnt(1)
	v_cmp_ge_i32_e64 s[20:21], s10, v10
	s_mov_b64 s[24:25], 0
	s_branch .LBB32_75
.LBB32_70:
	s_waitcnt vmcnt(1)
	v_cmp_gt_i32_e32 vcc, s10, v9
	s_andn2_b64 s[18:19], s[18:19], exec
	s_and_b64 s[22:23], vcc, exec
	s_or_b64 s[18:19], s[18:19], s[22:23]
	s_cbranch_execnz .LBB32_66
.LBB32_71:
	s_waitcnt vmcnt(1)
	v_cmp_le_i32_e32 vcc, s10, v9
	s_andn2_b64 s[18:19], s[18:19], exec
	s_and_b64 s[20:21], vcc, exec
	s_or_b64 s[18:19], s[18:19], s[20:21]
	s_cmp_lt_i32 s9, 1
	s_mov_b64 s[22:23], 0
	s_cbranch_scc0 .LBB32_67
.LBB32_72:
                                        ; implicit-def: $sgpr20_sgpr21
	s_mov_b64 s[24:25], 0
	s_cbranch_execnz .LBB32_76
	s_branch .LBB32_77
.LBB32_73:
	s_mov_b64 s[24:25], 0
                                        ; implicit-def: $sgpr20_sgpr21
	s_cbranch_execz .LBB32_75
; %bb.74:
	s_waitcnt vmcnt(1)
	v_cmp_lt_i32_e32 vcc, s10, v10
	s_andn2_b64 s[20:21], s[20:21], exec
	s_and_b64 s[26:27], vcc, exec
	s_or_b64 s[20:21], s[20:21], s[26:27]
.LBB32_75:
	s_branch .LBB32_77
.LBB32_76:
	s_cmp_lg_u32 s9, 0
	s_mov_b64 s[22:23], -1
	s_cselect_b64 s[24:25], -1, 0
.LBB32_77:
	s_andn2_b64 vcc, exec, s[24:25]
	s_cbranch_vccz .LBB32_83
; %bb.78:
	s_andn2_b64 vcc, exec, s[22:23]
	s_cbranch_vccz .LBB32_84
.LBB32_79:
	s_cmp_lt_i32 s9, 1
	s_mov_b64 s[24:25], 0
	s_cbranch_scc1 .LBB32_85
.LBB32_80:
	s_cmp_gt_i32 s9, 1
	s_cbranch_scc0 .LBB32_86
; %bb.81:
	s_cmp_eq_u32 s9, 2
	s_cbranch_scc0 .LBB32_256
; %bb.82:
	s_waitcnt vmcnt(1)
	v_cmp_ge_i32_e64 s[22:23], s10, v11
	s_mov_b64 s[26:27], 0
	s_branch .LBB32_88
.LBB32_83:
	s_waitcnt vmcnt(1)
	v_cmp_gt_i32_e32 vcc, s10, v10
	s_andn2_b64 s[20:21], s[20:21], exec
	s_and_b64 s[24:25], vcc, exec
	s_or_b64 s[20:21], s[20:21], s[24:25]
	s_cbranch_execnz .LBB32_79
.LBB32_84:
	s_waitcnt vmcnt(1)
	v_cmp_le_i32_e32 vcc, s10, v10
	s_andn2_b64 s[20:21], s[20:21], exec
	s_and_b64 s[22:23], vcc, exec
	s_or_b64 s[20:21], s[20:21], s[22:23]
	s_cmp_lt_i32 s9, 1
	s_mov_b64 s[24:25], 0
	s_cbranch_scc0 .LBB32_80
.LBB32_85:
                                        ; implicit-def: $sgpr22_sgpr23
	s_mov_b64 s[26:27], 0
	s_cbranch_execnz .LBB32_89
	s_branch .LBB32_90
.LBB32_86:
	s_mov_b64 s[26:27], 0
                                        ; implicit-def: $sgpr22_sgpr23
	s_cbranch_execz .LBB32_88
; %bb.87:
	s_waitcnt vmcnt(1)
	v_cmp_lt_i32_e32 vcc, s10, v11
	s_andn2_b64 s[22:23], s[22:23], exec
	s_and_b64 s[28:29], vcc, exec
	s_or_b64 s[22:23], s[22:23], s[28:29]
.LBB32_88:
	s_branch .LBB32_90
.LBB32_89:
	s_cmp_lg_u32 s9, 0
	s_mov_b64 s[24:25], -1
	s_cselect_b64 s[26:27], -1, 0
.LBB32_90:
	s_andn2_b64 vcc, exec, s[26:27]
	s_cbranch_vccz .LBB32_96
; %bb.91:
	s_andn2_b64 vcc, exec, s[24:25]
	s_cbranch_vccz .LBB32_97
.LBB32_92:
	s_cmp_lt_i32 s9, 1
	s_mov_b64 s[26:27], 0
	s_cbranch_scc1 .LBB32_98
.LBB32_93:
	s_cmp_gt_i32 s9, 1
	s_cbranch_scc0 .LBB32_99
; %bb.94:
	s_cmp_eq_u32 s9, 2
	s_cbranch_scc0 .LBB32_257
; %bb.95:
	s_waitcnt vmcnt(1)
	v_cmp_ge_i32_e64 s[24:25], s10, v12
	s_mov_b64 s[28:29], 0
	s_branch .LBB32_101
.LBB32_96:
	s_waitcnt vmcnt(1)
	v_cmp_gt_i32_e32 vcc, s10, v11
	s_andn2_b64 s[22:23], s[22:23], exec
	s_and_b64 s[26:27], vcc, exec
	s_or_b64 s[22:23], s[22:23], s[26:27]
	s_cbranch_execnz .LBB32_92
.LBB32_97:
	s_waitcnt vmcnt(1)
	v_cmp_le_i32_e32 vcc, s10, v11
	s_andn2_b64 s[22:23], s[22:23], exec
	s_and_b64 s[24:25], vcc, exec
	s_or_b64 s[22:23], s[22:23], s[24:25]
	s_cmp_lt_i32 s9, 1
	s_mov_b64 s[26:27], 0
	s_cbranch_scc0 .LBB32_93
.LBB32_98:
                                        ; implicit-def: $sgpr24_sgpr25
	s_mov_b64 s[28:29], 0
	s_cbranch_execnz .LBB32_102
	s_branch .LBB32_103
.LBB32_99:
	s_mov_b64 s[28:29], 0
                                        ; implicit-def: $sgpr24_sgpr25
	s_cbranch_execz .LBB32_101
; %bb.100:
	s_waitcnt vmcnt(1)
	v_cmp_lt_i32_e32 vcc, s10, v12
	s_andn2_b64 s[24:25], s[24:25], exec
	s_and_b64 s[30:31], vcc, exec
	s_or_b64 s[24:25], s[24:25], s[30:31]
.LBB32_101:
	s_branch .LBB32_103
.LBB32_102:
	s_cmp_lg_u32 s9, 0
	s_mov_b64 s[26:27], -1
	s_cselect_b64 s[28:29], -1, 0
.LBB32_103:
	s_andn2_b64 vcc, exec, s[28:29]
	s_cbranch_vccz .LBB32_109
; %bb.104:
	s_andn2_b64 vcc, exec, s[26:27]
	s_cbranch_vccz .LBB32_110
.LBB32_105:
	s_cmp_lt_i32 s9, 1
	s_mov_b64 s[28:29], 0
	s_cbranch_scc1 .LBB32_111
.LBB32_106:
	s_cmp_gt_i32 s9, 1
	s_cbranch_scc0 .LBB32_112
; %bb.107:
	s_cmp_eq_u32 s9, 2
	s_cbranch_scc0 .LBB32_258
; %bb.108:
	s_waitcnt vmcnt(2)
	v_cmp_ge_i32_e64 s[26:27], s10, v5
	s_mov_b64 s[30:31], 0
	s_branch .LBB32_114
.LBB32_109:
	s_waitcnt vmcnt(1)
	v_cmp_gt_i32_e32 vcc, s10, v12
	s_andn2_b64 s[24:25], s[24:25], exec
	s_and_b64 s[28:29], vcc, exec
	s_or_b64 s[24:25], s[24:25], s[28:29]
	s_cbranch_execnz .LBB32_105
.LBB32_110:
	s_waitcnt vmcnt(1)
	v_cmp_le_i32_e32 vcc, s10, v12
	s_andn2_b64 s[24:25], s[24:25], exec
	s_and_b64 s[26:27], vcc, exec
	s_or_b64 s[24:25], s[24:25], s[26:27]
	s_cmp_lt_i32 s9, 1
	s_mov_b64 s[28:29], 0
	s_cbranch_scc0 .LBB32_106
.LBB32_111:
                                        ; implicit-def: $sgpr26_sgpr27
	s_mov_b64 s[30:31], 0
	s_cbranch_execnz .LBB32_115
	s_branch .LBB32_116
.LBB32_112:
	s_mov_b64 s[30:31], 0
                                        ; implicit-def: $sgpr26_sgpr27
	s_cbranch_execz .LBB32_114
; %bb.113:
	s_waitcnt vmcnt(2)
	v_cmp_lt_i32_e32 vcc, s10, v5
	s_andn2_b64 s[26:27], s[26:27], exec
	s_and_b64 s[34:35], vcc, exec
	s_or_b64 s[26:27], s[26:27], s[34:35]
.LBB32_114:
	s_branch .LBB32_116
.LBB32_115:
	s_cmp_lg_u32 s9, 0
	s_mov_b64 s[28:29], -1
	s_cselect_b64 s[30:31], -1, 0
.LBB32_116:
	s_andn2_b64 vcc, exec, s[30:31]
	s_cbranch_vccz .LBB32_122
; %bb.117:
	s_andn2_b64 vcc, exec, s[28:29]
	s_cbranch_vccz .LBB32_123
.LBB32_118:
	s_cmp_lt_i32 s9, 1
	s_mov_b64 s[30:31], 0
	s_cbranch_scc1 .LBB32_124
.LBB32_119:
	s_cmp_gt_i32 s9, 1
	s_cbranch_scc0 .LBB32_125
; %bb.120:
	s_cmp_eq_u32 s9, 2
	s_cbranch_scc0 .LBB32_259
; %bb.121:
	s_waitcnt vmcnt(2)
	v_cmp_ge_i32_e64 s[28:29], s10, v6
	s_mov_b64 s[34:35], 0
	s_branch .LBB32_127
.LBB32_122:
	s_waitcnt vmcnt(2)
	v_cmp_gt_i32_e32 vcc, s10, v5
	s_andn2_b64 s[26:27], s[26:27], exec
	s_and_b64 s[30:31], vcc, exec
	s_or_b64 s[26:27], s[26:27], s[30:31]
	s_cbranch_execnz .LBB32_118
.LBB32_123:
	s_waitcnt vmcnt(2)
	v_cmp_le_i32_e32 vcc, s10, v5
	s_andn2_b64 s[26:27], s[26:27], exec
	s_and_b64 s[28:29], vcc, exec
	s_or_b64 s[26:27], s[26:27], s[28:29]
	s_cmp_lt_i32 s9, 1
	s_mov_b64 s[30:31], 0
	s_cbranch_scc0 .LBB32_119
.LBB32_124:
                                        ; implicit-def: $sgpr28_sgpr29
	s_mov_b64 s[34:35], 0
	s_cbranch_execnz .LBB32_128
	s_branch .LBB32_129
.LBB32_125:
	s_mov_b64 s[34:35], 0
                                        ; implicit-def: $sgpr28_sgpr29
	s_cbranch_execz .LBB32_127
; %bb.126:
	s_waitcnt vmcnt(2)
	v_cmp_lt_i32_e32 vcc, s10, v6
	s_andn2_b64 s[28:29], s[28:29], exec
	s_and_b64 s[36:37], vcc, exec
	s_or_b64 s[28:29], s[28:29], s[36:37]
.LBB32_127:
	s_branch .LBB32_129
.LBB32_128:
	s_cmp_lg_u32 s9, 0
	s_mov_b64 s[30:31], -1
	s_cselect_b64 s[34:35], -1, 0
.LBB32_129:
	s_andn2_b64 vcc, exec, s[34:35]
	s_cbranch_vccz .LBB32_135
; %bb.130:
	s_andn2_b64 vcc, exec, s[30:31]
	s_cbranch_vccz .LBB32_136
.LBB32_131:
	s_cmp_lt_i32 s9, 1
	s_mov_b64 s[34:35], 0
	s_cbranch_scc1 .LBB32_137
.LBB32_132:
	s_cmp_gt_i32 s9, 1
	s_cbranch_scc0 .LBB32_138
; %bb.133:
	s_cmp_eq_u32 s9, 2
	s_cbranch_scc0 .LBB32_260
; %bb.134:
	s_waitcnt vmcnt(2)
	v_cmp_ge_i32_e64 s[30:31], s10, v7
	s_mov_b64 s[36:37], 0
	s_branch .LBB32_140
.LBB32_135:
	s_waitcnt vmcnt(2)
	v_cmp_gt_i32_e32 vcc, s10, v6
	s_andn2_b64 s[28:29], s[28:29], exec
	s_and_b64 s[34:35], vcc, exec
	s_or_b64 s[28:29], s[28:29], s[34:35]
	s_cbranch_execnz .LBB32_131
.LBB32_136:
	s_waitcnt vmcnt(2)
	v_cmp_le_i32_e32 vcc, s10, v6
	s_andn2_b64 s[28:29], s[28:29], exec
	s_and_b64 s[30:31], vcc, exec
	s_or_b64 s[28:29], s[28:29], s[30:31]
	s_cmp_lt_i32 s9, 1
	s_mov_b64 s[34:35], 0
	s_cbranch_scc0 .LBB32_132
.LBB32_137:
                                        ; implicit-def: $sgpr30_sgpr31
	s_mov_b64 s[36:37], 0
	s_cbranch_execnz .LBB32_141
	s_branch .LBB32_142
.LBB32_138:
	s_mov_b64 s[36:37], 0
                                        ; implicit-def: $sgpr30_sgpr31
	s_cbranch_execz .LBB32_140
; %bb.139:
	s_waitcnt vmcnt(2)
	v_cmp_lt_i32_e32 vcc, s10, v7
	s_andn2_b64 s[30:31], s[30:31], exec
	s_and_b64 s[38:39], vcc, exec
	s_or_b64 s[30:31], s[30:31], s[38:39]
.LBB32_140:
	s_branch .LBB32_142
.LBB32_141:
	s_cmp_lg_u32 s9, 0
	s_mov_b64 s[34:35], -1
	s_cselect_b64 s[36:37], -1, 0
.LBB32_142:
	s_andn2_b64 vcc, exec, s[36:37]
	s_cbranch_vccz .LBB32_148
; %bb.143:
	s_andn2_b64 vcc, exec, s[34:35]
	s_cbranch_vccz .LBB32_149
.LBB32_144:
	s_cmp_lt_i32 s9, 1
	s_mov_b64 s[36:37], 0
	s_cbranch_scc1 .LBB32_150
.LBB32_145:
	s_cmp_gt_i32 s9, 1
	s_cbranch_scc0 .LBB32_151
; %bb.146:
	s_cmp_eq_u32 s9, 2
	s_cbranch_scc0 .LBB32_261
; %bb.147:
	s_waitcnt vmcnt(2)
	v_cmp_ge_i32_e64 s[34:35], s10, v8
	s_mov_b64 s[38:39], 0
	s_branch .LBB32_153
.LBB32_148:
	s_waitcnt vmcnt(2)
	v_cmp_gt_i32_e32 vcc, s10, v7
	s_andn2_b64 s[30:31], s[30:31], exec
	s_and_b64 s[36:37], vcc, exec
	s_or_b64 s[30:31], s[30:31], s[36:37]
	s_cbranch_execnz .LBB32_144
.LBB32_149:
	s_waitcnt vmcnt(2)
	v_cmp_le_i32_e32 vcc, s10, v7
	s_andn2_b64 s[30:31], s[30:31], exec
	s_and_b64 s[34:35], vcc, exec
	s_or_b64 s[30:31], s[30:31], s[34:35]
	s_cmp_lt_i32 s9, 1
	s_mov_b64 s[36:37], 0
	s_cbranch_scc0 .LBB32_145
.LBB32_150:
                                        ; implicit-def: $sgpr34_sgpr35
	s_mov_b64 s[38:39], 0
	s_cbranch_execnz .LBB32_154
	s_branch .LBB32_155
.LBB32_151:
	s_mov_b64 s[38:39], 0
                                        ; implicit-def: $sgpr34_sgpr35
	s_cbranch_execz .LBB32_153
; %bb.152:
	s_waitcnt vmcnt(2)
	v_cmp_lt_i32_e32 vcc, s10, v8
	s_andn2_b64 s[34:35], s[34:35], exec
	s_and_b64 s[40:41], vcc, exec
	s_or_b64 s[34:35], s[34:35], s[40:41]
.LBB32_153:
	s_branch .LBB32_155
.LBB32_154:
	s_cmp_lg_u32 s9, 0
	s_mov_b64 s[36:37], -1
	s_cselect_b64 s[38:39], -1, 0
.LBB32_155:
	s_andn2_b64 vcc, exec, s[38:39]
	s_cbranch_vccz .LBB32_161
; %bb.156:
	s_andn2_b64 vcc, exec, s[36:37]
	s_cbranch_vccz .LBB32_162
.LBB32_157:
	s_cmp_lt_i32 s9, 1
	s_mov_b64 s[38:39], 0
	s_cbranch_scc1 .LBB32_163
.LBB32_158:
	s_cmp_gt_i32 s9, 1
	s_cbranch_scc0 .LBB32_164
; %bb.159:
	s_cmp_eq_u32 s9, 2
	s_cbranch_scc0 .LBB32_262
; %bb.160:
	s_waitcnt vmcnt(3)
	v_cmp_ge_i32_e64 s[36:37], s10, v1
	s_mov_b64 s[40:41], 0
	s_branch .LBB32_166
.LBB32_161:
	s_waitcnt vmcnt(2)
	v_cmp_gt_i32_e32 vcc, s10, v8
	s_andn2_b64 s[34:35], s[34:35], exec
	s_and_b64 s[38:39], vcc, exec
	s_or_b64 s[34:35], s[34:35], s[38:39]
	s_cbranch_execnz .LBB32_157
.LBB32_162:
	s_waitcnt vmcnt(2)
	v_cmp_le_i32_e32 vcc, s10, v8
	s_andn2_b64 s[34:35], s[34:35], exec
	s_and_b64 s[36:37], vcc, exec
	s_or_b64 s[34:35], s[34:35], s[36:37]
	s_cmp_lt_i32 s9, 1
	s_mov_b64 s[38:39], 0
	s_cbranch_scc0 .LBB32_158
.LBB32_163:
                                        ; implicit-def: $sgpr36_sgpr37
	s_mov_b64 s[40:41], 0
	s_cbranch_execnz .LBB32_167
	s_branch .LBB32_168
.LBB32_164:
	s_mov_b64 s[40:41], 0
                                        ; implicit-def: $sgpr36_sgpr37
	s_cbranch_execz .LBB32_166
; %bb.165:
	s_waitcnt vmcnt(3)
	v_cmp_lt_i32_e32 vcc, s10, v1
	s_andn2_b64 s[36:37], s[36:37], exec
	s_and_b64 s[42:43], vcc, exec
	s_or_b64 s[36:37], s[36:37], s[42:43]
.LBB32_166:
	s_branch .LBB32_168
.LBB32_167:
	s_cmp_lg_u32 s9, 0
	s_mov_b64 s[38:39], -1
	s_cselect_b64 s[40:41], -1, 0
.LBB32_168:
	s_andn2_b64 vcc, exec, s[40:41]
	s_cbranch_vccz .LBB32_174
; %bb.169:
	s_andn2_b64 vcc, exec, s[38:39]
	s_cbranch_vccz .LBB32_175
.LBB32_170:
	s_cmp_lt_i32 s9, 1
	s_mov_b64 s[40:41], 0
	s_cbranch_scc1 .LBB32_176
.LBB32_171:
	s_cmp_gt_i32 s9, 1
	s_cbranch_scc0 .LBB32_177
; %bb.172:
	s_cmp_eq_u32 s9, 2
	s_cbranch_scc0 .LBB32_263
; %bb.173:
	s_waitcnt vmcnt(3)
	v_cmp_ge_i32_e64 s[38:39], s10, v2
	s_mov_b64 s[42:43], 0
	s_branch .LBB32_179
.LBB32_174:
	s_waitcnt vmcnt(3)
	v_cmp_gt_i32_e32 vcc, s10, v1
	s_andn2_b64 s[36:37], s[36:37], exec
	s_and_b64 s[40:41], vcc, exec
	s_or_b64 s[36:37], s[36:37], s[40:41]
	s_cbranch_execnz .LBB32_170
.LBB32_175:
	s_waitcnt vmcnt(3)
	v_cmp_le_i32_e32 vcc, s10, v1
	s_andn2_b64 s[36:37], s[36:37], exec
	s_and_b64 s[38:39], vcc, exec
	s_or_b64 s[36:37], s[36:37], s[38:39]
	s_cmp_lt_i32 s9, 1
	s_mov_b64 s[40:41], 0
	s_cbranch_scc0 .LBB32_171
.LBB32_176:
                                        ; implicit-def: $sgpr38_sgpr39
	s_mov_b64 s[42:43], 0
	s_cbranch_execnz .LBB32_180
	s_branch .LBB32_181
.LBB32_177:
	s_mov_b64 s[42:43], 0
                                        ; implicit-def: $sgpr38_sgpr39
	s_cbranch_execz .LBB32_179
; %bb.178:
	s_waitcnt vmcnt(3)
	v_cmp_lt_i32_e32 vcc, s10, v2
	s_andn2_b64 s[38:39], s[38:39], exec
	s_and_b64 s[44:45], vcc, exec
	s_or_b64 s[38:39], s[38:39], s[44:45]
.LBB32_179:
	s_branch .LBB32_181
.LBB32_180:
	s_cmp_lg_u32 s9, 0
	s_mov_b64 s[40:41], -1
	s_cselect_b64 s[42:43], -1, 0
.LBB32_181:
	s_andn2_b64 vcc, exec, s[42:43]
	s_cbranch_vccz .LBB32_187
; %bb.182:
	s_andn2_b64 vcc, exec, s[40:41]
	s_cbranch_vccz .LBB32_188
.LBB32_183:
	s_cmp_lt_i32 s9, 1
	s_mov_b64 s[42:43], 0
	s_cbranch_scc1 .LBB32_189
.LBB32_184:
	s_cmp_gt_i32 s9, 1
	s_cbranch_scc0 .LBB32_190
; %bb.185:
	s_cmp_eq_u32 s9, 2
	s_cbranch_scc0 .LBB32_264
; %bb.186:
	s_waitcnt vmcnt(3)
	v_cmp_ge_i32_e64 s[40:41], s10, v3
	s_mov_b64 s[44:45], 0
	s_branch .LBB32_192
.LBB32_187:
	s_waitcnt vmcnt(3)
	v_cmp_gt_i32_e32 vcc, s10, v2
	s_andn2_b64 s[38:39], s[38:39], exec
	s_and_b64 s[42:43], vcc, exec
	s_or_b64 s[38:39], s[38:39], s[42:43]
	s_cbranch_execnz .LBB32_183
.LBB32_188:
	s_waitcnt vmcnt(3)
	v_cmp_le_i32_e32 vcc, s10, v2
	s_andn2_b64 s[38:39], s[38:39], exec
	s_and_b64 s[40:41], vcc, exec
	s_or_b64 s[38:39], s[38:39], s[40:41]
	s_cmp_lt_i32 s9, 1
	s_mov_b64 s[42:43], 0
	s_cbranch_scc0 .LBB32_184
.LBB32_189:
                                        ; implicit-def: $sgpr40_sgpr41
	s_mov_b64 s[44:45], 0
	s_cbranch_execnz .LBB32_193
	s_branch .LBB32_194
.LBB32_190:
	s_mov_b64 s[44:45], 0
                                        ; implicit-def: $sgpr40_sgpr41
	s_cbranch_execz .LBB32_192
; %bb.191:
	s_waitcnt vmcnt(3)
	v_cmp_lt_i32_e32 vcc, s10, v3
	s_andn2_b64 s[40:41], s[40:41], exec
	s_and_b64 s[46:47], vcc, exec
	s_or_b64 s[40:41], s[40:41], s[46:47]
.LBB32_192:
	s_branch .LBB32_194
.LBB32_193:
	s_cmp_lg_u32 s9, 0
	s_mov_b64 s[42:43], -1
	s_cselect_b64 s[44:45], -1, 0
.LBB32_194:
	s_andn2_b64 vcc, exec, s[44:45]
	s_cbranch_vccz .LBB32_200
; %bb.195:
	s_andn2_b64 vcc, exec, s[42:43]
	s_cbranch_vccz .LBB32_201
.LBB32_196:
	s_cmp_lt_i32 s9, 1
	s_mov_b64 s[44:45], 0
	s_cbranch_scc1 .LBB32_202
.LBB32_197:
	s_cmp_gt_i32 s9, 1
	s_cbranch_scc0 .LBB32_203
; %bb.198:
	s_cmp_eq_u32 s9, 2
	s_cbranch_scc0 .LBB32_265
; %bb.199:
	s_waitcnt vmcnt(3)
	v_cmp_ge_i32_e64 s[42:43], s10, v4
	s_mov_b64 s[46:47], 0
	s_branch .LBB32_205
.LBB32_200:
	s_waitcnt vmcnt(3)
	v_cmp_gt_i32_e32 vcc, s10, v3
	s_andn2_b64 s[40:41], s[40:41], exec
	s_and_b64 s[44:45], vcc, exec
	s_or_b64 s[40:41], s[40:41], s[44:45]
	s_cbranch_execnz .LBB32_196
.LBB32_201:
	s_waitcnt vmcnt(3)
	v_cmp_le_i32_e32 vcc, s10, v3
	s_andn2_b64 s[40:41], s[40:41], exec
	s_and_b64 s[42:43], vcc, exec
	s_or_b64 s[40:41], s[40:41], s[42:43]
	s_cmp_lt_i32 s9, 1
	s_mov_b64 s[44:45], 0
	s_cbranch_scc0 .LBB32_197
.LBB32_202:
                                        ; implicit-def: $sgpr42_sgpr43
	s_mov_b64 s[46:47], 0
	s_cbranch_execnz .LBB32_206
	s_branch .LBB32_207
.LBB32_203:
	s_mov_b64 s[46:47], 0
                                        ; implicit-def: $sgpr42_sgpr43
	s_cbranch_execz .LBB32_205
; %bb.204:
	s_waitcnt vmcnt(3)
	v_cmp_lt_i32_e32 vcc, s10, v4
	s_andn2_b64 s[42:43], s[42:43], exec
	s_and_b64 s[48:49], vcc, exec
	s_or_b64 s[42:43], s[42:43], s[48:49]
.LBB32_205:
	s_branch .LBB32_207
.LBB32_206:
	s_cmp_lg_u32 s9, 0
	s_mov_b64 s[44:45], -1
	s_cselect_b64 s[46:47], -1, 0
.LBB32_207:
	s_andn2_b64 vcc, exec, s[46:47]
	s_cbranch_vccz .LBB32_249
; %bb.208:
	s_andn2_b64 vcc, exec, s[44:45]
	s_cbranch_vccnz .LBB32_210
.LBB32_209:
	s_waitcnt vmcnt(3)
	v_cmp_le_i32_e32 vcc, s10, v4
	s_andn2_b64 s[42:43], s[42:43], exec
	s_and_b64 s[44:45], vcc, exec
	s_or_b64 s[42:43], s[42:43], s[44:45]
.LBB32_210:
	s_waitcnt vmcnt(3)
	v_cndmask_b32_e64 v1, 0, 1, s[4:5]
	v_lshlrev_b16_e32 v1, 8, v1
	v_cndmask_b32_e64 v2, 0, 1, s[0:1]
	v_or_b32_e32 v1, v2, v1
	v_cndmask_b32_e64 v2, 0, 1, s[16:17]
	v_lshlrev_b16_e32 v2, 8, v2
	v_cndmask_b32_e64 v3, 0, 1, s[6:7]
	v_or_b32_sdwa v2, v3, v2 dst_sel:WORD_1 dst_unused:UNUSED_PAD src0_sel:DWORD src1_sel:DWORD
	v_or_b32_sdwa v1, v1, v2 dst_sel:DWORD dst_unused:UNUSED_PAD src0_sel:WORD_0 src1_sel:DWORD
	v_cndmask_b32_e64 v2, 0, 1, s[20:21]
	v_lshlrev_b16_e32 v2, 8, v2
	v_cndmask_b32_e64 v3, 0, 1, s[18:19]
	v_or_b32_e32 v2, v3, v2
	v_cndmask_b32_e64 v3, 0, 1, s[24:25]
	v_lshlrev_b16_e32 v3, 8, v3
	v_cndmask_b32_e64 v4, 0, 1, s[22:23]
	v_or_b32_sdwa v3, v4, v3 dst_sel:WORD_1 dst_unused:UNUSED_PAD src0_sel:DWORD src1_sel:DWORD
	v_or_b32_sdwa v2, v2, v3 dst_sel:DWORD dst_unused:UNUSED_PAD src0_sel:WORD_0 src1_sel:DWORD
	v_cndmask_b32_e64 v3, 0, 1, s[28:29]
	v_lshlrev_b16_e32 v3, 8, v3
	v_cndmask_b32_e64 v4, 0, 1, s[26:27]
	v_or_b32_e32 v3, v4, v3
	v_cndmask_b32_e64 v4, 0, 1, s[34:35]
	v_lshlrev_b16_e32 v4, 8, v4
	s_waitcnt vmcnt(2)
	v_cndmask_b32_e64 v6, 0, 1, s[30:31]
	v_or_b32_sdwa v4, v6, v4 dst_sel:WORD_1 dst_unused:UNUSED_PAD src0_sel:DWORD src1_sel:DWORD
	v_or_b32_sdwa v3, v3, v4 dst_sel:DWORD dst_unused:UNUSED_PAD src0_sel:WORD_0 src1_sel:DWORD
	v_cndmask_b32_e64 v4, 0, 1, s[38:39]
	v_lshlrev_b16_e32 v4, 8, v4
	v_cndmask_b32_e64 v6, 0, 1, s[36:37]
	v_or_b32_e32 v4, v6, v4
	v_cndmask_b32_e64 v6, 0, 1, s[42:43]
	v_lshlrev_b16_e32 v6, 8, v6
	v_cndmask_b32_e64 v7, 0, 1, s[40:41]
	s_add_u32 s44, s12, s2
	v_or_b32_sdwa v6, v7, v6 dst_sel:WORD_1 dst_unused:UNUSED_PAD src0_sel:DWORD src1_sel:DWORD
	s_addc_u32 s45, s13, s3
	v_lshlrev_b32_e32 v5, 4, v0
	v_or_b32_sdwa v4, v4, v6 dst_sel:DWORD dst_unused:UNUSED_PAD src0_sel:WORD_0 src1_sel:DWORD
	global_store_dwordx4 v5, v[1:4], s[44:45]
	s_mov_b64 s[0:1], 0
.LBB32_211:
	s_and_b64 vcc, exec, s[0:1]
	s_cbranch_vccz .LBB32_519
; %bb.212:
	v_cmp_gt_i32_e64 s[0:1], s8, v0
	v_mov_b32_e32 v4, 0
	v_or_b32_e32 v1, s2, v0
	v_mov_b32_e32 v5, 0
	v_mov_b32_e32 v6, 0
	;; [unrolled: 1-line block ×4, first 2 shown]
	s_waitcnt vmcnt(2)
	v_mov_b32_e32 v9, 0
	v_mov_b32_e32 v10, 0
	;; [unrolled: 1-line block ×8, first 2 shown]
	s_waitcnt vmcnt(1)
	v_mov_b32_e32 v13, 0
	v_mov_b32_e32 v14, 0
	;; [unrolled: 1-line block ×3, first 2 shown]
	s_and_saveexec_b64 s[4:5], s[0:1]
	s_cbranch_execz .LBB32_244
; %bb.213:
	v_mov_b32_e32 v2, 0
	v_lshlrev_b64 v[3:4], 2, v[1:2]
	v_mov_b32_e32 v5, s15
	v_add_co_u32_e32 v3, vcc, s14, v3
	v_addc_co_u32_e32 v4, vcc, v5, v4, vcc
	global_load_dword v20, v[3:4], off
	v_or_b32_e32 v3, 0x100, v0
	v_cmp_gt_u32_e32 vcc, s8, v3
	v_mov_b32_e32 v15, v2
	v_mov_b32_e32 v18, v2
	v_mov_b32_e32 v19, v2
	v_mov_b32_e32 v14, v2
	v_mov_b32_e32 v13, v2
	v_mov_b32_e32 v12, v2
	v_mov_b32_e32 v11, v2
	v_mov_b32_e32 v10, v2
	v_mov_b32_e32 v9, v2
	v_mov_b32_e32 v8, v2
	v_mov_b32_e32 v7, v2
	v_mov_b32_e32 v6, v2
	v_mov_b32_e32 v5, v2
	v_mov_b32_e32 v4, v2
	s_and_saveexec_b64 s[6:7], vcc
	s_cbranch_execz .LBB32_243
; %bb.214:
	v_add_u32_e32 v14, s2, v0
	v_mov_b32_e32 v15, 0
	v_lshlrev_b64 v[2:3], 2, v[14:15]
	v_mov_b32_e32 v4, s15
	v_add_co_u32_e32 v16, vcc, s14, v2
	v_addc_co_u32_e32 v17, vcc, v4, v3, vcc
	global_load_dword v2, v[16:17], off offset:1024
	v_or_b32_e32 v3, 0x200, v0
	v_cmp_gt_u32_e32 vcc, s8, v3
	v_mov_b32_e32 v18, v15
	v_mov_b32_e32 v19, v15
	;; [unrolled: 1-line block ×13, first 2 shown]
	s_and_saveexec_b64 s[16:17], vcc
	s_cbranch_execz .LBB32_242
; %bb.215:
	global_load_dword v15, v[16:17], off offset:2048
	v_or_b32_e32 v3, 0x300, v0
	v_cmp_gt_u32_e32 vcc, s8, v3
	v_mov_b32_e32 v18, 0
	v_mov_b32_e32 v19, 0
	;; [unrolled: 1-line block ×13, first 2 shown]
	s_and_saveexec_b64 s[18:19], vcc
	s_cbranch_execz .LBB32_241
; %bb.216:
	global_load_dword v18, v[16:17], off offset:3072
	v_or_b32_e32 v3, 0x400, v0
	v_cmp_gt_u32_e32 vcc, s8, v3
	v_mov_b32_e32 v19, 0
	v_mov_b32_e32 v14, 0
	;; [unrolled: 1-line block ×12, first 2 shown]
	s_and_saveexec_b64 s[20:21], vcc
	s_cbranch_execz .LBB32_240
; %bb.217:
	v_or_b32_e32 v13, s2, v3
	v_mov_b32_e32 v14, 0
	v_lshlrev_b64 v[3:4], 2, v[13:14]
	v_mov_b32_e32 v5, s15
	v_add_co_u32_e32 v3, vcc, s14, v3
	v_addc_co_u32_e32 v4, vcc, v5, v4, vcc
	global_load_dword v19, v[3:4], off
	v_or_b32_e32 v3, 0x500, v0
	v_cmp_gt_u32_e32 vcc, s8, v3
	v_mov_b32_e32 v13, v14
	v_mov_b32_e32 v12, v14
	;; [unrolled: 1-line block ×10, first 2 shown]
	s_and_saveexec_b64 s[22:23], vcc
	s_cbranch_execz .LBB32_239
; %bb.218:
	v_or_b32_e32 v12, s2, v3
	v_mov_b32_e32 v13, 0
	v_lshlrev_b64 v[3:4], 2, v[12:13]
	v_mov_b32_e32 v5, s15
	v_add_co_u32_e32 v3, vcc, s14, v3
	v_addc_co_u32_e32 v4, vcc, v5, v4, vcc
	global_load_dword v14, v[3:4], off
	v_or_b32_e32 v3, 0x600, v0
	v_cmp_gt_u32_e32 vcc, s8, v3
	v_mov_b32_e32 v12, v13
	v_mov_b32_e32 v11, v13
	;; [unrolled: 1-line block ×9, first 2 shown]
	s_and_saveexec_b64 s[24:25], vcc
	s_cbranch_execz .LBB32_238
; %bb.219:
	v_or_b32_e32 v11, s2, v3
	v_mov_b32_e32 v12, 0
	v_lshlrev_b64 v[3:4], 2, v[11:12]
	v_mov_b32_e32 v5, s15
	v_add_co_u32_e32 v3, vcc, s14, v3
	v_addc_co_u32_e32 v4, vcc, v5, v4, vcc
	global_load_dword v13, v[3:4], off
	v_or_b32_e32 v3, 0x700, v0
	v_cmp_gt_u32_e32 vcc, s8, v3
	v_mov_b32_e32 v11, v12
	v_mov_b32_e32 v10, v12
	;; [unrolled: 1-line block ×8, first 2 shown]
	s_and_saveexec_b64 s[26:27], vcc
	s_cbranch_execz .LBB32_237
; %bb.220:
	v_or_b32_e32 v10, s2, v3
	v_mov_b32_e32 v11, 0
	v_lshlrev_b64 v[3:4], 2, v[10:11]
	v_mov_b32_e32 v5, s15
	v_add_co_u32_e32 v3, vcc, s14, v3
	v_addc_co_u32_e32 v4, vcc, v5, v4, vcc
	global_load_dword v12, v[3:4], off
	v_or_b32_e32 v3, 0x800, v0
	v_cmp_gt_u32_e32 vcc, s8, v3
	v_mov_b32_e32 v10, v11
	v_mov_b32_e32 v9, v11
	;; [unrolled: 1-line block ×7, first 2 shown]
	s_and_saveexec_b64 s[28:29], vcc
	s_cbranch_execz .LBB32_236
; %bb.221:
	v_or_b32_e32 v9, s2, v3
	v_mov_b32_e32 v10, 0
	v_lshlrev_b64 v[3:4], 2, v[9:10]
	v_mov_b32_e32 v5, s15
	v_add_co_u32_e32 v3, vcc, s14, v3
	v_addc_co_u32_e32 v4, vcc, v5, v4, vcc
	global_load_dword v11, v[3:4], off
	v_or_b32_e32 v3, 0x900, v0
	v_cmp_gt_u32_e32 vcc, s8, v3
	v_mov_b32_e32 v9, v10
	v_mov_b32_e32 v8, v10
	v_mov_b32_e32 v7, v10
	v_mov_b32_e32 v6, v10
	v_mov_b32_e32 v5, v10
	v_mov_b32_e32 v4, v10
	s_and_saveexec_b64 s[30:31], vcc
	s_cbranch_execz .LBB32_235
; %bb.222:
	v_or_b32_e32 v8, s2, v3
	v_mov_b32_e32 v9, 0
	v_lshlrev_b64 v[3:4], 2, v[8:9]
	v_mov_b32_e32 v5, s15
	v_add_co_u32_e32 v3, vcc, s14, v3
	v_addc_co_u32_e32 v4, vcc, v5, v4, vcc
	global_load_dword v10, v[3:4], off
	v_or_b32_e32 v3, 0xa00, v0
	v_cmp_gt_u32_e32 vcc, s8, v3
	v_mov_b32_e32 v8, v9
	v_mov_b32_e32 v7, v9
	;; [unrolled: 1-line block ×5, first 2 shown]
	s_and_saveexec_b64 s[34:35], vcc
	s_cbranch_execz .LBB32_234
; %bb.223:
	v_or_b32_e32 v7, s2, v3
	v_mov_b32_e32 v8, 0
	v_lshlrev_b64 v[3:4], 2, v[7:8]
	v_mov_b32_e32 v5, s15
	v_add_co_u32_e32 v3, vcc, s14, v3
	v_addc_co_u32_e32 v4, vcc, v5, v4, vcc
	global_load_dword v9, v[3:4], off
	v_or_b32_e32 v3, 0xb00, v0
	v_cmp_gt_u32_e32 vcc, s8, v3
	v_mov_b32_e32 v7, v8
	v_mov_b32_e32 v6, v8
	;; [unrolled: 1-line block ×4, first 2 shown]
	s_and_saveexec_b64 s[36:37], vcc
	s_cbranch_execz .LBB32_233
; %bb.224:
	v_or_b32_e32 v6, s2, v3
	v_mov_b32_e32 v7, 0
	v_lshlrev_b64 v[3:4], 2, v[6:7]
	v_mov_b32_e32 v5, s15
	v_add_co_u32_e32 v3, vcc, s14, v3
	v_addc_co_u32_e32 v4, vcc, v5, v4, vcc
	global_load_dword v8, v[3:4], off
	v_or_b32_e32 v3, 0xc00, v0
	v_cmp_gt_u32_e32 vcc, s8, v3
	v_mov_b32_e32 v6, v7
	v_mov_b32_e32 v5, v7
	v_mov_b32_e32 v4, v7
	s_and_saveexec_b64 s[38:39], vcc
	s_cbranch_execz .LBB32_232
; %bb.225:
	v_or_b32_e32 v5, s2, v3
	v_mov_b32_e32 v6, 0
	v_lshlrev_b64 v[3:4], 2, v[5:6]
	v_mov_b32_e32 v5, s15
	v_add_co_u32_e32 v3, vcc, s14, v3
	v_addc_co_u32_e32 v4, vcc, v5, v4, vcc
	global_load_dword v7, v[3:4], off
	v_or_b32_e32 v3, 0xd00, v0
	v_cmp_gt_u32_e32 vcc, s8, v3
	v_mov_b32_e32 v5, v6
	v_mov_b32_e32 v4, v6
	s_and_saveexec_b64 s[40:41], vcc
	s_cbranch_execz .LBB32_231
; %bb.226:
	v_add_u32_e32 v4, s2, v3
	v_mov_b32_e32 v5, 0
	v_lshlrev_b64 v[3:4], 2, v[4:5]
	v_mov_b32_e32 v6, s15
	v_add_co_u32_e32 v3, vcc, s14, v3
	v_addc_co_u32_e32 v4, vcc, v6, v4, vcc
	global_load_dword v6, v[3:4], off
	v_or_b32_e32 v3, 0xe00, v0
	v_cmp_gt_u32_e32 vcc, s8, v3
	v_mov_b32_e32 v4, v5
	s_and_saveexec_b64 s[42:43], vcc
	s_cbranch_execz .LBB32_230
; %bb.227:
	v_add_u32_e32 v3, s2, v3
	v_mov_b32_e32 v4, 0
	v_lshlrev_b64 v[16:17], 2, v[3:4]
	v_mov_b32_e32 v3, s15
	v_add_co_u32_e32 v16, vcc, s14, v16
	v_addc_co_u32_e32 v17, vcc, v3, v17, vcc
	global_load_dword v5, v[16:17], off
	v_or_b32_e32 v3, 0xf00, v0
	v_cmp_gt_u32_e32 vcc, s8, v3
	s_and_saveexec_b64 s[44:45], vcc
	s_cbranch_execz .LBB32_229
; %bb.228:
	v_add_u32_e32 v3, s2, v3
	v_mov_b32_e32 v4, 0
	v_lshlrev_b64 v[3:4], 2, v[3:4]
	v_mov_b32_e32 v16, s15
	v_add_co_u32_e32 v3, vcc, s14, v3
	v_addc_co_u32_e32 v4, vcc, v16, v4, vcc
	global_load_dword v4, v[3:4], off
.LBB32_229:
	s_or_b64 exec, exec, s[44:45]
.LBB32_230:
	s_or_b64 exec, exec, s[42:43]
.LBB32_231:
	s_or_b64 exec, exec, s[40:41]
.LBB32_232:
	s_or_b64 exec, exec, s[38:39]
.LBB32_233:
	s_or_b64 exec, exec, s[36:37]
.LBB32_234:
	s_or_b64 exec, exec, s[34:35]
.LBB32_235:
	s_or_b64 exec, exec, s[30:31]
.LBB32_236:
	s_or_b64 exec, exec, s[28:29]
.LBB32_237:
	s_or_b64 exec, exec, s[26:27]
.LBB32_238:
	s_or_b64 exec, exec, s[24:25]
.LBB32_239:
	s_or_b64 exec, exec, s[22:23]
.LBB32_240:
	s_or_b64 exec, exec, s[20:21]
.LBB32_241:
	s_or_b64 exec, exec, s[18:19]
.LBB32_242:
	s_or_b64 exec, exec, s[16:17]
.LBB32_243:
	s_or_b64 exec, exec, s[6:7]
.LBB32_244:
	s_or_b64 exec, exec, s[4:5]
                                        ; implicit-def: $vgpr3
	s_and_saveexec_b64 s[4:5], s[0:1]
	s_cbranch_execz .LBB32_276
; %bb.245:
	s_cmp_lt_i32 s9, 1
	s_mov_b64 s[6:7], 0
	s_cbranch_scc1 .LBB32_250
; %bb.246:
	s_cmp_gt_i32 s9, 1
	s_cbranch_scc0 .LBB32_266
; %bb.247:
	s_cmp_eq_u32 s9, 2
	s_cbranch_scc0 .LBB32_267
; %bb.248:
	s_waitcnt vmcnt(0)
	v_cmp_ge_i32_e64 s[14:15], s10, v20
	s_mov_b64 s[16:17], 0
	s_branch .LBB32_268
.LBB32_249:
	s_waitcnt vmcnt(3)
	v_cmp_gt_i32_e32 vcc, s10, v4
	s_andn2_b64 s[42:43], s[42:43], exec
	s_and_b64 s[46:47], vcc, exec
	s_or_b64 s[42:43], s[42:43], s[46:47]
	s_cbranch_execz .LBB32_209
	s_branch .LBB32_210
.LBB32_250:
                                        ; implicit-def: $sgpr14_sgpr15
	s_mov_b64 s[16:17], 0
	s_cbranch_execnz .LBB32_271
	s_branch .LBB32_272
.LBB32_251:
	s_mov_b64 s[16:17], -1
                                        ; implicit-def: $sgpr4_sgpr5
	s_branch .LBB32_23
.LBB32_252:
	s_mov_b64 s[18:19], -1
                                        ; implicit-def: $sgpr6_sgpr7
	s_branch .LBB32_36
.LBB32_253:
	s_mov_b64 s[20:21], -1
                                        ; implicit-def: $sgpr16_sgpr17
	s_branch .LBB32_49
.LBB32_254:
	s_mov_b64 s[22:23], -1
                                        ; implicit-def: $sgpr18_sgpr19
	s_branch .LBB32_62
.LBB32_255:
	s_mov_b64 s[24:25], -1
                                        ; implicit-def: $sgpr20_sgpr21
	s_branch .LBB32_75
.LBB32_256:
	s_mov_b64 s[26:27], -1
                                        ; implicit-def: $sgpr22_sgpr23
	s_branch .LBB32_88
.LBB32_257:
	s_mov_b64 s[28:29], -1
                                        ; implicit-def: $sgpr24_sgpr25
	s_branch .LBB32_101
.LBB32_258:
	s_mov_b64 s[30:31], -1
                                        ; implicit-def: $sgpr26_sgpr27
	s_branch .LBB32_114
.LBB32_259:
	s_mov_b64 s[34:35], -1
                                        ; implicit-def: $sgpr28_sgpr29
	s_branch .LBB32_127
.LBB32_260:
	s_mov_b64 s[36:37], -1
                                        ; implicit-def: $sgpr30_sgpr31
	s_branch .LBB32_140
.LBB32_261:
	s_mov_b64 s[38:39], -1
                                        ; implicit-def: $sgpr34_sgpr35
	s_branch .LBB32_153
.LBB32_262:
	s_mov_b64 s[40:41], -1
                                        ; implicit-def: $sgpr36_sgpr37
	s_branch .LBB32_166
.LBB32_263:
	s_mov_b64 s[42:43], -1
                                        ; implicit-def: $sgpr38_sgpr39
	s_branch .LBB32_179
.LBB32_264:
	s_mov_b64 s[44:45], -1
                                        ; implicit-def: $sgpr40_sgpr41
	s_branch .LBB32_192
.LBB32_265:
	s_mov_b64 s[46:47], -1
                                        ; implicit-def: $sgpr42_sgpr43
	s_branch .LBB32_205
.LBB32_266:
	s_mov_b64 s[16:17], 0
                                        ; implicit-def: $sgpr14_sgpr15
	s_cbranch_execnz .LBB32_269
	s_branch .LBB32_270
.LBB32_267:
	s_mov_b64 s[16:17], -1
                                        ; implicit-def: $sgpr14_sgpr15
.LBB32_268:
	s_branch .LBB32_270
.LBB32_269:
	s_waitcnt vmcnt(0)
	v_cmp_lt_i32_e32 vcc, s10, v20
	s_andn2_b64 s[14:15], s[14:15], exec
	s_and_b64 s[18:19], vcc, exec
	s_or_b64 s[14:15], s[14:15], s[18:19]
.LBB32_270:
	s_branch .LBB32_272
.LBB32_271:
	s_cmp_lg_u32 s9, 0
	s_mov_b64 s[6:7], -1
	s_cselect_b64 s[16:17], -1, 0
.LBB32_272:
	s_andn2_b64 vcc, exec, s[16:17]
	s_cbranch_vccz .LBB32_281
; %bb.273:
	s_andn2_b64 vcc, exec, s[6:7]
	s_cbranch_vccnz .LBB32_275
.LBB32_274:
	s_waitcnt vmcnt(0)
	v_cmp_le_i32_e32 vcc, s10, v20
	s_andn2_b64 s[6:7], s[14:15], exec
	s_and_b64 s[14:15], vcc, exec
	s_or_b64 s[14:15], s[6:7], s[14:15]
.LBB32_275:
	v_cndmask_b32_e64 v3, 0, 1, s[14:15]
.LBB32_276:
	s_or_b64 exec, exec, s[4:5]
	v_or_b32_e32 v16, 0x100, v0
	v_cmp_gt_i32_e32 vcc, s8, v16
                                        ; implicit-def: $vgpr17
	s_and_saveexec_b64 s[4:5], vcc
	s_cbranch_execz .LBB32_291
; %bb.277:
	s_cmp_lt_i32 s9, 1
	s_mov_b64 s[6:7], 0
	s_cbranch_scc1 .LBB32_282
; %bb.278:
	s_cmp_gt_i32 s9, 1
	s_cbranch_scc0 .LBB32_283
; %bb.279:
	s_cmp_eq_u32 s9, 2
	s_cbranch_scc0 .LBB32_535
; %bb.280:
	s_waitcnt vmcnt(0)
	v_cmp_ge_i32_e64 s[14:15], s10, v2
	s_mov_b64 s[16:17], 0
	s_branch .LBB32_285
.LBB32_281:
	s_waitcnt vmcnt(0)
	v_cmp_gt_i32_e32 vcc, s10, v20
	s_andn2_b64 s[14:15], s[14:15], exec
	s_and_b64 s[16:17], vcc, exec
	s_or_b64 s[14:15], s[14:15], s[16:17]
	s_cbranch_execz .LBB32_274
	s_branch .LBB32_275
.LBB32_282:
                                        ; implicit-def: $sgpr14_sgpr15
	s_mov_b64 s[16:17], 0
	s_cbranch_execnz .LBB32_286
	s_branch .LBB32_287
.LBB32_283:
	s_mov_b64 s[16:17], 0
                                        ; implicit-def: $sgpr14_sgpr15
	s_cbranch_execz .LBB32_285
; %bb.284:
	s_waitcnt vmcnt(0)
	v_cmp_lt_i32_e32 vcc, s10, v2
	s_andn2_b64 s[14:15], s[14:15], exec
	s_and_b64 s[18:19], vcc, exec
	s_or_b64 s[14:15], s[14:15], s[18:19]
.LBB32_285:
	s_branch .LBB32_287
.LBB32_286:
	s_cmp_lg_u32 s9, 0
	s_mov_b64 s[6:7], -1
	s_cselect_b64 s[16:17], -1, 0
.LBB32_287:
	s_andn2_b64 vcc, exec, s[16:17]
	s_cbranch_vccz .LBB32_296
; %bb.288:
	s_andn2_b64 vcc, exec, s[6:7]
	s_cbranch_vccnz .LBB32_290
.LBB32_289:
	s_waitcnt vmcnt(0)
	v_cmp_le_i32_e32 vcc, s10, v2
	s_andn2_b64 s[6:7], s[14:15], exec
	s_and_b64 s[14:15], vcc, exec
	s_or_b64 s[14:15], s[6:7], s[14:15]
.LBB32_290:
	v_cndmask_b32_e64 v17, 0, 1, s[14:15]
.LBB32_291:
	s_or_b64 exec, exec, s[4:5]
	s_waitcnt vmcnt(0)
	v_or_b32_e32 v2, 0x200, v0
	v_cmp_gt_i32_e32 vcc, s8, v2
                                        ; implicit-def: $vgpr2
	s_and_saveexec_b64 s[4:5], vcc
	s_cbranch_execz .LBB32_306
; %bb.292:
	s_cmp_lt_i32 s9, 1
	s_mov_b64 s[6:7], 0
	s_cbranch_scc1 .LBB32_297
; %bb.293:
	s_cmp_gt_i32 s9, 1
	s_cbranch_scc0 .LBB32_298
; %bb.294:
	s_cmp_eq_u32 s9, 2
	s_cbranch_scc0 .LBB32_536
; %bb.295:
	v_cmp_ge_i32_e64 s[14:15], s10, v15
	s_mov_b64 s[16:17], 0
	s_branch .LBB32_300
.LBB32_296:
	s_waitcnt vmcnt(0)
	v_cmp_gt_i32_e32 vcc, s10, v2
	s_andn2_b64 s[14:15], s[14:15], exec
	s_and_b64 s[16:17], vcc, exec
	s_or_b64 s[14:15], s[14:15], s[16:17]
	s_cbranch_execz .LBB32_289
	s_branch .LBB32_290
.LBB32_297:
                                        ; implicit-def: $sgpr14_sgpr15
	s_mov_b64 s[16:17], 0
	s_cbranch_execnz .LBB32_301
	s_branch .LBB32_302
.LBB32_298:
	s_mov_b64 s[16:17], 0
                                        ; implicit-def: $sgpr14_sgpr15
	s_cbranch_execz .LBB32_300
; %bb.299:
	v_cmp_lt_i32_e32 vcc, s10, v15
	s_andn2_b64 s[14:15], s[14:15], exec
	s_and_b64 s[18:19], vcc, exec
	s_or_b64 s[14:15], s[14:15], s[18:19]
.LBB32_300:
	s_branch .LBB32_302
.LBB32_301:
	s_cmp_lg_u32 s9, 0
	s_mov_b64 s[6:7], -1
	s_cselect_b64 s[16:17], -1, 0
.LBB32_302:
	s_andn2_b64 vcc, exec, s[16:17]
	s_cbranch_vccz .LBB32_311
; %bb.303:
	s_andn2_b64 vcc, exec, s[6:7]
	s_cbranch_vccnz .LBB32_305
.LBB32_304:
	v_cmp_le_i32_e32 vcc, s10, v15
	s_andn2_b64 s[6:7], s[14:15], exec
	s_and_b64 s[14:15], vcc, exec
	s_or_b64 s[14:15], s[6:7], s[14:15]
.LBB32_305:
	v_cndmask_b32_e64 v2, 0, 1, s[14:15]
.LBB32_306:
	s_or_b64 exec, exec, s[4:5]
	v_or_b32_e32 v15, 0x300, v0
	v_cmp_gt_i32_e32 vcc, s8, v15
                                        ; implicit-def: $vgpr15
	s_and_saveexec_b64 s[4:5], vcc
	s_cbranch_execz .LBB32_321
; %bb.307:
	s_cmp_lt_i32 s9, 1
	s_mov_b64 s[6:7], 0
	s_cbranch_scc1 .LBB32_312
; %bb.308:
	s_cmp_gt_i32 s9, 1
	s_cbranch_scc0 .LBB32_313
; %bb.309:
	s_cmp_eq_u32 s9, 2
	s_cbranch_scc0 .LBB32_537
; %bb.310:
	v_cmp_ge_i32_e64 s[14:15], s10, v18
	s_mov_b64 s[16:17], 0
	s_branch .LBB32_315
.LBB32_311:
	v_cmp_gt_i32_e32 vcc, s10, v15
	s_andn2_b64 s[14:15], s[14:15], exec
	s_and_b64 s[16:17], vcc, exec
	s_or_b64 s[14:15], s[14:15], s[16:17]
	s_cbranch_execz .LBB32_304
	s_branch .LBB32_305
.LBB32_312:
                                        ; implicit-def: $sgpr14_sgpr15
	s_mov_b64 s[16:17], 0
	s_cbranch_execnz .LBB32_316
	s_branch .LBB32_317
.LBB32_313:
	s_mov_b64 s[16:17], 0
                                        ; implicit-def: $sgpr14_sgpr15
	s_cbranch_execz .LBB32_315
; %bb.314:
	v_cmp_lt_i32_e32 vcc, s10, v18
	s_andn2_b64 s[14:15], s[14:15], exec
	s_and_b64 s[18:19], vcc, exec
	s_or_b64 s[14:15], s[14:15], s[18:19]
.LBB32_315:
	s_branch .LBB32_317
.LBB32_316:
	s_cmp_lg_u32 s9, 0
	s_mov_b64 s[6:7], -1
	s_cselect_b64 s[16:17], -1, 0
.LBB32_317:
	s_andn2_b64 vcc, exec, s[16:17]
	s_cbranch_vccz .LBB32_326
; %bb.318:
	s_andn2_b64 vcc, exec, s[6:7]
	s_cbranch_vccnz .LBB32_320
.LBB32_319:
	v_cmp_le_i32_e32 vcc, s10, v18
	s_andn2_b64 s[6:7], s[14:15], exec
	s_and_b64 s[14:15], vcc, exec
	s_or_b64 s[14:15], s[6:7], s[14:15]
.LBB32_320:
	v_cndmask_b32_e64 v15, 0, 1, s[14:15]
.LBB32_321:
	s_or_b64 exec, exec, s[4:5]
	v_or_b32_e32 v18, 0x400, v0
	v_cmp_gt_i32_e32 vcc, s8, v18
                                        ; implicit-def: $vgpr18
	s_and_saveexec_b64 s[4:5], vcc
	s_cbranch_execz .LBB32_336
; %bb.322:
	s_cmp_lt_i32 s9, 1
	s_mov_b64 s[6:7], 0
	s_cbranch_scc1 .LBB32_327
; %bb.323:
	s_cmp_gt_i32 s9, 1
	s_cbranch_scc0 .LBB32_328
; %bb.324:
	s_cmp_eq_u32 s9, 2
	s_cbranch_scc0 .LBB32_538
; %bb.325:
	v_cmp_ge_i32_e64 s[14:15], s10, v19
	s_mov_b64 s[16:17], 0
	s_branch .LBB32_330
.LBB32_326:
	v_cmp_gt_i32_e32 vcc, s10, v18
	s_andn2_b64 s[14:15], s[14:15], exec
	s_and_b64 s[16:17], vcc, exec
	s_or_b64 s[14:15], s[14:15], s[16:17]
	s_cbranch_execz .LBB32_319
	s_branch .LBB32_320
.LBB32_327:
                                        ; implicit-def: $sgpr14_sgpr15
	s_mov_b64 s[16:17], 0
	s_cbranch_execnz .LBB32_331
	s_branch .LBB32_332
.LBB32_328:
	s_mov_b64 s[16:17], 0
                                        ; implicit-def: $sgpr14_sgpr15
	s_cbranch_execz .LBB32_330
; %bb.329:
	v_cmp_lt_i32_e32 vcc, s10, v19
	s_andn2_b64 s[14:15], s[14:15], exec
	s_and_b64 s[18:19], vcc, exec
	s_or_b64 s[14:15], s[14:15], s[18:19]
.LBB32_330:
	s_branch .LBB32_332
.LBB32_331:
	s_cmp_lg_u32 s9, 0
	s_mov_b64 s[6:7], -1
	s_cselect_b64 s[16:17], -1, 0
.LBB32_332:
	s_andn2_b64 vcc, exec, s[16:17]
	s_cbranch_vccz .LBB32_341
; %bb.333:
	s_andn2_b64 vcc, exec, s[6:7]
	s_cbranch_vccnz .LBB32_335
.LBB32_334:
	v_cmp_le_i32_e32 vcc, s10, v19
	s_andn2_b64 s[6:7], s[14:15], exec
	s_and_b64 s[14:15], vcc, exec
	s_or_b64 s[14:15], s[6:7], s[14:15]
.LBB32_335:
	v_cndmask_b32_e64 v18, 0, 1, s[14:15]
.LBB32_336:
	s_or_b64 exec, exec, s[4:5]
	v_or_b32_e32 v19, 0x500, v0
	v_cmp_gt_i32_e32 vcc, s8, v19
                                        ; implicit-def: $vgpr19
	s_and_saveexec_b64 s[4:5], vcc
	s_cbranch_execz .LBB32_351
; %bb.337:
	s_cmp_lt_i32 s9, 1
	s_mov_b64 s[6:7], 0
	s_cbranch_scc1 .LBB32_342
; %bb.338:
	s_cmp_gt_i32 s9, 1
	s_cbranch_scc0 .LBB32_343
; %bb.339:
	s_cmp_eq_u32 s9, 2
	s_cbranch_scc0 .LBB32_539
; %bb.340:
	v_cmp_ge_i32_e64 s[14:15], s10, v14
	s_mov_b64 s[16:17], 0
	s_branch .LBB32_345
.LBB32_341:
	v_cmp_gt_i32_e32 vcc, s10, v19
	s_andn2_b64 s[14:15], s[14:15], exec
	s_and_b64 s[16:17], vcc, exec
	s_or_b64 s[14:15], s[14:15], s[16:17]
	s_cbranch_execz .LBB32_334
	s_branch .LBB32_335
.LBB32_342:
                                        ; implicit-def: $sgpr14_sgpr15
	s_mov_b64 s[16:17], 0
	s_cbranch_execnz .LBB32_346
	s_branch .LBB32_347
.LBB32_343:
	s_mov_b64 s[16:17], 0
                                        ; implicit-def: $sgpr14_sgpr15
	s_cbranch_execz .LBB32_345
; %bb.344:
	v_cmp_lt_i32_e32 vcc, s10, v14
	s_andn2_b64 s[14:15], s[14:15], exec
	s_and_b64 s[18:19], vcc, exec
	s_or_b64 s[14:15], s[14:15], s[18:19]
.LBB32_345:
	s_branch .LBB32_347
.LBB32_346:
	s_cmp_lg_u32 s9, 0
	s_mov_b64 s[6:7], -1
	s_cselect_b64 s[16:17], -1, 0
.LBB32_347:
	s_andn2_b64 vcc, exec, s[16:17]
	s_cbranch_vccz .LBB32_356
; %bb.348:
	s_andn2_b64 vcc, exec, s[6:7]
	s_cbranch_vccnz .LBB32_350
.LBB32_349:
	v_cmp_le_i32_e32 vcc, s10, v14
	s_andn2_b64 s[6:7], s[14:15], exec
	s_and_b64 s[14:15], vcc, exec
	s_or_b64 s[14:15], s[6:7], s[14:15]
.LBB32_350:
	v_cndmask_b32_e64 v19, 0, 1, s[14:15]
.LBB32_351:
	s_or_b64 exec, exec, s[4:5]
	v_or_b32_e32 v14, 0x600, v0
	v_cmp_gt_i32_e32 vcc, s8, v14
                                        ; implicit-def: $vgpr14
	s_and_saveexec_b64 s[4:5], vcc
	s_cbranch_execz .LBB32_366
; %bb.352:
	s_cmp_lt_i32 s9, 1
	s_mov_b64 s[6:7], 0
	s_cbranch_scc1 .LBB32_357
; %bb.353:
	s_cmp_gt_i32 s9, 1
	s_cbranch_scc0 .LBB32_358
; %bb.354:
	s_cmp_eq_u32 s9, 2
	s_cbranch_scc0 .LBB32_540
; %bb.355:
	v_cmp_ge_i32_e64 s[14:15], s10, v13
	s_mov_b64 s[16:17], 0
	s_branch .LBB32_360
.LBB32_356:
	v_cmp_gt_i32_e32 vcc, s10, v14
	s_andn2_b64 s[14:15], s[14:15], exec
	s_and_b64 s[16:17], vcc, exec
	s_or_b64 s[14:15], s[14:15], s[16:17]
	s_cbranch_execz .LBB32_349
	s_branch .LBB32_350
.LBB32_357:
                                        ; implicit-def: $sgpr14_sgpr15
	s_mov_b64 s[16:17], 0
	s_cbranch_execnz .LBB32_361
	s_branch .LBB32_362
.LBB32_358:
	s_mov_b64 s[16:17], 0
                                        ; implicit-def: $sgpr14_sgpr15
	s_cbranch_execz .LBB32_360
; %bb.359:
	v_cmp_lt_i32_e32 vcc, s10, v13
	s_andn2_b64 s[14:15], s[14:15], exec
	s_and_b64 s[18:19], vcc, exec
	s_or_b64 s[14:15], s[14:15], s[18:19]
.LBB32_360:
	s_branch .LBB32_362
.LBB32_361:
	s_cmp_lg_u32 s9, 0
	s_mov_b64 s[6:7], -1
	s_cselect_b64 s[16:17], -1, 0
.LBB32_362:
	s_andn2_b64 vcc, exec, s[16:17]
	s_cbranch_vccz .LBB32_371
; %bb.363:
	s_andn2_b64 vcc, exec, s[6:7]
	s_cbranch_vccnz .LBB32_365
.LBB32_364:
	v_cmp_le_i32_e32 vcc, s10, v13
	s_andn2_b64 s[6:7], s[14:15], exec
	s_and_b64 s[14:15], vcc, exec
	s_or_b64 s[14:15], s[6:7], s[14:15]
.LBB32_365:
	v_cndmask_b32_e64 v14, 0, 1, s[14:15]
.LBB32_366:
	s_or_b64 exec, exec, s[4:5]
	v_or_b32_e32 v13, 0x700, v0
	v_cmp_gt_i32_e32 vcc, s8, v13
                                        ; implicit-def: $vgpr13
	s_and_saveexec_b64 s[4:5], vcc
	s_cbranch_execz .LBB32_381
; %bb.367:
	s_cmp_lt_i32 s9, 1
	s_mov_b64 s[6:7], 0
	s_cbranch_scc1 .LBB32_372
; %bb.368:
	s_cmp_gt_i32 s9, 1
	s_cbranch_scc0 .LBB32_373
; %bb.369:
	s_cmp_eq_u32 s9, 2
	s_cbranch_scc0 .LBB32_541
; %bb.370:
	v_cmp_ge_i32_e64 s[14:15], s10, v12
	s_mov_b64 s[16:17], 0
	s_branch .LBB32_375
.LBB32_371:
	v_cmp_gt_i32_e32 vcc, s10, v13
	s_andn2_b64 s[14:15], s[14:15], exec
	s_and_b64 s[16:17], vcc, exec
	s_or_b64 s[14:15], s[14:15], s[16:17]
	s_cbranch_execz .LBB32_364
	s_branch .LBB32_365
.LBB32_372:
                                        ; implicit-def: $sgpr14_sgpr15
	s_mov_b64 s[16:17], 0
	s_cbranch_execnz .LBB32_376
	s_branch .LBB32_377
.LBB32_373:
	s_mov_b64 s[16:17], 0
                                        ; implicit-def: $sgpr14_sgpr15
	s_cbranch_execz .LBB32_375
; %bb.374:
	v_cmp_lt_i32_e32 vcc, s10, v12
	s_andn2_b64 s[14:15], s[14:15], exec
	s_and_b64 s[18:19], vcc, exec
	s_or_b64 s[14:15], s[14:15], s[18:19]
.LBB32_375:
	s_branch .LBB32_377
.LBB32_376:
	s_cmp_lg_u32 s9, 0
	s_mov_b64 s[6:7], -1
	s_cselect_b64 s[16:17], -1, 0
.LBB32_377:
	s_andn2_b64 vcc, exec, s[16:17]
	s_cbranch_vccz .LBB32_386
; %bb.378:
	s_andn2_b64 vcc, exec, s[6:7]
	s_cbranch_vccnz .LBB32_380
.LBB32_379:
	v_cmp_le_i32_e32 vcc, s10, v12
	s_andn2_b64 s[6:7], s[14:15], exec
	s_and_b64 s[14:15], vcc, exec
	s_or_b64 s[14:15], s[6:7], s[14:15]
.LBB32_380:
	v_cndmask_b32_e64 v13, 0, 1, s[14:15]
.LBB32_381:
	s_or_b64 exec, exec, s[4:5]
	v_or_b32_e32 v12, 0x800, v0
	v_cmp_gt_i32_e32 vcc, s8, v12
                                        ; implicit-def: $vgpr12
	s_and_saveexec_b64 s[4:5], vcc
	s_cbranch_execz .LBB32_396
; %bb.382:
	s_cmp_lt_i32 s9, 1
	s_mov_b64 s[6:7], 0
	s_cbranch_scc1 .LBB32_387
; %bb.383:
	s_cmp_gt_i32 s9, 1
	s_cbranch_scc0 .LBB32_388
; %bb.384:
	s_cmp_eq_u32 s9, 2
	s_cbranch_scc0 .LBB32_542
; %bb.385:
	v_cmp_ge_i32_e64 s[14:15], s10, v11
	s_mov_b64 s[16:17], 0
	s_branch .LBB32_390
.LBB32_386:
	v_cmp_gt_i32_e32 vcc, s10, v12
	s_andn2_b64 s[14:15], s[14:15], exec
	s_and_b64 s[16:17], vcc, exec
	s_or_b64 s[14:15], s[14:15], s[16:17]
	s_cbranch_execz .LBB32_379
	s_branch .LBB32_380
.LBB32_387:
                                        ; implicit-def: $sgpr14_sgpr15
	s_mov_b64 s[16:17], 0
	s_cbranch_execnz .LBB32_391
	s_branch .LBB32_392
.LBB32_388:
	s_mov_b64 s[16:17], 0
                                        ; implicit-def: $sgpr14_sgpr15
	s_cbranch_execz .LBB32_390
; %bb.389:
	v_cmp_lt_i32_e32 vcc, s10, v11
	s_andn2_b64 s[14:15], s[14:15], exec
	s_and_b64 s[18:19], vcc, exec
	s_or_b64 s[14:15], s[14:15], s[18:19]
.LBB32_390:
	s_branch .LBB32_392
.LBB32_391:
	s_cmp_lg_u32 s9, 0
	s_mov_b64 s[6:7], -1
	s_cselect_b64 s[16:17], -1, 0
.LBB32_392:
	s_andn2_b64 vcc, exec, s[16:17]
	s_cbranch_vccz .LBB32_401
; %bb.393:
	s_andn2_b64 vcc, exec, s[6:7]
	s_cbranch_vccnz .LBB32_395
.LBB32_394:
	v_cmp_le_i32_e32 vcc, s10, v11
	s_andn2_b64 s[6:7], s[14:15], exec
	s_and_b64 s[14:15], vcc, exec
	s_or_b64 s[14:15], s[6:7], s[14:15]
.LBB32_395:
	v_cndmask_b32_e64 v12, 0, 1, s[14:15]
.LBB32_396:
	s_or_b64 exec, exec, s[4:5]
	v_or_b32_e32 v11, 0x900, v0
	v_cmp_gt_i32_e32 vcc, s8, v11
                                        ; implicit-def: $vgpr11
	s_and_saveexec_b64 s[4:5], vcc
	s_cbranch_execz .LBB32_411
; %bb.397:
	s_cmp_lt_i32 s9, 1
	s_mov_b64 s[6:7], 0
	s_cbranch_scc1 .LBB32_402
; %bb.398:
	s_cmp_gt_i32 s9, 1
	s_cbranch_scc0 .LBB32_403
; %bb.399:
	s_cmp_eq_u32 s9, 2
	s_cbranch_scc0 .LBB32_543
; %bb.400:
	v_cmp_ge_i32_e64 s[14:15], s10, v10
	s_mov_b64 s[16:17], 0
	s_branch .LBB32_405
.LBB32_401:
	v_cmp_gt_i32_e32 vcc, s10, v11
	s_andn2_b64 s[14:15], s[14:15], exec
	s_and_b64 s[16:17], vcc, exec
	s_or_b64 s[14:15], s[14:15], s[16:17]
	s_cbranch_execz .LBB32_394
	s_branch .LBB32_395
.LBB32_402:
                                        ; implicit-def: $sgpr14_sgpr15
	s_mov_b64 s[16:17], 0
	s_cbranch_execnz .LBB32_406
	s_branch .LBB32_407
.LBB32_403:
	s_mov_b64 s[16:17], 0
                                        ; implicit-def: $sgpr14_sgpr15
	s_cbranch_execz .LBB32_405
; %bb.404:
	v_cmp_lt_i32_e32 vcc, s10, v10
	s_andn2_b64 s[14:15], s[14:15], exec
	s_and_b64 s[18:19], vcc, exec
	s_or_b64 s[14:15], s[14:15], s[18:19]
.LBB32_405:
	s_branch .LBB32_407
.LBB32_406:
	s_cmp_lg_u32 s9, 0
	s_mov_b64 s[6:7], -1
	s_cselect_b64 s[16:17], -1, 0
.LBB32_407:
	s_andn2_b64 vcc, exec, s[16:17]
	s_cbranch_vccz .LBB32_416
; %bb.408:
	s_andn2_b64 vcc, exec, s[6:7]
	s_cbranch_vccnz .LBB32_410
.LBB32_409:
	v_cmp_le_i32_e32 vcc, s10, v10
	s_andn2_b64 s[6:7], s[14:15], exec
	s_and_b64 s[14:15], vcc, exec
	s_or_b64 s[14:15], s[6:7], s[14:15]
.LBB32_410:
	v_cndmask_b32_e64 v11, 0, 1, s[14:15]
.LBB32_411:
	s_or_b64 exec, exec, s[4:5]
	v_or_b32_e32 v10, 0xa00, v0
	v_cmp_gt_i32_e32 vcc, s8, v10
                                        ; implicit-def: $vgpr10
	s_and_saveexec_b64 s[4:5], vcc
	s_cbranch_execz .LBB32_426
; %bb.412:
	s_cmp_lt_i32 s9, 1
	s_mov_b64 s[6:7], 0
	s_cbranch_scc1 .LBB32_417
; %bb.413:
	s_cmp_gt_i32 s9, 1
	s_cbranch_scc0 .LBB32_418
; %bb.414:
	s_cmp_eq_u32 s9, 2
	s_cbranch_scc0 .LBB32_544
; %bb.415:
	v_cmp_ge_i32_e64 s[14:15], s10, v9
	s_mov_b64 s[16:17], 0
	s_branch .LBB32_420
.LBB32_416:
	v_cmp_gt_i32_e32 vcc, s10, v10
	s_andn2_b64 s[14:15], s[14:15], exec
	s_and_b64 s[16:17], vcc, exec
	s_or_b64 s[14:15], s[14:15], s[16:17]
	s_cbranch_execz .LBB32_409
	s_branch .LBB32_410
.LBB32_417:
                                        ; implicit-def: $sgpr14_sgpr15
	s_mov_b64 s[16:17], 0
	s_cbranch_execnz .LBB32_421
	s_branch .LBB32_422
.LBB32_418:
	s_mov_b64 s[16:17], 0
                                        ; implicit-def: $sgpr14_sgpr15
	s_cbranch_execz .LBB32_420
; %bb.419:
	v_cmp_lt_i32_e32 vcc, s10, v9
	s_andn2_b64 s[14:15], s[14:15], exec
	s_and_b64 s[18:19], vcc, exec
	s_or_b64 s[14:15], s[14:15], s[18:19]
.LBB32_420:
	s_branch .LBB32_422
.LBB32_421:
	s_cmp_lg_u32 s9, 0
	s_mov_b64 s[6:7], -1
	s_cselect_b64 s[16:17], -1, 0
.LBB32_422:
	s_andn2_b64 vcc, exec, s[16:17]
	s_cbranch_vccz .LBB32_431
; %bb.423:
	s_andn2_b64 vcc, exec, s[6:7]
	s_cbranch_vccnz .LBB32_425
.LBB32_424:
	v_cmp_le_i32_e32 vcc, s10, v9
	s_andn2_b64 s[6:7], s[14:15], exec
	s_and_b64 s[14:15], vcc, exec
	s_or_b64 s[14:15], s[6:7], s[14:15]
.LBB32_425:
	v_cndmask_b32_e64 v10, 0, 1, s[14:15]
.LBB32_426:
	s_or_b64 exec, exec, s[4:5]
	v_or_b32_e32 v9, 0xb00, v0
	v_cmp_gt_i32_e32 vcc, s8, v9
                                        ; implicit-def: $vgpr9
	s_and_saveexec_b64 s[4:5], vcc
	s_cbranch_execz .LBB32_441
; %bb.427:
	s_cmp_lt_i32 s9, 1
	s_mov_b64 s[6:7], 0
	s_cbranch_scc1 .LBB32_432
; %bb.428:
	s_cmp_gt_i32 s9, 1
	s_cbranch_scc0 .LBB32_433
; %bb.429:
	s_cmp_eq_u32 s9, 2
	s_cbranch_scc0 .LBB32_545
; %bb.430:
	v_cmp_ge_i32_e64 s[14:15], s10, v8
	s_mov_b64 s[16:17], 0
	s_branch .LBB32_435
.LBB32_431:
	v_cmp_gt_i32_e32 vcc, s10, v9
	s_andn2_b64 s[14:15], s[14:15], exec
	s_and_b64 s[16:17], vcc, exec
	s_or_b64 s[14:15], s[14:15], s[16:17]
	s_cbranch_execz .LBB32_424
	s_branch .LBB32_425
.LBB32_432:
                                        ; implicit-def: $sgpr14_sgpr15
	s_mov_b64 s[16:17], 0
	s_cbranch_execnz .LBB32_436
	s_branch .LBB32_437
.LBB32_433:
	s_mov_b64 s[16:17], 0
                                        ; implicit-def: $sgpr14_sgpr15
	s_cbranch_execz .LBB32_435
; %bb.434:
	v_cmp_lt_i32_e32 vcc, s10, v8
	s_andn2_b64 s[14:15], s[14:15], exec
	s_and_b64 s[18:19], vcc, exec
	s_or_b64 s[14:15], s[14:15], s[18:19]
.LBB32_435:
	s_branch .LBB32_437
.LBB32_436:
	s_cmp_lg_u32 s9, 0
	s_mov_b64 s[6:7], -1
	s_cselect_b64 s[16:17], -1, 0
.LBB32_437:
	s_andn2_b64 vcc, exec, s[16:17]
	s_cbranch_vccz .LBB32_446
; %bb.438:
	s_andn2_b64 vcc, exec, s[6:7]
	s_cbranch_vccnz .LBB32_440
.LBB32_439:
	v_cmp_le_i32_e32 vcc, s10, v8
	s_andn2_b64 s[6:7], s[14:15], exec
	s_and_b64 s[14:15], vcc, exec
	s_or_b64 s[14:15], s[6:7], s[14:15]
.LBB32_440:
	v_cndmask_b32_e64 v9, 0, 1, s[14:15]
.LBB32_441:
	s_or_b64 exec, exec, s[4:5]
	v_or_b32_e32 v8, 0xc00, v0
	v_cmp_gt_i32_e32 vcc, s8, v8
                                        ; implicit-def: $vgpr8
	s_and_saveexec_b64 s[4:5], vcc
	s_cbranch_execz .LBB32_456
; %bb.442:
	s_cmp_lt_i32 s9, 1
	s_mov_b64 s[6:7], 0
	s_cbranch_scc1 .LBB32_447
; %bb.443:
	s_cmp_gt_i32 s9, 1
	s_cbranch_scc0 .LBB32_448
; %bb.444:
	s_cmp_eq_u32 s9, 2
	s_cbranch_scc0 .LBB32_546
; %bb.445:
	v_cmp_ge_i32_e64 s[14:15], s10, v7
	s_mov_b64 s[16:17], 0
	s_branch .LBB32_450
.LBB32_446:
	v_cmp_gt_i32_e32 vcc, s10, v8
	s_andn2_b64 s[14:15], s[14:15], exec
	s_and_b64 s[16:17], vcc, exec
	s_or_b64 s[14:15], s[14:15], s[16:17]
	s_cbranch_execz .LBB32_439
	s_branch .LBB32_440
.LBB32_447:
                                        ; implicit-def: $sgpr14_sgpr15
	s_mov_b64 s[16:17], 0
	s_cbranch_execnz .LBB32_451
	s_branch .LBB32_452
.LBB32_448:
	s_mov_b64 s[16:17], 0
                                        ; implicit-def: $sgpr14_sgpr15
	s_cbranch_execz .LBB32_450
; %bb.449:
	v_cmp_lt_i32_e32 vcc, s10, v7
	s_andn2_b64 s[14:15], s[14:15], exec
	s_and_b64 s[18:19], vcc, exec
	s_or_b64 s[14:15], s[14:15], s[18:19]
.LBB32_450:
	s_branch .LBB32_452
.LBB32_451:
	s_cmp_lg_u32 s9, 0
	s_mov_b64 s[6:7], -1
	s_cselect_b64 s[16:17], -1, 0
.LBB32_452:
	s_andn2_b64 vcc, exec, s[16:17]
	s_cbranch_vccz .LBB32_461
; %bb.453:
	s_andn2_b64 vcc, exec, s[6:7]
	s_cbranch_vccnz .LBB32_455
.LBB32_454:
	v_cmp_le_i32_e32 vcc, s10, v7
	s_andn2_b64 s[6:7], s[14:15], exec
	s_and_b64 s[14:15], vcc, exec
	s_or_b64 s[14:15], s[6:7], s[14:15]
.LBB32_455:
	v_cndmask_b32_e64 v8, 0, 1, s[14:15]
.LBB32_456:
	s_or_b64 exec, exec, s[4:5]
	v_or_b32_e32 v7, 0xd00, v0
	v_cmp_gt_i32_e32 vcc, s8, v7
                                        ; implicit-def: $vgpr7
	s_and_saveexec_b64 s[4:5], vcc
	s_cbranch_execz .LBB32_471
; %bb.457:
	s_cmp_lt_i32 s9, 1
	s_mov_b64 s[6:7], 0
	s_cbranch_scc1 .LBB32_462
; %bb.458:
	s_cmp_gt_i32 s9, 1
	s_cbranch_scc0 .LBB32_463
; %bb.459:
	s_cmp_eq_u32 s9, 2
	s_cbranch_scc0 .LBB32_547
; %bb.460:
	v_cmp_ge_i32_e64 s[14:15], s10, v6
	s_mov_b64 s[16:17], 0
	s_branch .LBB32_465
.LBB32_461:
	v_cmp_gt_i32_e32 vcc, s10, v7
	s_andn2_b64 s[14:15], s[14:15], exec
	s_and_b64 s[16:17], vcc, exec
	s_or_b64 s[14:15], s[14:15], s[16:17]
	s_cbranch_execz .LBB32_454
	s_branch .LBB32_455
.LBB32_462:
                                        ; implicit-def: $sgpr14_sgpr15
	s_mov_b64 s[16:17], 0
	s_cbranch_execnz .LBB32_466
	s_branch .LBB32_467
.LBB32_463:
	s_mov_b64 s[16:17], 0
                                        ; implicit-def: $sgpr14_sgpr15
	s_cbranch_execz .LBB32_465
; %bb.464:
	v_cmp_lt_i32_e32 vcc, s10, v6
	s_andn2_b64 s[14:15], s[14:15], exec
	s_and_b64 s[18:19], vcc, exec
	s_or_b64 s[14:15], s[14:15], s[18:19]
.LBB32_465:
	s_branch .LBB32_467
.LBB32_466:
	s_cmp_lg_u32 s9, 0
	s_mov_b64 s[6:7], -1
	s_cselect_b64 s[16:17], -1, 0
.LBB32_467:
	s_andn2_b64 vcc, exec, s[16:17]
	s_cbranch_vccz .LBB32_476
; %bb.468:
	s_andn2_b64 vcc, exec, s[6:7]
	s_cbranch_vccnz .LBB32_470
.LBB32_469:
	v_cmp_le_i32_e32 vcc, s10, v6
	s_andn2_b64 s[6:7], s[14:15], exec
	s_and_b64 s[14:15], vcc, exec
	s_or_b64 s[14:15], s[6:7], s[14:15]
.LBB32_470:
	v_cndmask_b32_e64 v7, 0, 1, s[14:15]
.LBB32_471:
	s_or_b64 exec, exec, s[4:5]
	v_or_b32_e32 v6, 0xe00, v0
	v_cmp_gt_i32_e32 vcc, s8, v6
                                        ; implicit-def: $vgpr6
	s_and_saveexec_b64 s[4:5], vcc
	s_cbranch_execz .LBB32_486
; %bb.472:
	s_cmp_lt_i32 s9, 1
	s_mov_b64 s[6:7], 0
	s_cbranch_scc1 .LBB32_477
; %bb.473:
	s_cmp_gt_i32 s9, 1
	s_cbranch_scc0 .LBB32_478
; %bb.474:
	s_cmp_eq_u32 s9, 2
	s_cbranch_scc0 .LBB32_548
; %bb.475:
	v_cmp_ge_i32_e64 s[14:15], s10, v5
	s_mov_b64 s[16:17], 0
	s_branch .LBB32_480
.LBB32_476:
	v_cmp_gt_i32_e32 vcc, s10, v6
	s_andn2_b64 s[14:15], s[14:15], exec
	s_and_b64 s[16:17], vcc, exec
	s_or_b64 s[14:15], s[14:15], s[16:17]
	s_cbranch_execz .LBB32_469
	s_branch .LBB32_470
.LBB32_477:
                                        ; implicit-def: $sgpr14_sgpr15
	s_mov_b64 s[16:17], 0
	s_cbranch_execnz .LBB32_481
	s_branch .LBB32_482
.LBB32_478:
	s_mov_b64 s[16:17], 0
                                        ; implicit-def: $sgpr14_sgpr15
	s_cbranch_execz .LBB32_480
; %bb.479:
	v_cmp_lt_i32_e32 vcc, s10, v5
	s_andn2_b64 s[14:15], s[14:15], exec
	s_and_b64 s[18:19], vcc, exec
	s_or_b64 s[14:15], s[14:15], s[18:19]
.LBB32_480:
	s_branch .LBB32_482
.LBB32_481:
	s_cmp_lg_u32 s9, 0
	s_mov_b64 s[6:7], -1
	s_cselect_b64 s[16:17], -1, 0
.LBB32_482:
	s_andn2_b64 vcc, exec, s[16:17]
	s_cbranch_vccz .LBB32_491
; %bb.483:
	s_andn2_b64 vcc, exec, s[6:7]
	s_cbranch_vccnz .LBB32_485
.LBB32_484:
	v_cmp_le_i32_e32 vcc, s10, v5
	s_andn2_b64 s[6:7], s[14:15], exec
	s_and_b64 s[14:15], vcc, exec
	s_or_b64 s[14:15], s[6:7], s[14:15]
.LBB32_485:
	v_cndmask_b32_e64 v6, 0, 1, s[14:15]
.LBB32_486:
	s_or_b64 exec, exec, s[4:5]
	v_or_b32_e32 v5, 0xf00, v0
	v_cmp_gt_i32_e32 vcc, s8, v5
                                        ; implicit-def: $vgpr5
	s_and_saveexec_b64 s[4:5], vcc
	s_cbranch_execz .LBB32_501
; %bb.487:
	s_cmp_lt_i32 s9, 1
	s_mov_b64 s[6:7], 0
	s_cbranch_scc1 .LBB32_492
; %bb.488:
	s_cmp_gt_i32 s9, 1
	s_cbranch_scc0 .LBB32_493
; %bb.489:
	s_cmp_eq_u32 s9, 2
	s_cbranch_scc0 .LBB32_549
; %bb.490:
	v_cmp_ge_i32_e64 s[14:15], s10, v4
	s_mov_b64 s[16:17], 0
	s_branch .LBB32_495
.LBB32_491:
	v_cmp_gt_i32_e32 vcc, s10, v5
	s_andn2_b64 s[14:15], s[14:15], exec
	s_and_b64 s[16:17], vcc, exec
	s_or_b64 s[14:15], s[14:15], s[16:17]
	s_cbranch_execz .LBB32_484
	s_branch .LBB32_485
.LBB32_492:
                                        ; implicit-def: $sgpr14_sgpr15
	s_mov_b64 s[16:17], 0
	s_cbranch_execnz .LBB32_496
	s_branch .LBB32_497
.LBB32_493:
	s_mov_b64 s[16:17], 0
                                        ; implicit-def: $sgpr14_sgpr15
	s_cbranch_execz .LBB32_495
; %bb.494:
	v_cmp_lt_i32_e32 vcc, s10, v4
	s_andn2_b64 s[14:15], s[14:15], exec
	s_and_b64 s[18:19], vcc, exec
	s_or_b64 s[14:15], s[14:15], s[18:19]
.LBB32_495:
	s_branch .LBB32_497
.LBB32_496:
	s_cmp_lg_u32 s9, 0
	s_mov_b64 s[6:7], -1
	s_cselect_b64 s[16:17], -1, 0
.LBB32_497:
	s_andn2_b64 vcc, exec, s[16:17]
	s_cbranch_vccz .LBB32_534
; %bb.498:
	s_andn2_b64 vcc, exec, s[6:7]
	s_cbranch_vccnz .LBB32_500
.LBB32_499:
	v_cmp_le_i32_e32 vcc, s10, v4
	s_andn2_b64 s[6:7], s[14:15], exec
	s_and_b64 s[10:11], vcc, exec
	s_or_b64 s[14:15], s[6:7], s[10:11]
.LBB32_500:
	v_cndmask_b32_e64 v5, 0, 1, s[14:15]
.LBB32_501:
	s_or_b64 exec, exec, s[4:5]
	s_and_saveexec_b64 s[4:5], s[0:1]
	s_xor_b64 s[0:1], exec, s[4:5]
	s_cbranch_execz .LBB32_503
; %bb.502:
	v_mov_b32_e32 v0, v16
	global_store_byte v1, v3, s[12:13]
.LBB32_503:
	s_or_b64 exec, exec, s[0:1]
	v_cmp_gt_i32_e32 vcc, s8, v0
	s_and_saveexec_b64 s[0:1], vcc
	s_cbranch_execnz .LBB32_520
; %bb.504:
	s_or_b64 exec, exec, s[0:1]
	v_cmp_gt_i32_e32 vcc, s8, v0
	s_and_saveexec_b64 s[0:1], vcc
	s_cbranch_execnz .LBB32_521
.LBB32_505:
	s_or_b64 exec, exec, s[0:1]
	v_cmp_gt_i32_e32 vcc, s8, v0
	s_and_saveexec_b64 s[0:1], vcc
	s_cbranch_execnz .LBB32_522
.LBB32_506:
	s_or_b64 exec, exec, s[0:1]
	v_cmp_gt_i32_e32 vcc, s8, v0
	s_and_saveexec_b64 s[0:1], vcc
	s_cbranch_execnz .LBB32_523
.LBB32_507:
	s_or_b64 exec, exec, s[0:1]
	v_cmp_gt_i32_e32 vcc, s8, v0
	s_and_saveexec_b64 s[0:1], vcc
	s_cbranch_execnz .LBB32_524
.LBB32_508:
	s_or_b64 exec, exec, s[0:1]
	v_cmp_gt_i32_e32 vcc, s8, v0
	s_and_saveexec_b64 s[0:1], vcc
	s_cbranch_execnz .LBB32_525
.LBB32_509:
	s_or_b64 exec, exec, s[0:1]
	v_cmp_gt_i32_e32 vcc, s8, v0
	s_and_saveexec_b64 s[0:1], vcc
	s_cbranch_execnz .LBB32_526
.LBB32_510:
	s_or_b64 exec, exec, s[0:1]
	v_cmp_gt_i32_e32 vcc, s8, v0
	s_and_saveexec_b64 s[0:1], vcc
	s_cbranch_execnz .LBB32_527
.LBB32_511:
	s_or_b64 exec, exec, s[0:1]
	v_cmp_gt_i32_e32 vcc, s8, v0
	s_and_saveexec_b64 s[0:1], vcc
	s_cbranch_execnz .LBB32_528
.LBB32_512:
	s_or_b64 exec, exec, s[0:1]
	v_cmp_gt_i32_e32 vcc, s8, v0
	s_and_saveexec_b64 s[0:1], vcc
	s_cbranch_execnz .LBB32_529
.LBB32_513:
	s_or_b64 exec, exec, s[0:1]
	v_cmp_gt_i32_e32 vcc, s8, v0
	s_and_saveexec_b64 s[0:1], vcc
	s_cbranch_execnz .LBB32_530
.LBB32_514:
	s_or_b64 exec, exec, s[0:1]
	v_cmp_gt_i32_e32 vcc, s8, v0
	s_and_saveexec_b64 s[0:1], vcc
	s_cbranch_execnz .LBB32_531
.LBB32_515:
	s_or_b64 exec, exec, s[0:1]
	v_cmp_gt_i32_e32 vcc, s8, v0
	s_and_saveexec_b64 s[0:1], vcc
	s_cbranch_execnz .LBB32_532
.LBB32_516:
	s_or_b64 exec, exec, s[0:1]
	v_cmp_gt_i32_e32 vcc, s8, v0
	s_and_saveexec_b64 s[0:1], vcc
	s_cbranch_execnz .LBB32_533
.LBB32_517:
	s_or_b64 exec, exec, s[0:1]
	v_cmp_gt_i32_e32 vcc, s8, v0
	s_and_saveexec_b64 s[0:1], vcc
	s_cbranch_execz .LBB32_519
.LBB32_518:
	v_add_u32_e32 v0, s2, v0
	global_store_byte v0, v5, s[12:13]
.LBB32_519:
	s_endpgm
.LBB32_520:
	v_add_u32_e32 v1, s2, v0
	v_add_u32_e32 v0, 0x100, v0
	global_store_byte v1, v17, s[12:13]
	s_or_b64 exec, exec, s[0:1]
	v_cmp_gt_i32_e32 vcc, s8, v0
	s_and_saveexec_b64 s[0:1], vcc
	s_cbranch_execz .LBB32_505
.LBB32_521:
	v_add_u32_e32 v1, s2, v0
	v_add_u32_e32 v0, 0x100, v0
	global_store_byte v1, v2, s[12:13]
	s_or_b64 exec, exec, s[0:1]
	v_cmp_gt_i32_e32 vcc, s8, v0
	s_and_saveexec_b64 s[0:1], vcc
	s_cbranch_execz .LBB32_506
.LBB32_522:
	v_add_u32_e32 v1, s2, v0
	v_add_u32_e32 v0, 0x100, v0
	global_store_byte v1, v15, s[12:13]
	s_or_b64 exec, exec, s[0:1]
	v_cmp_gt_i32_e32 vcc, s8, v0
	s_and_saveexec_b64 s[0:1], vcc
	s_cbranch_execz .LBB32_507
.LBB32_523:
	v_add_u32_e32 v1, s2, v0
	v_add_u32_e32 v0, 0x100, v0
	global_store_byte v1, v18, s[12:13]
	s_or_b64 exec, exec, s[0:1]
	v_cmp_gt_i32_e32 vcc, s8, v0
	s_and_saveexec_b64 s[0:1], vcc
	s_cbranch_execz .LBB32_508
.LBB32_524:
	v_add_u32_e32 v1, s2, v0
	v_add_u32_e32 v0, 0x100, v0
	global_store_byte v1, v19, s[12:13]
	s_or_b64 exec, exec, s[0:1]
	v_cmp_gt_i32_e32 vcc, s8, v0
	s_and_saveexec_b64 s[0:1], vcc
	s_cbranch_execz .LBB32_509
.LBB32_525:
	v_add_u32_e32 v1, s2, v0
	v_add_u32_e32 v0, 0x100, v0
	global_store_byte v1, v14, s[12:13]
	s_or_b64 exec, exec, s[0:1]
	v_cmp_gt_i32_e32 vcc, s8, v0
	s_and_saveexec_b64 s[0:1], vcc
	s_cbranch_execz .LBB32_510
.LBB32_526:
	v_add_u32_e32 v1, s2, v0
	v_add_u32_e32 v0, 0x100, v0
	global_store_byte v1, v13, s[12:13]
	s_or_b64 exec, exec, s[0:1]
	v_cmp_gt_i32_e32 vcc, s8, v0
	s_and_saveexec_b64 s[0:1], vcc
	s_cbranch_execz .LBB32_511
.LBB32_527:
	v_add_u32_e32 v1, s2, v0
	v_add_u32_e32 v0, 0x100, v0
	global_store_byte v1, v12, s[12:13]
	s_or_b64 exec, exec, s[0:1]
	v_cmp_gt_i32_e32 vcc, s8, v0
	s_and_saveexec_b64 s[0:1], vcc
	s_cbranch_execz .LBB32_512
.LBB32_528:
	v_add_u32_e32 v1, s2, v0
	v_add_u32_e32 v0, 0x100, v0
	global_store_byte v1, v11, s[12:13]
	s_or_b64 exec, exec, s[0:1]
	v_cmp_gt_i32_e32 vcc, s8, v0
	s_and_saveexec_b64 s[0:1], vcc
	s_cbranch_execz .LBB32_513
.LBB32_529:
	v_add_u32_e32 v1, s2, v0
	v_add_u32_e32 v0, 0x100, v0
	global_store_byte v1, v10, s[12:13]
	s_or_b64 exec, exec, s[0:1]
	v_cmp_gt_i32_e32 vcc, s8, v0
	s_and_saveexec_b64 s[0:1], vcc
	s_cbranch_execz .LBB32_514
.LBB32_530:
	v_add_u32_e32 v1, s2, v0
	v_add_u32_e32 v0, 0x100, v0
	global_store_byte v1, v9, s[12:13]
	s_or_b64 exec, exec, s[0:1]
	v_cmp_gt_i32_e32 vcc, s8, v0
	s_and_saveexec_b64 s[0:1], vcc
	s_cbranch_execz .LBB32_515
.LBB32_531:
	v_add_u32_e32 v1, s2, v0
	v_add_u32_e32 v0, 0x100, v0
	global_store_byte v1, v8, s[12:13]
	s_or_b64 exec, exec, s[0:1]
	v_cmp_gt_i32_e32 vcc, s8, v0
	s_and_saveexec_b64 s[0:1], vcc
	s_cbranch_execz .LBB32_516
.LBB32_532:
	v_add_u32_e32 v1, s2, v0
	v_add_u32_e32 v0, 0x100, v0
	global_store_byte v1, v7, s[12:13]
	s_or_b64 exec, exec, s[0:1]
	v_cmp_gt_i32_e32 vcc, s8, v0
	s_and_saveexec_b64 s[0:1], vcc
	s_cbranch_execz .LBB32_517
.LBB32_533:
	v_add_u32_e32 v1, s2, v0
	v_add_u32_e32 v0, 0x100, v0
	global_store_byte v1, v6, s[12:13]
	s_or_b64 exec, exec, s[0:1]
	v_cmp_gt_i32_e32 vcc, s8, v0
	s_and_saveexec_b64 s[0:1], vcc
	s_cbranch_execnz .LBB32_518
	s_branch .LBB32_519
.LBB32_534:
	v_cmp_gt_i32_e32 vcc, s10, v4
	s_andn2_b64 s[14:15], s[14:15], exec
	s_and_b64 s[16:17], vcc, exec
	s_or_b64 s[14:15], s[14:15], s[16:17]
	s_cbranch_execz .LBB32_499
	s_branch .LBB32_500
.LBB32_535:
	s_mov_b64 s[16:17], -1
                                        ; implicit-def: $sgpr14_sgpr15
	s_branch .LBB32_285
.LBB32_536:
	s_mov_b64 s[16:17], -1
                                        ; implicit-def: $sgpr14_sgpr15
	s_branch .LBB32_300
.LBB32_537:
	s_mov_b64 s[16:17], -1
                                        ; implicit-def: $sgpr14_sgpr15
	s_branch .LBB32_315
.LBB32_538:
	s_mov_b64 s[16:17], -1
                                        ; implicit-def: $sgpr14_sgpr15
	s_branch .LBB32_330
.LBB32_539:
	s_mov_b64 s[16:17], -1
                                        ; implicit-def: $sgpr14_sgpr15
	s_branch .LBB32_345
.LBB32_540:
	s_mov_b64 s[16:17], -1
                                        ; implicit-def: $sgpr14_sgpr15
	s_branch .LBB32_360
.LBB32_541:
	s_mov_b64 s[16:17], -1
                                        ; implicit-def: $sgpr14_sgpr15
	s_branch .LBB32_375
.LBB32_542:
	s_mov_b64 s[16:17], -1
                                        ; implicit-def: $sgpr14_sgpr15
	s_branch .LBB32_390
.LBB32_543:
	s_mov_b64 s[16:17], -1
                                        ; implicit-def: $sgpr14_sgpr15
	s_branch .LBB32_405
.LBB32_544:
	s_mov_b64 s[16:17], -1
                                        ; implicit-def: $sgpr14_sgpr15
	s_branch .LBB32_420
.LBB32_545:
	s_mov_b64 s[16:17], -1
                                        ; implicit-def: $sgpr14_sgpr15
	s_branch .LBB32_435
.LBB32_546:
	s_mov_b64 s[16:17], -1
                                        ; implicit-def: $sgpr14_sgpr15
	s_branch .LBB32_450
.LBB32_547:
	s_mov_b64 s[16:17], -1
                                        ; implicit-def: $sgpr14_sgpr15
	s_branch .LBB32_465
.LBB32_548:
	s_mov_b64 s[16:17], -1
                                        ; implicit-def: $sgpr14_sgpr15
	s_branch .LBB32_480
.LBB32_549:
	s_mov_b64 s[16:17], -1
                                        ; implicit-def: $sgpr14_sgpr15
	s_branch .LBB32_495
	.section	.rodata,"a",@progbits
	.p2align	6, 0x0
	.amdhsa_kernel _ZN2at6native29vectorized_elementwise_kernelILi16EZNS0_21compare_scalar_kernelIiEEvRNS_18TensorIteratorBaseENS0_12_GLOBAL__N_16OpTypeET_EUliE_St5arrayIPcLm2EEEEviT0_T1_
		.amdhsa_group_segment_fixed_size 0
		.amdhsa_private_segment_fixed_size 0
		.amdhsa_kernarg_size 32
		.amdhsa_user_sgpr_count 6
		.amdhsa_user_sgpr_private_segment_buffer 1
		.amdhsa_user_sgpr_dispatch_ptr 0
		.amdhsa_user_sgpr_queue_ptr 0
		.amdhsa_user_sgpr_kernarg_segment_ptr 1
		.amdhsa_user_sgpr_dispatch_id 0
		.amdhsa_user_sgpr_flat_scratch_init 0
		.amdhsa_user_sgpr_private_segment_size 0
		.amdhsa_uses_dynamic_stack 0
		.amdhsa_system_sgpr_private_segment_wavefront_offset 0
		.amdhsa_system_sgpr_workgroup_id_x 1
		.amdhsa_system_sgpr_workgroup_id_y 0
		.amdhsa_system_sgpr_workgroup_id_z 0
		.amdhsa_system_sgpr_workgroup_info 0
		.amdhsa_system_vgpr_workitem_id 0
		.amdhsa_next_free_vgpr 21
		.amdhsa_next_free_sgpr 50
		.amdhsa_reserve_vcc 1
		.amdhsa_reserve_flat_scratch 0
		.amdhsa_float_round_mode_32 0
		.amdhsa_float_round_mode_16_64 0
		.amdhsa_float_denorm_mode_32 3
		.amdhsa_float_denorm_mode_16_64 3
		.amdhsa_dx10_clamp 1
		.amdhsa_ieee_mode 1
		.amdhsa_fp16_overflow 0
		.amdhsa_exception_fp_ieee_invalid_op 0
		.amdhsa_exception_fp_denorm_src 0
		.amdhsa_exception_fp_ieee_div_zero 0
		.amdhsa_exception_fp_ieee_overflow 0
		.amdhsa_exception_fp_ieee_underflow 0
		.amdhsa_exception_fp_ieee_inexact 0
		.amdhsa_exception_int_div_zero 0
	.end_amdhsa_kernel
	.section	.text._ZN2at6native29vectorized_elementwise_kernelILi16EZNS0_21compare_scalar_kernelIiEEvRNS_18TensorIteratorBaseENS0_12_GLOBAL__N_16OpTypeET_EUliE_St5arrayIPcLm2EEEEviT0_T1_,"axG",@progbits,_ZN2at6native29vectorized_elementwise_kernelILi16EZNS0_21compare_scalar_kernelIiEEvRNS_18TensorIteratorBaseENS0_12_GLOBAL__N_16OpTypeET_EUliE_St5arrayIPcLm2EEEEviT0_T1_,comdat
.Lfunc_end32:
	.size	_ZN2at6native29vectorized_elementwise_kernelILi16EZNS0_21compare_scalar_kernelIiEEvRNS_18TensorIteratorBaseENS0_12_GLOBAL__N_16OpTypeET_EUliE_St5arrayIPcLm2EEEEviT0_T1_, .Lfunc_end32-_ZN2at6native29vectorized_elementwise_kernelILi16EZNS0_21compare_scalar_kernelIiEEvRNS_18TensorIteratorBaseENS0_12_GLOBAL__N_16OpTypeET_EUliE_St5arrayIPcLm2EEEEviT0_T1_
                                        ; -- End function
	.set _ZN2at6native29vectorized_elementwise_kernelILi16EZNS0_21compare_scalar_kernelIiEEvRNS_18TensorIteratorBaseENS0_12_GLOBAL__N_16OpTypeET_EUliE_St5arrayIPcLm2EEEEviT0_T1_.num_vgpr, 21
	.set _ZN2at6native29vectorized_elementwise_kernelILi16EZNS0_21compare_scalar_kernelIiEEvRNS_18TensorIteratorBaseENS0_12_GLOBAL__N_16OpTypeET_EUliE_St5arrayIPcLm2EEEEviT0_T1_.num_agpr, 0
	.set _ZN2at6native29vectorized_elementwise_kernelILi16EZNS0_21compare_scalar_kernelIiEEvRNS_18TensorIteratorBaseENS0_12_GLOBAL__N_16OpTypeET_EUliE_St5arrayIPcLm2EEEEviT0_T1_.numbered_sgpr, 50
	.set _ZN2at6native29vectorized_elementwise_kernelILi16EZNS0_21compare_scalar_kernelIiEEvRNS_18TensorIteratorBaseENS0_12_GLOBAL__N_16OpTypeET_EUliE_St5arrayIPcLm2EEEEviT0_T1_.num_named_barrier, 0
	.set _ZN2at6native29vectorized_elementwise_kernelILi16EZNS0_21compare_scalar_kernelIiEEvRNS_18TensorIteratorBaseENS0_12_GLOBAL__N_16OpTypeET_EUliE_St5arrayIPcLm2EEEEviT0_T1_.private_seg_size, 0
	.set _ZN2at6native29vectorized_elementwise_kernelILi16EZNS0_21compare_scalar_kernelIiEEvRNS_18TensorIteratorBaseENS0_12_GLOBAL__N_16OpTypeET_EUliE_St5arrayIPcLm2EEEEviT0_T1_.uses_vcc, 1
	.set _ZN2at6native29vectorized_elementwise_kernelILi16EZNS0_21compare_scalar_kernelIiEEvRNS_18TensorIteratorBaseENS0_12_GLOBAL__N_16OpTypeET_EUliE_St5arrayIPcLm2EEEEviT0_T1_.uses_flat_scratch, 0
	.set _ZN2at6native29vectorized_elementwise_kernelILi16EZNS0_21compare_scalar_kernelIiEEvRNS_18TensorIteratorBaseENS0_12_GLOBAL__N_16OpTypeET_EUliE_St5arrayIPcLm2EEEEviT0_T1_.has_dyn_sized_stack, 0
	.set _ZN2at6native29vectorized_elementwise_kernelILi16EZNS0_21compare_scalar_kernelIiEEvRNS_18TensorIteratorBaseENS0_12_GLOBAL__N_16OpTypeET_EUliE_St5arrayIPcLm2EEEEviT0_T1_.has_recursion, 0
	.set _ZN2at6native29vectorized_elementwise_kernelILi16EZNS0_21compare_scalar_kernelIiEEvRNS_18TensorIteratorBaseENS0_12_GLOBAL__N_16OpTypeET_EUliE_St5arrayIPcLm2EEEEviT0_T1_.has_indirect_call, 0
	.section	.AMDGPU.csdata,"",@progbits
; Kernel info:
; codeLenInByte = 8592
; TotalNumSgprs: 54
; NumVgprs: 21
; ScratchSize: 0
; MemoryBound: 1
; FloatMode: 240
; IeeeMode: 1
; LDSByteSize: 0 bytes/workgroup (compile time only)
; SGPRBlocks: 6
; VGPRBlocks: 5
; NumSGPRsForWavesPerEU: 54
; NumVGPRsForWavesPerEU: 21
; Occupancy: 10
; WaveLimiterHint : 0
; COMPUTE_PGM_RSRC2:SCRATCH_EN: 0
; COMPUTE_PGM_RSRC2:USER_SGPR: 6
; COMPUTE_PGM_RSRC2:TRAP_HANDLER: 0
; COMPUTE_PGM_RSRC2:TGID_X_EN: 1
; COMPUTE_PGM_RSRC2:TGID_Y_EN: 0
; COMPUTE_PGM_RSRC2:TGID_Z_EN: 0
; COMPUTE_PGM_RSRC2:TIDIG_COMP_CNT: 0
	.section	.text._ZN2at6native29vectorized_elementwise_kernelILi8EZNS0_21compare_scalar_kernelIiEEvRNS_18TensorIteratorBaseENS0_12_GLOBAL__N_16OpTypeET_EUliE_St5arrayIPcLm2EEEEviT0_T1_,"axG",@progbits,_ZN2at6native29vectorized_elementwise_kernelILi8EZNS0_21compare_scalar_kernelIiEEvRNS_18TensorIteratorBaseENS0_12_GLOBAL__N_16OpTypeET_EUliE_St5arrayIPcLm2EEEEviT0_T1_,comdat
	.globl	_ZN2at6native29vectorized_elementwise_kernelILi8EZNS0_21compare_scalar_kernelIiEEvRNS_18TensorIteratorBaseENS0_12_GLOBAL__N_16OpTypeET_EUliE_St5arrayIPcLm2EEEEviT0_T1_ ; -- Begin function _ZN2at6native29vectorized_elementwise_kernelILi8EZNS0_21compare_scalar_kernelIiEEvRNS_18TensorIteratorBaseENS0_12_GLOBAL__N_16OpTypeET_EUliE_St5arrayIPcLm2EEEEviT0_T1_
	.p2align	8
	.type	_ZN2at6native29vectorized_elementwise_kernelILi8EZNS0_21compare_scalar_kernelIiEEvRNS_18TensorIteratorBaseENS0_12_GLOBAL__N_16OpTypeET_EUliE_St5arrayIPcLm2EEEEviT0_T1_,@function
_ZN2at6native29vectorized_elementwise_kernelILi8EZNS0_21compare_scalar_kernelIiEEvRNS_18TensorIteratorBaseENS0_12_GLOBAL__N_16OpTypeET_EUliE_St5arrayIPcLm2EEEEviT0_T1_: ; @_ZN2at6native29vectorized_elementwise_kernelILi8EZNS0_21compare_scalar_kernelIiEEvRNS_18TensorIteratorBaseENS0_12_GLOBAL__N_16OpTypeET_EUliE_St5arrayIPcLm2EEEEviT0_T1_
; %bb.0:
	s_load_dwordx8 s[8:15], s[4:5], 0x0
	s_lshl_b32 s2, s6, 12
	s_mov_b64 s[0:1], -1
	s_waitcnt lgkmcnt(0)
	s_sub_i32 s8, s8, s2
	s_cmpk_gt_i32 s8, 0xfff
	s_cbranch_scc0 .LBB33_211
; %bb.1:
	s_ashr_i32 s3, s2, 31
	s_lshl_b64 s[0:1], s[2:3], 2
	s_add_u32 s0, s14, s0
	s_addc_u32 s1, s15, s1
	v_lshlrev_b32_e32 v1, 5, v0
	v_mov_b32_e32 v2, s1
	v_add_co_u32_e32 v3, vcc, s0, v1
	v_addc_co_u32_e32 v2, vcc, 0, v2, vcc
	v_add_co_u32_e32 v17, vcc, 0x2000, v3
	global_load_dwordx4 v[9:12], v1, s[0:1] offset:16
	global_load_dwordx4 v[13:16], v1, s[0:1]
	v_addc_co_u32_e64 v18, s[0:1], 0, v2, vcc
	v_addc_co_u32_e32 v20, vcc, 0, v2, vcc
	v_mov_b32_e32 v19, v17
	global_load_dwordx4 v[5:8], v[19:20], off
	global_load_dwordx4 v[1:4], v[17:18], off offset:16
	s_cmp_lt_i32 s9, 1
	s_mov_b64 s[4:5], 0
	s_cbranch_scc1 .LBB33_5
; %bb.2:
	s_cmp_gt_i32 s9, 1
	s_cbranch_scc0 .LBB33_6
; %bb.3:
	s_cmp_eq_u32 s9, 2
	s_cbranch_scc0 .LBB33_7
; %bb.4:
	s_waitcnt vmcnt(2)
	v_cmp_ge_i32_e64 s[0:1], s10, v13
	s_mov_b64 s[6:7], 0
	s_branch .LBB33_8
.LBB33_5:
                                        ; implicit-def: $sgpr0_sgpr1
	s_mov_b64 s[6:7], 0
	s_cbranch_execnz .LBB33_11
	s_branch .LBB33_12
.LBB33_6:
	s_mov_b64 s[6:7], 0
                                        ; implicit-def: $sgpr0_sgpr1
	s_cbranch_execnz .LBB33_9
	s_branch .LBB33_10
.LBB33_7:
	s_mov_b64 s[6:7], -1
                                        ; implicit-def: $sgpr0_sgpr1
.LBB33_8:
	s_branch .LBB33_10
.LBB33_9:
	s_waitcnt vmcnt(2)
	v_cmp_lt_i32_e32 vcc, s10, v13
	s_andn2_b64 s[0:1], s[0:1], exec
	s_and_b64 s[16:17], vcc, exec
	s_or_b64 s[0:1], s[0:1], s[16:17]
.LBB33_10:
	s_branch .LBB33_12
.LBB33_11:
	s_cmp_lg_u32 s9, 0
	s_mov_b64 s[4:5], -1
	s_cselect_b64 s[6:7], -1, 0
.LBB33_12:
	s_andn2_b64 vcc, exec, s[6:7]
	s_cbranch_vccz .LBB33_18
; %bb.13:
	s_andn2_b64 vcc, exec, s[4:5]
	s_cbranch_vccz .LBB33_19
.LBB33_14:
	s_cmp_lt_i32 s9, 1
	s_mov_b64 s[6:7], 0
	s_cbranch_scc1 .LBB33_20
.LBB33_15:
	s_cmp_gt_i32 s9, 1
	s_cbranch_scc0 .LBB33_21
; %bb.16:
	s_cmp_eq_u32 s9, 2
	s_cbranch_scc0 .LBB33_251
; %bb.17:
	s_waitcnt vmcnt(2)
	v_cmp_ge_i32_e64 s[4:5], s10, v14
	s_mov_b64 s[16:17], 0
	s_branch .LBB33_23
.LBB33_18:
	s_waitcnt vmcnt(2)
	v_cmp_gt_i32_e32 vcc, s10, v13
	s_andn2_b64 s[0:1], s[0:1], exec
	s_and_b64 s[6:7], vcc, exec
	s_or_b64 s[0:1], s[0:1], s[6:7]
	s_cbranch_execnz .LBB33_14
.LBB33_19:
	s_waitcnt vmcnt(2)
	v_cmp_le_i32_e32 vcc, s10, v13
	s_andn2_b64 s[0:1], s[0:1], exec
	s_and_b64 s[4:5], vcc, exec
	s_or_b64 s[0:1], s[0:1], s[4:5]
	s_cmp_lt_i32 s9, 1
	s_mov_b64 s[6:7], 0
	s_cbranch_scc0 .LBB33_15
.LBB33_20:
                                        ; implicit-def: $sgpr4_sgpr5
	s_mov_b64 s[16:17], 0
	s_cbranch_execnz .LBB33_24
	s_branch .LBB33_25
.LBB33_21:
	s_mov_b64 s[16:17], 0
                                        ; implicit-def: $sgpr4_sgpr5
	s_cbranch_execz .LBB33_23
; %bb.22:
	s_waitcnt vmcnt(2)
	v_cmp_lt_i32_e32 vcc, s10, v14
	s_andn2_b64 s[4:5], s[4:5], exec
	s_and_b64 s[18:19], vcc, exec
	s_or_b64 s[4:5], s[4:5], s[18:19]
.LBB33_23:
	s_branch .LBB33_25
.LBB33_24:
	s_cmp_lg_u32 s9, 0
	s_mov_b64 s[6:7], -1
	s_cselect_b64 s[16:17], -1, 0
.LBB33_25:
	s_andn2_b64 vcc, exec, s[16:17]
	s_cbranch_vccz .LBB33_31
; %bb.26:
	s_andn2_b64 vcc, exec, s[6:7]
	s_cbranch_vccz .LBB33_32
.LBB33_27:
	s_cmp_lt_i32 s9, 1
	s_mov_b64 s[16:17], 0
	s_cbranch_scc1 .LBB33_33
.LBB33_28:
	s_cmp_gt_i32 s9, 1
	s_cbranch_scc0 .LBB33_34
; %bb.29:
	s_cmp_eq_u32 s9, 2
	s_cbranch_scc0 .LBB33_252
; %bb.30:
	s_waitcnt vmcnt(2)
	v_cmp_ge_i32_e64 s[6:7], s10, v15
	s_mov_b64 s[18:19], 0
	s_branch .LBB33_36
.LBB33_31:
	s_waitcnt vmcnt(2)
	v_cmp_gt_i32_e32 vcc, s10, v14
	s_andn2_b64 s[4:5], s[4:5], exec
	s_and_b64 s[16:17], vcc, exec
	s_or_b64 s[4:5], s[4:5], s[16:17]
	s_cbranch_execnz .LBB33_27
.LBB33_32:
	s_waitcnt vmcnt(2)
	v_cmp_le_i32_e32 vcc, s10, v14
	s_andn2_b64 s[4:5], s[4:5], exec
	s_and_b64 s[6:7], vcc, exec
	s_or_b64 s[4:5], s[4:5], s[6:7]
	s_cmp_lt_i32 s9, 1
	s_mov_b64 s[16:17], 0
	s_cbranch_scc0 .LBB33_28
.LBB33_33:
                                        ; implicit-def: $sgpr6_sgpr7
	s_mov_b64 s[18:19], 0
	s_cbranch_execnz .LBB33_37
	s_branch .LBB33_38
.LBB33_34:
	s_mov_b64 s[18:19], 0
                                        ; implicit-def: $sgpr6_sgpr7
	s_cbranch_execz .LBB33_36
; %bb.35:
	s_waitcnt vmcnt(2)
	v_cmp_lt_i32_e32 vcc, s10, v15
	s_andn2_b64 s[6:7], s[6:7], exec
	s_and_b64 s[20:21], vcc, exec
	s_or_b64 s[6:7], s[6:7], s[20:21]
.LBB33_36:
	s_branch .LBB33_38
.LBB33_37:
	s_cmp_lg_u32 s9, 0
	s_mov_b64 s[16:17], -1
	s_cselect_b64 s[18:19], -1, 0
.LBB33_38:
	s_andn2_b64 vcc, exec, s[18:19]
	s_cbranch_vccz .LBB33_44
; %bb.39:
	s_andn2_b64 vcc, exec, s[16:17]
	s_cbranch_vccz .LBB33_45
.LBB33_40:
	s_cmp_lt_i32 s9, 1
	s_mov_b64 s[18:19], 0
	s_cbranch_scc1 .LBB33_46
.LBB33_41:
	s_cmp_gt_i32 s9, 1
	s_cbranch_scc0 .LBB33_47
; %bb.42:
	s_cmp_eq_u32 s9, 2
	s_cbranch_scc0 .LBB33_253
; %bb.43:
	s_waitcnt vmcnt(2)
	v_cmp_ge_i32_e64 s[16:17], s10, v16
	s_mov_b64 s[20:21], 0
	s_branch .LBB33_49
.LBB33_44:
	s_waitcnt vmcnt(2)
	v_cmp_gt_i32_e32 vcc, s10, v15
	s_andn2_b64 s[6:7], s[6:7], exec
	s_and_b64 s[18:19], vcc, exec
	s_or_b64 s[6:7], s[6:7], s[18:19]
	s_cbranch_execnz .LBB33_40
.LBB33_45:
	s_waitcnt vmcnt(2)
	v_cmp_le_i32_e32 vcc, s10, v15
	s_andn2_b64 s[6:7], s[6:7], exec
	s_and_b64 s[16:17], vcc, exec
	s_or_b64 s[6:7], s[6:7], s[16:17]
	s_cmp_lt_i32 s9, 1
	s_mov_b64 s[18:19], 0
	s_cbranch_scc0 .LBB33_41
.LBB33_46:
                                        ; implicit-def: $sgpr16_sgpr17
	s_mov_b64 s[20:21], 0
	s_cbranch_execnz .LBB33_50
	s_branch .LBB33_51
.LBB33_47:
	s_mov_b64 s[20:21], 0
                                        ; implicit-def: $sgpr16_sgpr17
	s_cbranch_execz .LBB33_49
; %bb.48:
	s_waitcnt vmcnt(2)
	v_cmp_lt_i32_e32 vcc, s10, v16
	s_andn2_b64 s[16:17], s[16:17], exec
	s_and_b64 s[22:23], vcc, exec
	s_or_b64 s[16:17], s[16:17], s[22:23]
.LBB33_49:
	s_branch .LBB33_51
.LBB33_50:
	s_cmp_lg_u32 s9, 0
	s_mov_b64 s[18:19], -1
	s_cselect_b64 s[20:21], -1, 0
.LBB33_51:
	s_andn2_b64 vcc, exec, s[20:21]
	s_cbranch_vccz .LBB33_57
; %bb.52:
	s_andn2_b64 vcc, exec, s[18:19]
	s_cbranch_vccz .LBB33_58
.LBB33_53:
	s_cmp_lt_i32 s9, 1
	s_mov_b64 s[20:21], 0
	s_cbranch_scc1 .LBB33_59
.LBB33_54:
	s_cmp_gt_i32 s9, 1
	s_cbranch_scc0 .LBB33_60
; %bb.55:
	s_cmp_eq_u32 s9, 2
	s_cbranch_scc0 .LBB33_254
; %bb.56:
	s_waitcnt vmcnt(3)
	v_cmp_ge_i32_e64 s[18:19], s10, v9
	s_mov_b64 s[22:23], 0
	s_branch .LBB33_62
.LBB33_57:
	s_waitcnt vmcnt(2)
	v_cmp_gt_i32_e32 vcc, s10, v16
	s_andn2_b64 s[16:17], s[16:17], exec
	s_and_b64 s[20:21], vcc, exec
	s_or_b64 s[16:17], s[16:17], s[20:21]
	s_cbranch_execnz .LBB33_53
.LBB33_58:
	s_waitcnt vmcnt(2)
	v_cmp_le_i32_e32 vcc, s10, v16
	s_andn2_b64 s[16:17], s[16:17], exec
	s_and_b64 s[18:19], vcc, exec
	s_or_b64 s[16:17], s[16:17], s[18:19]
	s_cmp_lt_i32 s9, 1
	s_mov_b64 s[20:21], 0
	s_cbranch_scc0 .LBB33_54
.LBB33_59:
                                        ; implicit-def: $sgpr18_sgpr19
	s_mov_b64 s[22:23], 0
	s_cbranch_execnz .LBB33_63
	s_branch .LBB33_64
.LBB33_60:
	s_mov_b64 s[22:23], 0
                                        ; implicit-def: $sgpr18_sgpr19
	s_cbranch_execz .LBB33_62
; %bb.61:
	s_waitcnt vmcnt(3)
	v_cmp_lt_i32_e32 vcc, s10, v9
	s_andn2_b64 s[18:19], s[18:19], exec
	s_and_b64 s[24:25], vcc, exec
	s_or_b64 s[18:19], s[18:19], s[24:25]
.LBB33_62:
	s_branch .LBB33_64
.LBB33_63:
	s_cmp_lg_u32 s9, 0
	s_mov_b64 s[20:21], -1
	s_cselect_b64 s[22:23], -1, 0
.LBB33_64:
	s_andn2_b64 vcc, exec, s[22:23]
	s_cbranch_vccz .LBB33_70
; %bb.65:
	s_andn2_b64 vcc, exec, s[20:21]
	s_cbranch_vccz .LBB33_71
.LBB33_66:
	s_cmp_lt_i32 s9, 1
	s_mov_b64 s[22:23], 0
	s_cbranch_scc1 .LBB33_72
.LBB33_67:
	s_cmp_gt_i32 s9, 1
	s_cbranch_scc0 .LBB33_73
; %bb.68:
	s_cmp_eq_u32 s9, 2
	s_cbranch_scc0 .LBB33_255
; %bb.69:
	s_waitcnt vmcnt(3)
	v_cmp_ge_i32_e64 s[20:21], s10, v10
	s_mov_b64 s[24:25], 0
	s_branch .LBB33_75
.LBB33_70:
	s_waitcnt vmcnt(3)
	v_cmp_gt_i32_e32 vcc, s10, v9
	s_andn2_b64 s[18:19], s[18:19], exec
	s_and_b64 s[22:23], vcc, exec
	s_or_b64 s[18:19], s[18:19], s[22:23]
	s_cbranch_execnz .LBB33_66
.LBB33_71:
	s_waitcnt vmcnt(3)
	v_cmp_le_i32_e32 vcc, s10, v9
	s_andn2_b64 s[18:19], s[18:19], exec
	s_and_b64 s[20:21], vcc, exec
	s_or_b64 s[18:19], s[18:19], s[20:21]
	s_cmp_lt_i32 s9, 1
	s_mov_b64 s[22:23], 0
	s_cbranch_scc0 .LBB33_67
.LBB33_72:
                                        ; implicit-def: $sgpr20_sgpr21
	s_mov_b64 s[24:25], 0
	s_cbranch_execnz .LBB33_76
	s_branch .LBB33_77
.LBB33_73:
	s_mov_b64 s[24:25], 0
                                        ; implicit-def: $sgpr20_sgpr21
	s_cbranch_execz .LBB33_75
; %bb.74:
	s_waitcnt vmcnt(3)
	v_cmp_lt_i32_e32 vcc, s10, v10
	s_andn2_b64 s[20:21], s[20:21], exec
	s_and_b64 s[26:27], vcc, exec
	s_or_b64 s[20:21], s[20:21], s[26:27]
.LBB33_75:
	s_branch .LBB33_77
.LBB33_76:
	s_cmp_lg_u32 s9, 0
	s_mov_b64 s[22:23], -1
	s_cselect_b64 s[24:25], -1, 0
.LBB33_77:
	s_andn2_b64 vcc, exec, s[24:25]
	s_cbranch_vccz .LBB33_83
; %bb.78:
	s_andn2_b64 vcc, exec, s[22:23]
	s_cbranch_vccz .LBB33_84
.LBB33_79:
	s_cmp_lt_i32 s9, 1
	s_mov_b64 s[24:25], 0
	s_cbranch_scc1 .LBB33_85
.LBB33_80:
	s_cmp_gt_i32 s9, 1
	s_cbranch_scc0 .LBB33_86
; %bb.81:
	s_cmp_eq_u32 s9, 2
	s_cbranch_scc0 .LBB33_256
; %bb.82:
	s_waitcnt vmcnt(3)
	v_cmp_ge_i32_e64 s[22:23], s10, v11
	s_mov_b64 s[26:27], 0
	s_branch .LBB33_88
.LBB33_83:
	s_waitcnt vmcnt(3)
	v_cmp_gt_i32_e32 vcc, s10, v10
	s_andn2_b64 s[20:21], s[20:21], exec
	s_and_b64 s[24:25], vcc, exec
	s_or_b64 s[20:21], s[20:21], s[24:25]
	s_cbranch_execnz .LBB33_79
.LBB33_84:
	s_waitcnt vmcnt(3)
	v_cmp_le_i32_e32 vcc, s10, v10
	s_andn2_b64 s[20:21], s[20:21], exec
	s_and_b64 s[22:23], vcc, exec
	s_or_b64 s[20:21], s[20:21], s[22:23]
	s_cmp_lt_i32 s9, 1
	s_mov_b64 s[24:25], 0
	s_cbranch_scc0 .LBB33_80
.LBB33_85:
                                        ; implicit-def: $sgpr22_sgpr23
	s_mov_b64 s[26:27], 0
	s_cbranch_execnz .LBB33_89
	s_branch .LBB33_90
.LBB33_86:
	s_mov_b64 s[26:27], 0
                                        ; implicit-def: $sgpr22_sgpr23
	s_cbranch_execz .LBB33_88
; %bb.87:
	s_waitcnt vmcnt(3)
	v_cmp_lt_i32_e32 vcc, s10, v11
	s_andn2_b64 s[22:23], s[22:23], exec
	s_and_b64 s[28:29], vcc, exec
	s_or_b64 s[22:23], s[22:23], s[28:29]
.LBB33_88:
	s_branch .LBB33_90
.LBB33_89:
	s_cmp_lg_u32 s9, 0
	s_mov_b64 s[24:25], -1
	s_cselect_b64 s[26:27], -1, 0
.LBB33_90:
	s_andn2_b64 vcc, exec, s[26:27]
	s_cbranch_vccz .LBB33_96
; %bb.91:
	s_andn2_b64 vcc, exec, s[24:25]
	s_cbranch_vccz .LBB33_97
.LBB33_92:
	s_cmp_lt_i32 s9, 1
	s_mov_b64 s[26:27], 0
	s_cbranch_scc1 .LBB33_98
.LBB33_93:
	s_cmp_gt_i32 s9, 1
	s_cbranch_scc0 .LBB33_99
; %bb.94:
	s_cmp_eq_u32 s9, 2
	s_cbranch_scc0 .LBB33_257
; %bb.95:
	s_waitcnt vmcnt(3)
	v_cmp_ge_i32_e64 s[24:25], s10, v12
	s_mov_b64 s[28:29], 0
	s_branch .LBB33_101
.LBB33_96:
	s_waitcnt vmcnt(3)
	v_cmp_gt_i32_e32 vcc, s10, v11
	s_andn2_b64 s[22:23], s[22:23], exec
	s_and_b64 s[26:27], vcc, exec
	s_or_b64 s[22:23], s[22:23], s[26:27]
	s_cbranch_execnz .LBB33_92
.LBB33_97:
	s_waitcnt vmcnt(3)
	v_cmp_le_i32_e32 vcc, s10, v11
	s_andn2_b64 s[22:23], s[22:23], exec
	s_and_b64 s[24:25], vcc, exec
	s_or_b64 s[22:23], s[22:23], s[24:25]
	s_cmp_lt_i32 s9, 1
	s_mov_b64 s[26:27], 0
	s_cbranch_scc0 .LBB33_93
.LBB33_98:
                                        ; implicit-def: $sgpr24_sgpr25
	s_mov_b64 s[28:29], 0
	s_cbranch_execnz .LBB33_102
	s_branch .LBB33_103
.LBB33_99:
	s_mov_b64 s[28:29], 0
                                        ; implicit-def: $sgpr24_sgpr25
	s_cbranch_execz .LBB33_101
; %bb.100:
	s_waitcnt vmcnt(3)
	v_cmp_lt_i32_e32 vcc, s10, v12
	s_andn2_b64 s[24:25], s[24:25], exec
	s_and_b64 s[30:31], vcc, exec
	s_or_b64 s[24:25], s[24:25], s[30:31]
.LBB33_101:
	s_branch .LBB33_103
.LBB33_102:
	s_cmp_lg_u32 s9, 0
	s_mov_b64 s[26:27], -1
	s_cselect_b64 s[28:29], -1, 0
.LBB33_103:
	s_andn2_b64 vcc, exec, s[28:29]
	s_cbranch_vccz .LBB33_109
; %bb.104:
	s_andn2_b64 vcc, exec, s[26:27]
	s_cbranch_vccz .LBB33_110
.LBB33_105:
	s_cmp_lt_i32 s9, 1
	s_mov_b64 s[28:29], 0
	s_cbranch_scc1 .LBB33_111
.LBB33_106:
	s_cmp_gt_i32 s9, 1
	s_cbranch_scc0 .LBB33_112
; %bb.107:
	s_cmp_eq_u32 s9, 2
	s_cbranch_scc0 .LBB33_258
; %bb.108:
	s_waitcnt vmcnt(1)
	v_cmp_ge_i32_e64 s[26:27], s10, v5
	s_mov_b64 s[30:31], 0
	s_branch .LBB33_114
.LBB33_109:
	s_waitcnt vmcnt(3)
	v_cmp_gt_i32_e32 vcc, s10, v12
	s_andn2_b64 s[24:25], s[24:25], exec
	s_and_b64 s[28:29], vcc, exec
	s_or_b64 s[24:25], s[24:25], s[28:29]
	s_cbranch_execnz .LBB33_105
.LBB33_110:
	s_waitcnt vmcnt(3)
	v_cmp_le_i32_e32 vcc, s10, v12
	s_andn2_b64 s[24:25], s[24:25], exec
	s_and_b64 s[26:27], vcc, exec
	s_or_b64 s[24:25], s[24:25], s[26:27]
	s_cmp_lt_i32 s9, 1
	s_mov_b64 s[28:29], 0
	s_cbranch_scc0 .LBB33_106
.LBB33_111:
                                        ; implicit-def: $sgpr26_sgpr27
	s_mov_b64 s[30:31], 0
	s_cbranch_execnz .LBB33_115
	s_branch .LBB33_116
.LBB33_112:
	s_mov_b64 s[30:31], 0
                                        ; implicit-def: $sgpr26_sgpr27
	s_cbranch_execz .LBB33_114
; %bb.113:
	s_waitcnt vmcnt(1)
	v_cmp_lt_i32_e32 vcc, s10, v5
	s_andn2_b64 s[26:27], s[26:27], exec
	s_and_b64 s[34:35], vcc, exec
	s_or_b64 s[26:27], s[26:27], s[34:35]
.LBB33_114:
	s_branch .LBB33_116
.LBB33_115:
	s_cmp_lg_u32 s9, 0
	s_mov_b64 s[28:29], -1
	s_cselect_b64 s[30:31], -1, 0
.LBB33_116:
	s_andn2_b64 vcc, exec, s[30:31]
	s_cbranch_vccz .LBB33_122
; %bb.117:
	s_andn2_b64 vcc, exec, s[28:29]
	s_cbranch_vccz .LBB33_123
.LBB33_118:
	s_cmp_lt_i32 s9, 1
	s_mov_b64 s[30:31], 0
	s_cbranch_scc1 .LBB33_124
.LBB33_119:
	s_cmp_gt_i32 s9, 1
	s_cbranch_scc0 .LBB33_125
; %bb.120:
	s_cmp_eq_u32 s9, 2
	s_cbranch_scc0 .LBB33_259
; %bb.121:
	s_waitcnt vmcnt(1)
	v_cmp_ge_i32_e64 s[28:29], s10, v6
	s_mov_b64 s[34:35], 0
	s_branch .LBB33_127
.LBB33_122:
	s_waitcnt vmcnt(1)
	v_cmp_gt_i32_e32 vcc, s10, v5
	s_andn2_b64 s[26:27], s[26:27], exec
	s_and_b64 s[30:31], vcc, exec
	s_or_b64 s[26:27], s[26:27], s[30:31]
	s_cbranch_execnz .LBB33_118
.LBB33_123:
	s_waitcnt vmcnt(1)
	v_cmp_le_i32_e32 vcc, s10, v5
	s_andn2_b64 s[26:27], s[26:27], exec
	s_and_b64 s[28:29], vcc, exec
	s_or_b64 s[26:27], s[26:27], s[28:29]
	s_cmp_lt_i32 s9, 1
	s_mov_b64 s[30:31], 0
	s_cbranch_scc0 .LBB33_119
.LBB33_124:
                                        ; implicit-def: $sgpr28_sgpr29
	s_mov_b64 s[34:35], 0
	s_cbranch_execnz .LBB33_128
	s_branch .LBB33_129
.LBB33_125:
	s_mov_b64 s[34:35], 0
                                        ; implicit-def: $sgpr28_sgpr29
	s_cbranch_execz .LBB33_127
; %bb.126:
	s_waitcnt vmcnt(1)
	v_cmp_lt_i32_e32 vcc, s10, v6
	s_andn2_b64 s[28:29], s[28:29], exec
	s_and_b64 s[36:37], vcc, exec
	s_or_b64 s[28:29], s[28:29], s[36:37]
.LBB33_127:
	s_branch .LBB33_129
.LBB33_128:
	s_cmp_lg_u32 s9, 0
	s_mov_b64 s[30:31], -1
	s_cselect_b64 s[34:35], -1, 0
.LBB33_129:
	s_andn2_b64 vcc, exec, s[34:35]
	s_cbranch_vccz .LBB33_135
; %bb.130:
	s_andn2_b64 vcc, exec, s[30:31]
	s_cbranch_vccz .LBB33_136
.LBB33_131:
	s_cmp_lt_i32 s9, 1
	s_mov_b64 s[34:35], 0
	s_cbranch_scc1 .LBB33_137
.LBB33_132:
	s_cmp_gt_i32 s9, 1
	s_cbranch_scc0 .LBB33_138
; %bb.133:
	s_cmp_eq_u32 s9, 2
	s_cbranch_scc0 .LBB33_260
; %bb.134:
	s_waitcnt vmcnt(1)
	v_cmp_ge_i32_e64 s[30:31], s10, v7
	s_mov_b64 s[36:37], 0
	s_branch .LBB33_140
.LBB33_135:
	s_waitcnt vmcnt(1)
	v_cmp_gt_i32_e32 vcc, s10, v6
	s_andn2_b64 s[28:29], s[28:29], exec
	s_and_b64 s[34:35], vcc, exec
	s_or_b64 s[28:29], s[28:29], s[34:35]
	s_cbranch_execnz .LBB33_131
.LBB33_136:
	s_waitcnt vmcnt(1)
	v_cmp_le_i32_e32 vcc, s10, v6
	s_andn2_b64 s[28:29], s[28:29], exec
	s_and_b64 s[30:31], vcc, exec
	s_or_b64 s[28:29], s[28:29], s[30:31]
	s_cmp_lt_i32 s9, 1
	s_mov_b64 s[34:35], 0
	s_cbranch_scc0 .LBB33_132
.LBB33_137:
                                        ; implicit-def: $sgpr30_sgpr31
	s_mov_b64 s[36:37], 0
	s_cbranch_execnz .LBB33_141
	s_branch .LBB33_142
.LBB33_138:
	s_mov_b64 s[36:37], 0
                                        ; implicit-def: $sgpr30_sgpr31
	s_cbranch_execz .LBB33_140
; %bb.139:
	s_waitcnt vmcnt(1)
	v_cmp_lt_i32_e32 vcc, s10, v7
	s_andn2_b64 s[30:31], s[30:31], exec
	s_and_b64 s[38:39], vcc, exec
	s_or_b64 s[30:31], s[30:31], s[38:39]
.LBB33_140:
	s_branch .LBB33_142
.LBB33_141:
	s_cmp_lg_u32 s9, 0
	s_mov_b64 s[34:35], -1
	s_cselect_b64 s[36:37], -1, 0
.LBB33_142:
	s_andn2_b64 vcc, exec, s[36:37]
	s_cbranch_vccz .LBB33_148
; %bb.143:
	s_andn2_b64 vcc, exec, s[34:35]
	s_cbranch_vccz .LBB33_149
.LBB33_144:
	s_cmp_lt_i32 s9, 1
	s_mov_b64 s[36:37], 0
	s_cbranch_scc1 .LBB33_150
.LBB33_145:
	s_cmp_gt_i32 s9, 1
	s_cbranch_scc0 .LBB33_151
; %bb.146:
	s_cmp_eq_u32 s9, 2
	s_cbranch_scc0 .LBB33_261
; %bb.147:
	s_waitcnt vmcnt(1)
	v_cmp_ge_i32_e64 s[34:35], s10, v8
	s_mov_b64 s[38:39], 0
	s_branch .LBB33_153
.LBB33_148:
	s_waitcnt vmcnt(1)
	v_cmp_gt_i32_e32 vcc, s10, v7
	s_andn2_b64 s[30:31], s[30:31], exec
	s_and_b64 s[36:37], vcc, exec
	s_or_b64 s[30:31], s[30:31], s[36:37]
	s_cbranch_execnz .LBB33_144
.LBB33_149:
	s_waitcnt vmcnt(1)
	v_cmp_le_i32_e32 vcc, s10, v7
	s_andn2_b64 s[30:31], s[30:31], exec
	s_and_b64 s[34:35], vcc, exec
	s_or_b64 s[30:31], s[30:31], s[34:35]
	s_cmp_lt_i32 s9, 1
	s_mov_b64 s[36:37], 0
	s_cbranch_scc0 .LBB33_145
.LBB33_150:
                                        ; implicit-def: $sgpr34_sgpr35
	s_mov_b64 s[38:39], 0
	s_cbranch_execnz .LBB33_154
	s_branch .LBB33_155
.LBB33_151:
	s_mov_b64 s[38:39], 0
                                        ; implicit-def: $sgpr34_sgpr35
	s_cbranch_execz .LBB33_153
; %bb.152:
	s_waitcnt vmcnt(1)
	v_cmp_lt_i32_e32 vcc, s10, v8
	s_andn2_b64 s[34:35], s[34:35], exec
	s_and_b64 s[40:41], vcc, exec
	s_or_b64 s[34:35], s[34:35], s[40:41]
.LBB33_153:
	s_branch .LBB33_155
.LBB33_154:
	s_cmp_lg_u32 s9, 0
	s_mov_b64 s[36:37], -1
	s_cselect_b64 s[38:39], -1, 0
.LBB33_155:
	s_andn2_b64 vcc, exec, s[38:39]
	s_cbranch_vccz .LBB33_161
; %bb.156:
	s_andn2_b64 vcc, exec, s[36:37]
	s_cbranch_vccz .LBB33_162
.LBB33_157:
	s_cmp_lt_i32 s9, 1
	s_mov_b64 s[38:39], 0
	s_cbranch_scc1 .LBB33_163
.LBB33_158:
	s_cmp_gt_i32 s9, 1
	s_cbranch_scc0 .LBB33_164
; %bb.159:
	s_cmp_eq_u32 s9, 2
	s_cbranch_scc0 .LBB33_262
; %bb.160:
	s_waitcnt vmcnt(0)
	v_cmp_ge_i32_e64 s[36:37], s10, v1
	s_mov_b64 s[40:41], 0
	s_branch .LBB33_166
.LBB33_161:
	s_waitcnt vmcnt(1)
	v_cmp_gt_i32_e32 vcc, s10, v8
	s_andn2_b64 s[34:35], s[34:35], exec
	s_and_b64 s[38:39], vcc, exec
	s_or_b64 s[34:35], s[34:35], s[38:39]
	s_cbranch_execnz .LBB33_157
.LBB33_162:
	s_waitcnt vmcnt(1)
	v_cmp_le_i32_e32 vcc, s10, v8
	s_andn2_b64 s[34:35], s[34:35], exec
	s_and_b64 s[36:37], vcc, exec
	s_or_b64 s[34:35], s[34:35], s[36:37]
	s_cmp_lt_i32 s9, 1
	s_mov_b64 s[38:39], 0
	s_cbranch_scc0 .LBB33_158
.LBB33_163:
                                        ; implicit-def: $sgpr36_sgpr37
	s_mov_b64 s[40:41], 0
	s_cbranch_execnz .LBB33_167
	s_branch .LBB33_168
.LBB33_164:
	s_mov_b64 s[40:41], 0
                                        ; implicit-def: $sgpr36_sgpr37
	s_cbranch_execz .LBB33_166
; %bb.165:
	s_waitcnt vmcnt(0)
	v_cmp_lt_i32_e32 vcc, s10, v1
	s_andn2_b64 s[36:37], s[36:37], exec
	s_and_b64 s[42:43], vcc, exec
	s_or_b64 s[36:37], s[36:37], s[42:43]
.LBB33_166:
	s_branch .LBB33_168
.LBB33_167:
	s_cmp_lg_u32 s9, 0
	s_mov_b64 s[38:39], -1
	s_cselect_b64 s[40:41], -1, 0
.LBB33_168:
	s_andn2_b64 vcc, exec, s[40:41]
	s_cbranch_vccz .LBB33_174
; %bb.169:
	s_andn2_b64 vcc, exec, s[38:39]
	s_cbranch_vccz .LBB33_175
.LBB33_170:
	s_cmp_lt_i32 s9, 1
	s_mov_b64 s[40:41], 0
	s_cbranch_scc1 .LBB33_176
.LBB33_171:
	s_cmp_gt_i32 s9, 1
	s_cbranch_scc0 .LBB33_177
; %bb.172:
	s_cmp_eq_u32 s9, 2
	s_cbranch_scc0 .LBB33_263
; %bb.173:
	s_waitcnt vmcnt(0)
	v_cmp_ge_i32_e64 s[38:39], s10, v2
	s_mov_b64 s[42:43], 0
	s_branch .LBB33_179
.LBB33_174:
	s_waitcnt vmcnt(0)
	v_cmp_gt_i32_e32 vcc, s10, v1
	s_andn2_b64 s[36:37], s[36:37], exec
	s_and_b64 s[40:41], vcc, exec
	s_or_b64 s[36:37], s[36:37], s[40:41]
	s_cbranch_execnz .LBB33_170
.LBB33_175:
	s_waitcnt vmcnt(0)
	v_cmp_le_i32_e32 vcc, s10, v1
	s_andn2_b64 s[36:37], s[36:37], exec
	s_and_b64 s[38:39], vcc, exec
	s_or_b64 s[36:37], s[36:37], s[38:39]
	s_cmp_lt_i32 s9, 1
	s_mov_b64 s[40:41], 0
	s_cbranch_scc0 .LBB33_171
.LBB33_176:
                                        ; implicit-def: $sgpr38_sgpr39
	s_mov_b64 s[42:43], 0
	s_cbranch_execnz .LBB33_180
	s_branch .LBB33_181
.LBB33_177:
	s_mov_b64 s[42:43], 0
                                        ; implicit-def: $sgpr38_sgpr39
	s_cbranch_execz .LBB33_179
; %bb.178:
	s_waitcnt vmcnt(0)
	v_cmp_lt_i32_e32 vcc, s10, v2
	s_andn2_b64 s[38:39], s[38:39], exec
	s_and_b64 s[44:45], vcc, exec
	s_or_b64 s[38:39], s[38:39], s[44:45]
.LBB33_179:
	s_branch .LBB33_181
.LBB33_180:
	s_cmp_lg_u32 s9, 0
	s_mov_b64 s[40:41], -1
	s_cselect_b64 s[42:43], -1, 0
.LBB33_181:
	s_andn2_b64 vcc, exec, s[42:43]
	s_cbranch_vccz .LBB33_187
; %bb.182:
	s_andn2_b64 vcc, exec, s[40:41]
	s_cbranch_vccz .LBB33_188
.LBB33_183:
	s_cmp_lt_i32 s9, 1
	s_mov_b64 s[42:43], 0
	s_cbranch_scc1 .LBB33_189
.LBB33_184:
	s_cmp_gt_i32 s9, 1
	s_cbranch_scc0 .LBB33_190
; %bb.185:
	s_cmp_eq_u32 s9, 2
	s_cbranch_scc0 .LBB33_264
; %bb.186:
	s_waitcnt vmcnt(0)
	v_cmp_ge_i32_e64 s[40:41], s10, v3
	s_mov_b64 s[44:45], 0
	s_branch .LBB33_192
.LBB33_187:
	s_waitcnt vmcnt(0)
	v_cmp_gt_i32_e32 vcc, s10, v2
	s_andn2_b64 s[38:39], s[38:39], exec
	s_and_b64 s[42:43], vcc, exec
	s_or_b64 s[38:39], s[38:39], s[42:43]
	s_cbranch_execnz .LBB33_183
.LBB33_188:
	s_waitcnt vmcnt(0)
	v_cmp_le_i32_e32 vcc, s10, v2
	s_andn2_b64 s[38:39], s[38:39], exec
	s_and_b64 s[40:41], vcc, exec
	s_or_b64 s[38:39], s[38:39], s[40:41]
	s_cmp_lt_i32 s9, 1
	s_mov_b64 s[42:43], 0
	s_cbranch_scc0 .LBB33_184
.LBB33_189:
                                        ; implicit-def: $sgpr40_sgpr41
	s_mov_b64 s[44:45], 0
	s_cbranch_execnz .LBB33_193
	s_branch .LBB33_194
.LBB33_190:
	s_mov_b64 s[44:45], 0
                                        ; implicit-def: $sgpr40_sgpr41
	s_cbranch_execz .LBB33_192
; %bb.191:
	s_waitcnt vmcnt(0)
	v_cmp_lt_i32_e32 vcc, s10, v3
	s_andn2_b64 s[40:41], s[40:41], exec
	s_and_b64 s[46:47], vcc, exec
	s_or_b64 s[40:41], s[40:41], s[46:47]
.LBB33_192:
	s_branch .LBB33_194
.LBB33_193:
	s_cmp_lg_u32 s9, 0
	s_mov_b64 s[42:43], -1
	s_cselect_b64 s[44:45], -1, 0
.LBB33_194:
	s_andn2_b64 vcc, exec, s[44:45]
	s_cbranch_vccz .LBB33_200
; %bb.195:
	s_andn2_b64 vcc, exec, s[42:43]
	s_cbranch_vccz .LBB33_201
.LBB33_196:
	s_cmp_lt_i32 s9, 1
	s_mov_b64 s[44:45], 0
	s_cbranch_scc1 .LBB33_202
.LBB33_197:
	s_cmp_gt_i32 s9, 1
	s_cbranch_scc0 .LBB33_203
; %bb.198:
	s_cmp_eq_u32 s9, 2
	s_cbranch_scc0 .LBB33_265
; %bb.199:
	s_waitcnt vmcnt(0)
	v_cmp_ge_i32_e64 s[42:43], s10, v4
	s_mov_b64 s[46:47], 0
	s_branch .LBB33_205
.LBB33_200:
	s_waitcnt vmcnt(0)
	v_cmp_gt_i32_e32 vcc, s10, v3
	s_andn2_b64 s[40:41], s[40:41], exec
	s_and_b64 s[44:45], vcc, exec
	s_or_b64 s[40:41], s[40:41], s[44:45]
	s_cbranch_execnz .LBB33_196
.LBB33_201:
	s_waitcnt vmcnt(0)
	v_cmp_le_i32_e32 vcc, s10, v3
	s_andn2_b64 s[40:41], s[40:41], exec
	s_and_b64 s[42:43], vcc, exec
	s_or_b64 s[40:41], s[40:41], s[42:43]
	s_cmp_lt_i32 s9, 1
	s_mov_b64 s[44:45], 0
	s_cbranch_scc0 .LBB33_197
.LBB33_202:
                                        ; implicit-def: $sgpr42_sgpr43
	s_mov_b64 s[46:47], 0
	s_cbranch_execnz .LBB33_206
	s_branch .LBB33_207
.LBB33_203:
	s_mov_b64 s[46:47], 0
                                        ; implicit-def: $sgpr42_sgpr43
	s_cbranch_execz .LBB33_205
; %bb.204:
	s_waitcnt vmcnt(0)
	v_cmp_lt_i32_e32 vcc, s10, v4
	s_andn2_b64 s[42:43], s[42:43], exec
	s_and_b64 s[48:49], vcc, exec
	s_or_b64 s[42:43], s[42:43], s[48:49]
.LBB33_205:
	s_branch .LBB33_207
.LBB33_206:
	s_cmp_lg_u32 s9, 0
	s_mov_b64 s[44:45], -1
	s_cselect_b64 s[46:47], -1, 0
.LBB33_207:
	s_andn2_b64 vcc, exec, s[46:47]
	s_cbranch_vccz .LBB33_249
; %bb.208:
	s_andn2_b64 vcc, exec, s[44:45]
	s_cbranch_vccnz .LBB33_210
.LBB33_209:
	s_waitcnt vmcnt(0)
	v_cmp_le_i32_e32 vcc, s10, v4
	s_andn2_b64 s[42:43], s[42:43], exec
	s_and_b64 s[44:45], vcc, exec
	s_or_b64 s[42:43], s[42:43], s[44:45]
.LBB33_210:
	s_waitcnt vmcnt(0)
	v_mov_b32_e32 v1, 0x100
	v_cndmask_b32_e64 v2, 0, v1, s[28:29]
	v_cndmask_b32_e64 v3, 0, 1, s[26:27]
	v_or_b32_e32 v2, v2, v3
	v_mov_b32_e32 v3, 0x10000
	v_mov_b32_e32 v5, 0x1000000
	v_cndmask_b32_e64 v4, 0, v3, s[30:31]
	v_cndmask_b32_e64 v6, 0, v5, s[34:35]
	v_or3_b32 v7, 0, 0, 0
	v_or3_b32 v2, v2, v4, v6
	v_cndmask_b32_e64 v4, 0, 1, s[36:37]
	v_cndmask_b32_e64 v6, 0, v1, s[38:39]
	v_or3_b32 v4, v7, v4, v6
	v_or3_b32 v6, v2, 0, 0
	v_cndmask_b32_e64 v2, 0, v1, s[4:5]
	v_cndmask_b32_e64 v9, 0, 1, s[0:1]
	v_or_b32_e32 v2, v2, v9
	v_cndmask_b32_e64 v9, 0, v3, s[6:7]
	v_cndmask_b32_e64 v10, 0, v5, s[16:17]
	v_or3_b32 v2, v2, v9, v10
	v_cndmask_b32_e64 v9, 0, 1, s[18:19]
	v_cndmask_b32_e64 v1, 0, v1, s[20:21]
	;; [unrolled: 1-line block ×3, first 2 shown]
	v_or3_b32 v1, v7, v9, v1
	v_or3_b32 v7, v2, 0, 0
	v_cndmask_b32_e64 v2, 0, v3, s[22:23]
	v_cndmask_b32_e64 v3, 0, v5, s[24:25]
	s_add_u32 s0, s12, s2
	v_or3_b32 v2, v1, v2, v3
	v_or3_b32 v1, v7, 0, 0
	v_cndmask_b32_e64 v3, 0, v5, s[42:43]
	s_addc_u32 s1, s13, s3
	v_lshlrev_b32_e32 v5, 3, v0
	v_or3_b32 v4, v4, v8, v3
	v_or3_b32 v3, v6, 0, 0
	global_store_dwordx2 v5, v[1:2], s[0:1]
	global_store_dwordx2 v5, v[3:4], s[0:1] offset:2048
	s_mov_b64 s[0:1], 0
.LBB33_211:
	s_and_b64 vcc, exec, s[0:1]
	s_cbranch_vccz .LBB33_519
; %bb.212:
	v_cmp_gt_i32_e64 s[0:1], s8, v0
	v_mov_b32_e32 v4, 0
	v_or_b32_e32 v1, s2, v0
	v_mov_b32_e32 v5, 0
	v_mov_b32_e32 v6, 0
	;; [unrolled: 1-line block ×15, first 2 shown]
	s_and_saveexec_b64 s[4:5], s[0:1]
	s_cbranch_execz .LBB33_244
; %bb.213:
	v_mov_b32_e32 v2, 0
	v_lshlrev_b64 v[3:4], 2, v[1:2]
	v_mov_b32_e32 v5, s15
	v_add_co_u32_e32 v3, vcc, s14, v3
	v_addc_co_u32_e32 v4, vcc, v5, v4, vcc
	global_load_dword v20, v[3:4], off
	v_or_b32_e32 v3, 0x100, v0
	v_cmp_gt_u32_e32 vcc, s8, v3
	v_mov_b32_e32 v15, v2
	v_mov_b32_e32 v18, v2
	;; [unrolled: 1-line block ×14, first 2 shown]
	s_and_saveexec_b64 s[6:7], vcc
	s_cbranch_execz .LBB33_243
; %bb.214:
	v_add_u32_e32 v14, s2, v0
	v_mov_b32_e32 v15, 0
	v_lshlrev_b64 v[2:3], 2, v[14:15]
	v_mov_b32_e32 v4, s15
	v_add_co_u32_e32 v16, vcc, s14, v2
	v_addc_co_u32_e32 v17, vcc, v4, v3, vcc
	global_load_dword v2, v[16:17], off offset:1024
	v_or_b32_e32 v3, 0x200, v0
	v_cmp_gt_u32_e32 vcc, s8, v3
	v_mov_b32_e32 v18, v15
	v_mov_b32_e32 v19, v15
	;; [unrolled: 1-line block ×13, first 2 shown]
	s_and_saveexec_b64 s[16:17], vcc
	s_cbranch_execz .LBB33_242
; %bb.215:
	global_load_dword v15, v[16:17], off offset:2048
	v_or_b32_e32 v3, 0x300, v0
	v_cmp_gt_u32_e32 vcc, s8, v3
	v_mov_b32_e32 v18, 0
	v_mov_b32_e32 v19, 0
	;; [unrolled: 1-line block ×13, first 2 shown]
	s_and_saveexec_b64 s[18:19], vcc
	s_cbranch_execz .LBB33_241
; %bb.216:
	global_load_dword v18, v[16:17], off offset:3072
	v_or_b32_e32 v3, 0x400, v0
	v_cmp_gt_u32_e32 vcc, s8, v3
	v_mov_b32_e32 v19, 0
	v_mov_b32_e32 v14, 0
	;; [unrolled: 1-line block ×12, first 2 shown]
	s_and_saveexec_b64 s[20:21], vcc
	s_cbranch_execz .LBB33_240
; %bb.217:
	v_or_b32_e32 v13, s2, v3
	v_mov_b32_e32 v14, 0
	v_lshlrev_b64 v[3:4], 2, v[13:14]
	v_mov_b32_e32 v5, s15
	v_add_co_u32_e32 v3, vcc, s14, v3
	v_addc_co_u32_e32 v4, vcc, v5, v4, vcc
	global_load_dword v19, v[3:4], off
	v_or_b32_e32 v3, 0x500, v0
	v_cmp_gt_u32_e32 vcc, s8, v3
	v_mov_b32_e32 v13, v14
	v_mov_b32_e32 v12, v14
	;; [unrolled: 1-line block ×10, first 2 shown]
	s_and_saveexec_b64 s[22:23], vcc
	s_cbranch_execz .LBB33_239
; %bb.218:
	v_or_b32_e32 v12, s2, v3
	v_mov_b32_e32 v13, 0
	v_lshlrev_b64 v[3:4], 2, v[12:13]
	v_mov_b32_e32 v5, s15
	v_add_co_u32_e32 v3, vcc, s14, v3
	v_addc_co_u32_e32 v4, vcc, v5, v4, vcc
	global_load_dword v14, v[3:4], off
	v_or_b32_e32 v3, 0x600, v0
	v_cmp_gt_u32_e32 vcc, s8, v3
	v_mov_b32_e32 v12, v13
	v_mov_b32_e32 v11, v13
	;; [unrolled: 1-line block ×9, first 2 shown]
	s_and_saveexec_b64 s[24:25], vcc
	s_cbranch_execz .LBB33_238
; %bb.219:
	v_or_b32_e32 v11, s2, v3
	v_mov_b32_e32 v12, 0
	v_lshlrev_b64 v[3:4], 2, v[11:12]
	v_mov_b32_e32 v5, s15
	v_add_co_u32_e32 v3, vcc, s14, v3
	v_addc_co_u32_e32 v4, vcc, v5, v4, vcc
	global_load_dword v13, v[3:4], off
	v_or_b32_e32 v3, 0x700, v0
	v_cmp_gt_u32_e32 vcc, s8, v3
	v_mov_b32_e32 v11, v12
	v_mov_b32_e32 v10, v12
	;; [unrolled: 1-line block ×8, first 2 shown]
	s_and_saveexec_b64 s[26:27], vcc
	s_cbranch_execz .LBB33_237
; %bb.220:
	v_or_b32_e32 v10, s2, v3
	v_mov_b32_e32 v11, 0
	v_lshlrev_b64 v[3:4], 2, v[10:11]
	v_mov_b32_e32 v5, s15
	v_add_co_u32_e32 v3, vcc, s14, v3
	v_addc_co_u32_e32 v4, vcc, v5, v4, vcc
	global_load_dword v12, v[3:4], off
	v_or_b32_e32 v3, 0x800, v0
	v_cmp_gt_u32_e32 vcc, s8, v3
	v_mov_b32_e32 v10, v11
	v_mov_b32_e32 v9, v11
	;; [unrolled: 1-line block ×7, first 2 shown]
	s_and_saveexec_b64 s[28:29], vcc
	s_cbranch_execz .LBB33_236
; %bb.221:
	v_or_b32_e32 v9, s2, v3
	v_mov_b32_e32 v10, 0
	v_lshlrev_b64 v[3:4], 2, v[9:10]
	v_mov_b32_e32 v5, s15
	v_add_co_u32_e32 v3, vcc, s14, v3
	v_addc_co_u32_e32 v4, vcc, v5, v4, vcc
	global_load_dword v11, v[3:4], off
	v_or_b32_e32 v3, 0x900, v0
	v_cmp_gt_u32_e32 vcc, s8, v3
	v_mov_b32_e32 v9, v10
	v_mov_b32_e32 v8, v10
	;; [unrolled: 1-line block ×6, first 2 shown]
	s_and_saveexec_b64 s[30:31], vcc
	s_cbranch_execz .LBB33_235
; %bb.222:
	v_or_b32_e32 v8, s2, v3
	v_mov_b32_e32 v9, 0
	v_lshlrev_b64 v[3:4], 2, v[8:9]
	v_mov_b32_e32 v5, s15
	v_add_co_u32_e32 v3, vcc, s14, v3
	v_addc_co_u32_e32 v4, vcc, v5, v4, vcc
	global_load_dword v10, v[3:4], off
	v_or_b32_e32 v3, 0xa00, v0
	v_cmp_gt_u32_e32 vcc, s8, v3
	v_mov_b32_e32 v8, v9
	v_mov_b32_e32 v7, v9
	;; [unrolled: 1-line block ×5, first 2 shown]
	s_and_saveexec_b64 s[34:35], vcc
	s_cbranch_execz .LBB33_234
; %bb.223:
	v_or_b32_e32 v7, s2, v3
	v_mov_b32_e32 v8, 0
	v_lshlrev_b64 v[3:4], 2, v[7:8]
	v_mov_b32_e32 v5, s15
	v_add_co_u32_e32 v3, vcc, s14, v3
	v_addc_co_u32_e32 v4, vcc, v5, v4, vcc
	global_load_dword v9, v[3:4], off
	v_or_b32_e32 v3, 0xb00, v0
	v_cmp_gt_u32_e32 vcc, s8, v3
	v_mov_b32_e32 v7, v8
	v_mov_b32_e32 v6, v8
	;; [unrolled: 1-line block ×4, first 2 shown]
	s_and_saveexec_b64 s[36:37], vcc
	s_cbranch_execz .LBB33_233
; %bb.224:
	v_or_b32_e32 v6, s2, v3
	v_mov_b32_e32 v7, 0
	v_lshlrev_b64 v[3:4], 2, v[6:7]
	v_mov_b32_e32 v5, s15
	v_add_co_u32_e32 v3, vcc, s14, v3
	v_addc_co_u32_e32 v4, vcc, v5, v4, vcc
	global_load_dword v8, v[3:4], off
	v_or_b32_e32 v3, 0xc00, v0
	v_cmp_gt_u32_e32 vcc, s8, v3
	v_mov_b32_e32 v6, v7
	v_mov_b32_e32 v5, v7
	;; [unrolled: 1-line block ×3, first 2 shown]
	s_and_saveexec_b64 s[38:39], vcc
	s_cbranch_execz .LBB33_232
; %bb.225:
	v_or_b32_e32 v5, s2, v3
	v_mov_b32_e32 v6, 0
	v_lshlrev_b64 v[3:4], 2, v[5:6]
	v_mov_b32_e32 v5, s15
	v_add_co_u32_e32 v3, vcc, s14, v3
	v_addc_co_u32_e32 v4, vcc, v5, v4, vcc
	global_load_dword v7, v[3:4], off
	v_or_b32_e32 v3, 0xd00, v0
	v_cmp_gt_u32_e32 vcc, s8, v3
	v_mov_b32_e32 v5, v6
	v_mov_b32_e32 v4, v6
	s_and_saveexec_b64 s[40:41], vcc
	s_cbranch_execz .LBB33_231
; %bb.226:
	v_add_u32_e32 v4, s2, v3
	v_mov_b32_e32 v5, 0
	v_lshlrev_b64 v[3:4], 2, v[4:5]
	v_mov_b32_e32 v6, s15
	v_add_co_u32_e32 v3, vcc, s14, v3
	v_addc_co_u32_e32 v4, vcc, v6, v4, vcc
	global_load_dword v6, v[3:4], off
	v_or_b32_e32 v3, 0xe00, v0
	v_cmp_gt_u32_e32 vcc, s8, v3
	v_mov_b32_e32 v4, v5
	s_and_saveexec_b64 s[42:43], vcc
	s_cbranch_execz .LBB33_230
; %bb.227:
	v_add_u32_e32 v3, s2, v3
	v_mov_b32_e32 v4, 0
	v_lshlrev_b64 v[16:17], 2, v[3:4]
	v_mov_b32_e32 v3, s15
	v_add_co_u32_e32 v16, vcc, s14, v16
	v_addc_co_u32_e32 v17, vcc, v3, v17, vcc
	global_load_dword v5, v[16:17], off
	v_or_b32_e32 v3, 0xf00, v0
	v_cmp_gt_u32_e32 vcc, s8, v3
	s_and_saveexec_b64 s[44:45], vcc
	s_cbranch_execz .LBB33_229
; %bb.228:
	v_add_u32_e32 v3, s2, v3
	v_mov_b32_e32 v4, 0
	v_lshlrev_b64 v[3:4], 2, v[3:4]
	v_mov_b32_e32 v16, s15
	v_add_co_u32_e32 v3, vcc, s14, v3
	v_addc_co_u32_e32 v4, vcc, v16, v4, vcc
	global_load_dword v4, v[3:4], off
.LBB33_229:
	s_or_b64 exec, exec, s[44:45]
.LBB33_230:
	s_or_b64 exec, exec, s[42:43]
.LBB33_231:
	s_or_b64 exec, exec, s[40:41]
.LBB33_232:
	s_or_b64 exec, exec, s[38:39]
.LBB33_233:
	s_or_b64 exec, exec, s[36:37]
.LBB33_234:
	s_or_b64 exec, exec, s[34:35]
.LBB33_235:
	s_or_b64 exec, exec, s[30:31]
.LBB33_236:
	s_or_b64 exec, exec, s[28:29]
.LBB33_237:
	s_or_b64 exec, exec, s[26:27]
.LBB33_238:
	s_or_b64 exec, exec, s[24:25]
.LBB33_239:
	s_or_b64 exec, exec, s[22:23]
.LBB33_240:
	s_or_b64 exec, exec, s[20:21]
.LBB33_241:
	s_or_b64 exec, exec, s[18:19]
.LBB33_242:
	s_or_b64 exec, exec, s[16:17]
.LBB33_243:
	s_or_b64 exec, exec, s[6:7]
.LBB33_244:
	s_or_b64 exec, exec, s[4:5]
                                        ; implicit-def: $vgpr3
	s_and_saveexec_b64 s[4:5], s[0:1]
	s_cbranch_execz .LBB33_276
; %bb.245:
	s_cmp_lt_i32 s9, 1
	s_mov_b64 s[6:7], 0
	s_cbranch_scc1 .LBB33_250
; %bb.246:
	s_cmp_gt_i32 s9, 1
	s_cbranch_scc0 .LBB33_266
; %bb.247:
	s_cmp_eq_u32 s9, 2
	s_cbranch_scc0 .LBB33_267
; %bb.248:
	s_waitcnt vmcnt(0)
	v_cmp_ge_i32_e64 s[14:15], s10, v20
	s_mov_b64 s[16:17], 0
	s_branch .LBB33_268
.LBB33_249:
	s_waitcnt vmcnt(0)
	v_cmp_gt_i32_e32 vcc, s10, v4
	s_andn2_b64 s[42:43], s[42:43], exec
	s_and_b64 s[46:47], vcc, exec
	s_or_b64 s[42:43], s[42:43], s[46:47]
	s_cbranch_execz .LBB33_209
	s_branch .LBB33_210
.LBB33_250:
                                        ; implicit-def: $sgpr14_sgpr15
	s_mov_b64 s[16:17], 0
	s_cbranch_execnz .LBB33_271
	s_branch .LBB33_272
.LBB33_251:
	s_mov_b64 s[16:17], -1
                                        ; implicit-def: $sgpr4_sgpr5
	s_branch .LBB33_23
.LBB33_252:
	s_mov_b64 s[18:19], -1
                                        ; implicit-def: $sgpr6_sgpr7
	s_branch .LBB33_36
.LBB33_253:
	s_mov_b64 s[20:21], -1
                                        ; implicit-def: $sgpr16_sgpr17
	s_branch .LBB33_49
.LBB33_254:
	s_mov_b64 s[22:23], -1
                                        ; implicit-def: $sgpr18_sgpr19
	s_branch .LBB33_62
.LBB33_255:
	s_mov_b64 s[24:25], -1
                                        ; implicit-def: $sgpr20_sgpr21
	s_branch .LBB33_75
.LBB33_256:
	s_mov_b64 s[26:27], -1
                                        ; implicit-def: $sgpr22_sgpr23
	s_branch .LBB33_88
.LBB33_257:
	s_mov_b64 s[28:29], -1
                                        ; implicit-def: $sgpr24_sgpr25
	s_branch .LBB33_101
.LBB33_258:
	s_mov_b64 s[30:31], -1
                                        ; implicit-def: $sgpr26_sgpr27
	s_branch .LBB33_114
.LBB33_259:
	s_mov_b64 s[34:35], -1
                                        ; implicit-def: $sgpr28_sgpr29
	s_branch .LBB33_127
.LBB33_260:
	s_mov_b64 s[36:37], -1
                                        ; implicit-def: $sgpr30_sgpr31
	s_branch .LBB33_140
.LBB33_261:
	s_mov_b64 s[38:39], -1
                                        ; implicit-def: $sgpr34_sgpr35
	s_branch .LBB33_153
.LBB33_262:
	s_mov_b64 s[40:41], -1
                                        ; implicit-def: $sgpr36_sgpr37
	s_branch .LBB33_166
.LBB33_263:
	s_mov_b64 s[42:43], -1
                                        ; implicit-def: $sgpr38_sgpr39
	s_branch .LBB33_179
.LBB33_264:
	s_mov_b64 s[44:45], -1
                                        ; implicit-def: $sgpr40_sgpr41
	s_branch .LBB33_192
.LBB33_265:
	s_mov_b64 s[46:47], -1
                                        ; implicit-def: $sgpr42_sgpr43
	s_branch .LBB33_205
.LBB33_266:
	s_mov_b64 s[16:17], 0
                                        ; implicit-def: $sgpr14_sgpr15
	s_cbranch_execnz .LBB33_269
	s_branch .LBB33_270
.LBB33_267:
	s_mov_b64 s[16:17], -1
                                        ; implicit-def: $sgpr14_sgpr15
.LBB33_268:
	s_branch .LBB33_270
.LBB33_269:
	s_waitcnt vmcnt(0)
	v_cmp_lt_i32_e32 vcc, s10, v20
	s_andn2_b64 s[14:15], s[14:15], exec
	s_and_b64 s[18:19], vcc, exec
	s_or_b64 s[14:15], s[14:15], s[18:19]
.LBB33_270:
	s_branch .LBB33_272
.LBB33_271:
	s_cmp_lg_u32 s9, 0
	s_mov_b64 s[6:7], -1
	s_cselect_b64 s[16:17], -1, 0
.LBB33_272:
	s_andn2_b64 vcc, exec, s[16:17]
	s_cbranch_vccz .LBB33_281
; %bb.273:
	s_andn2_b64 vcc, exec, s[6:7]
	s_cbranch_vccnz .LBB33_275
.LBB33_274:
	s_waitcnt vmcnt(0)
	v_cmp_le_i32_e32 vcc, s10, v20
	s_andn2_b64 s[6:7], s[14:15], exec
	s_and_b64 s[14:15], vcc, exec
	s_or_b64 s[14:15], s[6:7], s[14:15]
.LBB33_275:
	v_cndmask_b32_e64 v3, 0, 1, s[14:15]
.LBB33_276:
	s_or_b64 exec, exec, s[4:5]
	v_or_b32_e32 v16, 0x100, v0
	v_cmp_gt_i32_e32 vcc, s8, v16
                                        ; implicit-def: $vgpr17
	s_and_saveexec_b64 s[4:5], vcc
	s_cbranch_execz .LBB33_291
; %bb.277:
	s_cmp_lt_i32 s9, 1
	s_mov_b64 s[6:7], 0
	s_cbranch_scc1 .LBB33_282
; %bb.278:
	s_cmp_gt_i32 s9, 1
	s_cbranch_scc0 .LBB33_283
; %bb.279:
	s_cmp_eq_u32 s9, 2
	s_cbranch_scc0 .LBB33_535
; %bb.280:
	s_waitcnt vmcnt(0)
	v_cmp_ge_i32_e64 s[14:15], s10, v2
	s_mov_b64 s[16:17], 0
	s_branch .LBB33_285
.LBB33_281:
	s_waitcnt vmcnt(0)
	v_cmp_gt_i32_e32 vcc, s10, v20
	s_andn2_b64 s[14:15], s[14:15], exec
	s_and_b64 s[16:17], vcc, exec
	s_or_b64 s[14:15], s[14:15], s[16:17]
	s_cbranch_execz .LBB33_274
	s_branch .LBB33_275
.LBB33_282:
                                        ; implicit-def: $sgpr14_sgpr15
	s_mov_b64 s[16:17], 0
	s_cbranch_execnz .LBB33_286
	s_branch .LBB33_287
.LBB33_283:
	s_mov_b64 s[16:17], 0
                                        ; implicit-def: $sgpr14_sgpr15
	s_cbranch_execz .LBB33_285
; %bb.284:
	s_waitcnt vmcnt(0)
	v_cmp_lt_i32_e32 vcc, s10, v2
	s_andn2_b64 s[14:15], s[14:15], exec
	s_and_b64 s[18:19], vcc, exec
	s_or_b64 s[14:15], s[14:15], s[18:19]
.LBB33_285:
	s_branch .LBB33_287
.LBB33_286:
	s_cmp_lg_u32 s9, 0
	s_mov_b64 s[6:7], -1
	s_cselect_b64 s[16:17], -1, 0
.LBB33_287:
	s_andn2_b64 vcc, exec, s[16:17]
	s_cbranch_vccz .LBB33_296
; %bb.288:
	s_andn2_b64 vcc, exec, s[6:7]
	s_cbranch_vccnz .LBB33_290
.LBB33_289:
	s_waitcnt vmcnt(0)
	v_cmp_le_i32_e32 vcc, s10, v2
	s_andn2_b64 s[6:7], s[14:15], exec
	s_and_b64 s[14:15], vcc, exec
	s_or_b64 s[14:15], s[6:7], s[14:15]
.LBB33_290:
	v_cndmask_b32_e64 v17, 0, 1, s[14:15]
.LBB33_291:
	s_or_b64 exec, exec, s[4:5]
	s_waitcnt vmcnt(0)
	v_or_b32_e32 v2, 0x200, v0
	v_cmp_gt_i32_e32 vcc, s8, v2
                                        ; implicit-def: $vgpr2
	s_and_saveexec_b64 s[4:5], vcc
	s_cbranch_execz .LBB33_306
; %bb.292:
	s_cmp_lt_i32 s9, 1
	s_mov_b64 s[6:7], 0
	s_cbranch_scc1 .LBB33_297
; %bb.293:
	s_cmp_gt_i32 s9, 1
	s_cbranch_scc0 .LBB33_298
; %bb.294:
	s_cmp_eq_u32 s9, 2
	s_cbranch_scc0 .LBB33_536
; %bb.295:
	v_cmp_ge_i32_e64 s[14:15], s10, v15
	s_mov_b64 s[16:17], 0
	s_branch .LBB33_300
.LBB33_296:
	s_waitcnt vmcnt(0)
	v_cmp_gt_i32_e32 vcc, s10, v2
	s_andn2_b64 s[14:15], s[14:15], exec
	s_and_b64 s[16:17], vcc, exec
	s_or_b64 s[14:15], s[14:15], s[16:17]
	s_cbranch_execz .LBB33_289
	s_branch .LBB33_290
.LBB33_297:
                                        ; implicit-def: $sgpr14_sgpr15
	s_mov_b64 s[16:17], 0
	s_cbranch_execnz .LBB33_301
	s_branch .LBB33_302
.LBB33_298:
	s_mov_b64 s[16:17], 0
                                        ; implicit-def: $sgpr14_sgpr15
	s_cbranch_execz .LBB33_300
; %bb.299:
	v_cmp_lt_i32_e32 vcc, s10, v15
	s_andn2_b64 s[14:15], s[14:15], exec
	s_and_b64 s[18:19], vcc, exec
	s_or_b64 s[14:15], s[14:15], s[18:19]
.LBB33_300:
	s_branch .LBB33_302
.LBB33_301:
	s_cmp_lg_u32 s9, 0
	s_mov_b64 s[6:7], -1
	s_cselect_b64 s[16:17], -1, 0
.LBB33_302:
	s_andn2_b64 vcc, exec, s[16:17]
	s_cbranch_vccz .LBB33_311
; %bb.303:
	s_andn2_b64 vcc, exec, s[6:7]
	s_cbranch_vccnz .LBB33_305
.LBB33_304:
	v_cmp_le_i32_e32 vcc, s10, v15
	s_andn2_b64 s[6:7], s[14:15], exec
	s_and_b64 s[14:15], vcc, exec
	s_or_b64 s[14:15], s[6:7], s[14:15]
.LBB33_305:
	v_cndmask_b32_e64 v2, 0, 1, s[14:15]
.LBB33_306:
	s_or_b64 exec, exec, s[4:5]
	v_or_b32_e32 v15, 0x300, v0
	v_cmp_gt_i32_e32 vcc, s8, v15
                                        ; implicit-def: $vgpr15
	s_and_saveexec_b64 s[4:5], vcc
	s_cbranch_execz .LBB33_321
; %bb.307:
	s_cmp_lt_i32 s9, 1
	s_mov_b64 s[6:7], 0
	s_cbranch_scc1 .LBB33_312
; %bb.308:
	s_cmp_gt_i32 s9, 1
	s_cbranch_scc0 .LBB33_313
; %bb.309:
	s_cmp_eq_u32 s9, 2
	s_cbranch_scc0 .LBB33_537
; %bb.310:
	v_cmp_ge_i32_e64 s[14:15], s10, v18
	s_mov_b64 s[16:17], 0
	s_branch .LBB33_315
.LBB33_311:
	v_cmp_gt_i32_e32 vcc, s10, v15
	s_andn2_b64 s[14:15], s[14:15], exec
	s_and_b64 s[16:17], vcc, exec
	s_or_b64 s[14:15], s[14:15], s[16:17]
	s_cbranch_execz .LBB33_304
	s_branch .LBB33_305
.LBB33_312:
                                        ; implicit-def: $sgpr14_sgpr15
	s_mov_b64 s[16:17], 0
	s_cbranch_execnz .LBB33_316
	s_branch .LBB33_317
.LBB33_313:
	s_mov_b64 s[16:17], 0
                                        ; implicit-def: $sgpr14_sgpr15
	s_cbranch_execz .LBB33_315
; %bb.314:
	v_cmp_lt_i32_e32 vcc, s10, v18
	s_andn2_b64 s[14:15], s[14:15], exec
	s_and_b64 s[18:19], vcc, exec
	s_or_b64 s[14:15], s[14:15], s[18:19]
.LBB33_315:
	s_branch .LBB33_317
.LBB33_316:
	s_cmp_lg_u32 s9, 0
	s_mov_b64 s[6:7], -1
	s_cselect_b64 s[16:17], -1, 0
.LBB33_317:
	s_andn2_b64 vcc, exec, s[16:17]
	s_cbranch_vccz .LBB33_326
; %bb.318:
	s_andn2_b64 vcc, exec, s[6:7]
	s_cbranch_vccnz .LBB33_320
.LBB33_319:
	v_cmp_le_i32_e32 vcc, s10, v18
	s_andn2_b64 s[6:7], s[14:15], exec
	s_and_b64 s[14:15], vcc, exec
	s_or_b64 s[14:15], s[6:7], s[14:15]
.LBB33_320:
	v_cndmask_b32_e64 v15, 0, 1, s[14:15]
.LBB33_321:
	s_or_b64 exec, exec, s[4:5]
	v_or_b32_e32 v18, 0x400, v0
	v_cmp_gt_i32_e32 vcc, s8, v18
                                        ; implicit-def: $vgpr18
	s_and_saveexec_b64 s[4:5], vcc
	s_cbranch_execz .LBB33_336
; %bb.322:
	s_cmp_lt_i32 s9, 1
	s_mov_b64 s[6:7], 0
	s_cbranch_scc1 .LBB33_327
; %bb.323:
	s_cmp_gt_i32 s9, 1
	s_cbranch_scc0 .LBB33_328
; %bb.324:
	s_cmp_eq_u32 s9, 2
	s_cbranch_scc0 .LBB33_538
; %bb.325:
	v_cmp_ge_i32_e64 s[14:15], s10, v19
	s_mov_b64 s[16:17], 0
	s_branch .LBB33_330
.LBB33_326:
	v_cmp_gt_i32_e32 vcc, s10, v18
	s_andn2_b64 s[14:15], s[14:15], exec
	s_and_b64 s[16:17], vcc, exec
	s_or_b64 s[14:15], s[14:15], s[16:17]
	s_cbranch_execz .LBB33_319
	s_branch .LBB33_320
.LBB33_327:
                                        ; implicit-def: $sgpr14_sgpr15
	s_mov_b64 s[16:17], 0
	s_cbranch_execnz .LBB33_331
	s_branch .LBB33_332
.LBB33_328:
	s_mov_b64 s[16:17], 0
                                        ; implicit-def: $sgpr14_sgpr15
	s_cbranch_execz .LBB33_330
; %bb.329:
	v_cmp_lt_i32_e32 vcc, s10, v19
	s_andn2_b64 s[14:15], s[14:15], exec
	s_and_b64 s[18:19], vcc, exec
	s_or_b64 s[14:15], s[14:15], s[18:19]
.LBB33_330:
	s_branch .LBB33_332
.LBB33_331:
	s_cmp_lg_u32 s9, 0
	s_mov_b64 s[6:7], -1
	s_cselect_b64 s[16:17], -1, 0
.LBB33_332:
	s_andn2_b64 vcc, exec, s[16:17]
	s_cbranch_vccz .LBB33_341
; %bb.333:
	s_andn2_b64 vcc, exec, s[6:7]
	s_cbranch_vccnz .LBB33_335
.LBB33_334:
	v_cmp_le_i32_e32 vcc, s10, v19
	s_andn2_b64 s[6:7], s[14:15], exec
	s_and_b64 s[14:15], vcc, exec
	s_or_b64 s[14:15], s[6:7], s[14:15]
.LBB33_335:
	v_cndmask_b32_e64 v18, 0, 1, s[14:15]
.LBB33_336:
	s_or_b64 exec, exec, s[4:5]
	v_or_b32_e32 v19, 0x500, v0
	v_cmp_gt_i32_e32 vcc, s8, v19
                                        ; implicit-def: $vgpr19
	s_and_saveexec_b64 s[4:5], vcc
	s_cbranch_execz .LBB33_351
; %bb.337:
	s_cmp_lt_i32 s9, 1
	s_mov_b64 s[6:7], 0
	s_cbranch_scc1 .LBB33_342
; %bb.338:
	s_cmp_gt_i32 s9, 1
	s_cbranch_scc0 .LBB33_343
; %bb.339:
	s_cmp_eq_u32 s9, 2
	s_cbranch_scc0 .LBB33_539
; %bb.340:
	v_cmp_ge_i32_e64 s[14:15], s10, v14
	s_mov_b64 s[16:17], 0
	s_branch .LBB33_345
.LBB33_341:
	v_cmp_gt_i32_e32 vcc, s10, v19
	s_andn2_b64 s[14:15], s[14:15], exec
	s_and_b64 s[16:17], vcc, exec
	s_or_b64 s[14:15], s[14:15], s[16:17]
	s_cbranch_execz .LBB33_334
	s_branch .LBB33_335
.LBB33_342:
                                        ; implicit-def: $sgpr14_sgpr15
	s_mov_b64 s[16:17], 0
	s_cbranch_execnz .LBB33_346
	s_branch .LBB33_347
.LBB33_343:
	s_mov_b64 s[16:17], 0
                                        ; implicit-def: $sgpr14_sgpr15
	s_cbranch_execz .LBB33_345
; %bb.344:
	v_cmp_lt_i32_e32 vcc, s10, v14
	s_andn2_b64 s[14:15], s[14:15], exec
	s_and_b64 s[18:19], vcc, exec
	s_or_b64 s[14:15], s[14:15], s[18:19]
.LBB33_345:
	s_branch .LBB33_347
.LBB33_346:
	s_cmp_lg_u32 s9, 0
	s_mov_b64 s[6:7], -1
	s_cselect_b64 s[16:17], -1, 0
.LBB33_347:
	s_andn2_b64 vcc, exec, s[16:17]
	s_cbranch_vccz .LBB33_356
; %bb.348:
	s_andn2_b64 vcc, exec, s[6:7]
	s_cbranch_vccnz .LBB33_350
.LBB33_349:
	v_cmp_le_i32_e32 vcc, s10, v14
	s_andn2_b64 s[6:7], s[14:15], exec
	s_and_b64 s[14:15], vcc, exec
	s_or_b64 s[14:15], s[6:7], s[14:15]
.LBB33_350:
	v_cndmask_b32_e64 v19, 0, 1, s[14:15]
.LBB33_351:
	s_or_b64 exec, exec, s[4:5]
	v_or_b32_e32 v14, 0x600, v0
	v_cmp_gt_i32_e32 vcc, s8, v14
                                        ; implicit-def: $vgpr14
	s_and_saveexec_b64 s[4:5], vcc
	s_cbranch_execz .LBB33_366
; %bb.352:
	s_cmp_lt_i32 s9, 1
	s_mov_b64 s[6:7], 0
	s_cbranch_scc1 .LBB33_357
; %bb.353:
	s_cmp_gt_i32 s9, 1
	s_cbranch_scc0 .LBB33_358
; %bb.354:
	s_cmp_eq_u32 s9, 2
	s_cbranch_scc0 .LBB33_540
; %bb.355:
	v_cmp_ge_i32_e64 s[14:15], s10, v13
	s_mov_b64 s[16:17], 0
	s_branch .LBB33_360
.LBB33_356:
	v_cmp_gt_i32_e32 vcc, s10, v14
	s_andn2_b64 s[14:15], s[14:15], exec
	s_and_b64 s[16:17], vcc, exec
	s_or_b64 s[14:15], s[14:15], s[16:17]
	s_cbranch_execz .LBB33_349
	s_branch .LBB33_350
.LBB33_357:
                                        ; implicit-def: $sgpr14_sgpr15
	s_mov_b64 s[16:17], 0
	s_cbranch_execnz .LBB33_361
	s_branch .LBB33_362
.LBB33_358:
	s_mov_b64 s[16:17], 0
                                        ; implicit-def: $sgpr14_sgpr15
	s_cbranch_execz .LBB33_360
; %bb.359:
	v_cmp_lt_i32_e32 vcc, s10, v13
	s_andn2_b64 s[14:15], s[14:15], exec
	s_and_b64 s[18:19], vcc, exec
	s_or_b64 s[14:15], s[14:15], s[18:19]
.LBB33_360:
	s_branch .LBB33_362
.LBB33_361:
	s_cmp_lg_u32 s9, 0
	s_mov_b64 s[6:7], -1
	s_cselect_b64 s[16:17], -1, 0
.LBB33_362:
	s_andn2_b64 vcc, exec, s[16:17]
	s_cbranch_vccz .LBB33_371
; %bb.363:
	s_andn2_b64 vcc, exec, s[6:7]
	s_cbranch_vccnz .LBB33_365
.LBB33_364:
	v_cmp_le_i32_e32 vcc, s10, v13
	s_andn2_b64 s[6:7], s[14:15], exec
	s_and_b64 s[14:15], vcc, exec
	s_or_b64 s[14:15], s[6:7], s[14:15]
.LBB33_365:
	v_cndmask_b32_e64 v14, 0, 1, s[14:15]
.LBB33_366:
	s_or_b64 exec, exec, s[4:5]
	v_or_b32_e32 v13, 0x700, v0
	v_cmp_gt_i32_e32 vcc, s8, v13
                                        ; implicit-def: $vgpr13
	s_and_saveexec_b64 s[4:5], vcc
	s_cbranch_execz .LBB33_381
; %bb.367:
	s_cmp_lt_i32 s9, 1
	s_mov_b64 s[6:7], 0
	s_cbranch_scc1 .LBB33_372
; %bb.368:
	s_cmp_gt_i32 s9, 1
	s_cbranch_scc0 .LBB33_373
; %bb.369:
	s_cmp_eq_u32 s9, 2
	s_cbranch_scc0 .LBB33_541
; %bb.370:
	v_cmp_ge_i32_e64 s[14:15], s10, v12
	s_mov_b64 s[16:17], 0
	s_branch .LBB33_375
.LBB33_371:
	v_cmp_gt_i32_e32 vcc, s10, v13
	s_andn2_b64 s[14:15], s[14:15], exec
	s_and_b64 s[16:17], vcc, exec
	s_or_b64 s[14:15], s[14:15], s[16:17]
	s_cbranch_execz .LBB33_364
	s_branch .LBB33_365
.LBB33_372:
                                        ; implicit-def: $sgpr14_sgpr15
	s_mov_b64 s[16:17], 0
	s_cbranch_execnz .LBB33_376
	s_branch .LBB33_377
.LBB33_373:
	s_mov_b64 s[16:17], 0
                                        ; implicit-def: $sgpr14_sgpr15
	s_cbranch_execz .LBB33_375
; %bb.374:
	v_cmp_lt_i32_e32 vcc, s10, v12
	s_andn2_b64 s[14:15], s[14:15], exec
	s_and_b64 s[18:19], vcc, exec
	s_or_b64 s[14:15], s[14:15], s[18:19]
.LBB33_375:
	s_branch .LBB33_377
.LBB33_376:
	s_cmp_lg_u32 s9, 0
	s_mov_b64 s[6:7], -1
	s_cselect_b64 s[16:17], -1, 0
.LBB33_377:
	s_andn2_b64 vcc, exec, s[16:17]
	s_cbranch_vccz .LBB33_386
; %bb.378:
	s_andn2_b64 vcc, exec, s[6:7]
	s_cbranch_vccnz .LBB33_380
.LBB33_379:
	v_cmp_le_i32_e32 vcc, s10, v12
	s_andn2_b64 s[6:7], s[14:15], exec
	s_and_b64 s[14:15], vcc, exec
	s_or_b64 s[14:15], s[6:7], s[14:15]
.LBB33_380:
	v_cndmask_b32_e64 v13, 0, 1, s[14:15]
.LBB33_381:
	s_or_b64 exec, exec, s[4:5]
	v_or_b32_e32 v12, 0x800, v0
	v_cmp_gt_i32_e32 vcc, s8, v12
                                        ; implicit-def: $vgpr12
	s_and_saveexec_b64 s[4:5], vcc
	s_cbranch_execz .LBB33_396
; %bb.382:
	s_cmp_lt_i32 s9, 1
	s_mov_b64 s[6:7], 0
	s_cbranch_scc1 .LBB33_387
; %bb.383:
	s_cmp_gt_i32 s9, 1
	s_cbranch_scc0 .LBB33_388
; %bb.384:
	s_cmp_eq_u32 s9, 2
	s_cbranch_scc0 .LBB33_542
; %bb.385:
	v_cmp_ge_i32_e64 s[14:15], s10, v11
	s_mov_b64 s[16:17], 0
	s_branch .LBB33_390
.LBB33_386:
	v_cmp_gt_i32_e32 vcc, s10, v12
	s_andn2_b64 s[14:15], s[14:15], exec
	s_and_b64 s[16:17], vcc, exec
	s_or_b64 s[14:15], s[14:15], s[16:17]
	s_cbranch_execz .LBB33_379
	s_branch .LBB33_380
.LBB33_387:
                                        ; implicit-def: $sgpr14_sgpr15
	s_mov_b64 s[16:17], 0
	s_cbranch_execnz .LBB33_391
	s_branch .LBB33_392
.LBB33_388:
	s_mov_b64 s[16:17], 0
                                        ; implicit-def: $sgpr14_sgpr15
	s_cbranch_execz .LBB33_390
; %bb.389:
	v_cmp_lt_i32_e32 vcc, s10, v11
	s_andn2_b64 s[14:15], s[14:15], exec
	s_and_b64 s[18:19], vcc, exec
	s_or_b64 s[14:15], s[14:15], s[18:19]
.LBB33_390:
	s_branch .LBB33_392
.LBB33_391:
	s_cmp_lg_u32 s9, 0
	s_mov_b64 s[6:7], -1
	s_cselect_b64 s[16:17], -1, 0
.LBB33_392:
	s_andn2_b64 vcc, exec, s[16:17]
	s_cbranch_vccz .LBB33_401
; %bb.393:
	s_andn2_b64 vcc, exec, s[6:7]
	s_cbranch_vccnz .LBB33_395
.LBB33_394:
	v_cmp_le_i32_e32 vcc, s10, v11
	s_andn2_b64 s[6:7], s[14:15], exec
	s_and_b64 s[14:15], vcc, exec
	s_or_b64 s[14:15], s[6:7], s[14:15]
.LBB33_395:
	v_cndmask_b32_e64 v12, 0, 1, s[14:15]
.LBB33_396:
	s_or_b64 exec, exec, s[4:5]
	v_or_b32_e32 v11, 0x900, v0
	v_cmp_gt_i32_e32 vcc, s8, v11
                                        ; implicit-def: $vgpr11
	s_and_saveexec_b64 s[4:5], vcc
	s_cbranch_execz .LBB33_411
; %bb.397:
	s_cmp_lt_i32 s9, 1
	s_mov_b64 s[6:7], 0
	s_cbranch_scc1 .LBB33_402
; %bb.398:
	s_cmp_gt_i32 s9, 1
	s_cbranch_scc0 .LBB33_403
; %bb.399:
	s_cmp_eq_u32 s9, 2
	s_cbranch_scc0 .LBB33_543
; %bb.400:
	v_cmp_ge_i32_e64 s[14:15], s10, v10
	s_mov_b64 s[16:17], 0
	s_branch .LBB33_405
.LBB33_401:
	v_cmp_gt_i32_e32 vcc, s10, v11
	s_andn2_b64 s[14:15], s[14:15], exec
	s_and_b64 s[16:17], vcc, exec
	s_or_b64 s[14:15], s[14:15], s[16:17]
	s_cbranch_execz .LBB33_394
	s_branch .LBB33_395
.LBB33_402:
                                        ; implicit-def: $sgpr14_sgpr15
	s_mov_b64 s[16:17], 0
	s_cbranch_execnz .LBB33_406
	s_branch .LBB33_407
.LBB33_403:
	s_mov_b64 s[16:17], 0
                                        ; implicit-def: $sgpr14_sgpr15
	s_cbranch_execz .LBB33_405
; %bb.404:
	v_cmp_lt_i32_e32 vcc, s10, v10
	s_andn2_b64 s[14:15], s[14:15], exec
	s_and_b64 s[18:19], vcc, exec
	s_or_b64 s[14:15], s[14:15], s[18:19]
.LBB33_405:
	s_branch .LBB33_407
.LBB33_406:
	s_cmp_lg_u32 s9, 0
	s_mov_b64 s[6:7], -1
	s_cselect_b64 s[16:17], -1, 0
.LBB33_407:
	s_andn2_b64 vcc, exec, s[16:17]
	s_cbranch_vccz .LBB33_416
; %bb.408:
	s_andn2_b64 vcc, exec, s[6:7]
	s_cbranch_vccnz .LBB33_410
.LBB33_409:
	v_cmp_le_i32_e32 vcc, s10, v10
	s_andn2_b64 s[6:7], s[14:15], exec
	s_and_b64 s[14:15], vcc, exec
	s_or_b64 s[14:15], s[6:7], s[14:15]
.LBB33_410:
	v_cndmask_b32_e64 v11, 0, 1, s[14:15]
.LBB33_411:
	s_or_b64 exec, exec, s[4:5]
	v_or_b32_e32 v10, 0xa00, v0
	v_cmp_gt_i32_e32 vcc, s8, v10
                                        ; implicit-def: $vgpr10
	s_and_saveexec_b64 s[4:5], vcc
	s_cbranch_execz .LBB33_426
; %bb.412:
	s_cmp_lt_i32 s9, 1
	s_mov_b64 s[6:7], 0
	s_cbranch_scc1 .LBB33_417
; %bb.413:
	s_cmp_gt_i32 s9, 1
	s_cbranch_scc0 .LBB33_418
; %bb.414:
	s_cmp_eq_u32 s9, 2
	s_cbranch_scc0 .LBB33_544
; %bb.415:
	v_cmp_ge_i32_e64 s[14:15], s10, v9
	s_mov_b64 s[16:17], 0
	s_branch .LBB33_420
.LBB33_416:
	v_cmp_gt_i32_e32 vcc, s10, v10
	s_andn2_b64 s[14:15], s[14:15], exec
	s_and_b64 s[16:17], vcc, exec
	s_or_b64 s[14:15], s[14:15], s[16:17]
	s_cbranch_execz .LBB33_409
	s_branch .LBB33_410
.LBB33_417:
                                        ; implicit-def: $sgpr14_sgpr15
	s_mov_b64 s[16:17], 0
	s_cbranch_execnz .LBB33_421
	s_branch .LBB33_422
.LBB33_418:
	s_mov_b64 s[16:17], 0
                                        ; implicit-def: $sgpr14_sgpr15
	s_cbranch_execz .LBB33_420
; %bb.419:
	v_cmp_lt_i32_e32 vcc, s10, v9
	s_andn2_b64 s[14:15], s[14:15], exec
	s_and_b64 s[18:19], vcc, exec
	s_or_b64 s[14:15], s[14:15], s[18:19]
.LBB33_420:
	s_branch .LBB33_422
.LBB33_421:
	s_cmp_lg_u32 s9, 0
	s_mov_b64 s[6:7], -1
	s_cselect_b64 s[16:17], -1, 0
.LBB33_422:
	s_andn2_b64 vcc, exec, s[16:17]
	s_cbranch_vccz .LBB33_431
; %bb.423:
	s_andn2_b64 vcc, exec, s[6:7]
	s_cbranch_vccnz .LBB33_425
.LBB33_424:
	v_cmp_le_i32_e32 vcc, s10, v9
	s_andn2_b64 s[6:7], s[14:15], exec
	s_and_b64 s[14:15], vcc, exec
	s_or_b64 s[14:15], s[6:7], s[14:15]
.LBB33_425:
	v_cndmask_b32_e64 v10, 0, 1, s[14:15]
.LBB33_426:
	s_or_b64 exec, exec, s[4:5]
	v_or_b32_e32 v9, 0xb00, v0
	v_cmp_gt_i32_e32 vcc, s8, v9
                                        ; implicit-def: $vgpr9
	s_and_saveexec_b64 s[4:5], vcc
	s_cbranch_execz .LBB33_441
; %bb.427:
	s_cmp_lt_i32 s9, 1
	s_mov_b64 s[6:7], 0
	s_cbranch_scc1 .LBB33_432
; %bb.428:
	s_cmp_gt_i32 s9, 1
	s_cbranch_scc0 .LBB33_433
; %bb.429:
	s_cmp_eq_u32 s9, 2
	s_cbranch_scc0 .LBB33_545
; %bb.430:
	v_cmp_ge_i32_e64 s[14:15], s10, v8
	s_mov_b64 s[16:17], 0
	s_branch .LBB33_435
.LBB33_431:
	v_cmp_gt_i32_e32 vcc, s10, v9
	s_andn2_b64 s[14:15], s[14:15], exec
	s_and_b64 s[16:17], vcc, exec
	s_or_b64 s[14:15], s[14:15], s[16:17]
	s_cbranch_execz .LBB33_424
	s_branch .LBB33_425
.LBB33_432:
                                        ; implicit-def: $sgpr14_sgpr15
	s_mov_b64 s[16:17], 0
	s_cbranch_execnz .LBB33_436
	s_branch .LBB33_437
.LBB33_433:
	s_mov_b64 s[16:17], 0
                                        ; implicit-def: $sgpr14_sgpr15
	s_cbranch_execz .LBB33_435
; %bb.434:
	v_cmp_lt_i32_e32 vcc, s10, v8
	s_andn2_b64 s[14:15], s[14:15], exec
	s_and_b64 s[18:19], vcc, exec
	s_or_b64 s[14:15], s[14:15], s[18:19]
.LBB33_435:
	s_branch .LBB33_437
.LBB33_436:
	s_cmp_lg_u32 s9, 0
	s_mov_b64 s[6:7], -1
	s_cselect_b64 s[16:17], -1, 0
.LBB33_437:
	s_andn2_b64 vcc, exec, s[16:17]
	s_cbranch_vccz .LBB33_446
; %bb.438:
	s_andn2_b64 vcc, exec, s[6:7]
	s_cbranch_vccnz .LBB33_440
.LBB33_439:
	v_cmp_le_i32_e32 vcc, s10, v8
	s_andn2_b64 s[6:7], s[14:15], exec
	s_and_b64 s[14:15], vcc, exec
	s_or_b64 s[14:15], s[6:7], s[14:15]
.LBB33_440:
	v_cndmask_b32_e64 v9, 0, 1, s[14:15]
.LBB33_441:
	s_or_b64 exec, exec, s[4:5]
	v_or_b32_e32 v8, 0xc00, v0
	v_cmp_gt_i32_e32 vcc, s8, v8
                                        ; implicit-def: $vgpr8
	s_and_saveexec_b64 s[4:5], vcc
	s_cbranch_execz .LBB33_456
; %bb.442:
	s_cmp_lt_i32 s9, 1
	s_mov_b64 s[6:7], 0
	s_cbranch_scc1 .LBB33_447
; %bb.443:
	s_cmp_gt_i32 s9, 1
	s_cbranch_scc0 .LBB33_448
; %bb.444:
	s_cmp_eq_u32 s9, 2
	s_cbranch_scc0 .LBB33_546
; %bb.445:
	v_cmp_ge_i32_e64 s[14:15], s10, v7
	s_mov_b64 s[16:17], 0
	s_branch .LBB33_450
.LBB33_446:
	v_cmp_gt_i32_e32 vcc, s10, v8
	s_andn2_b64 s[14:15], s[14:15], exec
	s_and_b64 s[16:17], vcc, exec
	s_or_b64 s[14:15], s[14:15], s[16:17]
	s_cbranch_execz .LBB33_439
	s_branch .LBB33_440
.LBB33_447:
                                        ; implicit-def: $sgpr14_sgpr15
	s_mov_b64 s[16:17], 0
	s_cbranch_execnz .LBB33_451
	s_branch .LBB33_452
.LBB33_448:
	s_mov_b64 s[16:17], 0
                                        ; implicit-def: $sgpr14_sgpr15
	s_cbranch_execz .LBB33_450
; %bb.449:
	v_cmp_lt_i32_e32 vcc, s10, v7
	s_andn2_b64 s[14:15], s[14:15], exec
	s_and_b64 s[18:19], vcc, exec
	s_or_b64 s[14:15], s[14:15], s[18:19]
.LBB33_450:
	s_branch .LBB33_452
.LBB33_451:
	s_cmp_lg_u32 s9, 0
	s_mov_b64 s[6:7], -1
	s_cselect_b64 s[16:17], -1, 0
.LBB33_452:
	s_andn2_b64 vcc, exec, s[16:17]
	s_cbranch_vccz .LBB33_461
; %bb.453:
	s_andn2_b64 vcc, exec, s[6:7]
	s_cbranch_vccnz .LBB33_455
.LBB33_454:
	v_cmp_le_i32_e32 vcc, s10, v7
	s_andn2_b64 s[6:7], s[14:15], exec
	s_and_b64 s[14:15], vcc, exec
	s_or_b64 s[14:15], s[6:7], s[14:15]
.LBB33_455:
	v_cndmask_b32_e64 v8, 0, 1, s[14:15]
.LBB33_456:
	s_or_b64 exec, exec, s[4:5]
	v_or_b32_e32 v7, 0xd00, v0
	v_cmp_gt_i32_e32 vcc, s8, v7
                                        ; implicit-def: $vgpr7
	s_and_saveexec_b64 s[4:5], vcc
	s_cbranch_execz .LBB33_471
; %bb.457:
	s_cmp_lt_i32 s9, 1
	s_mov_b64 s[6:7], 0
	s_cbranch_scc1 .LBB33_462
; %bb.458:
	s_cmp_gt_i32 s9, 1
	s_cbranch_scc0 .LBB33_463
; %bb.459:
	s_cmp_eq_u32 s9, 2
	s_cbranch_scc0 .LBB33_547
; %bb.460:
	v_cmp_ge_i32_e64 s[14:15], s10, v6
	s_mov_b64 s[16:17], 0
	s_branch .LBB33_465
.LBB33_461:
	v_cmp_gt_i32_e32 vcc, s10, v7
	s_andn2_b64 s[14:15], s[14:15], exec
	s_and_b64 s[16:17], vcc, exec
	s_or_b64 s[14:15], s[14:15], s[16:17]
	s_cbranch_execz .LBB33_454
	s_branch .LBB33_455
.LBB33_462:
                                        ; implicit-def: $sgpr14_sgpr15
	s_mov_b64 s[16:17], 0
	s_cbranch_execnz .LBB33_466
	s_branch .LBB33_467
.LBB33_463:
	s_mov_b64 s[16:17], 0
                                        ; implicit-def: $sgpr14_sgpr15
	s_cbranch_execz .LBB33_465
; %bb.464:
	v_cmp_lt_i32_e32 vcc, s10, v6
	s_andn2_b64 s[14:15], s[14:15], exec
	s_and_b64 s[18:19], vcc, exec
	s_or_b64 s[14:15], s[14:15], s[18:19]
.LBB33_465:
	s_branch .LBB33_467
.LBB33_466:
	s_cmp_lg_u32 s9, 0
	s_mov_b64 s[6:7], -1
	s_cselect_b64 s[16:17], -1, 0
.LBB33_467:
	s_andn2_b64 vcc, exec, s[16:17]
	s_cbranch_vccz .LBB33_476
; %bb.468:
	s_andn2_b64 vcc, exec, s[6:7]
	s_cbranch_vccnz .LBB33_470
.LBB33_469:
	v_cmp_le_i32_e32 vcc, s10, v6
	s_andn2_b64 s[6:7], s[14:15], exec
	s_and_b64 s[14:15], vcc, exec
	s_or_b64 s[14:15], s[6:7], s[14:15]
.LBB33_470:
	v_cndmask_b32_e64 v7, 0, 1, s[14:15]
.LBB33_471:
	s_or_b64 exec, exec, s[4:5]
	v_or_b32_e32 v6, 0xe00, v0
	v_cmp_gt_i32_e32 vcc, s8, v6
                                        ; implicit-def: $vgpr6
	s_and_saveexec_b64 s[4:5], vcc
	s_cbranch_execz .LBB33_486
; %bb.472:
	s_cmp_lt_i32 s9, 1
	s_mov_b64 s[6:7], 0
	s_cbranch_scc1 .LBB33_477
; %bb.473:
	s_cmp_gt_i32 s9, 1
	s_cbranch_scc0 .LBB33_478
; %bb.474:
	s_cmp_eq_u32 s9, 2
	s_cbranch_scc0 .LBB33_548
; %bb.475:
	v_cmp_ge_i32_e64 s[14:15], s10, v5
	s_mov_b64 s[16:17], 0
	s_branch .LBB33_480
.LBB33_476:
	v_cmp_gt_i32_e32 vcc, s10, v6
	s_andn2_b64 s[14:15], s[14:15], exec
	s_and_b64 s[16:17], vcc, exec
	s_or_b64 s[14:15], s[14:15], s[16:17]
	s_cbranch_execz .LBB33_469
	s_branch .LBB33_470
.LBB33_477:
                                        ; implicit-def: $sgpr14_sgpr15
	s_mov_b64 s[16:17], 0
	s_cbranch_execnz .LBB33_481
	s_branch .LBB33_482
.LBB33_478:
	s_mov_b64 s[16:17], 0
                                        ; implicit-def: $sgpr14_sgpr15
	s_cbranch_execz .LBB33_480
; %bb.479:
	v_cmp_lt_i32_e32 vcc, s10, v5
	s_andn2_b64 s[14:15], s[14:15], exec
	s_and_b64 s[18:19], vcc, exec
	s_or_b64 s[14:15], s[14:15], s[18:19]
.LBB33_480:
	s_branch .LBB33_482
.LBB33_481:
	s_cmp_lg_u32 s9, 0
	s_mov_b64 s[6:7], -1
	s_cselect_b64 s[16:17], -1, 0
.LBB33_482:
	s_andn2_b64 vcc, exec, s[16:17]
	s_cbranch_vccz .LBB33_491
; %bb.483:
	s_andn2_b64 vcc, exec, s[6:7]
	s_cbranch_vccnz .LBB33_485
.LBB33_484:
	v_cmp_le_i32_e32 vcc, s10, v5
	s_andn2_b64 s[6:7], s[14:15], exec
	s_and_b64 s[14:15], vcc, exec
	s_or_b64 s[14:15], s[6:7], s[14:15]
.LBB33_485:
	v_cndmask_b32_e64 v6, 0, 1, s[14:15]
.LBB33_486:
	s_or_b64 exec, exec, s[4:5]
	v_or_b32_e32 v5, 0xf00, v0
	v_cmp_gt_i32_e32 vcc, s8, v5
                                        ; implicit-def: $vgpr5
	s_and_saveexec_b64 s[4:5], vcc
	s_cbranch_execz .LBB33_501
; %bb.487:
	s_cmp_lt_i32 s9, 1
	s_mov_b64 s[6:7], 0
	s_cbranch_scc1 .LBB33_492
; %bb.488:
	s_cmp_gt_i32 s9, 1
	s_cbranch_scc0 .LBB33_493
; %bb.489:
	s_cmp_eq_u32 s9, 2
	s_cbranch_scc0 .LBB33_549
; %bb.490:
	v_cmp_ge_i32_e64 s[14:15], s10, v4
	s_mov_b64 s[16:17], 0
	s_branch .LBB33_495
.LBB33_491:
	v_cmp_gt_i32_e32 vcc, s10, v5
	s_andn2_b64 s[14:15], s[14:15], exec
	s_and_b64 s[16:17], vcc, exec
	s_or_b64 s[14:15], s[14:15], s[16:17]
	s_cbranch_execz .LBB33_484
	s_branch .LBB33_485
.LBB33_492:
                                        ; implicit-def: $sgpr14_sgpr15
	s_mov_b64 s[16:17], 0
	s_cbranch_execnz .LBB33_496
	s_branch .LBB33_497
.LBB33_493:
	s_mov_b64 s[16:17], 0
                                        ; implicit-def: $sgpr14_sgpr15
	s_cbranch_execz .LBB33_495
; %bb.494:
	v_cmp_lt_i32_e32 vcc, s10, v4
	s_andn2_b64 s[14:15], s[14:15], exec
	s_and_b64 s[18:19], vcc, exec
	s_or_b64 s[14:15], s[14:15], s[18:19]
.LBB33_495:
	s_branch .LBB33_497
.LBB33_496:
	s_cmp_lg_u32 s9, 0
	s_mov_b64 s[6:7], -1
	s_cselect_b64 s[16:17], -1, 0
.LBB33_497:
	s_andn2_b64 vcc, exec, s[16:17]
	s_cbranch_vccz .LBB33_534
; %bb.498:
	s_andn2_b64 vcc, exec, s[6:7]
	s_cbranch_vccnz .LBB33_500
.LBB33_499:
	v_cmp_le_i32_e32 vcc, s10, v4
	s_andn2_b64 s[6:7], s[14:15], exec
	s_and_b64 s[10:11], vcc, exec
	s_or_b64 s[14:15], s[6:7], s[10:11]
.LBB33_500:
	v_cndmask_b32_e64 v5, 0, 1, s[14:15]
.LBB33_501:
	s_or_b64 exec, exec, s[4:5]
	s_and_saveexec_b64 s[4:5], s[0:1]
	s_xor_b64 s[0:1], exec, s[4:5]
	s_cbranch_execz .LBB33_503
; %bb.502:
	v_mov_b32_e32 v0, v16
	global_store_byte v1, v3, s[12:13]
.LBB33_503:
	s_or_b64 exec, exec, s[0:1]
	v_cmp_gt_i32_e32 vcc, s8, v0
	s_and_saveexec_b64 s[0:1], vcc
	s_cbranch_execnz .LBB33_520
; %bb.504:
	s_or_b64 exec, exec, s[0:1]
	v_cmp_gt_i32_e32 vcc, s8, v0
	s_and_saveexec_b64 s[0:1], vcc
	s_cbranch_execnz .LBB33_521
.LBB33_505:
	s_or_b64 exec, exec, s[0:1]
	v_cmp_gt_i32_e32 vcc, s8, v0
	s_and_saveexec_b64 s[0:1], vcc
	s_cbranch_execnz .LBB33_522
.LBB33_506:
	s_or_b64 exec, exec, s[0:1]
	v_cmp_gt_i32_e32 vcc, s8, v0
	s_and_saveexec_b64 s[0:1], vcc
	s_cbranch_execnz .LBB33_523
.LBB33_507:
	s_or_b64 exec, exec, s[0:1]
	v_cmp_gt_i32_e32 vcc, s8, v0
	s_and_saveexec_b64 s[0:1], vcc
	s_cbranch_execnz .LBB33_524
.LBB33_508:
	s_or_b64 exec, exec, s[0:1]
	v_cmp_gt_i32_e32 vcc, s8, v0
	s_and_saveexec_b64 s[0:1], vcc
	s_cbranch_execnz .LBB33_525
.LBB33_509:
	s_or_b64 exec, exec, s[0:1]
	v_cmp_gt_i32_e32 vcc, s8, v0
	s_and_saveexec_b64 s[0:1], vcc
	s_cbranch_execnz .LBB33_526
.LBB33_510:
	s_or_b64 exec, exec, s[0:1]
	v_cmp_gt_i32_e32 vcc, s8, v0
	s_and_saveexec_b64 s[0:1], vcc
	s_cbranch_execnz .LBB33_527
.LBB33_511:
	s_or_b64 exec, exec, s[0:1]
	v_cmp_gt_i32_e32 vcc, s8, v0
	s_and_saveexec_b64 s[0:1], vcc
	s_cbranch_execnz .LBB33_528
.LBB33_512:
	s_or_b64 exec, exec, s[0:1]
	v_cmp_gt_i32_e32 vcc, s8, v0
	s_and_saveexec_b64 s[0:1], vcc
	s_cbranch_execnz .LBB33_529
.LBB33_513:
	s_or_b64 exec, exec, s[0:1]
	v_cmp_gt_i32_e32 vcc, s8, v0
	s_and_saveexec_b64 s[0:1], vcc
	s_cbranch_execnz .LBB33_530
.LBB33_514:
	s_or_b64 exec, exec, s[0:1]
	v_cmp_gt_i32_e32 vcc, s8, v0
	s_and_saveexec_b64 s[0:1], vcc
	s_cbranch_execnz .LBB33_531
.LBB33_515:
	s_or_b64 exec, exec, s[0:1]
	v_cmp_gt_i32_e32 vcc, s8, v0
	s_and_saveexec_b64 s[0:1], vcc
	s_cbranch_execnz .LBB33_532
.LBB33_516:
	s_or_b64 exec, exec, s[0:1]
	v_cmp_gt_i32_e32 vcc, s8, v0
	s_and_saveexec_b64 s[0:1], vcc
	s_cbranch_execnz .LBB33_533
.LBB33_517:
	s_or_b64 exec, exec, s[0:1]
	v_cmp_gt_i32_e32 vcc, s8, v0
	s_and_saveexec_b64 s[0:1], vcc
	s_cbranch_execz .LBB33_519
.LBB33_518:
	v_add_u32_e32 v0, s2, v0
	global_store_byte v0, v5, s[12:13]
.LBB33_519:
	s_endpgm
.LBB33_520:
	v_add_u32_e32 v1, s2, v0
	v_add_u32_e32 v0, 0x100, v0
	global_store_byte v1, v17, s[12:13]
	s_or_b64 exec, exec, s[0:1]
	v_cmp_gt_i32_e32 vcc, s8, v0
	s_and_saveexec_b64 s[0:1], vcc
	s_cbranch_execz .LBB33_505
.LBB33_521:
	v_add_u32_e32 v1, s2, v0
	v_add_u32_e32 v0, 0x100, v0
	global_store_byte v1, v2, s[12:13]
	s_or_b64 exec, exec, s[0:1]
	v_cmp_gt_i32_e32 vcc, s8, v0
	s_and_saveexec_b64 s[0:1], vcc
	s_cbranch_execz .LBB33_506
.LBB33_522:
	v_add_u32_e32 v1, s2, v0
	v_add_u32_e32 v0, 0x100, v0
	global_store_byte v1, v15, s[12:13]
	s_or_b64 exec, exec, s[0:1]
	v_cmp_gt_i32_e32 vcc, s8, v0
	s_and_saveexec_b64 s[0:1], vcc
	s_cbranch_execz .LBB33_507
.LBB33_523:
	v_add_u32_e32 v1, s2, v0
	v_add_u32_e32 v0, 0x100, v0
	global_store_byte v1, v18, s[12:13]
	s_or_b64 exec, exec, s[0:1]
	v_cmp_gt_i32_e32 vcc, s8, v0
	s_and_saveexec_b64 s[0:1], vcc
	s_cbranch_execz .LBB33_508
.LBB33_524:
	v_add_u32_e32 v1, s2, v0
	v_add_u32_e32 v0, 0x100, v0
	global_store_byte v1, v19, s[12:13]
	s_or_b64 exec, exec, s[0:1]
	v_cmp_gt_i32_e32 vcc, s8, v0
	s_and_saveexec_b64 s[0:1], vcc
	s_cbranch_execz .LBB33_509
.LBB33_525:
	v_add_u32_e32 v1, s2, v0
	v_add_u32_e32 v0, 0x100, v0
	global_store_byte v1, v14, s[12:13]
	s_or_b64 exec, exec, s[0:1]
	v_cmp_gt_i32_e32 vcc, s8, v0
	s_and_saveexec_b64 s[0:1], vcc
	s_cbranch_execz .LBB33_510
.LBB33_526:
	v_add_u32_e32 v1, s2, v0
	v_add_u32_e32 v0, 0x100, v0
	global_store_byte v1, v13, s[12:13]
	s_or_b64 exec, exec, s[0:1]
	v_cmp_gt_i32_e32 vcc, s8, v0
	s_and_saveexec_b64 s[0:1], vcc
	s_cbranch_execz .LBB33_511
.LBB33_527:
	v_add_u32_e32 v1, s2, v0
	v_add_u32_e32 v0, 0x100, v0
	global_store_byte v1, v12, s[12:13]
	s_or_b64 exec, exec, s[0:1]
	v_cmp_gt_i32_e32 vcc, s8, v0
	s_and_saveexec_b64 s[0:1], vcc
	s_cbranch_execz .LBB33_512
.LBB33_528:
	v_add_u32_e32 v1, s2, v0
	v_add_u32_e32 v0, 0x100, v0
	global_store_byte v1, v11, s[12:13]
	s_or_b64 exec, exec, s[0:1]
	v_cmp_gt_i32_e32 vcc, s8, v0
	s_and_saveexec_b64 s[0:1], vcc
	s_cbranch_execz .LBB33_513
.LBB33_529:
	v_add_u32_e32 v1, s2, v0
	v_add_u32_e32 v0, 0x100, v0
	global_store_byte v1, v10, s[12:13]
	s_or_b64 exec, exec, s[0:1]
	v_cmp_gt_i32_e32 vcc, s8, v0
	s_and_saveexec_b64 s[0:1], vcc
	s_cbranch_execz .LBB33_514
.LBB33_530:
	v_add_u32_e32 v1, s2, v0
	v_add_u32_e32 v0, 0x100, v0
	global_store_byte v1, v9, s[12:13]
	s_or_b64 exec, exec, s[0:1]
	v_cmp_gt_i32_e32 vcc, s8, v0
	s_and_saveexec_b64 s[0:1], vcc
	s_cbranch_execz .LBB33_515
.LBB33_531:
	v_add_u32_e32 v1, s2, v0
	v_add_u32_e32 v0, 0x100, v0
	global_store_byte v1, v8, s[12:13]
	s_or_b64 exec, exec, s[0:1]
	v_cmp_gt_i32_e32 vcc, s8, v0
	s_and_saveexec_b64 s[0:1], vcc
	s_cbranch_execz .LBB33_516
.LBB33_532:
	v_add_u32_e32 v1, s2, v0
	v_add_u32_e32 v0, 0x100, v0
	global_store_byte v1, v7, s[12:13]
	s_or_b64 exec, exec, s[0:1]
	v_cmp_gt_i32_e32 vcc, s8, v0
	s_and_saveexec_b64 s[0:1], vcc
	s_cbranch_execz .LBB33_517
.LBB33_533:
	v_add_u32_e32 v1, s2, v0
	v_add_u32_e32 v0, 0x100, v0
	global_store_byte v1, v6, s[12:13]
	s_or_b64 exec, exec, s[0:1]
	v_cmp_gt_i32_e32 vcc, s8, v0
	s_and_saveexec_b64 s[0:1], vcc
	s_cbranch_execnz .LBB33_518
	s_branch .LBB33_519
.LBB33_534:
	v_cmp_gt_i32_e32 vcc, s10, v4
	s_andn2_b64 s[14:15], s[14:15], exec
	s_and_b64 s[16:17], vcc, exec
	s_or_b64 s[14:15], s[14:15], s[16:17]
	s_cbranch_execz .LBB33_499
	s_branch .LBB33_500
.LBB33_535:
	s_mov_b64 s[16:17], -1
                                        ; implicit-def: $sgpr14_sgpr15
	s_branch .LBB33_285
.LBB33_536:
	s_mov_b64 s[16:17], -1
                                        ; implicit-def: $sgpr14_sgpr15
	s_branch .LBB33_300
.LBB33_537:
	s_mov_b64 s[16:17], -1
                                        ; implicit-def: $sgpr14_sgpr15
	s_branch .LBB33_315
.LBB33_538:
	s_mov_b64 s[16:17], -1
                                        ; implicit-def: $sgpr14_sgpr15
	s_branch .LBB33_330
.LBB33_539:
	s_mov_b64 s[16:17], -1
                                        ; implicit-def: $sgpr14_sgpr15
	s_branch .LBB33_345
.LBB33_540:
	s_mov_b64 s[16:17], -1
                                        ; implicit-def: $sgpr14_sgpr15
	s_branch .LBB33_360
.LBB33_541:
	s_mov_b64 s[16:17], -1
                                        ; implicit-def: $sgpr14_sgpr15
	s_branch .LBB33_375
.LBB33_542:
	s_mov_b64 s[16:17], -1
                                        ; implicit-def: $sgpr14_sgpr15
	s_branch .LBB33_390
.LBB33_543:
	s_mov_b64 s[16:17], -1
                                        ; implicit-def: $sgpr14_sgpr15
	s_branch .LBB33_405
.LBB33_544:
	s_mov_b64 s[16:17], -1
                                        ; implicit-def: $sgpr14_sgpr15
	s_branch .LBB33_420
.LBB33_545:
	s_mov_b64 s[16:17], -1
                                        ; implicit-def: $sgpr14_sgpr15
	s_branch .LBB33_435
.LBB33_546:
	s_mov_b64 s[16:17], -1
                                        ; implicit-def: $sgpr14_sgpr15
	s_branch .LBB33_450
.LBB33_547:
	s_mov_b64 s[16:17], -1
                                        ; implicit-def: $sgpr14_sgpr15
	s_branch .LBB33_465
.LBB33_548:
	s_mov_b64 s[16:17], -1
                                        ; implicit-def: $sgpr14_sgpr15
	s_branch .LBB33_480
.LBB33_549:
	s_mov_b64 s[16:17], -1
                                        ; implicit-def: $sgpr14_sgpr15
	s_branch .LBB33_495
	.section	.rodata,"a",@progbits
	.p2align	6, 0x0
	.amdhsa_kernel _ZN2at6native29vectorized_elementwise_kernelILi8EZNS0_21compare_scalar_kernelIiEEvRNS_18TensorIteratorBaseENS0_12_GLOBAL__N_16OpTypeET_EUliE_St5arrayIPcLm2EEEEviT0_T1_
		.amdhsa_group_segment_fixed_size 0
		.amdhsa_private_segment_fixed_size 0
		.amdhsa_kernarg_size 32
		.amdhsa_user_sgpr_count 6
		.amdhsa_user_sgpr_private_segment_buffer 1
		.amdhsa_user_sgpr_dispatch_ptr 0
		.amdhsa_user_sgpr_queue_ptr 0
		.amdhsa_user_sgpr_kernarg_segment_ptr 1
		.amdhsa_user_sgpr_dispatch_id 0
		.amdhsa_user_sgpr_flat_scratch_init 0
		.amdhsa_user_sgpr_private_segment_size 0
		.amdhsa_uses_dynamic_stack 0
		.amdhsa_system_sgpr_private_segment_wavefront_offset 0
		.amdhsa_system_sgpr_workgroup_id_x 1
		.amdhsa_system_sgpr_workgroup_id_y 0
		.amdhsa_system_sgpr_workgroup_id_z 0
		.amdhsa_system_sgpr_workgroup_info 0
		.amdhsa_system_vgpr_workitem_id 0
		.amdhsa_next_free_vgpr 21
		.amdhsa_next_free_sgpr 50
		.amdhsa_reserve_vcc 1
		.amdhsa_reserve_flat_scratch 0
		.amdhsa_float_round_mode_32 0
		.amdhsa_float_round_mode_16_64 0
		.amdhsa_float_denorm_mode_32 3
		.amdhsa_float_denorm_mode_16_64 3
		.amdhsa_dx10_clamp 1
		.amdhsa_ieee_mode 1
		.amdhsa_fp16_overflow 0
		.amdhsa_exception_fp_ieee_invalid_op 0
		.amdhsa_exception_fp_denorm_src 0
		.amdhsa_exception_fp_ieee_div_zero 0
		.amdhsa_exception_fp_ieee_overflow 0
		.amdhsa_exception_fp_ieee_underflow 0
		.amdhsa_exception_fp_ieee_inexact 0
		.amdhsa_exception_int_div_zero 0
	.end_amdhsa_kernel
	.section	.text._ZN2at6native29vectorized_elementwise_kernelILi8EZNS0_21compare_scalar_kernelIiEEvRNS_18TensorIteratorBaseENS0_12_GLOBAL__N_16OpTypeET_EUliE_St5arrayIPcLm2EEEEviT0_T1_,"axG",@progbits,_ZN2at6native29vectorized_elementwise_kernelILi8EZNS0_21compare_scalar_kernelIiEEvRNS_18TensorIteratorBaseENS0_12_GLOBAL__N_16OpTypeET_EUliE_St5arrayIPcLm2EEEEviT0_T1_,comdat
.Lfunc_end33:
	.size	_ZN2at6native29vectorized_elementwise_kernelILi8EZNS0_21compare_scalar_kernelIiEEvRNS_18TensorIteratorBaseENS0_12_GLOBAL__N_16OpTypeET_EUliE_St5arrayIPcLm2EEEEviT0_T1_, .Lfunc_end33-_ZN2at6native29vectorized_elementwise_kernelILi8EZNS0_21compare_scalar_kernelIiEEvRNS_18TensorIteratorBaseENS0_12_GLOBAL__N_16OpTypeET_EUliE_St5arrayIPcLm2EEEEviT0_T1_
                                        ; -- End function
	.set _ZN2at6native29vectorized_elementwise_kernelILi8EZNS0_21compare_scalar_kernelIiEEvRNS_18TensorIteratorBaseENS0_12_GLOBAL__N_16OpTypeET_EUliE_St5arrayIPcLm2EEEEviT0_T1_.num_vgpr, 21
	.set _ZN2at6native29vectorized_elementwise_kernelILi8EZNS0_21compare_scalar_kernelIiEEvRNS_18TensorIteratorBaseENS0_12_GLOBAL__N_16OpTypeET_EUliE_St5arrayIPcLm2EEEEviT0_T1_.num_agpr, 0
	.set _ZN2at6native29vectorized_elementwise_kernelILi8EZNS0_21compare_scalar_kernelIiEEvRNS_18TensorIteratorBaseENS0_12_GLOBAL__N_16OpTypeET_EUliE_St5arrayIPcLm2EEEEviT0_T1_.numbered_sgpr, 50
	.set _ZN2at6native29vectorized_elementwise_kernelILi8EZNS0_21compare_scalar_kernelIiEEvRNS_18TensorIteratorBaseENS0_12_GLOBAL__N_16OpTypeET_EUliE_St5arrayIPcLm2EEEEviT0_T1_.num_named_barrier, 0
	.set _ZN2at6native29vectorized_elementwise_kernelILi8EZNS0_21compare_scalar_kernelIiEEvRNS_18TensorIteratorBaseENS0_12_GLOBAL__N_16OpTypeET_EUliE_St5arrayIPcLm2EEEEviT0_T1_.private_seg_size, 0
	.set _ZN2at6native29vectorized_elementwise_kernelILi8EZNS0_21compare_scalar_kernelIiEEvRNS_18TensorIteratorBaseENS0_12_GLOBAL__N_16OpTypeET_EUliE_St5arrayIPcLm2EEEEviT0_T1_.uses_vcc, 1
	.set _ZN2at6native29vectorized_elementwise_kernelILi8EZNS0_21compare_scalar_kernelIiEEvRNS_18TensorIteratorBaseENS0_12_GLOBAL__N_16OpTypeET_EUliE_St5arrayIPcLm2EEEEviT0_T1_.uses_flat_scratch, 0
	.set _ZN2at6native29vectorized_elementwise_kernelILi8EZNS0_21compare_scalar_kernelIiEEvRNS_18TensorIteratorBaseENS0_12_GLOBAL__N_16OpTypeET_EUliE_St5arrayIPcLm2EEEEviT0_T1_.has_dyn_sized_stack, 0
	.set _ZN2at6native29vectorized_elementwise_kernelILi8EZNS0_21compare_scalar_kernelIiEEvRNS_18TensorIteratorBaseENS0_12_GLOBAL__N_16OpTypeET_EUliE_St5arrayIPcLm2EEEEviT0_T1_.has_recursion, 0
	.set _ZN2at6native29vectorized_elementwise_kernelILi8EZNS0_21compare_scalar_kernelIiEEvRNS_18TensorIteratorBaseENS0_12_GLOBAL__N_16OpTypeET_EUliE_St5arrayIPcLm2EEEEviT0_T1_.has_indirect_call, 0
	.section	.AMDGPU.csdata,"",@progbits
; Kernel info:
; codeLenInByte = 8632
; TotalNumSgprs: 54
; NumVgprs: 21
; ScratchSize: 0
; MemoryBound: 1
; FloatMode: 240
; IeeeMode: 1
; LDSByteSize: 0 bytes/workgroup (compile time only)
; SGPRBlocks: 6
; VGPRBlocks: 5
; NumSGPRsForWavesPerEU: 54
; NumVGPRsForWavesPerEU: 21
; Occupancy: 10
; WaveLimiterHint : 1
; COMPUTE_PGM_RSRC2:SCRATCH_EN: 0
; COMPUTE_PGM_RSRC2:USER_SGPR: 6
; COMPUTE_PGM_RSRC2:TRAP_HANDLER: 0
; COMPUTE_PGM_RSRC2:TGID_X_EN: 1
; COMPUTE_PGM_RSRC2:TGID_Y_EN: 0
; COMPUTE_PGM_RSRC2:TGID_Z_EN: 0
; COMPUTE_PGM_RSRC2:TIDIG_COMP_CNT: 0
	.section	.text._ZN2at6native29vectorized_elementwise_kernelILi4EZNS0_21compare_scalar_kernelIiEEvRNS_18TensorIteratorBaseENS0_12_GLOBAL__N_16OpTypeET_EUliE_St5arrayIPcLm2EEEEviT0_T1_,"axG",@progbits,_ZN2at6native29vectorized_elementwise_kernelILi4EZNS0_21compare_scalar_kernelIiEEvRNS_18TensorIteratorBaseENS0_12_GLOBAL__N_16OpTypeET_EUliE_St5arrayIPcLm2EEEEviT0_T1_,comdat
	.globl	_ZN2at6native29vectorized_elementwise_kernelILi4EZNS0_21compare_scalar_kernelIiEEvRNS_18TensorIteratorBaseENS0_12_GLOBAL__N_16OpTypeET_EUliE_St5arrayIPcLm2EEEEviT0_T1_ ; -- Begin function _ZN2at6native29vectorized_elementwise_kernelILi4EZNS0_21compare_scalar_kernelIiEEvRNS_18TensorIteratorBaseENS0_12_GLOBAL__N_16OpTypeET_EUliE_St5arrayIPcLm2EEEEviT0_T1_
	.p2align	8
	.type	_ZN2at6native29vectorized_elementwise_kernelILi4EZNS0_21compare_scalar_kernelIiEEvRNS_18TensorIteratorBaseENS0_12_GLOBAL__N_16OpTypeET_EUliE_St5arrayIPcLm2EEEEviT0_T1_,@function
_ZN2at6native29vectorized_elementwise_kernelILi4EZNS0_21compare_scalar_kernelIiEEvRNS_18TensorIteratorBaseENS0_12_GLOBAL__N_16OpTypeET_EUliE_St5arrayIPcLm2EEEEviT0_T1_: ; @_ZN2at6native29vectorized_elementwise_kernelILi4EZNS0_21compare_scalar_kernelIiEEvRNS_18TensorIteratorBaseENS0_12_GLOBAL__N_16OpTypeET_EUliE_St5arrayIPcLm2EEEEviT0_T1_
; %bb.0:
	s_load_dwordx8 s[8:15], s[4:5], 0x0
	s_lshl_b32 s2, s6, 12
	s_mov_b64 s[0:1], -1
	s_waitcnt lgkmcnt(0)
	s_sub_i32 s8, s8, s2
	s_cmpk_gt_i32 s8, 0xfff
	s_cbranch_scc0 .LBB34_211
; %bb.1:
	s_ashr_i32 s3, s2, 31
	s_lshl_b64 s[0:1], s[2:3], 2
	s_add_u32 s0, s14, s0
	s_addc_u32 s1, s15, s1
	v_lshlrev_b32_e32 v3, 4, v0
	v_mov_b32_e32 v1, s1
	v_add_co_u32_e32 v4, vcc, s0, v3
	v_addc_co_u32_e32 v5, vcc, 0, v1, vcc
	v_add_co_u32_e32 v1, vcc, 0x1000, v4
	v_addc_co_u32_e32 v2, vcc, 0, v5, vcc
	;; [unrolled: 2-line block ×3, first 2 shown]
	v_add_co_u32_e32 v19, vcc, 0x3000, v4
	global_load_dwordx4 v[13:16], v3, s[0:1]
	global_load_dwordx4 v[9:12], v[1:2], off
	v_addc_co_u32_e32 v20, vcc, 0, v5, vcc
	global_load_dwordx4 v[5:8], v[17:18], off
	global_load_dwordx4 v[1:4], v[19:20], off
	s_cmp_lt_i32 s9, 1
	s_mov_b64 s[4:5], 0
	s_cbranch_scc1 .LBB34_5
; %bb.2:
	s_cmp_gt_i32 s9, 1
	s_cbranch_scc0 .LBB34_6
; %bb.3:
	s_cmp_eq_u32 s9, 2
	s_cbranch_scc0 .LBB34_7
; %bb.4:
	s_waitcnt vmcnt(3)
	v_cmp_ge_i32_e64 s[0:1], s10, v13
	s_mov_b64 s[6:7], 0
	s_branch .LBB34_8
.LBB34_5:
                                        ; implicit-def: $sgpr0_sgpr1
	s_mov_b64 s[6:7], 0
	s_cbranch_execnz .LBB34_11
	s_branch .LBB34_12
.LBB34_6:
	s_mov_b64 s[6:7], 0
                                        ; implicit-def: $sgpr0_sgpr1
	s_cbranch_execnz .LBB34_9
	s_branch .LBB34_10
.LBB34_7:
	s_mov_b64 s[6:7], -1
                                        ; implicit-def: $sgpr0_sgpr1
.LBB34_8:
	s_branch .LBB34_10
.LBB34_9:
	s_waitcnt vmcnt(3)
	v_cmp_lt_i32_e32 vcc, s10, v13
	s_andn2_b64 s[0:1], s[0:1], exec
	s_and_b64 s[16:17], vcc, exec
	s_or_b64 s[0:1], s[0:1], s[16:17]
.LBB34_10:
	s_branch .LBB34_12
.LBB34_11:
	s_cmp_lg_u32 s9, 0
	s_mov_b64 s[4:5], -1
	s_cselect_b64 s[6:7], -1, 0
.LBB34_12:
	s_andn2_b64 vcc, exec, s[6:7]
	s_cbranch_vccz .LBB34_18
; %bb.13:
	s_andn2_b64 vcc, exec, s[4:5]
	s_cbranch_vccz .LBB34_19
.LBB34_14:
	s_cmp_lt_i32 s9, 1
	s_mov_b64 s[6:7], 0
	s_cbranch_scc1 .LBB34_20
.LBB34_15:
	s_cmp_gt_i32 s9, 1
	s_cbranch_scc0 .LBB34_21
; %bb.16:
	s_cmp_eq_u32 s9, 2
	s_cbranch_scc0 .LBB34_251
; %bb.17:
	s_waitcnt vmcnt(3)
	v_cmp_ge_i32_e64 s[4:5], s10, v14
	s_mov_b64 s[16:17], 0
	s_branch .LBB34_23
.LBB34_18:
	s_waitcnt vmcnt(3)
	v_cmp_gt_i32_e32 vcc, s10, v13
	s_andn2_b64 s[0:1], s[0:1], exec
	s_and_b64 s[6:7], vcc, exec
	s_or_b64 s[0:1], s[0:1], s[6:7]
	s_cbranch_execnz .LBB34_14
.LBB34_19:
	s_waitcnt vmcnt(3)
	v_cmp_le_i32_e32 vcc, s10, v13
	s_andn2_b64 s[0:1], s[0:1], exec
	s_and_b64 s[4:5], vcc, exec
	s_or_b64 s[0:1], s[0:1], s[4:5]
	s_cmp_lt_i32 s9, 1
	s_mov_b64 s[6:7], 0
	s_cbranch_scc0 .LBB34_15
.LBB34_20:
                                        ; implicit-def: $sgpr4_sgpr5
	s_mov_b64 s[16:17], 0
	s_cbranch_execnz .LBB34_24
	s_branch .LBB34_25
.LBB34_21:
	s_mov_b64 s[16:17], 0
                                        ; implicit-def: $sgpr4_sgpr5
	s_cbranch_execz .LBB34_23
; %bb.22:
	s_waitcnt vmcnt(3)
	v_cmp_lt_i32_e32 vcc, s10, v14
	s_andn2_b64 s[4:5], s[4:5], exec
	s_and_b64 s[18:19], vcc, exec
	s_or_b64 s[4:5], s[4:5], s[18:19]
.LBB34_23:
	s_branch .LBB34_25
.LBB34_24:
	s_cmp_lg_u32 s9, 0
	s_mov_b64 s[6:7], -1
	s_cselect_b64 s[16:17], -1, 0
.LBB34_25:
	s_andn2_b64 vcc, exec, s[16:17]
	s_cbranch_vccz .LBB34_31
; %bb.26:
	s_andn2_b64 vcc, exec, s[6:7]
	s_cbranch_vccz .LBB34_32
.LBB34_27:
	s_cmp_lt_i32 s9, 1
	s_mov_b64 s[16:17], 0
	s_cbranch_scc1 .LBB34_33
.LBB34_28:
	s_cmp_gt_i32 s9, 1
	s_cbranch_scc0 .LBB34_34
; %bb.29:
	s_cmp_eq_u32 s9, 2
	s_cbranch_scc0 .LBB34_252
; %bb.30:
	s_waitcnt vmcnt(3)
	v_cmp_ge_i32_e64 s[6:7], s10, v15
	s_mov_b64 s[18:19], 0
	s_branch .LBB34_36
.LBB34_31:
	s_waitcnt vmcnt(3)
	v_cmp_gt_i32_e32 vcc, s10, v14
	s_andn2_b64 s[4:5], s[4:5], exec
	s_and_b64 s[16:17], vcc, exec
	s_or_b64 s[4:5], s[4:5], s[16:17]
	s_cbranch_execnz .LBB34_27
.LBB34_32:
	s_waitcnt vmcnt(3)
	v_cmp_le_i32_e32 vcc, s10, v14
	s_andn2_b64 s[4:5], s[4:5], exec
	s_and_b64 s[6:7], vcc, exec
	s_or_b64 s[4:5], s[4:5], s[6:7]
	s_cmp_lt_i32 s9, 1
	s_mov_b64 s[16:17], 0
	s_cbranch_scc0 .LBB34_28
.LBB34_33:
                                        ; implicit-def: $sgpr6_sgpr7
	s_mov_b64 s[18:19], 0
	s_cbranch_execnz .LBB34_37
	s_branch .LBB34_38
.LBB34_34:
	s_mov_b64 s[18:19], 0
                                        ; implicit-def: $sgpr6_sgpr7
	s_cbranch_execz .LBB34_36
; %bb.35:
	s_waitcnt vmcnt(3)
	v_cmp_lt_i32_e32 vcc, s10, v15
	s_andn2_b64 s[6:7], s[6:7], exec
	s_and_b64 s[20:21], vcc, exec
	s_or_b64 s[6:7], s[6:7], s[20:21]
.LBB34_36:
	s_branch .LBB34_38
.LBB34_37:
	s_cmp_lg_u32 s9, 0
	s_mov_b64 s[16:17], -1
	s_cselect_b64 s[18:19], -1, 0
.LBB34_38:
	s_andn2_b64 vcc, exec, s[18:19]
	s_cbranch_vccz .LBB34_44
; %bb.39:
	s_andn2_b64 vcc, exec, s[16:17]
	s_cbranch_vccz .LBB34_45
.LBB34_40:
	s_cmp_lt_i32 s9, 1
	s_mov_b64 s[18:19], 0
	s_cbranch_scc1 .LBB34_46
.LBB34_41:
	s_cmp_gt_i32 s9, 1
	s_cbranch_scc0 .LBB34_47
; %bb.42:
	s_cmp_eq_u32 s9, 2
	s_cbranch_scc0 .LBB34_253
; %bb.43:
	s_waitcnt vmcnt(3)
	v_cmp_ge_i32_e64 s[16:17], s10, v16
	s_mov_b64 s[20:21], 0
	s_branch .LBB34_49
.LBB34_44:
	s_waitcnt vmcnt(3)
	v_cmp_gt_i32_e32 vcc, s10, v15
	s_andn2_b64 s[6:7], s[6:7], exec
	s_and_b64 s[18:19], vcc, exec
	s_or_b64 s[6:7], s[6:7], s[18:19]
	s_cbranch_execnz .LBB34_40
.LBB34_45:
	s_waitcnt vmcnt(3)
	v_cmp_le_i32_e32 vcc, s10, v15
	s_andn2_b64 s[6:7], s[6:7], exec
	s_and_b64 s[16:17], vcc, exec
	s_or_b64 s[6:7], s[6:7], s[16:17]
	s_cmp_lt_i32 s9, 1
	s_mov_b64 s[18:19], 0
	s_cbranch_scc0 .LBB34_41
.LBB34_46:
                                        ; implicit-def: $sgpr16_sgpr17
	s_mov_b64 s[20:21], 0
	s_cbranch_execnz .LBB34_50
	s_branch .LBB34_51
.LBB34_47:
	s_mov_b64 s[20:21], 0
                                        ; implicit-def: $sgpr16_sgpr17
	s_cbranch_execz .LBB34_49
; %bb.48:
	s_waitcnt vmcnt(3)
	v_cmp_lt_i32_e32 vcc, s10, v16
	s_andn2_b64 s[16:17], s[16:17], exec
	s_and_b64 s[22:23], vcc, exec
	s_or_b64 s[16:17], s[16:17], s[22:23]
.LBB34_49:
	s_branch .LBB34_51
.LBB34_50:
	s_cmp_lg_u32 s9, 0
	s_mov_b64 s[18:19], -1
	s_cselect_b64 s[20:21], -1, 0
.LBB34_51:
	s_andn2_b64 vcc, exec, s[20:21]
	s_cbranch_vccz .LBB34_57
; %bb.52:
	s_andn2_b64 vcc, exec, s[18:19]
	s_cbranch_vccz .LBB34_58
.LBB34_53:
	s_cmp_lt_i32 s9, 1
	s_mov_b64 s[20:21], 0
	s_cbranch_scc1 .LBB34_59
.LBB34_54:
	s_cmp_gt_i32 s9, 1
	s_cbranch_scc0 .LBB34_60
; %bb.55:
	s_cmp_eq_u32 s9, 2
	s_cbranch_scc0 .LBB34_254
; %bb.56:
	s_waitcnt vmcnt(2)
	v_cmp_ge_i32_e64 s[18:19], s10, v9
	s_mov_b64 s[22:23], 0
	s_branch .LBB34_62
.LBB34_57:
	s_waitcnt vmcnt(3)
	v_cmp_gt_i32_e32 vcc, s10, v16
	s_andn2_b64 s[16:17], s[16:17], exec
	s_and_b64 s[20:21], vcc, exec
	s_or_b64 s[16:17], s[16:17], s[20:21]
	s_cbranch_execnz .LBB34_53
.LBB34_58:
	s_waitcnt vmcnt(3)
	v_cmp_le_i32_e32 vcc, s10, v16
	s_andn2_b64 s[16:17], s[16:17], exec
	s_and_b64 s[18:19], vcc, exec
	s_or_b64 s[16:17], s[16:17], s[18:19]
	s_cmp_lt_i32 s9, 1
	s_mov_b64 s[20:21], 0
	s_cbranch_scc0 .LBB34_54
.LBB34_59:
                                        ; implicit-def: $sgpr18_sgpr19
	s_mov_b64 s[22:23], 0
	s_cbranch_execnz .LBB34_63
	s_branch .LBB34_64
.LBB34_60:
	s_mov_b64 s[22:23], 0
                                        ; implicit-def: $sgpr18_sgpr19
	s_cbranch_execz .LBB34_62
; %bb.61:
	s_waitcnt vmcnt(2)
	v_cmp_lt_i32_e32 vcc, s10, v9
	s_andn2_b64 s[18:19], s[18:19], exec
	s_and_b64 s[24:25], vcc, exec
	s_or_b64 s[18:19], s[18:19], s[24:25]
.LBB34_62:
	s_branch .LBB34_64
.LBB34_63:
	s_cmp_lg_u32 s9, 0
	s_mov_b64 s[20:21], -1
	s_cselect_b64 s[22:23], -1, 0
.LBB34_64:
	s_andn2_b64 vcc, exec, s[22:23]
	s_cbranch_vccz .LBB34_70
; %bb.65:
	s_andn2_b64 vcc, exec, s[20:21]
	s_cbranch_vccz .LBB34_71
.LBB34_66:
	s_cmp_lt_i32 s9, 1
	s_mov_b64 s[22:23], 0
	s_cbranch_scc1 .LBB34_72
.LBB34_67:
	s_cmp_gt_i32 s9, 1
	s_cbranch_scc0 .LBB34_73
; %bb.68:
	s_cmp_eq_u32 s9, 2
	s_cbranch_scc0 .LBB34_255
; %bb.69:
	s_waitcnt vmcnt(2)
	v_cmp_ge_i32_e64 s[20:21], s10, v10
	s_mov_b64 s[24:25], 0
	s_branch .LBB34_75
.LBB34_70:
	s_waitcnt vmcnt(2)
	v_cmp_gt_i32_e32 vcc, s10, v9
	s_andn2_b64 s[18:19], s[18:19], exec
	s_and_b64 s[22:23], vcc, exec
	s_or_b64 s[18:19], s[18:19], s[22:23]
	s_cbranch_execnz .LBB34_66
.LBB34_71:
	s_waitcnt vmcnt(2)
	v_cmp_le_i32_e32 vcc, s10, v9
	s_andn2_b64 s[18:19], s[18:19], exec
	s_and_b64 s[20:21], vcc, exec
	s_or_b64 s[18:19], s[18:19], s[20:21]
	s_cmp_lt_i32 s9, 1
	s_mov_b64 s[22:23], 0
	s_cbranch_scc0 .LBB34_67
.LBB34_72:
                                        ; implicit-def: $sgpr20_sgpr21
	s_mov_b64 s[24:25], 0
	s_cbranch_execnz .LBB34_76
	s_branch .LBB34_77
.LBB34_73:
	s_mov_b64 s[24:25], 0
                                        ; implicit-def: $sgpr20_sgpr21
	s_cbranch_execz .LBB34_75
; %bb.74:
	s_waitcnt vmcnt(2)
	v_cmp_lt_i32_e32 vcc, s10, v10
	s_andn2_b64 s[20:21], s[20:21], exec
	s_and_b64 s[26:27], vcc, exec
	s_or_b64 s[20:21], s[20:21], s[26:27]
.LBB34_75:
	s_branch .LBB34_77
.LBB34_76:
	s_cmp_lg_u32 s9, 0
	s_mov_b64 s[22:23], -1
	s_cselect_b64 s[24:25], -1, 0
.LBB34_77:
	s_andn2_b64 vcc, exec, s[24:25]
	s_cbranch_vccz .LBB34_83
; %bb.78:
	s_andn2_b64 vcc, exec, s[22:23]
	s_cbranch_vccz .LBB34_84
.LBB34_79:
	s_cmp_lt_i32 s9, 1
	s_mov_b64 s[24:25], 0
	s_cbranch_scc1 .LBB34_85
.LBB34_80:
	s_cmp_gt_i32 s9, 1
	s_cbranch_scc0 .LBB34_86
; %bb.81:
	s_cmp_eq_u32 s9, 2
	s_cbranch_scc0 .LBB34_256
; %bb.82:
	s_waitcnt vmcnt(2)
	v_cmp_ge_i32_e64 s[22:23], s10, v11
	s_mov_b64 s[26:27], 0
	s_branch .LBB34_88
.LBB34_83:
	s_waitcnt vmcnt(2)
	v_cmp_gt_i32_e32 vcc, s10, v10
	s_andn2_b64 s[20:21], s[20:21], exec
	s_and_b64 s[24:25], vcc, exec
	s_or_b64 s[20:21], s[20:21], s[24:25]
	s_cbranch_execnz .LBB34_79
.LBB34_84:
	s_waitcnt vmcnt(2)
	v_cmp_le_i32_e32 vcc, s10, v10
	s_andn2_b64 s[20:21], s[20:21], exec
	s_and_b64 s[22:23], vcc, exec
	s_or_b64 s[20:21], s[20:21], s[22:23]
	s_cmp_lt_i32 s9, 1
	s_mov_b64 s[24:25], 0
	s_cbranch_scc0 .LBB34_80
.LBB34_85:
                                        ; implicit-def: $sgpr22_sgpr23
	s_mov_b64 s[26:27], 0
	s_cbranch_execnz .LBB34_89
	s_branch .LBB34_90
.LBB34_86:
	s_mov_b64 s[26:27], 0
                                        ; implicit-def: $sgpr22_sgpr23
	s_cbranch_execz .LBB34_88
; %bb.87:
	s_waitcnt vmcnt(2)
	v_cmp_lt_i32_e32 vcc, s10, v11
	s_andn2_b64 s[22:23], s[22:23], exec
	s_and_b64 s[28:29], vcc, exec
	s_or_b64 s[22:23], s[22:23], s[28:29]
.LBB34_88:
	s_branch .LBB34_90
.LBB34_89:
	s_cmp_lg_u32 s9, 0
	s_mov_b64 s[24:25], -1
	s_cselect_b64 s[26:27], -1, 0
.LBB34_90:
	s_andn2_b64 vcc, exec, s[26:27]
	s_cbranch_vccz .LBB34_96
; %bb.91:
	s_andn2_b64 vcc, exec, s[24:25]
	s_cbranch_vccz .LBB34_97
.LBB34_92:
	s_cmp_lt_i32 s9, 1
	s_mov_b64 s[26:27], 0
	s_cbranch_scc1 .LBB34_98
.LBB34_93:
	s_cmp_gt_i32 s9, 1
	s_cbranch_scc0 .LBB34_99
; %bb.94:
	s_cmp_eq_u32 s9, 2
	s_cbranch_scc0 .LBB34_257
; %bb.95:
	s_waitcnt vmcnt(2)
	v_cmp_ge_i32_e64 s[24:25], s10, v12
	s_mov_b64 s[28:29], 0
	s_branch .LBB34_101
.LBB34_96:
	s_waitcnt vmcnt(2)
	v_cmp_gt_i32_e32 vcc, s10, v11
	s_andn2_b64 s[22:23], s[22:23], exec
	s_and_b64 s[26:27], vcc, exec
	s_or_b64 s[22:23], s[22:23], s[26:27]
	s_cbranch_execnz .LBB34_92
.LBB34_97:
	s_waitcnt vmcnt(2)
	v_cmp_le_i32_e32 vcc, s10, v11
	s_andn2_b64 s[22:23], s[22:23], exec
	s_and_b64 s[24:25], vcc, exec
	s_or_b64 s[22:23], s[22:23], s[24:25]
	s_cmp_lt_i32 s9, 1
	s_mov_b64 s[26:27], 0
	s_cbranch_scc0 .LBB34_93
.LBB34_98:
                                        ; implicit-def: $sgpr24_sgpr25
	s_mov_b64 s[28:29], 0
	s_cbranch_execnz .LBB34_102
	s_branch .LBB34_103
.LBB34_99:
	s_mov_b64 s[28:29], 0
                                        ; implicit-def: $sgpr24_sgpr25
	s_cbranch_execz .LBB34_101
; %bb.100:
	s_waitcnt vmcnt(2)
	v_cmp_lt_i32_e32 vcc, s10, v12
	s_andn2_b64 s[24:25], s[24:25], exec
	s_and_b64 s[30:31], vcc, exec
	s_or_b64 s[24:25], s[24:25], s[30:31]
.LBB34_101:
	s_branch .LBB34_103
.LBB34_102:
	s_cmp_lg_u32 s9, 0
	s_mov_b64 s[26:27], -1
	s_cselect_b64 s[28:29], -1, 0
.LBB34_103:
	s_andn2_b64 vcc, exec, s[28:29]
	s_cbranch_vccz .LBB34_109
; %bb.104:
	s_andn2_b64 vcc, exec, s[26:27]
	s_cbranch_vccz .LBB34_110
.LBB34_105:
	s_cmp_lt_i32 s9, 1
	s_mov_b64 s[28:29], 0
	s_cbranch_scc1 .LBB34_111
.LBB34_106:
	s_cmp_gt_i32 s9, 1
	s_cbranch_scc0 .LBB34_112
; %bb.107:
	s_cmp_eq_u32 s9, 2
	s_cbranch_scc0 .LBB34_258
; %bb.108:
	s_waitcnt vmcnt(1)
	v_cmp_ge_i32_e64 s[26:27], s10, v5
	s_mov_b64 s[30:31], 0
	s_branch .LBB34_114
.LBB34_109:
	s_waitcnt vmcnt(2)
	v_cmp_gt_i32_e32 vcc, s10, v12
	s_andn2_b64 s[24:25], s[24:25], exec
	s_and_b64 s[28:29], vcc, exec
	s_or_b64 s[24:25], s[24:25], s[28:29]
	s_cbranch_execnz .LBB34_105
.LBB34_110:
	s_waitcnt vmcnt(2)
	v_cmp_le_i32_e32 vcc, s10, v12
	s_andn2_b64 s[24:25], s[24:25], exec
	s_and_b64 s[26:27], vcc, exec
	s_or_b64 s[24:25], s[24:25], s[26:27]
	s_cmp_lt_i32 s9, 1
	s_mov_b64 s[28:29], 0
	s_cbranch_scc0 .LBB34_106
.LBB34_111:
                                        ; implicit-def: $sgpr26_sgpr27
	s_mov_b64 s[30:31], 0
	s_cbranch_execnz .LBB34_115
	s_branch .LBB34_116
.LBB34_112:
	s_mov_b64 s[30:31], 0
                                        ; implicit-def: $sgpr26_sgpr27
	s_cbranch_execz .LBB34_114
; %bb.113:
	s_waitcnt vmcnt(1)
	v_cmp_lt_i32_e32 vcc, s10, v5
	s_andn2_b64 s[26:27], s[26:27], exec
	s_and_b64 s[34:35], vcc, exec
	s_or_b64 s[26:27], s[26:27], s[34:35]
.LBB34_114:
	s_branch .LBB34_116
.LBB34_115:
	s_cmp_lg_u32 s9, 0
	s_mov_b64 s[28:29], -1
	s_cselect_b64 s[30:31], -1, 0
.LBB34_116:
	s_andn2_b64 vcc, exec, s[30:31]
	s_cbranch_vccz .LBB34_122
; %bb.117:
	s_andn2_b64 vcc, exec, s[28:29]
	s_cbranch_vccz .LBB34_123
.LBB34_118:
	s_cmp_lt_i32 s9, 1
	s_mov_b64 s[30:31], 0
	s_cbranch_scc1 .LBB34_124
.LBB34_119:
	s_cmp_gt_i32 s9, 1
	s_cbranch_scc0 .LBB34_125
; %bb.120:
	s_cmp_eq_u32 s9, 2
	s_cbranch_scc0 .LBB34_259
; %bb.121:
	s_waitcnt vmcnt(1)
	v_cmp_ge_i32_e64 s[28:29], s10, v6
	s_mov_b64 s[34:35], 0
	s_branch .LBB34_127
.LBB34_122:
	s_waitcnt vmcnt(1)
	v_cmp_gt_i32_e32 vcc, s10, v5
	s_andn2_b64 s[26:27], s[26:27], exec
	s_and_b64 s[30:31], vcc, exec
	s_or_b64 s[26:27], s[26:27], s[30:31]
	s_cbranch_execnz .LBB34_118
.LBB34_123:
	s_waitcnt vmcnt(1)
	v_cmp_le_i32_e32 vcc, s10, v5
	s_andn2_b64 s[26:27], s[26:27], exec
	s_and_b64 s[28:29], vcc, exec
	s_or_b64 s[26:27], s[26:27], s[28:29]
	s_cmp_lt_i32 s9, 1
	s_mov_b64 s[30:31], 0
	s_cbranch_scc0 .LBB34_119
.LBB34_124:
                                        ; implicit-def: $sgpr28_sgpr29
	s_mov_b64 s[34:35], 0
	s_cbranch_execnz .LBB34_128
	s_branch .LBB34_129
.LBB34_125:
	s_mov_b64 s[34:35], 0
                                        ; implicit-def: $sgpr28_sgpr29
	s_cbranch_execz .LBB34_127
; %bb.126:
	s_waitcnt vmcnt(1)
	v_cmp_lt_i32_e32 vcc, s10, v6
	s_andn2_b64 s[28:29], s[28:29], exec
	s_and_b64 s[36:37], vcc, exec
	s_or_b64 s[28:29], s[28:29], s[36:37]
.LBB34_127:
	s_branch .LBB34_129
.LBB34_128:
	s_cmp_lg_u32 s9, 0
	s_mov_b64 s[30:31], -1
	s_cselect_b64 s[34:35], -1, 0
.LBB34_129:
	s_andn2_b64 vcc, exec, s[34:35]
	s_cbranch_vccz .LBB34_135
; %bb.130:
	s_andn2_b64 vcc, exec, s[30:31]
	s_cbranch_vccz .LBB34_136
.LBB34_131:
	s_cmp_lt_i32 s9, 1
	s_mov_b64 s[34:35], 0
	s_cbranch_scc1 .LBB34_137
.LBB34_132:
	s_cmp_gt_i32 s9, 1
	s_cbranch_scc0 .LBB34_138
; %bb.133:
	s_cmp_eq_u32 s9, 2
	s_cbranch_scc0 .LBB34_260
; %bb.134:
	s_waitcnt vmcnt(1)
	v_cmp_ge_i32_e64 s[30:31], s10, v7
	s_mov_b64 s[36:37], 0
	s_branch .LBB34_140
.LBB34_135:
	s_waitcnt vmcnt(1)
	v_cmp_gt_i32_e32 vcc, s10, v6
	s_andn2_b64 s[28:29], s[28:29], exec
	s_and_b64 s[34:35], vcc, exec
	s_or_b64 s[28:29], s[28:29], s[34:35]
	s_cbranch_execnz .LBB34_131
.LBB34_136:
	s_waitcnt vmcnt(1)
	v_cmp_le_i32_e32 vcc, s10, v6
	s_andn2_b64 s[28:29], s[28:29], exec
	s_and_b64 s[30:31], vcc, exec
	s_or_b64 s[28:29], s[28:29], s[30:31]
	s_cmp_lt_i32 s9, 1
	s_mov_b64 s[34:35], 0
	s_cbranch_scc0 .LBB34_132
.LBB34_137:
                                        ; implicit-def: $sgpr30_sgpr31
	s_mov_b64 s[36:37], 0
	s_cbranch_execnz .LBB34_141
	s_branch .LBB34_142
.LBB34_138:
	s_mov_b64 s[36:37], 0
                                        ; implicit-def: $sgpr30_sgpr31
	s_cbranch_execz .LBB34_140
; %bb.139:
	s_waitcnt vmcnt(1)
	v_cmp_lt_i32_e32 vcc, s10, v7
	s_andn2_b64 s[30:31], s[30:31], exec
	s_and_b64 s[38:39], vcc, exec
	s_or_b64 s[30:31], s[30:31], s[38:39]
.LBB34_140:
	s_branch .LBB34_142
.LBB34_141:
	s_cmp_lg_u32 s9, 0
	s_mov_b64 s[34:35], -1
	s_cselect_b64 s[36:37], -1, 0
.LBB34_142:
	s_andn2_b64 vcc, exec, s[36:37]
	s_cbranch_vccz .LBB34_148
; %bb.143:
	s_andn2_b64 vcc, exec, s[34:35]
	s_cbranch_vccz .LBB34_149
.LBB34_144:
	s_cmp_lt_i32 s9, 1
	s_mov_b64 s[36:37], 0
	s_cbranch_scc1 .LBB34_150
.LBB34_145:
	s_cmp_gt_i32 s9, 1
	s_cbranch_scc0 .LBB34_151
; %bb.146:
	s_cmp_eq_u32 s9, 2
	s_cbranch_scc0 .LBB34_261
; %bb.147:
	s_waitcnt vmcnt(1)
	v_cmp_ge_i32_e64 s[34:35], s10, v8
	s_mov_b64 s[38:39], 0
	s_branch .LBB34_153
.LBB34_148:
	s_waitcnt vmcnt(1)
	v_cmp_gt_i32_e32 vcc, s10, v7
	s_andn2_b64 s[30:31], s[30:31], exec
	s_and_b64 s[36:37], vcc, exec
	s_or_b64 s[30:31], s[30:31], s[36:37]
	s_cbranch_execnz .LBB34_144
.LBB34_149:
	s_waitcnt vmcnt(1)
	v_cmp_le_i32_e32 vcc, s10, v7
	s_andn2_b64 s[30:31], s[30:31], exec
	s_and_b64 s[34:35], vcc, exec
	s_or_b64 s[30:31], s[30:31], s[34:35]
	s_cmp_lt_i32 s9, 1
	s_mov_b64 s[36:37], 0
	s_cbranch_scc0 .LBB34_145
.LBB34_150:
                                        ; implicit-def: $sgpr34_sgpr35
	s_mov_b64 s[38:39], 0
	s_cbranch_execnz .LBB34_154
	s_branch .LBB34_155
.LBB34_151:
	s_mov_b64 s[38:39], 0
                                        ; implicit-def: $sgpr34_sgpr35
	s_cbranch_execz .LBB34_153
; %bb.152:
	s_waitcnt vmcnt(1)
	v_cmp_lt_i32_e32 vcc, s10, v8
	s_andn2_b64 s[34:35], s[34:35], exec
	s_and_b64 s[40:41], vcc, exec
	s_or_b64 s[34:35], s[34:35], s[40:41]
.LBB34_153:
	s_branch .LBB34_155
.LBB34_154:
	s_cmp_lg_u32 s9, 0
	s_mov_b64 s[36:37], -1
	s_cselect_b64 s[38:39], -1, 0
.LBB34_155:
	s_andn2_b64 vcc, exec, s[38:39]
	s_cbranch_vccz .LBB34_161
; %bb.156:
	s_andn2_b64 vcc, exec, s[36:37]
	s_cbranch_vccz .LBB34_162
.LBB34_157:
	s_cmp_lt_i32 s9, 1
	s_mov_b64 s[38:39], 0
	s_cbranch_scc1 .LBB34_163
.LBB34_158:
	s_cmp_gt_i32 s9, 1
	s_cbranch_scc0 .LBB34_164
; %bb.159:
	s_cmp_eq_u32 s9, 2
	s_cbranch_scc0 .LBB34_262
; %bb.160:
	s_waitcnt vmcnt(0)
	v_cmp_ge_i32_e64 s[36:37], s10, v1
	s_mov_b64 s[40:41], 0
	s_branch .LBB34_166
.LBB34_161:
	s_waitcnt vmcnt(1)
	v_cmp_gt_i32_e32 vcc, s10, v8
	s_andn2_b64 s[34:35], s[34:35], exec
	s_and_b64 s[38:39], vcc, exec
	s_or_b64 s[34:35], s[34:35], s[38:39]
	s_cbranch_execnz .LBB34_157
.LBB34_162:
	s_waitcnt vmcnt(1)
	v_cmp_le_i32_e32 vcc, s10, v8
	s_andn2_b64 s[34:35], s[34:35], exec
	s_and_b64 s[36:37], vcc, exec
	s_or_b64 s[34:35], s[34:35], s[36:37]
	s_cmp_lt_i32 s9, 1
	s_mov_b64 s[38:39], 0
	s_cbranch_scc0 .LBB34_158
.LBB34_163:
                                        ; implicit-def: $sgpr36_sgpr37
	s_mov_b64 s[40:41], 0
	s_cbranch_execnz .LBB34_167
	s_branch .LBB34_168
.LBB34_164:
	s_mov_b64 s[40:41], 0
                                        ; implicit-def: $sgpr36_sgpr37
	s_cbranch_execz .LBB34_166
; %bb.165:
	s_waitcnt vmcnt(0)
	v_cmp_lt_i32_e32 vcc, s10, v1
	s_andn2_b64 s[36:37], s[36:37], exec
	s_and_b64 s[42:43], vcc, exec
	s_or_b64 s[36:37], s[36:37], s[42:43]
.LBB34_166:
	s_branch .LBB34_168
.LBB34_167:
	s_cmp_lg_u32 s9, 0
	s_mov_b64 s[38:39], -1
	s_cselect_b64 s[40:41], -1, 0
.LBB34_168:
	s_andn2_b64 vcc, exec, s[40:41]
	s_cbranch_vccz .LBB34_174
; %bb.169:
	s_andn2_b64 vcc, exec, s[38:39]
	s_cbranch_vccz .LBB34_175
.LBB34_170:
	s_cmp_lt_i32 s9, 1
	s_mov_b64 s[40:41], 0
	s_cbranch_scc1 .LBB34_176
.LBB34_171:
	s_cmp_gt_i32 s9, 1
	s_cbranch_scc0 .LBB34_177
; %bb.172:
	s_cmp_eq_u32 s9, 2
	s_cbranch_scc0 .LBB34_263
; %bb.173:
	s_waitcnt vmcnt(0)
	v_cmp_ge_i32_e64 s[38:39], s10, v2
	s_mov_b64 s[42:43], 0
	s_branch .LBB34_179
.LBB34_174:
	s_waitcnt vmcnt(0)
	v_cmp_gt_i32_e32 vcc, s10, v1
	s_andn2_b64 s[36:37], s[36:37], exec
	s_and_b64 s[40:41], vcc, exec
	s_or_b64 s[36:37], s[36:37], s[40:41]
	s_cbranch_execnz .LBB34_170
.LBB34_175:
	s_waitcnt vmcnt(0)
	v_cmp_le_i32_e32 vcc, s10, v1
	s_andn2_b64 s[36:37], s[36:37], exec
	s_and_b64 s[38:39], vcc, exec
	s_or_b64 s[36:37], s[36:37], s[38:39]
	s_cmp_lt_i32 s9, 1
	s_mov_b64 s[40:41], 0
	s_cbranch_scc0 .LBB34_171
.LBB34_176:
                                        ; implicit-def: $sgpr38_sgpr39
	s_mov_b64 s[42:43], 0
	s_cbranch_execnz .LBB34_180
	s_branch .LBB34_181
.LBB34_177:
	s_mov_b64 s[42:43], 0
                                        ; implicit-def: $sgpr38_sgpr39
	s_cbranch_execz .LBB34_179
; %bb.178:
	s_waitcnt vmcnt(0)
	v_cmp_lt_i32_e32 vcc, s10, v2
	s_andn2_b64 s[38:39], s[38:39], exec
	s_and_b64 s[44:45], vcc, exec
	s_or_b64 s[38:39], s[38:39], s[44:45]
.LBB34_179:
	s_branch .LBB34_181
.LBB34_180:
	s_cmp_lg_u32 s9, 0
	s_mov_b64 s[40:41], -1
	s_cselect_b64 s[42:43], -1, 0
.LBB34_181:
	s_andn2_b64 vcc, exec, s[42:43]
	s_cbranch_vccz .LBB34_187
; %bb.182:
	s_andn2_b64 vcc, exec, s[40:41]
	s_cbranch_vccz .LBB34_188
.LBB34_183:
	s_cmp_lt_i32 s9, 1
	s_mov_b64 s[42:43], 0
	s_cbranch_scc1 .LBB34_189
.LBB34_184:
	s_cmp_gt_i32 s9, 1
	s_cbranch_scc0 .LBB34_190
; %bb.185:
	s_cmp_eq_u32 s9, 2
	s_cbranch_scc0 .LBB34_264
; %bb.186:
	s_waitcnt vmcnt(0)
	v_cmp_ge_i32_e64 s[40:41], s10, v3
	s_mov_b64 s[44:45], 0
	s_branch .LBB34_192
.LBB34_187:
	s_waitcnt vmcnt(0)
	v_cmp_gt_i32_e32 vcc, s10, v2
	s_andn2_b64 s[38:39], s[38:39], exec
	s_and_b64 s[42:43], vcc, exec
	s_or_b64 s[38:39], s[38:39], s[42:43]
	s_cbranch_execnz .LBB34_183
.LBB34_188:
	s_waitcnt vmcnt(0)
	v_cmp_le_i32_e32 vcc, s10, v2
	s_andn2_b64 s[38:39], s[38:39], exec
	s_and_b64 s[40:41], vcc, exec
	s_or_b64 s[38:39], s[38:39], s[40:41]
	s_cmp_lt_i32 s9, 1
	s_mov_b64 s[42:43], 0
	s_cbranch_scc0 .LBB34_184
.LBB34_189:
                                        ; implicit-def: $sgpr40_sgpr41
	s_mov_b64 s[44:45], 0
	s_cbranch_execnz .LBB34_193
	s_branch .LBB34_194
.LBB34_190:
	s_mov_b64 s[44:45], 0
                                        ; implicit-def: $sgpr40_sgpr41
	s_cbranch_execz .LBB34_192
; %bb.191:
	s_waitcnt vmcnt(0)
	v_cmp_lt_i32_e32 vcc, s10, v3
	s_andn2_b64 s[40:41], s[40:41], exec
	s_and_b64 s[46:47], vcc, exec
	s_or_b64 s[40:41], s[40:41], s[46:47]
.LBB34_192:
	s_branch .LBB34_194
.LBB34_193:
	s_cmp_lg_u32 s9, 0
	s_mov_b64 s[42:43], -1
	s_cselect_b64 s[44:45], -1, 0
.LBB34_194:
	s_andn2_b64 vcc, exec, s[44:45]
	s_cbranch_vccz .LBB34_200
; %bb.195:
	s_andn2_b64 vcc, exec, s[42:43]
	s_cbranch_vccz .LBB34_201
.LBB34_196:
	s_cmp_lt_i32 s9, 1
	s_mov_b64 s[44:45], 0
	s_cbranch_scc1 .LBB34_202
.LBB34_197:
	s_cmp_gt_i32 s9, 1
	s_cbranch_scc0 .LBB34_203
; %bb.198:
	s_cmp_eq_u32 s9, 2
	s_cbranch_scc0 .LBB34_265
; %bb.199:
	s_waitcnt vmcnt(0)
	v_cmp_ge_i32_e64 s[42:43], s10, v4
	s_mov_b64 s[46:47], 0
	s_branch .LBB34_205
.LBB34_200:
	s_waitcnt vmcnt(0)
	v_cmp_gt_i32_e32 vcc, s10, v3
	s_andn2_b64 s[40:41], s[40:41], exec
	s_and_b64 s[44:45], vcc, exec
	s_or_b64 s[40:41], s[40:41], s[44:45]
	s_cbranch_execnz .LBB34_196
.LBB34_201:
	s_waitcnt vmcnt(0)
	v_cmp_le_i32_e32 vcc, s10, v3
	s_andn2_b64 s[40:41], s[40:41], exec
	s_and_b64 s[42:43], vcc, exec
	s_or_b64 s[40:41], s[40:41], s[42:43]
	s_cmp_lt_i32 s9, 1
	s_mov_b64 s[44:45], 0
	s_cbranch_scc0 .LBB34_197
.LBB34_202:
                                        ; implicit-def: $sgpr42_sgpr43
	s_mov_b64 s[46:47], 0
	s_cbranch_execnz .LBB34_206
	s_branch .LBB34_207
.LBB34_203:
	s_mov_b64 s[46:47], 0
                                        ; implicit-def: $sgpr42_sgpr43
	s_cbranch_execz .LBB34_205
; %bb.204:
	s_waitcnt vmcnt(0)
	v_cmp_lt_i32_e32 vcc, s10, v4
	s_andn2_b64 s[42:43], s[42:43], exec
	s_and_b64 s[48:49], vcc, exec
	s_or_b64 s[42:43], s[42:43], s[48:49]
.LBB34_205:
	s_branch .LBB34_207
.LBB34_206:
	s_cmp_lg_u32 s9, 0
	s_mov_b64 s[44:45], -1
	s_cselect_b64 s[46:47], -1, 0
.LBB34_207:
	s_andn2_b64 vcc, exec, s[46:47]
	s_cbranch_vccz .LBB34_249
; %bb.208:
	s_andn2_b64 vcc, exec, s[44:45]
	s_cbranch_vccnz .LBB34_210
.LBB34_209:
	s_waitcnt vmcnt(0)
	v_cmp_le_i32_e32 vcc, s10, v4
	s_andn2_b64 s[42:43], s[42:43], exec
	s_and_b64 s[44:45], vcc, exec
	s_or_b64 s[42:43], s[42:43], s[44:45]
.LBB34_210:
	s_waitcnt vmcnt(0)
	v_mov_b32_e32 v1, 0x100
	v_cndmask_b32_e64 v2, 0, v1, s[38:39]
	v_cndmask_b32_e64 v3, 0, 1, s[36:37]
	v_or_b32_e32 v2, v2, v3
	v_mov_b32_e32 v3, 0x10000
	v_cndmask_b32_e64 v5, 0, v1, s[28:29]
	v_cndmask_b32_e64 v6, 0, 1, s[26:27]
	v_mov_b32_e32 v7, 0x1000000
	v_or_b32_e32 v5, v5, v6
	v_cndmask_b32_e64 v6, 0, v3, s[30:31]
	v_cndmask_b32_e64 v8, 0, v7, s[34:35]
	v_or3_b32 v5, v5, v6, v8
	v_cndmask_b32_e64 v6, 0, v1, s[20:21]
	v_cndmask_b32_e64 v8, 0, 1, s[18:19]
	v_or_b32_e32 v6, v6, v8
	v_cndmask_b32_e64 v8, 0, v3, s[22:23]
	v_cndmask_b32_e64 v9, 0, v7, s[24:25]
	v_or3_b32 v6, v6, v8, v9
	v_cndmask_b32_e64 v1, 0, v1, s[4:5]
	v_cndmask_b32_e64 v8, 0, 1, s[0:1]
	;; [unrolled: 1-line block ×3, first 2 shown]
	v_or_b32_e32 v1, v1, v8
	v_cndmask_b32_e64 v3, 0, v3, s[6:7]
	v_cndmask_b32_e64 v8, 0, v7, s[16:17]
	v_or3_b32 v1, v1, v3, v8
	v_cndmask_b32_e64 v3, 0, v7, s[42:43]
	s_add_u32 s0, s12, s2
	v_or3_b32 v2, v2, v4, v3
	s_addc_u32 s1, s13, s3
	v_lshlrev_b32_e32 v3, 2, v0
	global_store_dword v3, v1, s[0:1]
	global_store_dword v3, v6, s[0:1] offset:1024
	global_store_dword v3, v5, s[0:1] offset:2048
	;; [unrolled: 1-line block ×3, first 2 shown]
	s_mov_b64 s[0:1], 0
.LBB34_211:
	s_and_b64 vcc, exec, s[0:1]
	s_cbranch_vccz .LBB34_519
; %bb.212:
	v_cmp_gt_i32_e64 s[0:1], s8, v0
	v_mov_b32_e32 v4, 0
	v_or_b32_e32 v1, s2, v0
	v_mov_b32_e32 v5, 0
	v_mov_b32_e32 v6, 0
	;; [unrolled: 1-line block ×15, first 2 shown]
	s_and_saveexec_b64 s[4:5], s[0:1]
	s_cbranch_execz .LBB34_244
; %bb.213:
	v_mov_b32_e32 v2, 0
	v_lshlrev_b64 v[3:4], 2, v[1:2]
	v_mov_b32_e32 v5, s15
	v_add_co_u32_e32 v3, vcc, s14, v3
	v_addc_co_u32_e32 v4, vcc, v5, v4, vcc
	global_load_dword v20, v[3:4], off
	v_or_b32_e32 v3, 0x100, v0
	v_cmp_gt_u32_e32 vcc, s8, v3
	v_mov_b32_e32 v15, v2
	v_mov_b32_e32 v18, v2
	;; [unrolled: 1-line block ×14, first 2 shown]
	s_and_saveexec_b64 s[6:7], vcc
	s_cbranch_execz .LBB34_243
; %bb.214:
	v_add_u32_e32 v14, s2, v0
	v_mov_b32_e32 v15, 0
	v_lshlrev_b64 v[2:3], 2, v[14:15]
	v_mov_b32_e32 v4, s15
	v_add_co_u32_e32 v16, vcc, s14, v2
	v_addc_co_u32_e32 v17, vcc, v4, v3, vcc
	global_load_dword v2, v[16:17], off offset:1024
	v_or_b32_e32 v3, 0x200, v0
	v_cmp_gt_u32_e32 vcc, s8, v3
	v_mov_b32_e32 v18, v15
	v_mov_b32_e32 v19, v15
	;; [unrolled: 1-line block ×13, first 2 shown]
	s_and_saveexec_b64 s[16:17], vcc
	s_cbranch_execz .LBB34_242
; %bb.215:
	global_load_dword v15, v[16:17], off offset:2048
	v_or_b32_e32 v3, 0x300, v0
	v_cmp_gt_u32_e32 vcc, s8, v3
	v_mov_b32_e32 v18, 0
	v_mov_b32_e32 v19, 0
	;; [unrolled: 1-line block ×13, first 2 shown]
	s_and_saveexec_b64 s[18:19], vcc
	s_cbranch_execz .LBB34_241
; %bb.216:
	global_load_dword v18, v[16:17], off offset:3072
	v_or_b32_e32 v3, 0x400, v0
	v_cmp_gt_u32_e32 vcc, s8, v3
	v_mov_b32_e32 v19, 0
	v_mov_b32_e32 v14, 0
	;; [unrolled: 1-line block ×12, first 2 shown]
	s_and_saveexec_b64 s[20:21], vcc
	s_cbranch_execz .LBB34_240
; %bb.217:
	v_or_b32_e32 v13, s2, v3
	v_mov_b32_e32 v14, 0
	v_lshlrev_b64 v[3:4], 2, v[13:14]
	v_mov_b32_e32 v5, s15
	v_add_co_u32_e32 v3, vcc, s14, v3
	v_addc_co_u32_e32 v4, vcc, v5, v4, vcc
	global_load_dword v19, v[3:4], off
	v_or_b32_e32 v3, 0x500, v0
	v_cmp_gt_u32_e32 vcc, s8, v3
	v_mov_b32_e32 v13, v14
	v_mov_b32_e32 v12, v14
	;; [unrolled: 1-line block ×10, first 2 shown]
	s_and_saveexec_b64 s[22:23], vcc
	s_cbranch_execz .LBB34_239
; %bb.218:
	v_or_b32_e32 v12, s2, v3
	v_mov_b32_e32 v13, 0
	v_lshlrev_b64 v[3:4], 2, v[12:13]
	v_mov_b32_e32 v5, s15
	v_add_co_u32_e32 v3, vcc, s14, v3
	v_addc_co_u32_e32 v4, vcc, v5, v4, vcc
	global_load_dword v14, v[3:4], off
	v_or_b32_e32 v3, 0x600, v0
	v_cmp_gt_u32_e32 vcc, s8, v3
	v_mov_b32_e32 v12, v13
	v_mov_b32_e32 v11, v13
	;; [unrolled: 1-line block ×9, first 2 shown]
	s_and_saveexec_b64 s[24:25], vcc
	s_cbranch_execz .LBB34_238
; %bb.219:
	v_or_b32_e32 v11, s2, v3
	v_mov_b32_e32 v12, 0
	v_lshlrev_b64 v[3:4], 2, v[11:12]
	v_mov_b32_e32 v5, s15
	v_add_co_u32_e32 v3, vcc, s14, v3
	v_addc_co_u32_e32 v4, vcc, v5, v4, vcc
	global_load_dword v13, v[3:4], off
	v_or_b32_e32 v3, 0x700, v0
	v_cmp_gt_u32_e32 vcc, s8, v3
	v_mov_b32_e32 v11, v12
	v_mov_b32_e32 v10, v12
	;; [unrolled: 1-line block ×8, first 2 shown]
	s_and_saveexec_b64 s[26:27], vcc
	s_cbranch_execz .LBB34_237
; %bb.220:
	v_or_b32_e32 v10, s2, v3
	v_mov_b32_e32 v11, 0
	v_lshlrev_b64 v[3:4], 2, v[10:11]
	v_mov_b32_e32 v5, s15
	v_add_co_u32_e32 v3, vcc, s14, v3
	v_addc_co_u32_e32 v4, vcc, v5, v4, vcc
	global_load_dword v12, v[3:4], off
	v_or_b32_e32 v3, 0x800, v0
	v_cmp_gt_u32_e32 vcc, s8, v3
	v_mov_b32_e32 v10, v11
	v_mov_b32_e32 v9, v11
	;; [unrolled: 1-line block ×7, first 2 shown]
	s_and_saveexec_b64 s[28:29], vcc
	s_cbranch_execz .LBB34_236
; %bb.221:
	v_or_b32_e32 v9, s2, v3
	v_mov_b32_e32 v10, 0
	v_lshlrev_b64 v[3:4], 2, v[9:10]
	v_mov_b32_e32 v5, s15
	v_add_co_u32_e32 v3, vcc, s14, v3
	v_addc_co_u32_e32 v4, vcc, v5, v4, vcc
	global_load_dword v11, v[3:4], off
	v_or_b32_e32 v3, 0x900, v0
	v_cmp_gt_u32_e32 vcc, s8, v3
	v_mov_b32_e32 v9, v10
	v_mov_b32_e32 v8, v10
	;; [unrolled: 1-line block ×6, first 2 shown]
	s_and_saveexec_b64 s[30:31], vcc
	s_cbranch_execz .LBB34_235
; %bb.222:
	v_or_b32_e32 v8, s2, v3
	v_mov_b32_e32 v9, 0
	v_lshlrev_b64 v[3:4], 2, v[8:9]
	v_mov_b32_e32 v5, s15
	v_add_co_u32_e32 v3, vcc, s14, v3
	v_addc_co_u32_e32 v4, vcc, v5, v4, vcc
	global_load_dword v10, v[3:4], off
	v_or_b32_e32 v3, 0xa00, v0
	v_cmp_gt_u32_e32 vcc, s8, v3
	v_mov_b32_e32 v8, v9
	v_mov_b32_e32 v7, v9
	;; [unrolled: 1-line block ×5, first 2 shown]
	s_and_saveexec_b64 s[34:35], vcc
	s_cbranch_execz .LBB34_234
; %bb.223:
	v_or_b32_e32 v7, s2, v3
	v_mov_b32_e32 v8, 0
	v_lshlrev_b64 v[3:4], 2, v[7:8]
	v_mov_b32_e32 v5, s15
	v_add_co_u32_e32 v3, vcc, s14, v3
	v_addc_co_u32_e32 v4, vcc, v5, v4, vcc
	global_load_dword v9, v[3:4], off
	v_or_b32_e32 v3, 0xb00, v0
	v_cmp_gt_u32_e32 vcc, s8, v3
	v_mov_b32_e32 v7, v8
	v_mov_b32_e32 v6, v8
	v_mov_b32_e32 v5, v8
	v_mov_b32_e32 v4, v8
	s_and_saveexec_b64 s[36:37], vcc
	s_cbranch_execz .LBB34_233
; %bb.224:
	v_or_b32_e32 v6, s2, v3
	v_mov_b32_e32 v7, 0
	v_lshlrev_b64 v[3:4], 2, v[6:7]
	v_mov_b32_e32 v5, s15
	v_add_co_u32_e32 v3, vcc, s14, v3
	v_addc_co_u32_e32 v4, vcc, v5, v4, vcc
	global_load_dword v8, v[3:4], off
	v_or_b32_e32 v3, 0xc00, v0
	v_cmp_gt_u32_e32 vcc, s8, v3
	v_mov_b32_e32 v6, v7
	v_mov_b32_e32 v5, v7
	v_mov_b32_e32 v4, v7
	s_and_saveexec_b64 s[38:39], vcc
	s_cbranch_execz .LBB34_232
; %bb.225:
	v_or_b32_e32 v5, s2, v3
	v_mov_b32_e32 v6, 0
	v_lshlrev_b64 v[3:4], 2, v[5:6]
	v_mov_b32_e32 v5, s15
	v_add_co_u32_e32 v3, vcc, s14, v3
	v_addc_co_u32_e32 v4, vcc, v5, v4, vcc
	global_load_dword v7, v[3:4], off
	v_or_b32_e32 v3, 0xd00, v0
	v_cmp_gt_u32_e32 vcc, s8, v3
	v_mov_b32_e32 v5, v6
	v_mov_b32_e32 v4, v6
	s_and_saveexec_b64 s[40:41], vcc
	s_cbranch_execz .LBB34_231
; %bb.226:
	v_add_u32_e32 v4, s2, v3
	v_mov_b32_e32 v5, 0
	v_lshlrev_b64 v[3:4], 2, v[4:5]
	v_mov_b32_e32 v6, s15
	v_add_co_u32_e32 v3, vcc, s14, v3
	v_addc_co_u32_e32 v4, vcc, v6, v4, vcc
	global_load_dword v6, v[3:4], off
	v_or_b32_e32 v3, 0xe00, v0
	v_cmp_gt_u32_e32 vcc, s8, v3
	v_mov_b32_e32 v4, v5
	s_and_saveexec_b64 s[42:43], vcc
	s_cbranch_execz .LBB34_230
; %bb.227:
	v_add_u32_e32 v3, s2, v3
	v_mov_b32_e32 v4, 0
	v_lshlrev_b64 v[16:17], 2, v[3:4]
	v_mov_b32_e32 v3, s15
	v_add_co_u32_e32 v16, vcc, s14, v16
	v_addc_co_u32_e32 v17, vcc, v3, v17, vcc
	global_load_dword v5, v[16:17], off
	v_or_b32_e32 v3, 0xf00, v0
	v_cmp_gt_u32_e32 vcc, s8, v3
	s_and_saveexec_b64 s[44:45], vcc
	s_cbranch_execz .LBB34_229
; %bb.228:
	v_add_u32_e32 v3, s2, v3
	v_mov_b32_e32 v4, 0
	v_lshlrev_b64 v[3:4], 2, v[3:4]
	v_mov_b32_e32 v16, s15
	v_add_co_u32_e32 v3, vcc, s14, v3
	v_addc_co_u32_e32 v4, vcc, v16, v4, vcc
	global_load_dword v4, v[3:4], off
.LBB34_229:
	s_or_b64 exec, exec, s[44:45]
.LBB34_230:
	s_or_b64 exec, exec, s[42:43]
.LBB34_231:
	s_or_b64 exec, exec, s[40:41]
.LBB34_232:
	s_or_b64 exec, exec, s[38:39]
.LBB34_233:
	s_or_b64 exec, exec, s[36:37]
.LBB34_234:
	s_or_b64 exec, exec, s[34:35]
.LBB34_235:
	s_or_b64 exec, exec, s[30:31]
.LBB34_236:
	s_or_b64 exec, exec, s[28:29]
.LBB34_237:
	s_or_b64 exec, exec, s[26:27]
.LBB34_238:
	s_or_b64 exec, exec, s[24:25]
.LBB34_239:
	s_or_b64 exec, exec, s[22:23]
.LBB34_240:
	s_or_b64 exec, exec, s[20:21]
.LBB34_241:
	s_or_b64 exec, exec, s[18:19]
.LBB34_242:
	s_or_b64 exec, exec, s[16:17]
.LBB34_243:
	s_or_b64 exec, exec, s[6:7]
.LBB34_244:
	s_or_b64 exec, exec, s[4:5]
                                        ; implicit-def: $vgpr3
	s_and_saveexec_b64 s[4:5], s[0:1]
	s_cbranch_execz .LBB34_276
; %bb.245:
	s_cmp_lt_i32 s9, 1
	s_mov_b64 s[6:7], 0
	s_cbranch_scc1 .LBB34_250
; %bb.246:
	s_cmp_gt_i32 s9, 1
	s_cbranch_scc0 .LBB34_266
; %bb.247:
	s_cmp_eq_u32 s9, 2
	s_cbranch_scc0 .LBB34_267
; %bb.248:
	s_waitcnt vmcnt(0)
	v_cmp_ge_i32_e64 s[14:15], s10, v20
	s_mov_b64 s[16:17], 0
	s_branch .LBB34_268
.LBB34_249:
	s_waitcnt vmcnt(0)
	v_cmp_gt_i32_e32 vcc, s10, v4
	s_andn2_b64 s[42:43], s[42:43], exec
	s_and_b64 s[46:47], vcc, exec
	s_or_b64 s[42:43], s[42:43], s[46:47]
	s_cbranch_execz .LBB34_209
	s_branch .LBB34_210
.LBB34_250:
                                        ; implicit-def: $sgpr14_sgpr15
	s_mov_b64 s[16:17], 0
	s_cbranch_execnz .LBB34_271
	s_branch .LBB34_272
.LBB34_251:
	s_mov_b64 s[16:17], -1
                                        ; implicit-def: $sgpr4_sgpr5
	s_branch .LBB34_23
.LBB34_252:
	s_mov_b64 s[18:19], -1
                                        ; implicit-def: $sgpr6_sgpr7
	s_branch .LBB34_36
.LBB34_253:
	s_mov_b64 s[20:21], -1
                                        ; implicit-def: $sgpr16_sgpr17
	s_branch .LBB34_49
.LBB34_254:
	s_mov_b64 s[22:23], -1
                                        ; implicit-def: $sgpr18_sgpr19
	s_branch .LBB34_62
.LBB34_255:
	s_mov_b64 s[24:25], -1
                                        ; implicit-def: $sgpr20_sgpr21
	s_branch .LBB34_75
.LBB34_256:
	s_mov_b64 s[26:27], -1
                                        ; implicit-def: $sgpr22_sgpr23
	s_branch .LBB34_88
.LBB34_257:
	s_mov_b64 s[28:29], -1
                                        ; implicit-def: $sgpr24_sgpr25
	s_branch .LBB34_101
.LBB34_258:
	s_mov_b64 s[30:31], -1
                                        ; implicit-def: $sgpr26_sgpr27
	s_branch .LBB34_114
.LBB34_259:
	s_mov_b64 s[34:35], -1
                                        ; implicit-def: $sgpr28_sgpr29
	s_branch .LBB34_127
.LBB34_260:
	s_mov_b64 s[36:37], -1
                                        ; implicit-def: $sgpr30_sgpr31
	s_branch .LBB34_140
.LBB34_261:
	s_mov_b64 s[38:39], -1
                                        ; implicit-def: $sgpr34_sgpr35
	s_branch .LBB34_153
.LBB34_262:
	s_mov_b64 s[40:41], -1
                                        ; implicit-def: $sgpr36_sgpr37
	s_branch .LBB34_166
.LBB34_263:
	s_mov_b64 s[42:43], -1
                                        ; implicit-def: $sgpr38_sgpr39
	s_branch .LBB34_179
.LBB34_264:
	s_mov_b64 s[44:45], -1
                                        ; implicit-def: $sgpr40_sgpr41
	s_branch .LBB34_192
.LBB34_265:
	s_mov_b64 s[46:47], -1
                                        ; implicit-def: $sgpr42_sgpr43
	s_branch .LBB34_205
.LBB34_266:
	s_mov_b64 s[16:17], 0
                                        ; implicit-def: $sgpr14_sgpr15
	s_cbranch_execnz .LBB34_269
	s_branch .LBB34_270
.LBB34_267:
	s_mov_b64 s[16:17], -1
                                        ; implicit-def: $sgpr14_sgpr15
.LBB34_268:
	s_branch .LBB34_270
.LBB34_269:
	s_waitcnt vmcnt(0)
	v_cmp_lt_i32_e32 vcc, s10, v20
	s_andn2_b64 s[14:15], s[14:15], exec
	s_and_b64 s[18:19], vcc, exec
	s_or_b64 s[14:15], s[14:15], s[18:19]
.LBB34_270:
	s_branch .LBB34_272
.LBB34_271:
	s_cmp_lg_u32 s9, 0
	s_mov_b64 s[6:7], -1
	s_cselect_b64 s[16:17], -1, 0
.LBB34_272:
	s_andn2_b64 vcc, exec, s[16:17]
	s_cbranch_vccz .LBB34_281
; %bb.273:
	s_andn2_b64 vcc, exec, s[6:7]
	s_cbranch_vccnz .LBB34_275
.LBB34_274:
	s_waitcnt vmcnt(0)
	v_cmp_le_i32_e32 vcc, s10, v20
	s_andn2_b64 s[6:7], s[14:15], exec
	s_and_b64 s[14:15], vcc, exec
	s_or_b64 s[14:15], s[6:7], s[14:15]
.LBB34_275:
	v_cndmask_b32_e64 v3, 0, 1, s[14:15]
.LBB34_276:
	s_or_b64 exec, exec, s[4:5]
	v_or_b32_e32 v16, 0x100, v0
	v_cmp_gt_i32_e32 vcc, s8, v16
                                        ; implicit-def: $vgpr17
	s_and_saveexec_b64 s[4:5], vcc
	s_cbranch_execz .LBB34_291
; %bb.277:
	s_cmp_lt_i32 s9, 1
	s_mov_b64 s[6:7], 0
	s_cbranch_scc1 .LBB34_282
; %bb.278:
	s_cmp_gt_i32 s9, 1
	s_cbranch_scc0 .LBB34_283
; %bb.279:
	s_cmp_eq_u32 s9, 2
	s_cbranch_scc0 .LBB34_535
; %bb.280:
	s_waitcnt vmcnt(0)
	v_cmp_ge_i32_e64 s[14:15], s10, v2
	s_mov_b64 s[16:17], 0
	s_branch .LBB34_285
.LBB34_281:
	s_waitcnt vmcnt(0)
	v_cmp_gt_i32_e32 vcc, s10, v20
	s_andn2_b64 s[14:15], s[14:15], exec
	s_and_b64 s[16:17], vcc, exec
	s_or_b64 s[14:15], s[14:15], s[16:17]
	s_cbranch_execz .LBB34_274
	s_branch .LBB34_275
.LBB34_282:
                                        ; implicit-def: $sgpr14_sgpr15
	s_mov_b64 s[16:17], 0
	s_cbranch_execnz .LBB34_286
	s_branch .LBB34_287
.LBB34_283:
	s_mov_b64 s[16:17], 0
                                        ; implicit-def: $sgpr14_sgpr15
	s_cbranch_execz .LBB34_285
; %bb.284:
	s_waitcnt vmcnt(0)
	v_cmp_lt_i32_e32 vcc, s10, v2
	s_andn2_b64 s[14:15], s[14:15], exec
	s_and_b64 s[18:19], vcc, exec
	s_or_b64 s[14:15], s[14:15], s[18:19]
.LBB34_285:
	s_branch .LBB34_287
.LBB34_286:
	s_cmp_lg_u32 s9, 0
	s_mov_b64 s[6:7], -1
	s_cselect_b64 s[16:17], -1, 0
.LBB34_287:
	s_andn2_b64 vcc, exec, s[16:17]
	s_cbranch_vccz .LBB34_296
; %bb.288:
	s_andn2_b64 vcc, exec, s[6:7]
	s_cbranch_vccnz .LBB34_290
.LBB34_289:
	s_waitcnt vmcnt(0)
	v_cmp_le_i32_e32 vcc, s10, v2
	s_andn2_b64 s[6:7], s[14:15], exec
	s_and_b64 s[14:15], vcc, exec
	s_or_b64 s[14:15], s[6:7], s[14:15]
.LBB34_290:
	v_cndmask_b32_e64 v17, 0, 1, s[14:15]
.LBB34_291:
	s_or_b64 exec, exec, s[4:5]
	s_waitcnt vmcnt(0)
	v_or_b32_e32 v2, 0x200, v0
	v_cmp_gt_i32_e32 vcc, s8, v2
                                        ; implicit-def: $vgpr2
	s_and_saveexec_b64 s[4:5], vcc
	s_cbranch_execz .LBB34_306
; %bb.292:
	s_cmp_lt_i32 s9, 1
	s_mov_b64 s[6:7], 0
	s_cbranch_scc1 .LBB34_297
; %bb.293:
	s_cmp_gt_i32 s9, 1
	s_cbranch_scc0 .LBB34_298
; %bb.294:
	s_cmp_eq_u32 s9, 2
	s_cbranch_scc0 .LBB34_536
; %bb.295:
	v_cmp_ge_i32_e64 s[14:15], s10, v15
	s_mov_b64 s[16:17], 0
	s_branch .LBB34_300
.LBB34_296:
	s_waitcnt vmcnt(0)
	v_cmp_gt_i32_e32 vcc, s10, v2
	s_andn2_b64 s[14:15], s[14:15], exec
	s_and_b64 s[16:17], vcc, exec
	s_or_b64 s[14:15], s[14:15], s[16:17]
	s_cbranch_execz .LBB34_289
	s_branch .LBB34_290
.LBB34_297:
                                        ; implicit-def: $sgpr14_sgpr15
	s_mov_b64 s[16:17], 0
	s_cbranch_execnz .LBB34_301
	s_branch .LBB34_302
.LBB34_298:
	s_mov_b64 s[16:17], 0
                                        ; implicit-def: $sgpr14_sgpr15
	s_cbranch_execz .LBB34_300
; %bb.299:
	v_cmp_lt_i32_e32 vcc, s10, v15
	s_andn2_b64 s[14:15], s[14:15], exec
	s_and_b64 s[18:19], vcc, exec
	s_or_b64 s[14:15], s[14:15], s[18:19]
.LBB34_300:
	s_branch .LBB34_302
.LBB34_301:
	s_cmp_lg_u32 s9, 0
	s_mov_b64 s[6:7], -1
	s_cselect_b64 s[16:17], -1, 0
.LBB34_302:
	s_andn2_b64 vcc, exec, s[16:17]
	s_cbranch_vccz .LBB34_311
; %bb.303:
	s_andn2_b64 vcc, exec, s[6:7]
	s_cbranch_vccnz .LBB34_305
.LBB34_304:
	v_cmp_le_i32_e32 vcc, s10, v15
	s_andn2_b64 s[6:7], s[14:15], exec
	s_and_b64 s[14:15], vcc, exec
	s_or_b64 s[14:15], s[6:7], s[14:15]
.LBB34_305:
	v_cndmask_b32_e64 v2, 0, 1, s[14:15]
.LBB34_306:
	s_or_b64 exec, exec, s[4:5]
	v_or_b32_e32 v15, 0x300, v0
	v_cmp_gt_i32_e32 vcc, s8, v15
                                        ; implicit-def: $vgpr15
	s_and_saveexec_b64 s[4:5], vcc
	s_cbranch_execz .LBB34_321
; %bb.307:
	s_cmp_lt_i32 s9, 1
	s_mov_b64 s[6:7], 0
	s_cbranch_scc1 .LBB34_312
; %bb.308:
	s_cmp_gt_i32 s9, 1
	s_cbranch_scc0 .LBB34_313
; %bb.309:
	s_cmp_eq_u32 s9, 2
	s_cbranch_scc0 .LBB34_537
; %bb.310:
	v_cmp_ge_i32_e64 s[14:15], s10, v18
	s_mov_b64 s[16:17], 0
	s_branch .LBB34_315
.LBB34_311:
	v_cmp_gt_i32_e32 vcc, s10, v15
	s_andn2_b64 s[14:15], s[14:15], exec
	s_and_b64 s[16:17], vcc, exec
	s_or_b64 s[14:15], s[14:15], s[16:17]
	s_cbranch_execz .LBB34_304
	s_branch .LBB34_305
.LBB34_312:
                                        ; implicit-def: $sgpr14_sgpr15
	s_mov_b64 s[16:17], 0
	s_cbranch_execnz .LBB34_316
	s_branch .LBB34_317
.LBB34_313:
	s_mov_b64 s[16:17], 0
                                        ; implicit-def: $sgpr14_sgpr15
	s_cbranch_execz .LBB34_315
; %bb.314:
	v_cmp_lt_i32_e32 vcc, s10, v18
	s_andn2_b64 s[14:15], s[14:15], exec
	s_and_b64 s[18:19], vcc, exec
	s_or_b64 s[14:15], s[14:15], s[18:19]
.LBB34_315:
	s_branch .LBB34_317
.LBB34_316:
	s_cmp_lg_u32 s9, 0
	s_mov_b64 s[6:7], -1
	s_cselect_b64 s[16:17], -1, 0
.LBB34_317:
	s_andn2_b64 vcc, exec, s[16:17]
	s_cbranch_vccz .LBB34_326
; %bb.318:
	s_andn2_b64 vcc, exec, s[6:7]
	s_cbranch_vccnz .LBB34_320
.LBB34_319:
	v_cmp_le_i32_e32 vcc, s10, v18
	s_andn2_b64 s[6:7], s[14:15], exec
	s_and_b64 s[14:15], vcc, exec
	s_or_b64 s[14:15], s[6:7], s[14:15]
.LBB34_320:
	v_cndmask_b32_e64 v15, 0, 1, s[14:15]
.LBB34_321:
	s_or_b64 exec, exec, s[4:5]
	v_or_b32_e32 v18, 0x400, v0
	v_cmp_gt_i32_e32 vcc, s8, v18
                                        ; implicit-def: $vgpr18
	s_and_saveexec_b64 s[4:5], vcc
	s_cbranch_execz .LBB34_336
; %bb.322:
	s_cmp_lt_i32 s9, 1
	s_mov_b64 s[6:7], 0
	s_cbranch_scc1 .LBB34_327
; %bb.323:
	s_cmp_gt_i32 s9, 1
	s_cbranch_scc0 .LBB34_328
; %bb.324:
	s_cmp_eq_u32 s9, 2
	s_cbranch_scc0 .LBB34_538
; %bb.325:
	v_cmp_ge_i32_e64 s[14:15], s10, v19
	s_mov_b64 s[16:17], 0
	s_branch .LBB34_330
.LBB34_326:
	v_cmp_gt_i32_e32 vcc, s10, v18
	s_andn2_b64 s[14:15], s[14:15], exec
	s_and_b64 s[16:17], vcc, exec
	s_or_b64 s[14:15], s[14:15], s[16:17]
	s_cbranch_execz .LBB34_319
	s_branch .LBB34_320
.LBB34_327:
                                        ; implicit-def: $sgpr14_sgpr15
	s_mov_b64 s[16:17], 0
	s_cbranch_execnz .LBB34_331
	s_branch .LBB34_332
.LBB34_328:
	s_mov_b64 s[16:17], 0
                                        ; implicit-def: $sgpr14_sgpr15
	s_cbranch_execz .LBB34_330
; %bb.329:
	v_cmp_lt_i32_e32 vcc, s10, v19
	s_andn2_b64 s[14:15], s[14:15], exec
	s_and_b64 s[18:19], vcc, exec
	s_or_b64 s[14:15], s[14:15], s[18:19]
.LBB34_330:
	s_branch .LBB34_332
.LBB34_331:
	s_cmp_lg_u32 s9, 0
	s_mov_b64 s[6:7], -1
	s_cselect_b64 s[16:17], -1, 0
.LBB34_332:
	s_andn2_b64 vcc, exec, s[16:17]
	s_cbranch_vccz .LBB34_341
; %bb.333:
	s_andn2_b64 vcc, exec, s[6:7]
	s_cbranch_vccnz .LBB34_335
.LBB34_334:
	v_cmp_le_i32_e32 vcc, s10, v19
	s_andn2_b64 s[6:7], s[14:15], exec
	s_and_b64 s[14:15], vcc, exec
	s_or_b64 s[14:15], s[6:7], s[14:15]
.LBB34_335:
	v_cndmask_b32_e64 v18, 0, 1, s[14:15]
.LBB34_336:
	s_or_b64 exec, exec, s[4:5]
	v_or_b32_e32 v19, 0x500, v0
	v_cmp_gt_i32_e32 vcc, s8, v19
                                        ; implicit-def: $vgpr19
	s_and_saveexec_b64 s[4:5], vcc
	s_cbranch_execz .LBB34_351
; %bb.337:
	s_cmp_lt_i32 s9, 1
	s_mov_b64 s[6:7], 0
	s_cbranch_scc1 .LBB34_342
; %bb.338:
	s_cmp_gt_i32 s9, 1
	s_cbranch_scc0 .LBB34_343
; %bb.339:
	s_cmp_eq_u32 s9, 2
	s_cbranch_scc0 .LBB34_539
; %bb.340:
	v_cmp_ge_i32_e64 s[14:15], s10, v14
	s_mov_b64 s[16:17], 0
	s_branch .LBB34_345
.LBB34_341:
	v_cmp_gt_i32_e32 vcc, s10, v19
	s_andn2_b64 s[14:15], s[14:15], exec
	s_and_b64 s[16:17], vcc, exec
	s_or_b64 s[14:15], s[14:15], s[16:17]
	s_cbranch_execz .LBB34_334
	s_branch .LBB34_335
.LBB34_342:
                                        ; implicit-def: $sgpr14_sgpr15
	s_mov_b64 s[16:17], 0
	s_cbranch_execnz .LBB34_346
	s_branch .LBB34_347
.LBB34_343:
	s_mov_b64 s[16:17], 0
                                        ; implicit-def: $sgpr14_sgpr15
	s_cbranch_execz .LBB34_345
; %bb.344:
	v_cmp_lt_i32_e32 vcc, s10, v14
	s_andn2_b64 s[14:15], s[14:15], exec
	s_and_b64 s[18:19], vcc, exec
	s_or_b64 s[14:15], s[14:15], s[18:19]
.LBB34_345:
	s_branch .LBB34_347
.LBB34_346:
	s_cmp_lg_u32 s9, 0
	s_mov_b64 s[6:7], -1
	s_cselect_b64 s[16:17], -1, 0
.LBB34_347:
	s_andn2_b64 vcc, exec, s[16:17]
	s_cbranch_vccz .LBB34_356
; %bb.348:
	s_andn2_b64 vcc, exec, s[6:7]
	s_cbranch_vccnz .LBB34_350
.LBB34_349:
	v_cmp_le_i32_e32 vcc, s10, v14
	s_andn2_b64 s[6:7], s[14:15], exec
	s_and_b64 s[14:15], vcc, exec
	s_or_b64 s[14:15], s[6:7], s[14:15]
.LBB34_350:
	v_cndmask_b32_e64 v19, 0, 1, s[14:15]
.LBB34_351:
	s_or_b64 exec, exec, s[4:5]
	v_or_b32_e32 v14, 0x600, v0
	v_cmp_gt_i32_e32 vcc, s8, v14
                                        ; implicit-def: $vgpr14
	s_and_saveexec_b64 s[4:5], vcc
	s_cbranch_execz .LBB34_366
; %bb.352:
	s_cmp_lt_i32 s9, 1
	s_mov_b64 s[6:7], 0
	s_cbranch_scc1 .LBB34_357
; %bb.353:
	s_cmp_gt_i32 s9, 1
	s_cbranch_scc0 .LBB34_358
; %bb.354:
	s_cmp_eq_u32 s9, 2
	s_cbranch_scc0 .LBB34_540
; %bb.355:
	v_cmp_ge_i32_e64 s[14:15], s10, v13
	s_mov_b64 s[16:17], 0
	s_branch .LBB34_360
.LBB34_356:
	v_cmp_gt_i32_e32 vcc, s10, v14
	s_andn2_b64 s[14:15], s[14:15], exec
	s_and_b64 s[16:17], vcc, exec
	s_or_b64 s[14:15], s[14:15], s[16:17]
	s_cbranch_execz .LBB34_349
	s_branch .LBB34_350
.LBB34_357:
                                        ; implicit-def: $sgpr14_sgpr15
	s_mov_b64 s[16:17], 0
	s_cbranch_execnz .LBB34_361
	s_branch .LBB34_362
.LBB34_358:
	s_mov_b64 s[16:17], 0
                                        ; implicit-def: $sgpr14_sgpr15
	s_cbranch_execz .LBB34_360
; %bb.359:
	v_cmp_lt_i32_e32 vcc, s10, v13
	s_andn2_b64 s[14:15], s[14:15], exec
	s_and_b64 s[18:19], vcc, exec
	s_or_b64 s[14:15], s[14:15], s[18:19]
.LBB34_360:
	s_branch .LBB34_362
.LBB34_361:
	s_cmp_lg_u32 s9, 0
	s_mov_b64 s[6:7], -1
	s_cselect_b64 s[16:17], -1, 0
.LBB34_362:
	s_andn2_b64 vcc, exec, s[16:17]
	s_cbranch_vccz .LBB34_371
; %bb.363:
	s_andn2_b64 vcc, exec, s[6:7]
	s_cbranch_vccnz .LBB34_365
.LBB34_364:
	v_cmp_le_i32_e32 vcc, s10, v13
	s_andn2_b64 s[6:7], s[14:15], exec
	s_and_b64 s[14:15], vcc, exec
	s_or_b64 s[14:15], s[6:7], s[14:15]
.LBB34_365:
	v_cndmask_b32_e64 v14, 0, 1, s[14:15]
.LBB34_366:
	s_or_b64 exec, exec, s[4:5]
	v_or_b32_e32 v13, 0x700, v0
	v_cmp_gt_i32_e32 vcc, s8, v13
                                        ; implicit-def: $vgpr13
	s_and_saveexec_b64 s[4:5], vcc
	s_cbranch_execz .LBB34_381
; %bb.367:
	s_cmp_lt_i32 s9, 1
	s_mov_b64 s[6:7], 0
	s_cbranch_scc1 .LBB34_372
; %bb.368:
	s_cmp_gt_i32 s9, 1
	s_cbranch_scc0 .LBB34_373
; %bb.369:
	s_cmp_eq_u32 s9, 2
	s_cbranch_scc0 .LBB34_541
; %bb.370:
	v_cmp_ge_i32_e64 s[14:15], s10, v12
	s_mov_b64 s[16:17], 0
	s_branch .LBB34_375
.LBB34_371:
	v_cmp_gt_i32_e32 vcc, s10, v13
	s_andn2_b64 s[14:15], s[14:15], exec
	s_and_b64 s[16:17], vcc, exec
	s_or_b64 s[14:15], s[14:15], s[16:17]
	s_cbranch_execz .LBB34_364
	s_branch .LBB34_365
.LBB34_372:
                                        ; implicit-def: $sgpr14_sgpr15
	s_mov_b64 s[16:17], 0
	s_cbranch_execnz .LBB34_376
	s_branch .LBB34_377
.LBB34_373:
	s_mov_b64 s[16:17], 0
                                        ; implicit-def: $sgpr14_sgpr15
	s_cbranch_execz .LBB34_375
; %bb.374:
	v_cmp_lt_i32_e32 vcc, s10, v12
	s_andn2_b64 s[14:15], s[14:15], exec
	s_and_b64 s[18:19], vcc, exec
	s_or_b64 s[14:15], s[14:15], s[18:19]
.LBB34_375:
	s_branch .LBB34_377
.LBB34_376:
	s_cmp_lg_u32 s9, 0
	s_mov_b64 s[6:7], -1
	s_cselect_b64 s[16:17], -1, 0
.LBB34_377:
	s_andn2_b64 vcc, exec, s[16:17]
	s_cbranch_vccz .LBB34_386
; %bb.378:
	s_andn2_b64 vcc, exec, s[6:7]
	s_cbranch_vccnz .LBB34_380
.LBB34_379:
	v_cmp_le_i32_e32 vcc, s10, v12
	s_andn2_b64 s[6:7], s[14:15], exec
	s_and_b64 s[14:15], vcc, exec
	s_or_b64 s[14:15], s[6:7], s[14:15]
.LBB34_380:
	v_cndmask_b32_e64 v13, 0, 1, s[14:15]
.LBB34_381:
	s_or_b64 exec, exec, s[4:5]
	v_or_b32_e32 v12, 0x800, v0
	v_cmp_gt_i32_e32 vcc, s8, v12
                                        ; implicit-def: $vgpr12
	s_and_saveexec_b64 s[4:5], vcc
	s_cbranch_execz .LBB34_396
; %bb.382:
	s_cmp_lt_i32 s9, 1
	s_mov_b64 s[6:7], 0
	s_cbranch_scc1 .LBB34_387
; %bb.383:
	s_cmp_gt_i32 s9, 1
	s_cbranch_scc0 .LBB34_388
; %bb.384:
	s_cmp_eq_u32 s9, 2
	s_cbranch_scc0 .LBB34_542
; %bb.385:
	v_cmp_ge_i32_e64 s[14:15], s10, v11
	s_mov_b64 s[16:17], 0
	s_branch .LBB34_390
.LBB34_386:
	v_cmp_gt_i32_e32 vcc, s10, v12
	s_andn2_b64 s[14:15], s[14:15], exec
	s_and_b64 s[16:17], vcc, exec
	s_or_b64 s[14:15], s[14:15], s[16:17]
	s_cbranch_execz .LBB34_379
	s_branch .LBB34_380
.LBB34_387:
                                        ; implicit-def: $sgpr14_sgpr15
	s_mov_b64 s[16:17], 0
	s_cbranch_execnz .LBB34_391
	s_branch .LBB34_392
.LBB34_388:
	s_mov_b64 s[16:17], 0
                                        ; implicit-def: $sgpr14_sgpr15
	s_cbranch_execz .LBB34_390
; %bb.389:
	v_cmp_lt_i32_e32 vcc, s10, v11
	s_andn2_b64 s[14:15], s[14:15], exec
	s_and_b64 s[18:19], vcc, exec
	s_or_b64 s[14:15], s[14:15], s[18:19]
.LBB34_390:
	s_branch .LBB34_392
.LBB34_391:
	s_cmp_lg_u32 s9, 0
	s_mov_b64 s[6:7], -1
	s_cselect_b64 s[16:17], -1, 0
.LBB34_392:
	s_andn2_b64 vcc, exec, s[16:17]
	s_cbranch_vccz .LBB34_401
; %bb.393:
	s_andn2_b64 vcc, exec, s[6:7]
	s_cbranch_vccnz .LBB34_395
.LBB34_394:
	v_cmp_le_i32_e32 vcc, s10, v11
	s_andn2_b64 s[6:7], s[14:15], exec
	s_and_b64 s[14:15], vcc, exec
	s_or_b64 s[14:15], s[6:7], s[14:15]
.LBB34_395:
	v_cndmask_b32_e64 v12, 0, 1, s[14:15]
.LBB34_396:
	s_or_b64 exec, exec, s[4:5]
	v_or_b32_e32 v11, 0x900, v0
	v_cmp_gt_i32_e32 vcc, s8, v11
                                        ; implicit-def: $vgpr11
	s_and_saveexec_b64 s[4:5], vcc
	s_cbranch_execz .LBB34_411
; %bb.397:
	s_cmp_lt_i32 s9, 1
	s_mov_b64 s[6:7], 0
	s_cbranch_scc1 .LBB34_402
; %bb.398:
	s_cmp_gt_i32 s9, 1
	s_cbranch_scc0 .LBB34_403
; %bb.399:
	s_cmp_eq_u32 s9, 2
	s_cbranch_scc0 .LBB34_543
; %bb.400:
	v_cmp_ge_i32_e64 s[14:15], s10, v10
	s_mov_b64 s[16:17], 0
	s_branch .LBB34_405
.LBB34_401:
	v_cmp_gt_i32_e32 vcc, s10, v11
	s_andn2_b64 s[14:15], s[14:15], exec
	s_and_b64 s[16:17], vcc, exec
	s_or_b64 s[14:15], s[14:15], s[16:17]
	s_cbranch_execz .LBB34_394
	s_branch .LBB34_395
.LBB34_402:
                                        ; implicit-def: $sgpr14_sgpr15
	s_mov_b64 s[16:17], 0
	s_cbranch_execnz .LBB34_406
	s_branch .LBB34_407
.LBB34_403:
	s_mov_b64 s[16:17], 0
                                        ; implicit-def: $sgpr14_sgpr15
	s_cbranch_execz .LBB34_405
; %bb.404:
	v_cmp_lt_i32_e32 vcc, s10, v10
	s_andn2_b64 s[14:15], s[14:15], exec
	s_and_b64 s[18:19], vcc, exec
	s_or_b64 s[14:15], s[14:15], s[18:19]
.LBB34_405:
	s_branch .LBB34_407
.LBB34_406:
	s_cmp_lg_u32 s9, 0
	s_mov_b64 s[6:7], -1
	s_cselect_b64 s[16:17], -1, 0
.LBB34_407:
	s_andn2_b64 vcc, exec, s[16:17]
	s_cbranch_vccz .LBB34_416
; %bb.408:
	s_andn2_b64 vcc, exec, s[6:7]
	s_cbranch_vccnz .LBB34_410
.LBB34_409:
	v_cmp_le_i32_e32 vcc, s10, v10
	s_andn2_b64 s[6:7], s[14:15], exec
	s_and_b64 s[14:15], vcc, exec
	s_or_b64 s[14:15], s[6:7], s[14:15]
.LBB34_410:
	v_cndmask_b32_e64 v11, 0, 1, s[14:15]
.LBB34_411:
	s_or_b64 exec, exec, s[4:5]
	v_or_b32_e32 v10, 0xa00, v0
	v_cmp_gt_i32_e32 vcc, s8, v10
                                        ; implicit-def: $vgpr10
	s_and_saveexec_b64 s[4:5], vcc
	s_cbranch_execz .LBB34_426
; %bb.412:
	s_cmp_lt_i32 s9, 1
	s_mov_b64 s[6:7], 0
	s_cbranch_scc1 .LBB34_417
; %bb.413:
	s_cmp_gt_i32 s9, 1
	s_cbranch_scc0 .LBB34_418
; %bb.414:
	s_cmp_eq_u32 s9, 2
	s_cbranch_scc0 .LBB34_544
; %bb.415:
	v_cmp_ge_i32_e64 s[14:15], s10, v9
	s_mov_b64 s[16:17], 0
	s_branch .LBB34_420
.LBB34_416:
	v_cmp_gt_i32_e32 vcc, s10, v10
	s_andn2_b64 s[14:15], s[14:15], exec
	s_and_b64 s[16:17], vcc, exec
	s_or_b64 s[14:15], s[14:15], s[16:17]
	s_cbranch_execz .LBB34_409
	s_branch .LBB34_410
.LBB34_417:
                                        ; implicit-def: $sgpr14_sgpr15
	s_mov_b64 s[16:17], 0
	s_cbranch_execnz .LBB34_421
	s_branch .LBB34_422
.LBB34_418:
	s_mov_b64 s[16:17], 0
                                        ; implicit-def: $sgpr14_sgpr15
	s_cbranch_execz .LBB34_420
; %bb.419:
	v_cmp_lt_i32_e32 vcc, s10, v9
	s_andn2_b64 s[14:15], s[14:15], exec
	s_and_b64 s[18:19], vcc, exec
	s_or_b64 s[14:15], s[14:15], s[18:19]
.LBB34_420:
	s_branch .LBB34_422
.LBB34_421:
	s_cmp_lg_u32 s9, 0
	s_mov_b64 s[6:7], -1
	s_cselect_b64 s[16:17], -1, 0
.LBB34_422:
	s_andn2_b64 vcc, exec, s[16:17]
	s_cbranch_vccz .LBB34_431
; %bb.423:
	s_andn2_b64 vcc, exec, s[6:7]
	s_cbranch_vccnz .LBB34_425
.LBB34_424:
	v_cmp_le_i32_e32 vcc, s10, v9
	s_andn2_b64 s[6:7], s[14:15], exec
	s_and_b64 s[14:15], vcc, exec
	s_or_b64 s[14:15], s[6:7], s[14:15]
.LBB34_425:
	v_cndmask_b32_e64 v10, 0, 1, s[14:15]
.LBB34_426:
	s_or_b64 exec, exec, s[4:5]
	v_or_b32_e32 v9, 0xb00, v0
	v_cmp_gt_i32_e32 vcc, s8, v9
                                        ; implicit-def: $vgpr9
	s_and_saveexec_b64 s[4:5], vcc
	s_cbranch_execz .LBB34_441
; %bb.427:
	s_cmp_lt_i32 s9, 1
	s_mov_b64 s[6:7], 0
	s_cbranch_scc1 .LBB34_432
; %bb.428:
	s_cmp_gt_i32 s9, 1
	s_cbranch_scc0 .LBB34_433
; %bb.429:
	s_cmp_eq_u32 s9, 2
	s_cbranch_scc0 .LBB34_545
; %bb.430:
	v_cmp_ge_i32_e64 s[14:15], s10, v8
	s_mov_b64 s[16:17], 0
	s_branch .LBB34_435
.LBB34_431:
	v_cmp_gt_i32_e32 vcc, s10, v9
	s_andn2_b64 s[14:15], s[14:15], exec
	s_and_b64 s[16:17], vcc, exec
	s_or_b64 s[14:15], s[14:15], s[16:17]
	s_cbranch_execz .LBB34_424
	s_branch .LBB34_425
.LBB34_432:
                                        ; implicit-def: $sgpr14_sgpr15
	s_mov_b64 s[16:17], 0
	s_cbranch_execnz .LBB34_436
	s_branch .LBB34_437
.LBB34_433:
	s_mov_b64 s[16:17], 0
                                        ; implicit-def: $sgpr14_sgpr15
	s_cbranch_execz .LBB34_435
; %bb.434:
	v_cmp_lt_i32_e32 vcc, s10, v8
	s_andn2_b64 s[14:15], s[14:15], exec
	s_and_b64 s[18:19], vcc, exec
	s_or_b64 s[14:15], s[14:15], s[18:19]
.LBB34_435:
	s_branch .LBB34_437
.LBB34_436:
	s_cmp_lg_u32 s9, 0
	s_mov_b64 s[6:7], -1
	s_cselect_b64 s[16:17], -1, 0
.LBB34_437:
	s_andn2_b64 vcc, exec, s[16:17]
	s_cbranch_vccz .LBB34_446
; %bb.438:
	s_andn2_b64 vcc, exec, s[6:7]
	s_cbranch_vccnz .LBB34_440
.LBB34_439:
	v_cmp_le_i32_e32 vcc, s10, v8
	s_andn2_b64 s[6:7], s[14:15], exec
	s_and_b64 s[14:15], vcc, exec
	s_or_b64 s[14:15], s[6:7], s[14:15]
.LBB34_440:
	v_cndmask_b32_e64 v9, 0, 1, s[14:15]
.LBB34_441:
	s_or_b64 exec, exec, s[4:5]
	v_or_b32_e32 v8, 0xc00, v0
	v_cmp_gt_i32_e32 vcc, s8, v8
                                        ; implicit-def: $vgpr8
	s_and_saveexec_b64 s[4:5], vcc
	s_cbranch_execz .LBB34_456
; %bb.442:
	s_cmp_lt_i32 s9, 1
	s_mov_b64 s[6:7], 0
	s_cbranch_scc1 .LBB34_447
; %bb.443:
	s_cmp_gt_i32 s9, 1
	s_cbranch_scc0 .LBB34_448
; %bb.444:
	s_cmp_eq_u32 s9, 2
	s_cbranch_scc0 .LBB34_546
; %bb.445:
	v_cmp_ge_i32_e64 s[14:15], s10, v7
	s_mov_b64 s[16:17], 0
	s_branch .LBB34_450
.LBB34_446:
	v_cmp_gt_i32_e32 vcc, s10, v8
	s_andn2_b64 s[14:15], s[14:15], exec
	s_and_b64 s[16:17], vcc, exec
	s_or_b64 s[14:15], s[14:15], s[16:17]
	s_cbranch_execz .LBB34_439
	s_branch .LBB34_440
.LBB34_447:
                                        ; implicit-def: $sgpr14_sgpr15
	s_mov_b64 s[16:17], 0
	s_cbranch_execnz .LBB34_451
	s_branch .LBB34_452
.LBB34_448:
	s_mov_b64 s[16:17], 0
                                        ; implicit-def: $sgpr14_sgpr15
	s_cbranch_execz .LBB34_450
; %bb.449:
	v_cmp_lt_i32_e32 vcc, s10, v7
	s_andn2_b64 s[14:15], s[14:15], exec
	s_and_b64 s[18:19], vcc, exec
	s_or_b64 s[14:15], s[14:15], s[18:19]
.LBB34_450:
	s_branch .LBB34_452
.LBB34_451:
	s_cmp_lg_u32 s9, 0
	s_mov_b64 s[6:7], -1
	s_cselect_b64 s[16:17], -1, 0
.LBB34_452:
	s_andn2_b64 vcc, exec, s[16:17]
	s_cbranch_vccz .LBB34_461
; %bb.453:
	s_andn2_b64 vcc, exec, s[6:7]
	s_cbranch_vccnz .LBB34_455
.LBB34_454:
	v_cmp_le_i32_e32 vcc, s10, v7
	s_andn2_b64 s[6:7], s[14:15], exec
	s_and_b64 s[14:15], vcc, exec
	s_or_b64 s[14:15], s[6:7], s[14:15]
.LBB34_455:
	v_cndmask_b32_e64 v8, 0, 1, s[14:15]
.LBB34_456:
	s_or_b64 exec, exec, s[4:5]
	v_or_b32_e32 v7, 0xd00, v0
	v_cmp_gt_i32_e32 vcc, s8, v7
                                        ; implicit-def: $vgpr7
	s_and_saveexec_b64 s[4:5], vcc
	s_cbranch_execz .LBB34_471
; %bb.457:
	s_cmp_lt_i32 s9, 1
	s_mov_b64 s[6:7], 0
	s_cbranch_scc1 .LBB34_462
; %bb.458:
	s_cmp_gt_i32 s9, 1
	s_cbranch_scc0 .LBB34_463
; %bb.459:
	s_cmp_eq_u32 s9, 2
	s_cbranch_scc0 .LBB34_547
; %bb.460:
	v_cmp_ge_i32_e64 s[14:15], s10, v6
	s_mov_b64 s[16:17], 0
	s_branch .LBB34_465
.LBB34_461:
	v_cmp_gt_i32_e32 vcc, s10, v7
	s_andn2_b64 s[14:15], s[14:15], exec
	s_and_b64 s[16:17], vcc, exec
	s_or_b64 s[14:15], s[14:15], s[16:17]
	s_cbranch_execz .LBB34_454
	s_branch .LBB34_455
.LBB34_462:
                                        ; implicit-def: $sgpr14_sgpr15
	s_mov_b64 s[16:17], 0
	s_cbranch_execnz .LBB34_466
	s_branch .LBB34_467
.LBB34_463:
	s_mov_b64 s[16:17], 0
                                        ; implicit-def: $sgpr14_sgpr15
	s_cbranch_execz .LBB34_465
; %bb.464:
	v_cmp_lt_i32_e32 vcc, s10, v6
	s_andn2_b64 s[14:15], s[14:15], exec
	s_and_b64 s[18:19], vcc, exec
	s_or_b64 s[14:15], s[14:15], s[18:19]
.LBB34_465:
	s_branch .LBB34_467
.LBB34_466:
	s_cmp_lg_u32 s9, 0
	s_mov_b64 s[6:7], -1
	s_cselect_b64 s[16:17], -1, 0
.LBB34_467:
	s_andn2_b64 vcc, exec, s[16:17]
	s_cbranch_vccz .LBB34_476
; %bb.468:
	s_andn2_b64 vcc, exec, s[6:7]
	s_cbranch_vccnz .LBB34_470
.LBB34_469:
	v_cmp_le_i32_e32 vcc, s10, v6
	s_andn2_b64 s[6:7], s[14:15], exec
	s_and_b64 s[14:15], vcc, exec
	s_or_b64 s[14:15], s[6:7], s[14:15]
.LBB34_470:
	v_cndmask_b32_e64 v7, 0, 1, s[14:15]
.LBB34_471:
	s_or_b64 exec, exec, s[4:5]
	v_or_b32_e32 v6, 0xe00, v0
	v_cmp_gt_i32_e32 vcc, s8, v6
                                        ; implicit-def: $vgpr6
	s_and_saveexec_b64 s[4:5], vcc
	s_cbranch_execz .LBB34_486
; %bb.472:
	s_cmp_lt_i32 s9, 1
	s_mov_b64 s[6:7], 0
	s_cbranch_scc1 .LBB34_477
; %bb.473:
	s_cmp_gt_i32 s9, 1
	s_cbranch_scc0 .LBB34_478
; %bb.474:
	s_cmp_eq_u32 s9, 2
	s_cbranch_scc0 .LBB34_548
; %bb.475:
	v_cmp_ge_i32_e64 s[14:15], s10, v5
	s_mov_b64 s[16:17], 0
	s_branch .LBB34_480
.LBB34_476:
	v_cmp_gt_i32_e32 vcc, s10, v6
	s_andn2_b64 s[14:15], s[14:15], exec
	s_and_b64 s[16:17], vcc, exec
	s_or_b64 s[14:15], s[14:15], s[16:17]
	s_cbranch_execz .LBB34_469
	s_branch .LBB34_470
.LBB34_477:
                                        ; implicit-def: $sgpr14_sgpr15
	s_mov_b64 s[16:17], 0
	s_cbranch_execnz .LBB34_481
	s_branch .LBB34_482
.LBB34_478:
	s_mov_b64 s[16:17], 0
                                        ; implicit-def: $sgpr14_sgpr15
	s_cbranch_execz .LBB34_480
; %bb.479:
	v_cmp_lt_i32_e32 vcc, s10, v5
	s_andn2_b64 s[14:15], s[14:15], exec
	s_and_b64 s[18:19], vcc, exec
	s_or_b64 s[14:15], s[14:15], s[18:19]
.LBB34_480:
	s_branch .LBB34_482
.LBB34_481:
	s_cmp_lg_u32 s9, 0
	s_mov_b64 s[6:7], -1
	s_cselect_b64 s[16:17], -1, 0
.LBB34_482:
	s_andn2_b64 vcc, exec, s[16:17]
	s_cbranch_vccz .LBB34_491
; %bb.483:
	s_andn2_b64 vcc, exec, s[6:7]
	s_cbranch_vccnz .LBB34_485
.LBB34_484:
	v_cmp_le_i32_e32 vcc, s10, v5
	s_andn2_b64 s[6:7], s[14:15], exec
	s_and_b64 s[14:15], vcc, exec
	s_or_b64 s[14:15], s[6:7], s[14:15]
.LBB34_485:
	v_cndmask_b32_e64 v6, 0, 1, s[14:15]
.LBB34_486:
	s_or_b64 exec, exec, s[4:5]
	v_or_b32_e32 v5, 0xf00, v0
	v_cmp_gt_i32_e32 vcc, s8, v5
                                        ; implicit-def: $vgpr5
	s_and_saveexec_b64 s[4:5], vcc
	s_cbranch_execz .LBB34_501
; %bb.487:
	s_cmp_lt_i32 s9, 1
	s_mov_b64 s[6:7], 0
	s_cbranch_scc1 .LBB34_492
; %bb.488:
	s_cmp_gt_i32 s9, 1
	s_cbranch_scc0 .LBB34_493
; %bb.489:
	s_cmp_eq_u32 s9, 2
	s_cbranch_scc0 .LBB34_549
; %bb.490:
	v_cmp_ge_i32_e64 s[14:15], s10, v4
	s_mov_b64 s[16:17], 0
	s_branch .LBB34_495
.LBB34_491:
	v_cmp_gt_i32_e32 vcc, s10, v5
	s_andn2_b64 s[14:15], s[14:15], exec
	s_and_b64 s[16:17], vcc, exec
	s_or_b64 s[14:15], s[14:15], s[16:17]
	s_cbranch_execz .LBB34_484
	s_branch .LBB34_485
.LBB34_492:
                                        ; implicit-def: $sgpr14_sgpr15
	s_mov_b64 s[16:17], 0
	s_cbranch_execnz .LBB34_496
	s_branch .LBB34_497
.LBB34_493:
	s_mov_b64 s[16:17], 0
                                        ; implicit-def: $sgpr14_sgpr15
	s_cbranch_execz .LBB34_495
; %bb.494:
	v_cmp_lt_i32_e32 vcc, s10, v4
	s_andn2_b64 s[14:15], s[14:15], exec
	s_and_b64 s[18:19], vcc, exec
	s_or_b64 s[14:15], s[14:15], s[18:19]
.LBB34_495:
	s_branch .LBB34_497
.LBB34_496:
	s_cmp_lg_u32 s9, 0
	s_mov_b64 s[6:7], -1
	s_cselect_b64 s[16:17], -1, 0
.LBB34_497:
	s_andn2_b64 vcc, exec, s[16:17]
	s_cbranch_vccz .LBB34_534
; %bb.498:
	s_andn2_b64 vcc, exec, s[6:7]
	s_cbranch_vccnz .LBB34_500
.LBB34_499:
	v_cmp_le_i32_e32 vcc, s10, v4
	s_andn2_b64 s[6:7], s[14:15], exec
	s_and_b64 s[10:11], vcc, exec
	s_or_b64 s[14:15], s[6:7], s[10:11]
.LBB34_500:
	v_cndmask_b32_e64 v5, 0, 1, s[14:15]
.LBB34_501:
	s_or_b64 exec, exec, s[4:5]
	s_and_saveexec_b64 s[4:5], s[0:1]
	s_xor_b64 s[0:1], exec, s[4:5]
	s_cbranch_execz .LBB34_503
; %bb.502:
	v_mov_b32_e32 v0, v16
	global_store_byte v1, v3, s[12:13]
.LBB34_503:
	s_or_b64 exec, exec, s[0:1]
	v_cmp_gt_i32_e32 vcc, s8, v0
	s_and_saveexec_b64 s[0:1], vcc
	s_cbranch_execnz .LBB34_520
; %bb.504:
	s_or_b64 exec, exec, s[0:1]
	v_cmp_gt_i32_e32 vcc, s8, v0
	s_and_saveexec_b64 s[0:1], vcc
	s_cbranch_execnz .LBB34_521
.LBB34_505:
	s_or_b64 exec, exec, s[0:1]
	v_cmp_gt_i32_e32 vcc, s8, v0
	s_and_saveexec_b64 s[0:1], vcc
	s_cbranch_execnz .LBB34_522
.LBB34_506:
	s_or_b64 exec, exec, s[0:1]
	v_cmp_gt_i32_e32 vcc, s8, v0
	s_and_saveexec_b64 s[0:1], vcc
	s_cbranch_execnz .LBB34_523
.LBB34_507:
	s_or_b64 exec, exec, s[0:1]
	v_cmp_gt_i32_e32 vcc, s8, v0
	s_and_saveexec_b64 s[0:1], vcc
	s_cbranch_execnz .LBB34_524
.LBB34_508:
	s_or_b64 exec, exec, s[0:1]
	v_cmp_gt_i32_e32 vcc, s8, v0
	s_and_saveexec_b64 s[0:1], vcc
	s_cbranch_execnz .LBB34_525
.LBB34_509:
	s_or_b64 exec, exec, s[0:1]
	v_cmp_gt_i32_e32 vcc, s8, v0
	s_and_saveexec_b64 s[0:1], vcc
	s_cbranch_execnz .LBB34_526
.LBB34_510:
	s_or_b64 exec, exec, s[0:1]
	v_cmp_gt_i32_e32 vcc, s8, v0
	s_and_saveexec_b64 s[0:1], vcc
	s_cbranch_execnz .LBB34_527
.LBB34_511:
	s_or_b64 exec, exec, s[0:1]
	v_cmp_gt_i32_e32 vcc, s8, v0
	s_and_saveexec_b64 s[0:1], vcc
	s_cbranch_execnz .LBB34_528
.LBB34_512:
	s_or_b64 exec, exec, s[0:1]
	v_cmp_gt_i32_e32 vcc, s8, v0
	s_and_saveexec_b64 s[0:1], vcc
	s_cbranch_execnz .LBB34_529
.LBB34_513:
	s_or_b64 exec, exec, s[0:1]
	v_cmp_gt_i32_e32 vcc, s8, v0
	s_and_saveexec_b64 s[0:1], vcc
	s_cbranch_execnz .LBB34_530
.LBB34_514:
	s_or_b64 exec, exec, s[0:1]
	v_cmp_gt_i32_e32 vcc, s8, v0
	s_and_saveexec_b64 s[0:1], vcc
	s_cbranch_execnz .LBB34_531
.LBB34_515:
	s_or_b64 exec, exec, s[0:1]
	v_cmp_gt_i32_e32 vcc, s8, v0
	s_and_saveexec_b64 s[0:1], vcc
	s_cbranch_execnz .LBB34_532
.LBB34_516:
	s_or_b64 exec, exec, s[0:1]
	v_cmp_gt_i32_e32 vcc, s8, v0
	s_and_saveexec_b64 s[0:1], vcc
	s_cbranch_execnz .LBB34_533
.LBB34_517:
	s_or_b64 exec, exec, s[0:1]
	v_cmp_gt_i32_e32 vcc, s8, v0
	s_and_saveexec_b64 s[0:1], vcc
	s_cbranch_execz .LBB34_519
.LBB34_518:
	v_add_u32_e32 v0, s2, v0
	global_store_byte v0, v5, s[12:13]
.LBB34_519:
	s_endpgm
.LBB34_520:
	v_add_u32_e32 v1, s2, v0
	v_add_u32_e32 v0, 0x100, v0
	global_store_byte v1, v17, s[12:13]
	s_or_b64 exec, exec, s[0:1]
	v_cmp_gt_i32_e32 vcc, s8, v0
	s_and_saveexec_b64 s[0:1], vcc
	s_cbranch_execz .LBB34_505
.LBB34_521:
	v_add_u32_e32 v1, s2, v0
	v_add_u32_e32 v0, 0x100, v0
	global_store_byte v1, v2, s[12:13]
	s_or_b64 exec, exec, s[0:1]
	v_cmp_gt_i32_e32 vcc, s8, v0
	s_and_saveexec_b64 s[0:1], vcc
	s_cbranch_execz .LBB34_506
.LBB34_522:
	v_add_u32_e32 v1, s2, v0
	v_add_u32_e32 v0, 0x100, v0
	global_store_byte v1, v15, s[12:13]
	s_or_b64 exec, exec, s[0:1]
	v_cmp_gt_i32_e32 vcc, s8, v0
	s_and_saveexec_b64 s[0:1], vcc
	s_cbranch_execz .LBB34_507
.LBB34_523:
	v_add_u32_e32 v1, s2, v0
	v_add_u32_e32 v0, 0x100, v0
	global_store_byte v1, v18, s[12:13]
	s_or_b64 exec, exec, s[0:1]
	v_cmp_gt_i32_e32 vcc, s8, v0
	s_and_saveexec_b64 s[0:1], vcc
	s_cbranch_execz .LBB34_508
.LBB34_524:
	v_add_u32_e32 v1, s2, v0
	v_add_u32_e32 v0, 0x100, v0
	global_store_byte v1, v19, s[12:13]
	s_or_b64 exec, exec, s[0:1]
	v_cmp_gt_i32_e32 vcc, s8, v0
	s_and_saveexec_b64 s[0:1], vcc
	s_cbranch_execz .LBB34_509
.LBB34_525:
	v_add_u32_e32 v1, s2, v0
	v_add_u32_e32 v0, 0x100, v0
	global_store_byte v1, v14, s[12:13]
	s_or_b64 exec, exec, s[0:1]
	v_cmp_gt_i32_e32 vcc, s8, v0
	s_and_saveexec_b64 s[0:1], vcc
	s_cbranch_execz .LBB34_510
.LBB34_526:
	v_add_u32_e32 v1, s2, v0
	v_add_u32_e32 v0, 0x100, v0
	global_store_byte v1, v13, s[12:13]
	s_or_b64 exec, exec, s[0:1]
	v_cmp_gt_i32_e32 vcc, s8, v0
	s_and_saveexec_b64 s[0:1], vcc
	s_cbranch_execz .LBB34_511
.LBB34_527:
	v_add_u32_e32 v1, s2, v0
	v_add_u32_e32 v0, 0x100, v0
	global_store_byte v1, v12, s[12:13]
	s_or_b64 exec, exec, s[0:1]
	v_cmp_gt_i32_e32 vcc, s8, v0
	s_and_saveexec_b64 s[0:1], vcc
	s_cbranch_execz .LBB34_512
.LBB34_528:
	v_add_u32_e32 v1, s2, v0
	v_add_u32_e32 v0, 0x100, v0
	global_store_byte v1, v11, s[12:13]
	s_or_b64 exec, exec, s[0:1]
	v_cmp_gt_i32_e32 vcc, s8, v0
	s_and_saveexec_b64 s[0:1], vcc
	s_cbranch_execz .LBB34_513
.LBB34_529:
	v_add_u32_e32 v1, s2, v0
	v_add_u32_e32 v0, 0x100, v0
	global_store_byte v1, v10, s[12:13]
	s_or_b64 exec, exec, s[0:1]
	v_cmp_gt_i32_e32 vcc, s8, v0
	s_and_saveexec_b64 s[0:1], vcc
	s_cbranch_execz .LBB34_514
.LBB34_530:
	v_add_u32_e32 v1, s2, v0
	v_add_u32_e32 v0, 0x100, v0
	global_store_byte v1, v9, s[12:13]
	s_or_b64 exec, exec, s[0:1]
	v_cmp_gt_i32_e32 vcc, s8, v0
	s_and_saveexec_b64 s[0:1], vcc
	s_cbranch_execz .LBB34_515
.LBB34_531:
	v_add_u32_e32 v1, s2, v0
	v_add_u32_e32 v0, 0x100, v0
	global_store_byte v1, v8, s[12:13]
	s_or_b64 exec, exec, s[0:1]
	v_cmp_gt_i32_e32 vcc, s8, v0
	s_and_saveexec_b64 s[0:1], vcc
	s_cbranch_execz .LBB34_516
.LBB34_532:
	v_add_u32_e32 v1, s2, v0
	v_add_u32_e32 v0, 0x100, v0
	global_store_byte v1, v7, s[12:13]
	s_or_b64 exec, exec, s[0:1]
	v_cmp_gt_i32_e32 vcc, s8, v0
	s_and_saveexec_b64 s[0:1], vcc
	s_cbranch_execz .LBB34_517
.LBB34_533:
	v_add_u32_e32 v1, s2, v0
	v_add_u32_e32 v0, 0x100, v0
	global_store_byte v1, v6, s[12:13]
	s_or_b64 exec, exec, s[0:1]
	v_cmp_gt_i32_e32 vcc, s8, v0
	s_and_saveexec_b64 s[0:1], vcc
	s_cbranch_execnz .LBB34_518
	s_branch .LBB34_519
.LBB34_534:
	v_cmp_gt_i32_e32 vcc, s10, v4
	s_andn2_b64 s[14:15], s[14:15], exec
	s_and_b64 s[16:17], vcc, exec
	s_or_b64 s[14:15], s[14:15], s[16:17]
	s_cbranch_execz .LBB34_499
	s_branch .LBB34_500
.LBB34_535:
	s_mov_b64 s[16:17], -1
                                        ; implicit-def: $sgpr14_sgpr15
	s_branch .LBB34_285
.LBB34_536:
	s_mov_b64 s[16:17], -1
                                        ; implicit-def: $sgpr14_sgpr15
	s_branch .LBB34_300
.LBB34_537:
	s_mov_b64 s[16:17], -1
                                        ; implicit-def: $sgpr14_sgpr15
	s_branch .LBB34_315
.LBB34_538:
	s_mov_b64 s[16:17], -1
                                        ; implicit-def: $sgpr14_sgpr15
	s_branch .LBB34_330
.LBB34_539:
	s_mov_b64 s[16:17], -1
                                        ; implicit-def: $sgpr14_sgpr15
	s_branch .LBB34_345
.LBB34_540:
	s_mov_b64 s[16:17], -1
                                        ; implicit-def: $sgpr14_sgpr15
	s_branch .LBB34_360
.LBB34_541:
	s_mov_b64 s[16:17], -1
                                        ; implicit-def: $sgpr14_sgpr15
	s_branch .LBB34_375
.LBB34_542:
	s_mov_b64 s[16:17], -1
                                        ; implicit-def: $sgpr14_sgpr15
	s_branch .LBB34_390
.LBB34_543:
	s_mov_b64 s[16:17], -1
                                        ; implicit-def: $sgpr14_sgpr15
	s_branch .LBB34_405
.LBB34_544:
	s_mov_b64 s[16:17], -1
                                        ; implicit-def: $sgpr14_sgpr15
	s_branch .LBB34_420
.LBB34_545:
	s_mov_b64 s[16:17], -1
                                        ; implicit-def: $sgpr14_sgpr15
	s_branch .LBB34_435
.LBB34_546:
	s_mov_b64 s[16:17], -1
                                        ; implicit-def: $sgpr14_sgpr15
	s_branch .LBB34_450
.LBB34_547:
	s_mov_b64 s[16:17], -1
                                        ; implicit-def: $sgpr14_sgpr15
	s_branch .LBB34_465
.LBB34_548:
	s_mov_b64 s[16:17], -1
                                        ; implicit-def: $sgpr14_sgpr15
	s_branch .LBB34_480
.LBB34_549:
	s_mov_b64 s[16:17], -1
                                        ; implicit-def: $sgpr14_sgpr15
	s_branch .LBB34_495
	.section	.rodata,"a",@progbits
	.p2align	6, 0x0
	.amdhsa_kernel _ZN2at6native29vectorized_elementwise_kernelILi4EZNS0_21compare_scalar_kernelIiEEvRNS_18TensorIteratorBaseENS0_12_GLOBAL__N_16OpTypeET_EUliE_St5arrayIPcLm2EEEEviT0_T1_
		.amdhsa_group_segment_fixed_size 0
		.amdhsa_private_segment_fixed_size 0
		.amdhsa_kernarg_size 32
		.amdhsa_user_sgpr_count 6
		.amdhsa_user_sgpr_private_segment_buffer 1
		.amdhsa_user_sgpr_dispatch_ptr 0
		.amdhsa_user_sgpr_queue_ptr 0
		.amdhsa_user_sgpr_kernarg_segment_ptr 1
		.amdhsa_user_sgpr_dispatch_id 0
		.amdhsa_user_sgpr_flat_scratch_init 0
		.amdhsa_user_sgpr_private_segment_size 0
		.amdhsa_uses_dynamic_stack 0
		.amdhsa_system_sgpr_private_segment_wavefront_offset 0
		.amdhsa_system_sgpr_workgroup_id_x 1
		.amdhsa_system_sgpr_workgroup_id_y 0
		.amdhsa_system_sgpr_workgroup_id_z 0
		.amdhsa_system_sgpr_workgroup_info 0
		.amdhsa_system_vgpr_workitem_id 0
		.amdhsa_next_free_vgpr 21
		.amdhsa_next_free_sgpr 50
		.amdhsa_reserve_vcc 1
		.amdhsa_reserve_flat_scratch 0
		.amdhsa_float_round_mode_32 0
		.amdhsa_float_round_mode_16_64 0
		.amdhsa_float_denorm_mode_32 3
		.amdhsa_float_denorm_mode_16_64 3
		.amdhsa_dx10_clamp 1
		.amdhsa_ieee_mode 1
		.amdhsa_fp16_overflow 0
		.amdhsa_exception_fp_ieee_invalid_op 0
		.amdhsa_exception_fp_denorm_src 0
		.amdhsa_exception_fp_ieee_div_zero 0
		.amdhsa_exception_fp_ieee_overflow 0
		.amdhsa_exception_fp_ieee_underflow 0
		.amdhsa_exception_fp_ieee_inexact 0
		.amdhsa_exception_int_div_zero 0
	.end_amdhsa_kernel
	.section	.text._ZN2at6native29vectorized_elementwise_kernelILi4EZNS0_21compare_scalar_kernelIiEEvRNS_18TensorIteratorBaseENS0_12_GLOBAL__N_16OpTypeET_EUliE_St5arrayIPcLm2EEEEviT0_T1_,"axG",@progbits,_ZN2at6native29vectorized_elementwise_kernelILi4EZNS0_21compare_scalar_kernelIiEEvRNS_18TensorIteratorBaseENS0_12_GLOBAL__N_16OpTypeET_EUliE_St5arrayIPcLm2EEEEviT0_T1_,comdat
.Lfunc_end34:
	.size	_ZN2at6native29vectorized_elementwise_kernelILi4EZNS0_21compare_scalar_kernelIiEEvRNS_18TensorIteratorBaseENS0_12_GLOBAL__N_16OpTypeET_EUliE_St5arrayIPcLm2EEEEviT0_T1_, .Lfunc_end34-_ZN2at6native29vectorized_elementwise_kernelILi4EZNS0_21compare_scalar_kernelIiEEvRNS_18TensorIteratorBaseENS0_12_GLOBAL__N_16OpTypeET_EUliE_St5arrayIPcLm2EEEEviT0_T1_
                                        ; -- End function
	.set _ZN2at6native29vectorized_elementwise_kernelILi4EZNS0_21compare_scalar_kernelIiEEvRNS_18TensorIteratorBaseENS0_12_GLOBAL__N_16OpTypeET_EUliE_St5arrayIPcLm2EEEEviT0_T1_.num_vgpr, 21
	.set _ZN2at6native29vectorized_elementwise_kernelILi4EZNS0_21compare_scalar_kernelIiEEvRNS_18TensorIteratorBaseENS0_12_GLOBAL__N_16OpTypeET_EUliE_St5arrayIPcLm2EEEEviT0_T1_.num_agpr, 0
	.set _ZN2at6native29vectorized_elementwise_kernelILi4EZNS0_21compare_scalar_kernelIiEEvRNS_18TensorIteratorBaseENS0_12_GLOBAL__N_16OpTypeET_EUliE_St5arrayIPcLm2EEEEviT0_T1_.numbered_sgpr, 50
	.set _ZN2at6native29vectorized_elementwise_kernelILi4EZNS0_21compare_scalar_kernelIiEEvRNS_18TensorIteratorBaseENS0_12_GLOBAL__N_16OpTypeET_EUliE_St5arrayIPcLm2EEEEviT0_T1_.num_named_barrier, 0
	.set _ZN2at6native29vectorized_elementwise_kernelILi4EZNS0_21compare_scalar_kernelIiEEvRNS_18TensorIteratorBaseENS0_12_GLOBAL__N_16OpTypeET_EUliE_St5arrayIPcLm2EEEEviT0_T1_.private_seg_size, 0
	.set _ZN2at6native29vectorized_elementwise_kernelILi4EZNS0_21compare_scalar_kernelIiEEvRNS_18TensorIteratorBaseENS0_12_GLOBAL__N_16OpTypeET_EUliE_St5arrayIPcLm2EEEEviT0_T1_.uses_vcc, 1
	.set _ZN2at6native29vectorized_elementwise_kernelILi4EZNS0_21compare_scalar_kernelIiEEvRNS_18TensorIteratorBaseENS0_12_GLOBAL__N_16OpTypeET_EUliE_St5arrayIPcLm2EEEEviT0_T1_.uses_flat_scratch, 0
	.set _ZN2at6native29vectorized_elementwise_kernelILi4EZNS0_21compare_scalar_kernelIiEEvRNS_18TensorIteratorBaseENS0_12_GLOBAL__N_16OpTypeET_EUliE_St5arrayIPcLm2EEEEviT0_T1_.has_dyn_sized_stack, 0
	.set _ZN2at6native29vectorized_elementwise_kernelILi4EZNS0_21compare_scalar_kernelIiEEvRNS_18TensorIteratorBaseENS0_12_GLOBAL__N_16OpTypeET_EUliE_St5arrayIPcLm2EEEEviT0_T1_.has_recursion, 0
	.set _ZN2at6native29vectorized_elementwise_kernelILi4EZNS0_21compare_scalar_kernelIiEEvRNS_18TensorIteratorBaseENS0_12_GLOBAL__N_16OpTypeET_EUliE_St5arrayIPcLm2EEEEviT0_T1_.has_indirect_call, 0
	.section	.AMDGPU.csdata,"",@progbits
; Kernel info:
; codeLenInByte = 8612
; TotalNumSgprs: 54
; NumVgprs: 21
; ScratchSize: 0
; MemoryBound: 0
; FloatMode: 240
; IeeeMode: 1
; LDSByteSize: 0 bytes/workgroup (compile time only)
; SGPRBlocks: 6
; VGPRBlocks: 5
; NumSGPRsForWavesPerEU: 54
; NumVGPRsForWavesPerEU: 21
; Occupancy: 10
; WaveLimiterHint : 1
; COMPUTE_PGM_RSRC2:SCRATCH_EN: 0
; COMPUTE_PGM_RSRC2:USER_SGPR: 6
; COMPUTE_PGM_RSRC2:TRAP_HANDLER: 0
; COMPUTE_PGM_RSRC2:TGID_X_EN: 1
; COMPUTE_PGM_RSRC2:TGID_Y_EN: 0
; COMPUTE_PGM_RSRC2:TGID_Z_EN: 0
; COMPUTE_PGM_RSRC2:TIDIG_COMP_CNT: 0
	.section	.text._ZN2at6native29vectorized_elementwise_kernelILi2EZNS0_21compare_scalar_kernelIiEEvRNS_18TensorIteratorBaseENS0_12_GLOBAL__N_16OpTypeET_EUliE_St5arrayIPcLm2EEEEviT0_T1_,"axG",@progbits,_ZN2at6native29vectorized_elementwise_kernelILi2EZNS0_21compare_scalar_kernelIiEEvRNS_18TensorIteratorBaseENS0_12_GLOBAL__N_16OpTypeET_EUliE_St5arrayIPcLm2EEEEviT0_T1_,comdat
	.globl	_ZN2at6native29vectorized_elementwise_kernelILi2EZNS0_21compare_scalar_kernelIiEEvRNS_18TensorIteratorBaseENS0_12_GLOBAL__N_16OpTypeET_EUliE_St5arrayIPcLm2EEEEviT0_T1_ ; -- Begin function _ZN2at6native29vectorized_elementwise_kernelILi2EZNS0_21compare_scalar_kernelIiEEvRNS_18TensorIteratorBaseENS0_12_GLOBAL__N_16OpTypeET_EUliE_St5arrayIPcLm2EEEEviT0_T1_
	.p2align	8
	.type	_ZN2at6native29vectorized_elementwise_kernelILi2EZNS0_21compare_scalar_kernelIiEEvRNS_18TensorIteratorBaseENS0_12_GLOBAL__N_16OpTypeET_EUliE_St5arrayIPcLm2EEEEviT0_T1_,@function
_ZN2at6native29vectorized_elementwise_kernelILi2EZNS0_21compare_scalar_kernelIiEEvRNS_18TensorIteratorBaseENS0_12_GLOBAL__N_16OpTypeET_EUliE_St5arrayIPcLm2EEEEviT0_T1_: ; @_ZN2at6native29vectorized_elementwise_kernelILi2EZNS0_21compare_scalar_kernelIiEEvRNS_18TensorIteratorBaseENS0_12_GLOBAL__N_16OpTypeET_EUliE_St5arrayIPcLm2EEEEviT0_T1_
; %bb.0:
	s_load_dwordx8 s[8:15], s[4:5], 0x0
	s_lshl_b32 s2, s6, 12
	s_mov_b64 s[0:1], -1
	s_waitcnt lgkmcnt(0)
	s_sub_i32 s8, s8, s2
	s_cmpk_gt_i32 s8, 0xfff
	s_cbranch_scc0 .LBB35_211
; %bb.1:
	s_ashr_i32 s3, s2, 31
	s_lshl_b64 s[0:1], s[2:3], 2
	s_add_u32 s0, s14, s0
	s_addc_u32 s1, s15, s1
	v_lshlrev_b32_e32 v3, 3, v0
	v_mov_b32_e32 v1, s1
	v_add_co_u32_e32 v4, vcc, s0, v3
	v_addc_co_u32_e32 v5, vcc, 0, v1, vcc
	v_add_co_u32_e32 v1, vcc, 0x1000, v4
	v_addc_co_u32_e32 v2, vcc, 0, v5, vcc
	v_add_co_u32_e32 v17, vcc, 0x2000, v4
	v_addc_co_u32_e32 v18, vcc, 0, v5, vcc
	v_add_co_u32_e32 v19, vcc, 0x3000, v4
	global_load_dwordx2 v[15:16], v3, s[0:1]
	global_load_dwordx2 v[13:14], v3, s[0:1] offset:2048
	global_load_dwordx2 v[11:12], v[1:2], off
	global_load_dwordx2 v[9:10], v[1:2], off offset:2048
	v_addc_co_u32_e32 v20, vcc, 0, v5, vcc
	global_load_dwordx2 v[7:8], v[17:18], off
	global_load_dwordx2 v[5:6], v[17:18], off offset:2048
	global_load_dwordx2 v[3:4], v[19:20], off
	global_load_dwordx2 v[1:2], v[19:20], off offset:2048
	s_cmp_lt_i32 s9, 1
	s_mov_b64 s[4:5], 0
	s_cbranch_scc1 .LBB35_5
; %bb.2:
	s_cmp_gt_i32 s9, 1
	s_cbranch_scc0 .LBB35_6
; %bb.3:
	s_cmp_eq_u32 s9, 2
	s_cbranch_scc0 .LBB35_7
; %bb.4:
	s_waitcnt vmcnt(7)
	v_cmp_ge_i32_e64 s[0:1], s10, v15
	s_mov_b64 s[6:7], 0
	s_branch .LBB35_8
.LBB35_5:
                                        ; implicit-def: $sgpr0_sgpr1
	s_mov_b64 s[6:7], 0
	s_cbranch_execnz .LBB35_11
	s_branch .LBB35_12
.LBB35_6:
	s_mov_b64 s[6:7], 0
                                        ; implicit-def: $sgpr0_sgpr1
	s_cbranch_execnz .LBB35_9
	s_branch .LBB35_10
.LBB35_7:
	s_mov_b64 s[6:7], -1
                                        ; implicit-def: $sgpr0_sgpr1
.LBB35_8:
	s_branch .LBB35_10
.LBB35_9:
	s_waitcnt vmcnt(7)
	v_cmp_lt_i32_e32 vcc, s10, v15
	s_andn2_b64 s[0:1], s[0:1], exec
	s_and_b64 s[16:17], vcc, exec
	s_or_b64 s[0:1], s[0:1], s[16:17]
.LBB35_10:
	s_branch .LBB35_12
.LBB35_11:
	s_cmp_lg_u32 s9, 0
	s_mov_b64 s[4:5], -1
	s_cselect_b64 s[6:7], -1, 0
.LBB35_12:
	s_andn2_b64 vcc, exec, s[6:7]
	s_cbranch_vccz .LBB35_18
; %bb.13:
	s_andn2_b64 vcc, exec, s[4:5]
	s_cbranch_vccz .LBB35_19
.LBB35_14:
	s_cmp_lt_i32 s9, 1
	s_mov_b64 s[6:7], 0
	s_cbranch_scc1 .LBB35_20
.LBB35_15:
	s_cmp_gt_i32 s9, 1
	s_cbranch_scc0 .LBB35_21
; %bb.16:
	s_cmp_eq_u32 s9, 2
	s_cbranch_scc0 .LBB35_251
; %bb.17:
	s_waitcnt vmcnt(7)
	v_cmp_ge_i32_e64 s[4:5], s10, v16
	s_mov_b64 s[16:17], 0
	s_branch .LBB35_23
.LBB35_18:
	s_waitcnt vmcnt(7)
	v_cmp_gt_i32_e32 vcc, s10, v15
	s_andn2_b64 s[0:1], s[0:1], exec
	s_and_b64 s[6:7], vcc, exec
	s_or_b64 s[0:1], s[0:1], s[6:7]
	s_cbranch_execnz .LBB35_14
.LBB35_19:
	s_waitcnt vmcnt(7)
	v_cmp_le_i32_e32 vcc, s10, v15
	s_andn2_b64 s[0:1], s[0:1], exec
	s_and_b64 s[4:5], vcc, exec
	s_or_b64 s[0:1], s[0:1], s[4:5]
	s_cmp_lt_i32 s9, 1
	s_mov_b64 s[6:7], 0
	s_cbranch_scc0 .LBB35_15
.LBB35_20:
                                        ; implicit-def: $sgpr4_sgpr5
	s_mov_b64 s[16:17], 0
	s_cbranch_execnz .LBB35_24
	s_branch .LBB35_25
.LBB35_21:
	s_mov_b64 s[16:17], 0
                                        ; implicit-def: $sgpr4_sgpr5
	s_cbranch_execz .LBB35_23
; %bb.22:
	s_waitcnt vmcnt(7)
	v_cmp_lt_i32_e32 vcc, s10, v16
	s_andn2_b64 s[4:5], s[4:5], exec
	s_and_b64 s[18:19], vcc, exec
	s_or_b64 s[4:5], s[4:5], s[18:19]
.LBB35_23:
	s_branch .LBB35_25
.LBB35_24:
	s_cmp_lg_u32 s9, 0
	s_mov_b64 s[6:7], -1
	s_cselect_b64 s[16:17], -1, 0
.LBB35_25:
	s_andn2_b64 vcc, exec, s[16:17]
	s_cbranch_vccz .LBB35_31
; %bb.26:
	s_andn2_b64 vcc, exec, s[6:7]
	s_cbranch_vccz .LBB35_32
.LBB35_27:
	s_cmp_lt_i32 s9, 1
	s_mov_b64 s[16:17], 0
	s_cbranch_scc1 .LBB35_33
.LBB35_28:
	s_cmp_gt_i32 s9, 1
	s_cbranch_scc0 .LBB35_34
; %bb.29:
	s_cmp_eq_u32 s9, 2
	s_cbranch_scc0 .LBB35_252
; %bb.30:
	s_waitcnt vmcnt(6)
	v_cmp_ge_i32_e64 s[6:7], s10, v13
	s_mov_b64 s[18:19], 0
	s_branch .LBB35_36
.LBB35_31:
	s_waitcnt vmcnt(7)
	v_cmp_gt_i32_e32 vcc, s10, v16
	s_andn2_b64 s[4:5], s[4:5], exec
	s_and_b64 s[16:17], vcc, exec
	s_or_b64 s[4:5], s[4:5], s[16:17]
	s_cbranch_execnz .LBB35_27
.LBB35_32:
	s_waitcnt vmcnt(7)
	v_cmp_le_i32_e32 vcc, s10, v16
	s_andn2_b64 s[4:5], s[4:5], exec
	s_and_b64 s[6:7], vcc, exec
	s_or_b64 s[4:5], s[4:5], s[6:7]
	s_cmp_lt_i32 s9, 1
	s_mov_b64 s[16:17], 0
	s_cbranch_scc0 .LBB35_28
.LBB35_33:
                                        ; implicit-def: $sgpr6_sgpr7
	s_mov_b64 s[18:19], 0
	s_cbranch_execnz .LBB35_37
	s_branch .LBB35_38
.LBB35_34:
	s_mov_b64 s[18:19], 0
                                        ; implicit-def: $sgpr6_sgpr7
	s_cbranch_execz .LBB35_36
; %bb.35:
	s_waitcnt vmcnt(6)
	v_cmp_lt_i32_e32 vcc, s10, v13
	s_andn2_b64 s[6:7], s[6:7], exec
	s_and_b64 s[20:21], vcc, exec
	s_or_b64 s[6:7], s[6:7], s[20:21]
.LBB35_36:
	s_branch .LBB35_38
.LBB35_37:
	s_cmp_lg_u32 s9, 0
	s_mov_b64 s[16:17], -1
	s_cselect_b64 s[18:19], -1, 0
.LBB35_38:
	s_andn2_b64 vcc, exec, s[18:19]
	s_cbranch_vccz .LBB35_44
; %bb.39:
	s_andn2_b64 vcc, exec, s[16:17]
	s_cbranch_vccz .LBB35_45
.LBB35_40:
	s_cmp_lt_i32 s9, 1
	s_mov_b64 s[18:19], 0
	s_cbranch_scc1 .LBB35_46
.LBB35_41:
	s_cmp_gt_i32 s9, 1
	s_cbranch_scc0 .LBB35_47
; %bb.42:
	s_cmp_eq_u32 s9, 2
	s_cbranch_scc0 .LBB35_253
; %bb.43:
	s_waitcnt vmcnt(6)
	v_cmp_ge_i32_e64 s[16:17], s10, v14
	s_mov_b64 s[20:21], 0
	s_branch .LBB35_49
.LBB35_44:
	s_waitcnt vmcnt(6)
	v_cmp_gt_i32_e32 vcc, s10, v13
	s_andn2_b64 s[6:7], s[6:7], exec
	s_and_b64 s[18:19], vcc, exec
	s_or_b64 s[6:7], s[6:7], s[18:19]
	s_cbranch_execnz .LBB35_40
.LBB35_45:
	s_waitcnt vmcnt(6)
	v_cmp_le_i32_e32 vcc, s10, v13
	s_andn2_b64 s[6:7], s[6:7], exec
	s_and_b64 s[16:17], vcc, exec
	s_or_b64 s[6:7], s[6:7], s[16:17]
	s_cmp_lt_i32 s9, 1
	s_mov_b64 s[18:19], 0
	s_cbranch_scc0 .LBB35_41
.LBB35_46:
                                        ; implicit-def: $sgpr16_sgpr17
	s_mov_b64 s[20:21], 0
	s_cbranch_execnz .LBB35_50
	s_branch .LBB35_51
.LBB35_47:
	s_mov_b64 s[20:21], 0
                                        ; implicit-def: $sgpr16_sgpr17
	s_cbranch_execz .LBB35_49
; %bb.48:
	s_waitcnt vmcnt(6)
	v_cmp_lt_i32_e32 vcc, s10, v14
	s_andn2_b64 s[16:17], s[16:17], exec
	s_and_b64 s[22:23], vcc, exec
	s_or_b64 s[16:17], s[16:17], s[22:23]
.LBB35_49:
	s_branch .LBB35_51
.LBB35_50:
	s_cmp_lg_u32 s9, 0
	s_mov_b64 s[18:19], -1
	s_cselect_b64 s[20:21], -1, 0
.LBB35_51:
	s_andn2_b64 vcc, exec, s[20:21]
	s_cbranch_vccz .LBB35_57
; %bb.52:
	s_andn2_b64 vcc, exec, s[18:19]
	s_cbranch_vccz .LBB35_58
.LBB35_53:
	s_cmp_lt_i32 s9, 1
	s_mov_b64 s[20:21], 0
	s_cbranch_scc1 .LBB35_59
.LBB35_54:
	s_cmp_gt_i32 s9, 1
	s_cbranch_scc0 .LBB35_60
; %bb.55:
	s_cmp_eq_u32 s9, 2
	s_cbranch_scc0 .LBB35_254
; %bb.56:
	s_waitcnt vmcnt(5)
	v_cmp_ge_i32_e64 s[18:19], s10, v11
	s_mov_b64 s[22:23], 0
	s_branch .LBB35_62
.LBB35_57:
	s_waitcnt vmcnt(6)
	v_cmp_gt_i32_e32 vcc, s10, v14
	s_andn2_b64 s[16:17], s[16:17], exec
	s_and_b64 s[20:21], vcc, exec
	s_or_b64 s[16:17], s[16:17], s[20:21]
	s_cbranch_execnz .LBB35_53
.LBB35_58:
	s_waitcnt vmcnt(6)
	v_cmp_le_i32_e32 vcc, s10, v14
	s_andn2_b64 s[16:17], s[16:17], exec
	s_and_b64 s[18:19], vcc, exec
	s_or_b64 s[16:17], s[16:17], s[18:19]
	s_cmp_lt_i32 s9, 1
	s_mov_b64 s[20:21], 0
	s_cbranch_scc0 .LBB35_54
.LBB35_59:
                                        ; implicit-def: $sgpr18_sgpr19
	s_mov_b64 s[22:23], 0
	s_cbranch_execnz .LBB35_63
	s_branch .LBB35_64
.LBB35_60:
	s_mov_b64 s[22:23], 0
                                        ; implicit-def: $sgpr18_sgpr19
	s_cbranch_execz .LBB35_62
; %bb.61:
	s_waitcnt vmcnt(5)
	v_cmp_lt_i32_e32 vcc, s10, v11
	s_andn2_b64 s[18:19], s[18:19], exec
	s_and_b64 s[24:25], vcc, exec
	s_or_b64 s[18:19], s[18:19], s[24:25]
.LBB35_62:
	s_branch .LBB35_64
.LBB35_63:
	s_cmp_lg_u32 s9, 0
	s_mov_b64 s[20:21], -1
	s_cselect_b64 s[22:23], -1, 0
.LBB35_64:
	s_andn2_b64 vcc, exec, s[22:23]
	s_cbranch_vccz .LBB35_70
; %bb.65:
	s_andn2_b64 vcc, exec, s[20:21]
	s_cbranch_vccz .LBB35_71
.LBB35_66:
	s_cmp_lt_i32 s9, 1
	s_mov_b64 s[22:23], 0
	s_cbranch_scc1 .LBB35_72
.LBB35_67:
	s_cmp_gt_i32 s9, 1
	s_cbranch_scc0 .LBB35_73
; %bb.68:
	s_cmp_eq_u32 s9, 2
	s_cbranch_scc0 .LBB35_255
; %bb.69:
	s_waitcnt vmcnt(5)
	v_cmp_ge_i32_e64 s[20:21], s10, v12
	s_mov_b64 s[24:25], 0
	s_branch .LBB35_75
.LBB35_70:
	s_waitcnt vmcnt(5)
	v_cmp_gt_i32_e32 vcc, s10, v11
	s_andn2_b64 s[18:19], s[18:19], exec
	s_and_b64 s[22:23], vcc, exec
	s_or_b64 s[18:19], s[18:19], s[22:23]
	s_cbranch_execnz .LBB35_66
.LBB35_71:
	s_waitcnt vmcnt(5)
	v_cmp_le_i32_e32 vcc, s10, v11
	s_andn2_b64 s[18:19], s[18:19], exec
	s_and_b64 s[20:21], vcc, exec
	s_or_b64 s[18:19], s[18:19], s[20:21]
	s_cmp_lt_i32 s9, 1
	s_mov_b64 s[22:23], 0
	s_cbranch_scc0 .LBB35_67
.LBB35_72:
                                        ; implicit-def: $sgpr20_sgpr21
	s_mov_b64 s[24:25], 0
	s_cbranch_execnz .LBB35_76
	s_branch .LBB35_77
.LBB35_73:
	s_mov_b64 s[24:25], 0
                                        ; implicit-def: $sgpr20_sgpr21
	s_cbranch_execz .LBB35_75
; %bb.74:
	s_waitcnt vmcnt(5)
	v_cmp_lt_i32_e32 vcc, s10, v12
	s_andn2_b64 s[20:21], s[20:21], exec
	s_and_b64 s[26:27], vcc, exec
	s_or_b64 s[20:21], s[20:21], s[26:27]
.LBB35_75:
	s_branch .LBB35_77
.LBB35_76:
	s_cmp_lg_u32 s9, 0
	s_mov_b64 s[22:23], -1
	s_cselect_b64 s[24:25], -1, 0
.LBB35_77:
	s_andn2_b64 vcc, exec, s[24:25]
	s_cbranch_vccz .LBB35_83
; %bb.78:
	s_andn2_b64 vcc, exec, s[22:23]
	s_cbranch_vccz .LBB35_84
.LBB35_79:
	s_cmp_lt_i32 s9, 1
	s_mov_b64 s[24:25], 0
	s_cbranch_scc1 .LBB35_85
.LBB35_80:
	s_cmp_gt_i32 s9, 1
	s_cbranch_scc0 .LBB35_86
; %bb.81:
	s_cmp_eq_u32 s9, 2
	s_cbranch_scc0 .LBB35_256
; %bb.82:
	s_waitcnt vmcnt(4)
	v_cmp_ge_i32_e64 s[22:23], s10, v9
	s_mov_b64 s[26:27], 0
	s_branch .LBB35_88
.LBB35_83:
	s_waitcnt vmcnt(5)
	v_cmp_gt_i32_e32 vcc, s10, v12
	s_andn2_b64 s[20:21], s[20:21], exec
	s_and_b64 s[24:25], vcc, exec
	s_or_b64 s[20:21], s[20:21], s[24:25]
	s_cbranch_execnz .LBB35_79
.LBB35_84:
	s_waitcnt vmcnt(5)
	v_cmp_le_i32_e32 vcc, s10, v12
	s_andn2_b64 s[20:21], s[20:21], exec
	s_and_b64 s[22:23], vcc, exec
	s_or_b64 s[20:21], s[20:21], s[22:23]
	s_cmp_lt_i32 s9, 1
	s_mov_b64 s[24:25], 0
	s_cbranch_scc0 .LBB35_80
.LBB35_85:
                                        ; implicit-def: $sgpr22_sgpr23
	s_mov_b64 s[26:27], 0
	s_cbranch_execnz .LBB35_89
	s_branch .LBB35_90
.LBB35_86:
	s_mov_b64 s[26:27], 0
                                        ; implicit-def: $sgpr22_sgpr23
	s_cbranch_execz .LBB35_88
; %bb.87:
	s_waitcnt vmcnt(4)
	v_cmp_lt_i32_e32 vcc, s10, v9
	s_andn2_b64 s[22:23], s[22:23], exec
	s_and_b64 s[28:29], vcc, exec
	s_or_b64 s[22:23], s[22:23], s[28:29]
.LBB35_88:
	s_branch .LBB35_90
.LBB35_89:
	s_cmp_lg_u32 s9, 0
	s_mov_b64 s[24:25], -1
	s_cselect_b64 s[26:27], -1, 0
.LBB35_90:
	s_andn2_b64 vcc, exec, s[26:27]
	s_cbranch_vccz .LBB35_96
; %bb.91:
	s_andn2_b64 vcc, exec, s[24:25]
	s_cbranch_vccz .LBB35_97
.LBB35_92:
	s_cmp_lt_i32 s9, 1
	s_mov_b64 s[26:27], 0
	s_cbranch_scc1 .LBB35_98
.LBB35_93:
	s_cmp_gt_i32 s9, 1
	s_cbranch_scc0 .LBB35_99
; %bb.94:
	s_cmp_eq_u32 s9, 2
	s_cbranch_scc0 .LBB35_257
; %bb.95:
	s_waitcnt vmcnt(4)
	v_cmp_ge_i32_e64 s[24:25], s10, v10
	s_mov_b64 s[28:29], 0
	s_branch .LBB35_101
.LBB35_96:
	s_waitcnt vmcnt(4)
	v_cmp_gt_i32_e32 vcc, s10, v9
	s_andn2_b64 s[22:23], s[22:23], exec
	s_and_b64 s[26:27], vcc, exec
	s_or_b64 s[22:23], s[22:23], s[26:27]
	s_cbranch_execnz .LBB35_92
.LBB35_97:
	s_waitcnt vmcnt(4)
	v_cmp_le_i32_e32 vcc, s10, v9
	s_andn2_b64 s[22:23], s[22:23], exec
	s_and_b64 s[24:25], vcc, exec
	s_or_b64 s[22:23], s[22:23], s[24:25]
	s_cmp_lt_i32 s9, 1
	s_mov_b64 s[26:27], 0
	s_cbranch_scc0 .LBB35_93
.LBB35_98:
                                        ; implicit-def: $sgpr24_sgpr25
	s_mov_b64 s[28:29], 0
	s_cbranch_execnz .LBB35_102
	s_branch .LBB35_103
.LBB35_99:
	s_mov_b64 s[28:29], 0
                                        ; implicit-def: $sgpr24_sgpr25
	s_cbranch_execz .LBB35_101
; %bb.100:
	s_waitcnt vmcnt(4)
	v_cmp_lt_i32_e32 vcc, s10, v10
	s_andn2_b64 s[24:25], s[24:25], exec
	s_and_b64 s[30:31], vcc, exec
	s_or_b64 s[24:25], s[24:25], s[30:31]
.LBB35_101:
	s_branch .LBB35_103
.LBB35_102:
	s_cmp_lg_u32 s9, 0
	s_mov_b64 s[26:27], -1
	s_cselect_b64 s[28:29], -1, 0
.LBB35_103:
	s_andn2_b64 vcc, exec, s[28:29]
	s_cbranch_vccz .LBB35_109
; %bb.104:
	s_andn2_b64 vcc, exec, s[26:27]
	s_cbranch_vccz .LBB35_110
.LBB35_105:
	s_cmp_lt_i32 s9, 1
	s_mov_b64 s[28:29], 0
	s_cbranch_scc1 .LBB35_111
.LBB35_106:
	s_cmp_gt_i32 s9, 1
	s_cbranch_scc0 .LBB35_112
; %bb.107:
	s_cmp_eq_u32 s9, 2
	s_cbranch_scc0 .LBB35_258
; %bb.108:
	s_waitcnt vmcnt(3)
	v_cmp_ge_i32_e64 s[26:27], s10, v7
	s_mov_b64 s[30:31], 0
	s_branch .LBB35_114
.LBB35_109:
	s_waitcnt vmcnt(4)
	v_cmp_gt_i32_e32 vcc, s10, v10
	s_andn2_b64 s[24:25], s[24:25], exec
	s_and_b64 s[28:29], vcc, exec
	s_or_b64 s[24:25], s[24:25], s[28:29]
	s_cbranch_execnz .LBB35_105
.LBB35_110:
	s_waitcnt vmcnt(4)
	v_cmp_le_i32_e32 vcc, s10, v10
	s_andn2_b64 s[24:25], s[24:25], exec
	s_and_b64 s[26:27], vcc, exec
	s_or_b64 s[24:25], s[24:25], s[26:27]
	s_cmp_lt_i32 s9, 1
	s_mov_b64 s[28:29], 0
	s_cbranch_scc0 .LBB35_106
.LBB35_111:
                                        ; implicit-def: $sgpr26_sgpr27
	s_mov_b64 s[30:31], 0
	s_cbranch_execnz .LBB35_115
	s_branch .LBB35_116
.LBB35_112:
	s_mov_b64 s[30:31], 0
                                        ; implicit-def: $sgpr26_sgpr27
	s_cbranch_execz .LBB35_114
; %bb.113:
	s_waitcnt vmcnt(3)
	v_cmp_lt_i32_e32 vcc, s10, v7
	s_andn2_b64 s[26:27], s[26:27], exec
	s_and_b64 s[34:35], vcc, exec
	s_or_b64 s[26:27], s[26:27], s[34:35]
.LBB35_114:
	s_branch .LBB35_116
.LBB35_115:
	s_cmp_lg_u32 s9, 0
	s_mov_b64 s[28:29], -1
	s_cselect_b64 s[30:31], -1, 0
.LBB35_116:
	s_andn2_b64 vcc, exec, s[30:31]
	s_cbranch_vccz .LBB35_122
; %bb.117:
	s_andn2_b64 vcc, exec, s[28:29]
	s_cbranch_vccz .LBB35_123
.LBB35_118:
	s_cmp_lt_i32 s9, 1
	s_mov_b64 s[30:31], 0
	s_cbranch_scc1 .LBB35_124
.LBB35_119:
	s_cmp_gt_i32 s9, 1
	s_cbranch_scc0 .LBB35_125
; %bb.120:
	s_cmp_eq_u32 s9, 2
	s_cbranch_scc0 .LBB35_259
; %bb.121:
	s_waitcnt vmcnt(3)
	v_cmp_ge_i32_e64 s[28:29], s10, v8
	s_mov_b64 s[34:35], 0
	s_branch .LBB35_127
.LBB35_122:
	s_waitcnt vmcnt(3)
	v_cmp_gt_i32_e32 vcc, s10, v7
	s_andn2_b64 s[26:27], s[26:27], exec
	s_and_b64 s[30:31], vcc, exec
	s_or_b64 s[26:27], s[26:27], s[30:31]
	s_cbranch_execnz .LBB35_118
.LBB35_123:
	s_waitcnt vmcnt(3)
	v_cmp_le_i32_e32 vcc, s10, v7
	s_andn2_b64 s[26:27], s[26:27], exec
	s_and_b64 s[28:29], vcc, exec
	s_or_b64 s[26:27], s[26:27], s[28:29]
	s_cmp_lt_i32 s9, 1
	s_mov_b64 s[30:31], 0
	s_cbranch_scc0 .LBB35_119
.LBB35_124:
                                        ; implicit-def: $sgpr28_sgpr29
	s_mov_b64 s[34:35], 0
	s_cbranch_execnz .LBB35_128
	s_branch .LBB35_129
.LBB35_125:
	s_mov_b64 s[34:35], 0
                                        ; implicit-def: $sgpr28_sgpr29
	s_cbranch_execz .LBB35_127
; %bb.126:
	s_waitcnt vmcnt(3)
	v_cmp_lt_i32_e32 vcc, s10, v8
	s_andn2_b64 s[28:29], s[28:29], exec
	s_and_b64 s[36:37], vcc, exec
	s_or_b64 s[28:29], s[28:29], s[36:37]
.LBB35_127:
	s_branch .LBB35_129
.LBB35_128:
	s_cmp_lg_u32 s9, 0
	s_mov_b64 s[30:31], -1
	s_cselect_b64 s[34:35], -1, 0
.LBB35_129:
	s_andn2_b64 vcc, exec, s[34:35]
	s_cbranch_vccz .LBB35_135
; %bb.130:
	s_andn2_b64 vcc, exec, s[30:31]
	s_cbranch_vccz .LBB35_136
.LBB35_131:
	s_cmp_lt_i32 s9, 1
	s_mov_b64 s[34:35], 0
	s_cbranch_scc1 .LBB35_137
.LBB35_132:
	s_cmp_gt_i32 s9, 1
	s_cbranch_scc0 .LBB35_138
; %bb.133:
	s_cmp_eq_u32 s9, 2
	s_cbranch_scc0 .LBB35_260
; %bb.134:
	s_waitcnt vmcnt(2)
	v_cmp_ge_i32_e64 s[30:31], s10, v5
	s_mov_b64 s[36:37], 0
	s_branch .LBB35_140
.LBB35_135:
	s_waitcnt vmcnt(3)
	v_cmp_gt_i32_e32 vcc, s10, v8
	s_andn2_b64 s[28:29], s[28:29], exec
	s_and_b64 s[34:35], vcc, exec
	s_or_b64 s[28:29], s[28:29], s[34:35]
	s_cbranch_execnz .LBB35_131
.LBB35_136:
	s_waitcnt vmcnt(3)
	v_cmp_le_i32_e32 vcc, s10, v8
	s_andn2_b64 s[28:29], s[28:29], exec
	s_and_b64 s[30:31], vcc, exec
	s_or_b64 s[28:29], s[28:29], s[30:31]
	s_cmp_lt_i32 s9, 1
	s_mov_b64 s[34:35], 0
	s_cbranch_scc0 .LBB35_132
.LBB35_137:
                                        ; implicit-def: $sgpr30_sgpr31
	s_mov_b64 s[36:37], 0
	s_cbranch_execnz .LBB35_141
	s_branch .LBB35_142
.LBB35_138:
	s_mov_b64 s[36:37], 0
                                        ; implicit-def: $sgpr30_sgpr31
	s_cbranch_execz .LBB35_140
; %bb.139:
	s_waitcnt vmcnt(2)
	v_cmp_lt_i32_e32 vcc, s10, v5
	s_andn2_b64 s[30:31], s[30:31], exec
	s_and_b64 s[38:39], vcc, exec
	s_or_b64 s[30:31], s[30:31], s[38:39]
.LBB35_140:
	s_branch .LBB35_142
.LBB35_141:
	s_cmp_lg_u32 s9, 0
	s_mov_b64 s[34:35], -1
	s_cselect_b64 s[36:37], -1, 0
.LBB35_142:
	s_andn2_b64 vcc, exec, s[36:37]
	s_cbranch_vccz .LBB35_148
; %bb.143:
	s_andn2_b64 vcc, exec, s[34:35]
	s_cbranch_vccz .LBB35_149
.LBB35_144:
	s_cmp_lt_i32 s9, 1
	s_mov_b64 s[36:37], 0
	s_cbranch_scc1 .LBB35_150
.LBB35_145:
	s_cmp_gt_i32 s9, 1
	s_cbranch_scc0 .LBB35_151
; %bb.146:
	s_cmp_eq_u32 s9, 2
	s_cbranch_scc0 .LBB35_261
; %bb.147:
	s_waitcnt vmcnt(2)
	v_cmp_ge_i32_e64 s[34:35], s10, v6
	s_mov_b64 s[38:39], 0
	s_branch .LBB35_153
.LBB35_148:
	s_waitcnt vmcnt(2)
	v_cmp_gt_i32_e32 vcc, s10, v5
	s_andn2_b64 s[30:31], s[30:31], exec
	s_and_b64 s[36:37], vcc, exec
	s_or_b64 s[30:31], s[30:31], s[36:37]
	s_cbranch_execnz .LBB35_144
.LBB35_149:
	s_waitcnt vmcnt(2)
	v_cmp_le_i32_e32 vcc, s10, v5
	s_andn2_b64 s[30:31], s[30:31], exec
	s_and_b64 s[34:35], vcc, exec
	s_or_b64 s[30:31], s[30:31], s[34:35]
	s_cmp_lt_i32 s9, 1
	s_mov_b64 s[36:37], 0
	s_cbranch_scc0 .LBB35_145
.LBB35_150:
                                        ; implicit-def: $sgpr34_sgpr35
	s_mov_b64 s[38:39], 0
	s_cbranch_execnz .LBB35_154
	s_branch .LBB35_155
.LBB35_151:
	s_mov_b64 s[38:39], 0
                                        ; implicit-def: $sgpr34_sgpr35
	s_cbranch_execz .LBB35_153
; %bb.152:
	s_waitcnt vmcnt(2)
	v_cmp_lt_i32_e32 vcc, s10, v6
	s_andn2_b64 s[34:35], s[34:35], exec
	s_and_b64 s[40:41], vcc, exec
	s_or_b64 s[34:35], s[34:35], s[40:41]
.LBB35_153:
	s_branch .LBB35_155
.LBB35_154:
	s_cmp_lg_u32 s9, 0
	s_mov_b64 s[36:37], -1
	s_cselect_b64 s[38:39], -1, 0
.LBB35_155:
	s_andn2_b64 vcc, exec, s[38:39]
	s_cbranch_vccz .LBB35_161
; %bb.156:
	s_andn2_b64 vcc, exec, s[36:37]
	s_cbranch_vccz .LBB35_162
.LBB35_157:
	s_cmp_lt_i32 s9, 1
	s_mov_b64 s[38:39], 0
	s_cbranch_scc1 .LBB35_163
.LBB35_158:
	s_cmp_gt_i32 s9, 1
	s_cbranch_scc0 .LBB35_164
; %bb.159:
	s_cmp_eq_u32 s9, 2
	s_cbranch_scc0 .LBB35_262
; %bb.160:
	s_waitcnt vmcnt(1)
	v_cmp_ge_i32_e64 s[36:37], s10, v3
	s_mov_b64 s[40:41], 0
	s_branch .LBB35_166
.LBB35_161:
	s_waitcnt vmcnt(2)
	v_cmp_gt_i32_e32 vcc, s10, v6
	s_andn2_b64 s[34:35], s[34:35], exec
	s_and_b64 s[38:39], vcc, exec
	s_or_b64 s[34:35], s[34:35], s[38:39]
	s_cbranch_execnz .LBB35_157
.LBB35_162:
	s_waitcnt vmcnt(2)
	v_cmp_le_i32_e32 vcc, s10, v6
	s_andn2_b64 s[34:35], s[34:35], exec
	s_and_b64 s[36:37], vcc, exec
	s_or_b64 s[34:35], s[34:35], s[36:37]
	s_cmp_lt_i32 s9, 1
	s_mov_b64 s[38:39], 0
	s_cbranch_scc0 .LBB35_158
.LBB35_163:
                                        ; implicit-def: $sgpr36_sgpr37
	s_mov_b64 s[40:41], 0
	s_cbranch_execnz .LBB35_167
	s_branch .LBB35_168
.LBB35_164:
	s_mov_b64 s[40:41], 0
                                        ; implicit-def: $sgpr36_sgpr37
	s_cbranch_execz .LBB35_166
; %bb.165:
	s_waitcnt vmcnt(1)
	v_cmp_lt_i32_e32 vcc, s10, v3
	s_andn2_b64 s[36:37], s[36:37], exec
	s_and_b64 s[42:43], vcc, exec
	s_or_b64 s[36:37], s[36:37], s[42:43]
.LBB35_166:
	s_branch .LBB35_168
.LBB35_167:
	s_cmp_lg_u32 s9, 0
	s_mov_b64 s[38:39], -1
	s_cselect_b64 s[40:41], -1, 0
.LBB35_168:
	s_andn2_b64 vcc, exec, s[40:41]
	s_cbranch_vccz .LBB35_174
; %bb.169:
	s_andn2_b64 vcc, exec, s[38:39]
	s_cbranch_vccz .LBB35_175
.LBB35_170:
	s_cmp_lt_i32 s9, 1
	s_mov_b64 s[40:41], 0
	s_cbranch_scc1 .LBB35_176
.LBB35_171:
	s_cmp_gt_i32 s9, 1
	s_cbranch_scc0 .LBB35_177
; %bb.172:
	s_cmp_eq_u32 s9, 2
	s_cbranch_scc0 .LBB35_263
; %bb.173:
	s_waitcnt vmcnt(1)
	v_cmp_ge_i32_e64 s[38:39], s10, v4
	s_mov_b64 s[42:43], 0
	s_branch .LBB35_179
.LBB35_174:
	s_waitcnt vmcnt(1)
	v_cmp_gt_i32_e32 vcc, s10, v3
	s_andn2_b64 s[36:37], s[36:37], exec
	s_and_b64 s[40:41], vcc, exec
	s_or_b64 s[36:37], s[36:37], s[40:41]
	s_cbranch_execnz .LBB35_170
.LBB35_175:
	s_waitcnt vmcnt(1)
	v_cmp_le_i32_e32 vcc, s10, v3
	s_andn2_b64 s[36:37], s[36:37], exec
	s_and_b64 s[38:39], vcc, exec
	s_or_b64 s[36:37], s[36:37], s[38:39]
	s_cmp_lt_i32 s9, 1
	s_mov_b64 s[40:41], 0
	s_cbranch_scc0 .LBB35_171
.LBB35_176:
                                        ; implicit-def: $sgpr38_sgpr39
	s_mov_b64 s[42:43], 0
	s_cbranch_execnz .LBB35_180
	s_branch .LBB35_181
.LBB35_177:
	s_mov_b64 s[42:43], 0
                                        ; implicit-def: $sgpr38_sgpr39
	s_cbranch_execz .LBB35_179
; %bb.178:
	s_waitcnt vmcnt(1)
	v_cmp_lt_i32_e32 vcc, s10, v4
	s_andn2_b64 s[38:39], s[38:39], exec
	s_and_b64 s[44:45], vcc, exec
	s_or_b64 s[38:39], s[38:39], s[44:45]
.LBB35_179:
	s_branch .LBB35_181
.LBB35_180:
	s_cmp_lg_u32 s9, 0
	s_mov_b64 s[40:41], -1
	s_cselect_b64 s[42:43], -1, 0
.LBB35_181:
	s_andn2_b64 vcc, exec, s[42:43]
	s_cbranch_vccz .LBB35_187
; %bb.182:
	s_andn2_b64 vcc, exec, s[40:41]
	s_cbranch_vccz .LBB35_188
.LBB35_183:
	s_cmp_lt_i32 s9, 1
	s_mov_b64 s[42:43], 0
	s_cbranch_scc1 .LBB35_189
.LBB35_184:
	s_cmp_gt_i32 s9, 1
	s_cbranch_scc0 .LBB35_190
; %bb.185:
	s_cmp_eq_u32 s9, 2
	s_cbranch_scc0 .LBB35_264
; %bb.186:
	s_waitcnt vmcnt(0)
	v_cmp_ge_i32_e64 s[40:41], s10, v1
	s_mov_b64 s[44:45], 0
	s_branch .LBB35_192
.LBB35_187:
	s_waitcnt vmcnt(1)
	v_cmp_gt_i32_e32 vcc, s10, v4
	s_andn2_b64 s[38:39], s[38:39], exec
	s_and_b64 s[42:43], vcc, exec
	s_or_b64 s[38:39], s[38:39], s[42:43]
	s_cbranch_execnz .LBB35_183
.LBB35_188:
	s_waitcnt vmcnt(1)
	v_cmp_le_i32_e32 vcc, s10, v4
	s_andn2_b64 s[38:39], s[38:39], exec
	s_and_b64 s[40:41], vcc, exec
	s_or_b64 s[38:39], s[38:39], s[40:41]
	s_cmp_lt_i32 s9, 1
	s_mov_b64 s[42:43], 0
	s_cbranch_scc0 .LBB35_184
.LBB35_189:
                                        ; implicit-def: $sgpr40_sgpr41
	s_mov_b64 s[44:45], 0
	s_cbranch_execnz .LBB35_193
	s_branch .LBB35_194
.LBB35_190:
	s_mov_b64 s[44:45], 0
                                        ; implicit-def: $sgpr40_sgpr41
	s_cbranch_execz .LBB35_192
; %bb.191:
	s_waitcnt vmcnt(0)
	v_cmp_lt_i32_e32 vcc, s10, v1
	s_andn2_b64 s[40:41], s[40:41], exec
	s_and_b64 s[46:47], vcc, exec
	s_or_b64 s[40:41], s[40:41], s[46:47]
.LBB35_192:
	s_branch .LBB35_194
.LBB35_193:
	s_cmp_lg_u32 s9, 0
	s_mov_b64 s[42:43], -1
	s_cselect_b64 s[44:45], -1, 0
.LBB35_194:
	s_andn2_b64 vcc, exec, s[44:45]
	s_cbranch_vccz .LBB35_200
; %bb.195:
	s_andn2_b64 vcc, exec, s[42:43]
	s_cbranch_vccz .LBB35_201
.LBB35_196:
	s_cmp_lt_i32 s9, 1
	s_mov_b64 s[44:45], 0
	s_cbranch_scc1 .LBB35_202
.LBB35_197:
	s_cmp_gt_i32 s9, 1
	s_cbranch_scc0 .LBB35_203
; %bb.198:
	s_cmp_eq_u32 s9, 2
	s_cbranch_scc0 .LBB35_265
; %bb.199:
	s_waitcnt vmcnt(0)
	v_cmp_ge_i32_e64 s[42:43], s10, v2
	s_mov_b64 s[46:47], 0
	s_branch .LBB35_205
.LBB35_200:
	s_waitcnt vmcnt(0)
	v_cmp_gt_i32_e32 vcc, s10, v1
	s_andn2_b64 s[40:41], s[40:41], exec
	s_and_b64 s[44:45], vcc, exec
	s_or_b64 s[40:41], s[40:41], s[44:45]
	s_cbranch_execnz .LBB35_196
.LBB35_201:
	s_waitcnt vmcnt(0)
	v_cmp_le_i32_e32 vcc, s10, v1
	s_andn2_b64 s[40:41], s[40:41], exec
	s_and_b64 s[42:43], vcc, exec
	s_or_b64 s[40:41], s[40:41], s[42:43]
	s_cmp_lt_i32 s9, 1
	s_mov_b64 s[44:45], 0
	s_cbranch_scc0 .LBB35_197
.LBB35_202:
                                        ; implicit-def: $sgpr42_sgpr43
	s_mov_b64 s[46:47], 0
	s_cbranch_execnz .LBB35_206
	s_branch .LBB35_207
.LBB35_203:
	s_mov_b64 s[46:47], 0
                                        ; implicit-def: $sgpr42_sgpr43
	s_cbranch_execz .LBB35_205
; %bb.204:
	s_waitcnt vmcnt(0)
	v_cmp_lt_i32_e32 vcc, s10, v2
	s_andn2_b64 s[42:43], s[42:43], exec
	s_and_b64 s[48:49], vcc, exec
	s_or_b64 s[42:43], s[42:43], s[48:49]
.LBB35_205:
	s_branch .LBB35_207
.LBB35_206:
	s_cmp_lg_u32 s9, 0
	s_mov_b64 s[44:45], -1
	s_cselect_b64 s[46:47], -1, 0
.LBB35_207:
	s_andn2_b64 vcc, exec, s[46:47]
	s_cbranch_vccz .LBB35_249
; %bb.208:
	s_andn2_b64 vcc, exec, s[44:45]
	s_cbranch_vccnz .LBB35_210
.LBB35_209:
	s_waitcnt vmcnt(0)
	v_cmp_le_i32_e32 vcc, s10, v2
	s_andn2_b64 s[42:43], s[42:43], exec
	s_and_b64 s[44:45], vcc, exec
	s_or_b64 s[42:43], s[42:43], s[44:45]
.LBB35_210:
	s_waitcnt vmcnt(1)
	v_mov_b32_e32 v3, 0x100
	s_waitcnt vmcnt(0)
	v_cndmask_b32_e64 v2, 0, 1, s[36:37]
	v_cndmask_b32_e64 v4, 0, v3, s[38:39]
	v_or_b32_e32 v2, v4, v2
	v_cndmask_b32_e64 v4, 0, 1, s[30:31]
	v_cndmask_b32_e64 v5, 0, v3, s[34:35]
	v_or_b32_e32 v4, v5, v4
	;; [unrolled: 3-line block ×5, first 2 shown]
	v_cndmask_b32_e64 v8, 0, 1, s[6:7]
	v_cndmask_b32_e64 v9, 0, v3, s[16:17]
	;; [unrolled: 1-line block ×3, first 2 shown]
	v_or_b32_e32 v8, v9, v8
	v_cndmask_b32_e64 v9, 0, 1, s[0:1]
	v_cndmask_b32_e64 v10, 0, v3, s[4:5]
	;; [unrolled: 1-line block ×3, first 2 shown]
	s_add_u32 s0, s12, s2
	v_or_b32_e32 v9, v10, v9
	v_or_b32_e32 v1, v3, v1
	s_addc_u32 s1, s13, s3
	v_lshlrev_b32_e32 v3, 1, v0
	global_store_short v3, v9, s[0:1]
	global_store_short v3, v8, s[0:1] offset:512
	global_store_short v3, v7, s[0:1] offset:1024
	;; [unrolled: 1-line block ×7, first 2 shown]
	s_mov_b64 s[0:1], 0
.LBB35_211:
	s_and_b64 vcc, exec, s[0:1]
	s_cbranch_vccz .LBB35_519
; %bb.212:
	v_cmp_gt_i32_e64 s[0:1], s8, v0
	v_mov_b32_e32 v4, 0
	v_or_b32_e32 v1, s2, v0
	v_mov_b32_e32 v5, 0
	v_mov_b32_e32 v6, 0
	;; [unrolled: 1-line block ×15, first 2 shown]
	s_and_saveexec_b64 s[4:5], s[0:1]
	s_cbranch_execz .LBB35_244
; %bb.213:
	v_mov_b32_e32 v2, 0
	v_lshlrev_b64 v[3:4], 2, v[1:2]
	v_mov_b32_e32 v5, s15
	v_add_co_u32_e32 v3, vcc, s14, v3
	v_addc_co_u32_e32 v4, vcc, v5, v4, vcc
	global_load_dword v20, v[3:4], off
	v_or_b32_e32 v3, 0x100, v0
	v_cmp_gt_u32_e32 vcc, s8, v3
	v_mov_b32_e32 v15, v2
	v_mov_b32_e32 v18, v2
	v_mov_b32_e32 v19, v2
	v_mov_b32_e32 v14, v2
	v_mov_b32_e32 v13, v2
	v_mov_b32_e32 v12, v2
	v_mov_b32_e32 v11, v2
	v_mov_b32_e32 v10, v2
	v_mov_b32_e32 v9, v2
	v_mov_b32_e32 v8, v2
	v_mov_b32_e32 v7, v2
	v_mov_b32_e32 v6, v2
	v_mov_b32_e32 v5, v2
	v_mov_b32_e32 v4, v2
	s_and_saveexec_b64 s[6:7], vcc
	s_cbranch_execz .LBB35_243
; %bb.214:
	v_add_u32_e32 v14, s2, v0
	v_mov_b32_e32 v15, 0
	v_lshlrev_b64 v[2:3], 2, v[14:15]
	v_mov_b32_e32 v4, s15
	v_add_co_u32_e32 v16, vcc, s14, v2
	v_addc_co_u32_e32 v17, vcc, v4, v3, vcc
	global_load_dword v2, v[16:17], off offset:1024
	v_or_b32_e32 v3, 0x200, v0
	v_cmp_gt_u32_e32 vcc, s8, v3
	v_mov_b32_e32 v18, v15
	v_mov_b32_e32 v19, v15
	v_mov_b32_e32 v14, v15
	v_mov_b32_e32 v13, v15
	v_mov_b32_e32 v12, v15
	v_mov_b32_e32 v11, v15
	v_mov_b32_e32 v10, v15
	v_mov_b32_e32 v9, v15
	v_mov_b32_e32 v8, v15
	v_mov_b32_e32 v7, v15
	v_mov_b32_e32 v6, v15
	v_mov_b32_e32 v5, v15
	v_mov_b32_e32 v4, v15
	s_and_saveexec_b64 s[16:17], vcc
	s_cbranch_execz .LBB35_242
; %bb.215:
	global_load_dword v15, v[16:17], off offset:2048
	v_or_b32_e32 v3, 0x300, v0
	v_cmp_gt_u32_e32 vcc, s8, v3
	v_mov_b32_e32 v18, 0
	v_mov_b32_e32 v19, 0
	;; [unrolled: 1-line block ×13, first 2 shown]
	s_and_saveexec_b64 s[18:19], vcc
	s_cbranch_execz .LBB35_241
; %bb.216:
	global_load_dword v18, v[16:17], off offset:3072
	v_or_b32_e32 v3, 0x400, v0
	v_cmp_gt_u32_e32 vcc, s8, v3
	v_mov_b32_e32 v19, 0
	v_mov_b32_e32 v14, 0
	;; [unrolled: 1-line block ×12, first 2 shown]
	s_and_saveexec_b64 s[20:21], vcc
	s_cbranch_execz .LBB35_240
; %bb.217:
	v_or_b32_e32 v13, s2, v3
	v_mov_b32_e32 v14, 0
	v_lshlrev_b64 v[3:4], 2, v[13:14]
	v_mov_b32_e32 v5, s15
	v_add_co_u32_e32 v3, vcc, s14, v3
	v_addc_co_u32_e32 v4, vcc, v5, v4, vcc
	global_load_dword v19, v[3:4], off
	v_or_b32_e32 v3, 0x500, v0
	v_cmp_gt_u32_e32 vcc, s8, v3
	v_mov_b32_e32 v13, v14
	v_mov_b32_e32 v12, v14
	;; [unrolled: 1-line block ×10, first 2 shown]
	s_and_saveexec_b64 s[22:23], vcc
	s_cbranch_execz .LBB35_239
; %bb.218:
	v_or_b32_e32 v12, s2, v3
	v_mov_b32_e32 v13, 0
	v_lshlrev_b64 v[3:4], 2, v[12:13]
	v_mov_b32_e32 v5, s15
	v_add_co_u32_e32 v3, vcc, s14, v3
	v_addc_co_u32_e32 v4, vcc, v5, v4, vcc
	global_load_dword v14, v[3:4], off
	v_or_b32_e32 v3, 0x600, v0
	v_cmp_gt_u32_e32 vcc, s8, v3
	v_mov_b32_e32 v12, v13
	v_mov_b32_e32 v11, v13
	;; [unrolled: 1-line block ×9, first 2 shown]
	s_and_saveexec_b64 s[24:25], vcc
	s_cbranch_execz .LBB35_238
; %bb.219:
	v_or_b32_e32 v11, s2, v3
	v_mov_b32_e32 v12, 0
	v_lshlrev_b64 v[3:4], 2, v[11:12]
	v_mov_b32_e32 v5, s15
	v_add_co_u32_e32 v3, vcc, s14, v3
	v_addc_co_u32_e32 v4, vcc, v5, v4, vcc
	global_load_dword v13, v[3:4], off
	v_or_b32_e32 v3, 0x700, v0
	v_cmp_gt_u32_e32 vcc, s8, v3
	v_mov_b32_e32 v11, v12
	v_mov_b32_e32 v10, v12
	;; [unrolled: 1-line block ×8, first 2 shown]
	s_and_saveexec_b64 s[26:27], vcc
	s_cbranch_execz .LBB35_237
; %bb.220:
	v_or_b32_e32 v10, s2, v3
	v_mov_b32_e32 v11, 0
	v_lshlrev_b64 v[3:4], 2, v[10:11]
	v_mov_b32_e32 v5, s15
	v_add_co_u32_e32 v3, vcc, s14, v3
	v_addc_co_u32_e32 v4, vcc, v5, v4, vcc
	global_load_dword v12, v[3:4], off
	v_or_b32_e32 v3, 0x800, v0
	v_cmp_gt_u32_e32 vcc, s8, v3
	v_mov_b32_e32 v10, v11
	v_mov_b32_e32 v9, v11
	;; [unrolled: 1-line block ×7, first 2 shown]
	s_and_saveexec_b64 s[28:29], vcc
	s_cbranch_execz .LBB35_236
; %bb.221:
	v_or_b32_e32 v9, s2, v3
	v_mov_b32_e32 v10, 0
	v_lshlrev_b64 v[3:4], 2, v[9:10]
	v_mov_b32_e32 v5, s15
	v_add_co_u32_e32 v3, vcc, s14, v3
	v_addc_co_u32_e32 v4, vcc, v5, v4, vcc
	global_load_dword v11, v[3:4], off
	v_or_b32_e32 v3, 0x900, v0
	v_cmp_gt_u32_e32 vcc, s8, v3
	v_mov_b32_e32 v9, v10
	v_mov_b32_e32 v8, v10
	;; [unrolled: 1-line block ×6, first 2 shown]
	s_and_saveexec_b64 s[30:31], vcc
	s_cbranch_execz .LBB35_235
; %bb.222:
	v_or_b32_e32 v8, s2, v3
	v_mov_b32_e32 v9, 0
	v_lshlrev_b64 v[3:4], 2, v[8:9]
	v_mov_b32_e32 v5, s15
	v_add_co_u32_e32 v3, vcc, s14, v3
	v_addc_co_u32_e32 v4, vcc, v5, v4, vcc
	global_load_dword v10, v[3:4], off
	v_or_b32_e32 v3, 0xa00, v0
	v_cmp_gt_u32_e32 vcc, s8, v3
	v_mov_b32_e32 v8, v9
	v_mov_b32_e32 v7, v9
	;; [unrolled: 1-line block ×5, first 2 shown]
	s_and_saveexec_b64 s[34:35], vcc
	s_cbranch_execz .LBB35_234
; %bb.223:
	v_or_b32_e32 v7, s2, v3
	v_mov_b32_e32 v8, 0
	v_lshlrev_b64 v[3:4], 2, v[7:8]
	v_mov_b32_e32 v5, s15
	v_add_co_u32_e32 v3, vcc, s14, v3
	v_addc_co_u32_e32 v4, vcc, v5, v4, vcc
	global_load_dword v9, v[3:4], off
	v_or_b32_e32 v3, 0xb00, v0
	v_cmp_gt_u32_e32 vcc, s8, v3
	v_mov_b32_e32 v7, v8
	v_mov_b32_e32 v6, v8
	;; [unrolled: 1-line block ×4, first 2 shown]
	s_and_saveexec_b64 s[36:37], vcc
	s_cbranch_execz .LBB35_233
; %bb.224:
	v_or_b32_e32 v6, s2, v3
	v_mov_b32_e32 v7, 0
	v_lshlrev_b64 v[3:4], 2, v[6:7]
	v_mov_b32_e32 v5, s15
	v_add_co_u32_e32 v3, vcc, s14, v3
	v_addc_co_u32_e32 v4, vcc, v5, v4, vcc
	global_load_dword v8, v[3:4], off
	v_or_b32_e32 v3, 0xc00, v0
	v_cmp_gt_u32_e32 vcc, s8, v3
	v_mov_b32_e32 v6, v7
	v_mov_b32_e32 v5, v7
	v_mov_b32_e32 v4, v7
	s_and_saveexec_b64 s[38:39], vcc
	s_cbranch_execz .LBB35_232
; %bb.225:
	v_or_b32_e32 v5, s2, v3
	v_mov_b32_e32 v6, 0
	v_lshlrev_b64 v[3:4], 2, v[5:6]
	v_mov_b32_e32 v5, s15
	v_add_co_u32_e32 v3, vcc, s14, v3
	v_addc_co_u32_e32 v4, vcc, v5, v4, vcc
	global_load_dword v7, v[3:4], off
	v_or_b32_e32 v3, 0xd00, v0
	v_cmp_gt_u32_e32 vcc, s8, v3
	v_mov_b32_e32 v5, v6
	v_mov_b32_e32 v4, v6
	s_and_saveexec_b64 s[40:41], vcc
	s_cbranch_execz .LBB35_231
; %bb.226:
	v_add_u32_e32 v4, s2, v3
	v_mov_b32_e32 v5, 0
	v_lshlrev_b64 v[3:4], 2, v[4:5]
	v_mov_b32_e32 v6, s15
	v_add_co_u32_e32 v3, vcc, s14, v3
	v_addc_co_u32_e32 v4, vcc, v6, v4, vcc
	global_load_dword v6, v[3:4], off
	v_or_b32_e32 v3, 0xe00, v0
	v_cmp_gt_u32_e32 vcc, s8, v3
	v_mov_b32_e32 v4, v5
	s_and_saveexec_b64 s[42:43], vcc
	s_cbranch_execz .LBB35_230
; %bb.227:
	v_add_u32_e32 v3, s2, v3
	v_mov_b32_e32 v4, 0
	v_lshlrev_b64 v[16:17], 2, v[3:4]
	v_mov_b32_e32 v3, s15
	v_add_co_u32_e32 v16, vcc, s14, v16
	v_addc_co_u32_e32 v17, vcc, v3, v17, vcc
	global_load_dword v5, v[16:17], off
	v_or_b32_e32 v3, 0xf00, v0
	v_cmp_gt_u32_e32 vcc, s8, v3
	s_and_saveexec_b64 s[44:45], vcc
	s_cbranch_execz .LBB35_229
; %bb.228:
	v_add_u32_e32 v3, s2, v3
	v_mov_b32_e32 v4, 0
	v_lshlrev_b64 v[3:4], 2, v[3:4]
	v_mov_b32_e32 v16, s15
	v_add_co_u32_e32 v3, vcc, s14, v3
	v_addc_co_u32_e32 v4, vcc, v16, v4, vcc
	global_load_dword v4, v[3:4], off
.LBB35_229:
	s_or_b64 exec, exec, s[44:45]
.LBB35_230:
	s_or_b64 exec, exec, s[42:43]
.LBB35_231:
	s_or_b64 exec, exec, s[40:41]
.LBB35_232:
	s_or_b64 exec, exec, s[38:39]
.LBB35_233:
	s_or_b64 exec, exec, s[36:37]
.LBB35_234:
	s_or_b64 exec, exec, s[34:35]
.LBB35_235:
	s_or_b64 exec, exec, s[30:31]
.LBB35_236:
	s_or_b64 exec, exec, s[28:29]
.LBB35_237:
	s_or_b64 exec, exec, s[26:27]
.LBB35_238:
	s_or_b64 exec, exec, s[24:25]
.LBB35_239:
	s_or_b64 exec, exec, s[22:23]
.LBB35_240:
	s_or_b64 exec, exec, s[20:21]
.LBB35_241:
	s_or_b64 exec, exec, s[18:19]
.LBB35_242:
	s_or_b64 exec, exec, s[16:17]
.LBB35_243:
	s_or_b64 exec, exec, s[6:7]
.LBB35_244:
	s_or_b64 exec, exec, s[4:5]
                                        ; implicit-def: $vgpr3
	s_and_saveexec_b64 s[4:5], s[0:1]
	s_cbranch_execz .LBB35_276
; %bb.245:
	s_cmp_lt_i32 s9, 1
	s_mov_b64 s[6:7], 0
	s_cbranch_scc1 .LBB35_250
; %bb.246:
	s_cmp_gt_i32 s9, 1
	s_cbranch_scc0 .LBB35_266
; %bb.247:
	s_cmp_eq_u32 s9, 2
	s_cbranch_scc0 .LBB35_267
; %bb.248:
	s_waitcnt vmcnt(0)
	v_cmp_ge_i32_e64 s[14:15], s10, v20
	s_mov_b64 s[16:17], 0
	s_branch .LBB35_268
.LBB35_249:
	s_waitcnt vmcnt(0)
	v_cmp_gt_i32_e32 vcc, s10, v2
	s_andn2_b64 s[42:43], s[42:43], exec
	s_and_b64 s[46:47], vcc, exec
	s_or_b64 s[42:43], s[42:43], s[46:47]
	s_cbranch_execz .LBB35_209
	s_branch .LBB35_210
.LBB35_250:
                                        ; implicit-def: $sgpr14_sgpr15
	s_mov_b64 s[16:17], 0
	s_cbranch_execnz .LBB35_271
	s_branch .LBB35_272
.LBB35_251:
	s_mov_b64 s[16:17], -1
                                        ; implicit-def: $sgpr4_sgpr5
	s_branch .LBB35_23
.LBB35_252:
	s_mov_b64 s[18:19], -1
                                        ; implicit-def: $sgpr6_sgpr7
	s_branch .LBB35_36
.LBB35_253:
	s_mov_b64 s[20:21], -1
                                        ; implicit-def: $sgpr16_sgpr17
	s_branch .LBB35_49
.LBB35_254:
	s_mov_b64 s[22:23], -1
                                        ; implicit-def: $sgpr18_sgpr19
	s_branch .LBB35_62
.LBB35_255:
	s_mov_b64 s[24:25], -1
                                        ; implicit-def: $sgpr20_sgpr21
	s_branch .LBB35_75
.LBB35_256:
	s_mov_b64 s[26:27], -1
                                        ; implicit-def: $sgpr22_sgpr23
	s_branch .LBB35_88
.LBB35_257:
	s_mov_b64 s[28:29], -1
                                        ; implicit-def: $sgpr24_sgpr25
	s_branch .LBB35_101
.LBB35_258:
	s_mov_b64 s[30:31], -1
                                        ; implicit-def: $sgpr26_sgpr27
	s_branch .LBB35_114
.LBB35_259:
	s_mov_b64 s[34:35], -1
                                        ; implicit-def: $sgpr28_sgpr29
	s_branch .LBB35_127
.LBB35_260:
	s_mov_b64 s[36:37], -1
                                        ; implicit-def: $sgpr30_sgpr31
	s_branch .LBB35_140
.LBB35_261:
	s_mov_b64 s[38:39], -1
                                        ; implicit-def: $sgpr34_sgpr35
	s_branch .LBB35_153
.LBB35_262:
	s_mov_b64 s[40:41], -1
                                        ; implicit-def: $sgpr36_sgpr37
	s_branch .LBB35_166
.LBB35_263:
	s_mov_b64 s[42:43], -1
                                        ; implicit-def: $sgpr38_sgpr39
	s_branch .LBB35_179
.LBB35_264:
	s_mov_b64 s[44:45], -1
                                        ; implicit-def: $sgpr40_sgpr41
	s_branch .LBB35_192
.LBB35_265:
	s_mov_b64 s[46:47], -1
                                        ; implicit-def: $sgpr42_sgpr43
	s_branch .LBB35_205
.LBB35_266:
	s_mov_b64 s[16:17], 0
                                        ; implicit-def: $sgpr14_sgpr15
	s_cbranch_execnz .LBB35_269
	s_branch .LBB35_270
.LBB35_267:
	s_mov_b64 s[16:17], -1
                                        ; implicit-def: $sgpr14_sgpr15
.LBB35_268:
	s_branch .LBB35_270
.LBB35_269:
	s_waitcnt vmcnt(0)
	v_cmp_lt_i32_e32 vcc, s10, v20
	s_andn2_b64 s[14:15], s[14:15], exec
	s_and_b64 s[18:19], vcc, exec
	s_or_b64 s[14:15], s[14:15], s[18:19]
.LBB35_270:
	s_branch .LBB35_272
.LBB35_271:
	s_cmp_lg_u32 s9, 0
	s_mov_b64 s[6:7], -1
	s_cselect_b64 s[16:17], -1, 0
.LBB35_272:
	s_andn2_b64 vcc, exec, s[16:17]
	s_cbranch_vccz .LBB35_281
; %bb.273:
	s_andn2_b64 vcc, exec, s[6:7]
	s_cbranch_vccnz .LBB35_275
.LBB35_274:
	s_waitcnt vmcnt(0)
	v_cmp_le_i32_e32 vcc, s10, v20
	s_andn2_b64 s[6:7], s[14:15], exec
	s_and_b64 s[14:15], vcc, exec
	s_or_b64 s[14:15], s[6:7], s[14:15]
.LBB35_275:
	v_cndmask_b32_e64 v3, 0, 1, s[14:15]
.LBB35_276:
	s_or_b64 exec, exec, s[4:5]
	v_or_b32_e32 v16, 0x100, v0
	v_cmp_gt_i32_e32 vcc, s8, v16
                                        ; implicit-def: $vgpr17
	s_and_saveexec_b64 s[4:5], vcc
	s_cbranch_execz .LBB35_291
; %bb.277:
	s_cmp_lt_i32 s9, 1
	s_mov_b64 s[6:7], 0
	s_cbranch_scc1 .LBB35_282
; %bb.278:
	s_cmp_gt_i32 s9, 1
	s_cbranch_scc0 .LBB35_283
; %bb.279:
	s_cmp_eq_u32 s9, 2
	s_cbranch_scc0 .LBB35_535
; %bb.280:
	s_waitcnt vmcnt(0)
	v_cmp_ge_i32_e64 s[14:15], s10, v2
	s_mov_b64 s[16:17], 0
	s_branch .LBB35_285
.LBB35_281:
	s_waitcnt vmcnt(0)
	v_cmp_gt_i32_e32 vcc, s10, v20
	s_andn2_b64 s[14:15], s[14:15], exec
	s_and_b64 s[16:17], vcc, exec
	s_or_b64 s[14:15], s[14:15], s[16:17]
	s_cbranch_execz .LBB35_274
	s_branch .LBB35_275
.LBB35_282:
                                        ; implicit-def: $sgpr14_sgpr15
	s_mov_b64 s[16:17], 0
	s_cbranch_execnz .LBB35_286
	s_branch .LBB35_287
.LBB35_283:
	s_mov_b64 s[16:17], 0
                                        ; implicit-def: $sgpr14_sgpr15
	s_cbranch_execz .LBB35_285
; %bb.284:
	s_waitcnt vmcnt(0)
	v_cmp_lt_i32_e32 vcc, s10, v2
	s_andn2_b64 s[14:15], s[14:15], exec
	s_and_b64 s[18:19], vcc, exec
	s_or_b64 s[14:15], s[14:15], s[18:19]
.LBB35_285:
	s_branch .LBB35_287
.LBB35_286:
	s_cmp_lg_u32 s9, 0
	s_mov_b64 s[6:7], -1
	s_cselect_b64 s[16:17], -1, 0
.LBB35_287:
	s_andn2_b64 vcc, exec, s[16:17]
	s_cbranch_vccz .LBB35_296
; %bb.288:
	s_andn2_b64 vcc, exec, s[6:7]
	s_cbranch_vccnz .LBB35_290
.LBB35_289:
	s_waitcnt vmcnt(0)
	v_cmp_le_i32_e32 vcc, s10, v2
	s_andn2_b64 s[6:7], s[14:15], exec
	s_and_b64 s[14:15], vcc, exec
	s_or_b64 s[14:15], s[6:7], s[14:15]
.LBB35_290:
	v_cndmask_b32_e64 v17, 0, 1, s[14:15]
.LBB35_291:
	s_or_b64 exec, exec, s[4:5]
	s_waitcnt vmcnt(0)
	v_or_b32_e32 v2, 0x200, v0
	v_cmp_gt_i32_e32 vcc, s8, v2
                                        ; implicit-def: $vgpr2
	s_and_saveexec_b64 s[4:5], vcc
	s_cbranch_execz .LBB35_306
; %bb.292:
	s_cmp_lt_i32 s9, 1
	s_mov_b64 s[6:7], 0
	s_cbranch_scc1 .LBB35_297
; %bb.293:
	s_cmp_gt_i32 s9, 1
	s_cbranch_scc0 .LBB35_298
; %bb.294:
	s_cmp_eq_u32 s9, 2
	s_cbranch_scc0 .LBB35_536
; %bb.295:
	v_cmp_ge_i32_e64 s[14:15], s10, v15
	s_mov_b64 s[16:17], 0
	s_branch .LBB35_300
.LBB35_296:
	s_waitcnt vmcnt(0)
	v_cmp_gt_i32_e32 vcc, s10, v2
	s_andn2_b64 s[14:15], s[14:15], exec
	s_and_b64 s[16:17], vcc, exec
	s_or_b64 s[14:15], s[14:15], s[16:17]
	s_cbranch_execz .LBB35_289
	s_branch .LBB35_290
.LBB35_297:
                                        ; implicit-def: $sgpr14_sgpr15
	s_mov_b64 s[16:17], 0
	s_cbranch_execnz .LBB35_301
	s_branch .LBB35_302
.LBB35_298:
	s_mov_b64 s[16:17], 0
                                        ; implicit-def: $sgpr14_sgpr15
	s_cbranch_execz .LBB35_300
; %bb.299:
	v_cmp_lt_i32_e32 vcc, s10, v15
	s_andn2_b64 s[14:15], s[14:15], exec
	s_and_b64 s[18:19], vcc, exec
	s_or_b64 s[14:15], s[14:15], s[18:19]
.LBB35_300:
	s_branch .LBB35_302
.LBB35_301:
	s_cmp_lg_u32 s9, 0
	s_mov_b64 s[6:7], -1
	s_cselect_b64 s[16:17], -1, 0
.LBB35_302:
	s_andn2_b64 vcc, exec, s[16:17]
	s_cbranch_vccz .LBB35_311
; %bb.303:
	s_andn2_b64 vcc, exec, s[6:7]
	s_cbranch_vccnz .LBB35_305
.LBB35_304:
	v_cmp_le_i32_e32 vcc, s10, v15
	s_andn2_b64 s[6:7], s[14:15], exec
	s_and_b64 s[14:15], vcc, exec
	s_or_b64 s[14:15], s[6:7], s[14:15]
.LBB35_305:
	v_cndmask_b32_e64 v2, 0, 1, s[14:15]
.LBB35_306:
	s_or_b64 exec, exec, s[4:5]
	v_or_b32_e32 v15, 0x300, v0
	v_cmp_gt_i32_e32 vcc, s8, v15
                                        ; implicit-def: $vgpr15
	s_and_saveexec_b64 s[4:5], vcc
	s_cbranch_execz .LBB35_321
; %bb.307:
	s_cmp_lt_i32 s9, 1
	s_mov_b64 s[6:7], 0
	s_cbranch_scc1 .LBB35_312
; %bb.308:
	s_cmp_gt_i32 s9, 1
	s_cbranch_scc0 .LBB35_313
; %bb.309:
	s_cmp_eq_u32 s9, 2
	s_cbranch_scc0 .LBB35_537
; %bb.310:
	v_cmp_ge_i32_e64 s[14:15], s10, v18
	s_mov_b64 s[16:17], 0
	s_branch .LBB35_315
.LBB35_311:
	v_cmp_gt_i32_e32 vcc, s10, v15
	s_andn2_b64 s[14:15], s[14:15], exec
	s_and_b64 s[16:17], vcc, exec
	s_or_b64 s[14:15], s[14:15], s[16:17]
	s_cbranch_execz .LBB35_304
	s_branch .LBB35_305
.LBB35_312:
                                        ; implicit-def: $sgpr14_sgpr15
	s_mov_b64 s[16:17], 0
	s_cbranch_execnz .LBB35_316
	s_branch .LBB35_317
.LBB35_313:
	s_mov_b64 s[16:17], 0
                                        ; implicit-def: $sgpr14_sgpr15
	s_cbranch_execz .LBB35_315
; %bb.314:
	v_cmp_lt_i32_e32 vcc, s10, v18
	s_andn2_b64 s[14:15], s[14:15], exec
	s_and_b64 s[18:19], vcc, exec
	s_or_b64 s[14:15], s[14:15], s[18:19]
.LBB35_315:
	s_branch .LBB35_317
.LBB35_316:
	s_cmp_lg_u32 s9, 0
	s_mov_b64 s[6:7], -1
	s_cselect_b64 s[16:17], -1, 0
.LBB35_317:
	s_andn2_b64 vcc, exec, s[16:17]
	s_cbranch_vccz .LBB35_326
; %bb.318:
	s_andn2_b64 vcc, exec, s[6:7]
	s_cbranch_vccnz .LBB35_320
.LBB35_319:
	v_cmp_le_i32_e32 vcc, s10, v18
	s_andn2_b64 s[6:7], s[14:15], exec
	s_and_b64 s[14:15], vcc, exec
	s_or_b64 s[14:15], s[6:7], s[14:15]
.LBB35_320:
	v_cndmask_b32_e64 v15, 0, 1, s[14:15]
.LBB35_321:
	s_or_b64 exec, exec, s[4:5]
	v_or_b32_e32 v18, 0x400, v0
	v_cmp_gt_i32_e32 vcc, s8, v18
                                        ; implicit-def: $vgpr18
	s_and_saveexec_b64 s[4:5], vcc
	s_cbranch_execz .LBB35_336
; %bb.322:
	s_cmp_lt_i32 s9, 1
	s_mov_b64 s[6:7], 0
	s_cbranch_scc1 .LBB35_327
; %bb.323:
	s_cmp_gt_i32 s9, 1
	s_cbranch_scc0 .LBB35_328
; %bb.324:
	s_cmp_eq_u32 s9, 2
	s_cbranch_scc0 .LBB35_538
; %bb.325:
	v_cmp_ge_i32_e64 s[14:15], s10, v19
	s_mov_b64 s[16:17], 0
	s_branch .LBB35_330
.LBB35_326:
	v_cmp_gt_i32_e32 vcc, s10, v18
	s_andn2_b64 s[14:15], s[14:15], exec
	s_and_b64 s[16:17], vcc, exec
	s_or_b64 s[14:15], s[14:15], s[16:17]
	s_cbranch_execz .LBB35_319
	s_branch .LBB35_320
.LBB35_327:
                                        ; implicit-def: $sgpr14_sgpr15
	s_mov_b64 s[16:17], 0
	s_cbranch_execnz .LBB35_331
	s_branch .LBB35_332
.LBB35_328:
	s_mov_b64 s[16:17], 0
                                        ; implicit-def: $sgpr14_sgpr15
	s_cbranch_execz .LBB35_330
; %bb.329:
	v_cmp_lt_i32_e32 vcc, s10, v19
	s_andn2_b64 s[14:15], s[14:15], exec
	s_and_b64 s[18:19], vcc, exec
	s_or_b64 s[14:15], s[14:15], s[18:19]
.LBB35_330:
	s_branch .LBB35_332
.LBB35_331:
	s_cmp_lg_u32 s9, 0
	s_mov_b64 s[6:7], -1
	s_cselect_b64 s[16:17], -1, 0
.LBB35_332:
	s_andn2_b64 vcc, exec, s[16:17]
	s_cbranch_vccz .LBB35_341
; %bb.333:
	s_andn2_b64 vcc, exec, s[6:7]
	s_cbranch_vccnz .LBB35_335
.LBB35_334:
	v_cmp_le_i32_e32 vcc, s10, v19
	s_andn2_b64 s[6:7], s[14:15], exec
	s_and_b64 s[14:15], vcc, exec
	s_or_b64 s[14:15], s[6:7], s[14:15]
.LBB35_335:
	v_cndmask_b32_e64 v18, 0, 1, s[14:15]
.LBB35_336:
	s_or_b64 exec, exec, s[4:5]
	v_or_b32_e32 v19, 0x500, v0
	v_cmp_gt_i32_e32 vcc, s8, v19
                                        ; implicit-def: $vgpr19
	s_and_saveexec_b64 s[4:5], vcc
	s_cbranch_execz .LBB35_351
; %bb.337:
	s_cmp_lt_i32 s9, 1
	s_mov_b64 s[6:7], 0
	s_cbranch_scc1 .LBB35_342
; %bb.338:
	s_cmp_gt_i32 s9, 1
	s_cbranch_scc0 .LBB35_343
; %bb.339:
	s_cmp_eq_u32 s9, 2
	s_cbranch_scc0 .LBB35_539
; %bb.340:
	v_cmp_ge_i32_e64 s[14:15], s10, v14
	s_mov_b64 s[16:17], 0
	s_branch .LBB35_345
.LBB35_341:
	v_cmp_gt_i32_e32 vcc, s10, v19
	s_andn2_b64 s[14:15], s[14:15], exec
	s_and_b64 s[16:17], vcc, exec
	s_or_b64 s[14:15], s[14:15], s[16:17]
	s_cbranch_execz .LBB35_334
	s_branch .LBB35_335
.LBB35_342:
                                        ; implicit-def: $sgpr14_sgpr15
	s_mov_b64 s[16:17], 0
	s_cbranch_execnz .LBB35_346
	s_branch .LBB35_347
.LBB35_343:
	s_mov_b64 s[16:17], 0
                                        ; implicit-def: $sgpr14_sgpr15
	s_cbranch_execz .LBB35_345
; %bb.344:
	v_cmp_lt_i32_e32 vcc, s10, v14
	s_andn2_b64 s[14:15], s[14:15], exec
	s_and_b64 s[18:19], vcc, exec
	s_or_b64 s[14:15], s[14:15], s[18:19]
.LBB35_345:
	s_branch .LBB35_347
.LBB35_346:
	s_cmp_lg_u32 s9, 0
	s_mov_b64 s[6:7], -1
	s_cselect_b64 s[16:17], -1, 0
.LBB35_347:
	s_andn2_b64 vcc, exec, s[16:17]
	s_cbranch_vccz .LBB35_356
; %bb.348:
	s_andn2_b64 vcc, exec, s[6:7]
	s_cbranch_vccnz .LBB35_350
.LBB35_349:
	v_cmp_le_i32_e32 vcc, s10, v14
	s_andn2_b64 s[6:7], s[14:15], exec
	s_and_b64 s[14:15], vcc, exec
	s_or_b64 s[14:15], s[6:7], s[14:15]
.LBB35_350:
	v_cndmask_b32_e64 v19, 0, 1, s[14:15]
.LBB35_351:
	s_or_b64 exec, exec, s[4:5]
	v_or_b32_e32 v14, 0x600, v0
	v_cmp_gt_i32_e32 vcc, s8, v14
                                        ; implicit-def: $vgpr14
	s_and_saveexec_b64 s[4:5], vcc
	s_cbranch_execz .LBB35_366
; %bb.352:
	s_cmp_lt_i32 s9, 1
	s_mov_b64 s[6:7], 0
	s_cbranch_scc1 .LBB35_357
; %bb.353:
	s_cmp_gt_i32 s9, 1
	s_cbranch_scc0 .LBB35_358
; %bb.354:
	s_cmp_eq_u32 s9, 2
	s_cbranch_scc0 .LBB35_540
; %bb.355:
	v_cmp_ge_i32_e64 s[14:15], s10, v13
	s_mov_b64 s[16:17], 0
	s_branch .LBB35_360
.LBB35_356:
	v_cmp_gt_i32_e32 vcc, s10, v14
	s_andn2_b64 s[14:15], s[14:15], exec
	s_and_b64 s[16:17], vcc, exec
	s_or_b64 s[14:15], s[14:15], s[16:17]
	s_cbranch_execz .LBB35_349
	s_branch .LBB35_350
.LBB35_357:
                                        ; implicit-def: $sgpr14_sgpr15
	s_mov_b64 s[16:17], 0
	s_cbranch_execnz .LBB35_361
	s_branch .LBB35_362
.LBB35_358:
	s_mov_b64 s[16:17], 0
                                        ; implicit-def: $sgpr14_sgpr15
	s_cbranch_execz .LBB35_360
; %bb.359:
	v_cmp_lt_i32_e32 vcc, s10, v13
	s_andn2_b64 s[14:15], s[14:15], exec
	s_and_b64 s[18:19], vcc, exec
	s_or_b64 s[14:15], s[14:15], s[18:19]
.LBB35_360:
	s_branch .LBB35_362
.LBB35_361:
	s_cmp_lg_u32 s9, 0
	s_mov_b64 s[6:7], -1
	s_cselect_b64 s[16:17], -1, 0
.LBB35_362:
	s_andn2_b64 vcc, exec, s[16:17]
	s_cbranch_vccz .LBB35_371
; %bb.363:
	s_andn2_b64 vcc, exec, s[6:7]
	s_cbranch_vccnz .LBB35_365
.LBB35_364:
	v_cmp_le_i32_e32 vcc, s10, v13
	s_andn2_b64 s[6:7], s[14:15], exec
	s_and_b64 s[14:15], vcc, exec
	s_or_b64 s[14:15], s[6:7], s[14:15]
.LBB35_365:
	v_cndmask_b32_e64 v14, 0, 1, s[14:15]
.LBB35_366:
	s_or_b64 exec, exec, s[4:5]
	v_or_b32_e32 v13, 0x700, v0
	v_cmp_gt_i32_e32 vcc, s8, v13
                                        ; implicit-def: $vgpr13
	s_and_saveexec_b64 s[4:5], vcc
	s_cbranch_execz .LBB35_381
; %bb.367:
	s_cmp_lt_i32 s9, 1
	s_mov_b64 s[6:7], 0
	s_cbranch_scc1 .LBB35_372
; %bb.368:
	s_cmp_gt_i32 s9, 1
	s_cbranch_scc0 .LBB35_373
; %bb.369:
	s_cmp_eq_u32 s9, 2
	s_cbranch_scc0 .LBB35_541
; %bb.370:
	v_cmp_ge_i32_e64 s[14:15], s10, v12
	s_mov_b64 s[16:17], 0
	s_branch .LBB35_375
.LBB35_371:
	v_cmp_gt_i32_e32 vcc, s10, v13
	s_andn2_b64 s[14:15], s[14:15], exec
	s_and_b64 s[16:17], vcc, exec
	s_or_b64 s[14:15], s[14:15], s[16:17]
	s_cbranch_execz .LBB35_364
	s_branch .LBB35_365
.LBB35_372:
                                        ; implicit-def: $sgpr14_sgpr15
	s_mov_b64 s[16:17], 0
	s_cbranch_execnz .LBB35_376
	s_branch .LBB35_377
.LBB35_373:
	s_mov_b64 s[16:17], 0
                                        ; implicit-def: $sgpr14_sgpr15
	s_cbranch_execz .LBB35_375
; %bb.374:
	v_cmp_lt_i32_e32 vcc, s10, v12
	s_andn2_b64 s[14:15], s[14:15], exec
	s_and_b64 s[18:19], vcc, exec
	s_or_b64 s[14:15], s[14:15], s[18:19]
.LBB35_375:
	s_branch .LBB35_377
.LBB35_376:
	s_cmp_lg_u32 s9, 0
	s_mov_b64 s[6:7], -1
	s_cselect_b64 s[16:17], -1, 0
.LBB35_377:
	s_andn2_b64 vcc, exec, s[16:17]
	s_cbranch_vccz .LBB35_386
; %bb.378:
	s_andn2_b64 vcc, exec, s[6:7]
	s_cbranch_vccnz .LBB35_380
.LBB35_379:
	v_cmp_le_i32_e32 vcc, s10, v12
	s_andn2_b64 s[6:7], s[14:15], exec
	s_and_b64 s[14:15], vcc, exec
	s_or_b64 s[14:15], s[6:7], s[14:15]
.LBB35_380:
	v_cndmask_b32_e64 v13, 0, 1, s[14:15]
.LBB35_381:
	s_or_b64 exec, exec, s[4:5]
	v_or_b32_e32 v12, 0x800, v0
	v_cmp_gt_i32_e32 vcc, s8, v12
                                        ; implicit-def: $vgpr12
	s_and_saveexec_b64 s[4:5], vcc
	s_cbranch_execz .LBB35_396
; %bb.382:
	s_cmp_lt_i32 s9, 1
	s_mov_b64 s[6:7], 0
	s_cbranch_scc1 .LBB35_387
; %bb.383:
	s_cmp_gt_i32 s9, 1
	s_cbranch_scc0 .LBB35_388
; %bb.384:
	s_cmp_eq_u32 s9, 2
	s_cbranch_scc0 .LBB35_542
; %bb.385:
	v_cmp_ge_i32_e64 s[14:15], s10, v11
	s_mov_b64 s[16:17], 0
	s_branch .LBB35_390
.LBB35_386:
	v_cmp_gt_i32_e32 vcc, s10, v12
	s_andn2_b64 s[14:15], s[14:15], exec
	s_and_b64 s[16:17], vcc, exec
	s_or_b64 s[14:15], s[14:15], s[16:17]
	s_cbranch_execz .LBB35_379
	s_branch .LBB35_380
.LBB35_387:
                                        ; implicit-def: $sgpr14_sgpr15
	s_mov_b64 s[16:17], 0
	s_cbranch_execnz .LBB35_391
	s_branch .LBB35_392
.LBB35_388:
	s_mov_b64 s[16:17], 0
                                        ; implicit-def: $sgpr14_sgpr15
	s_cbranch_execz .LBB35_390
; %bb.389:
	v_cmp_lt_i32_e32 vcc, s10, v11
	s_andn2_b64 s[14:15], s[14:15], exec
	s_and_b64 s[18:19], vcc, exec
	s_or_b64 s[14:15], s[14:15], s[18:19]
.LBB35_390:
	s_branch .LBB35_392
.LBB35_391:
	s_cmp_lg_u32 s9, 0
	s_mov_b64 s[6:7], -1
	s_cselect_b64 s[16:17], -1, 0
.LBB35_392:
	s_andn2_b64 vcc, exec, s[16:17]
	s_cbranch_vccz .LBB35_401
; %bb.393:
	s_andn2_b64 vcc, exec, s[6:7]
	s_cbranch_vccnz .LBB35_395
.LBB35_394:
	v_cmp_le_i32_e32 vcc, s10, v11
	s_andn2_b64 s[6:7], s[14:15], exec
	s_and_b64 s[14:15], vcc, exec
	s_or_b64 s[14:15], s[6:7], s[14:15]
.LBB35_395:
	v_cndmask_b32_e64 v12, 0, 1, s[14:15]
.LBB35_396:
	s_or_b64 exec, exec, s[4:5]
	v_or_b32_e32 v11, 0x900, v0
	v_cmp_gt_i32_e32 vcc, s8, v11
                                        ; implicit-def: $vgpr11
	s_and_saveexec_b64 s[4:5], vcc
	s_cbranch_execz .LBB35_411
; %bb.397:
	s_cmp_lt_i32 s9, 1
	s_mov_b64 s[6:7], 0
	s_cbranch_scc1 .LBB35_402
; %bb.398:
	s_cmp_gt_i32 s9, 1
	s_cbranch_scc0 .LBB35_403
; %bb.399:
	s_cmp_eq_u32 s9, 2
	s_cbranch_scc0 .LBB35_543
; %bb.400:
	v_cmp_ge_i32_e64 s[14:15], s10, v10
	s_mov_b64 s[16:17], 0
	s_branch .LBB35_405
.LBB35_401:
	v_cmp_gt_i32_e32 vcc, s10, v11
	s_andn2_b64 s[14:15], s[14:15], exec
	s_and_b64 s[16:17], vcc, exec
	s_or_b64 s[14:15], s[14:15], s[16:17]
	s_cbranch_execz .LBB35_394
	s_branch .LBB35_395
.LBB35_402:
                                        ; implicit-def: $sgpr14_sgpr15
	s_mov_b64 s[16:17], 0
	s_cbranch_execnz .LBB35_406
	s_branch .LBB35_407
.LBB35_403:
	s_mov_b64 s[16:17], 0
                                        ; implicit-def: $sgpr14_sgpr15
	s_cbranch_execz .LBB35_405
; %bb.404:
	v_cmp_lt_i32_e32 vcc, s10, v10
	s_andn2_b64 s[14:15], s[14:15], exec
	s_and_b64 s[18:19], vcc, exec
	s_or_b64 s[14:15], s[14:15], s[18:19]
.LBB35_405:
	s_branch .LBB35_407
.LBB35_406:
	s_cmp_lg_u32 s9, 0
	s_mov_b64 s[6:7], -1
	s_cselect_b64 s[16:17], -1, 0
.LBB35_407:
	s_andn2_b64 vcc, exec, s[16:17]
	s_cbranch_vccz .LBB35_416
; %bb.408:
	s_andn2_b64 vcc, exec, s[6:7]
	s_cbranch_vccnz .LBB35_410
.LBB35_409:
	v_cmp_le_i32_e32 vcc, s10, v10
	s_andn2_b64 s[6:7], s[14:15], exec
	s_and_b64 s[14:15], vcc, exec
	s_or_b64 s[14:15], s[6:7], s[14:15]
.LBB35_410:
	v_cndmask_b32_e64 v11, 0, 1, s[14:15]
.LBB35_411:
	s_or_b64 exec, exec, s[4:5]
	v_or_b32_e32 v10, 0xa00, v0
	v_cmp_gt_i32_e32 vcc, s8, v10
                                        ; implicit-def: $vgpr10
	s_and_saveexec_b64 s[4:5], vcc
	s_cbranch_execz .LBB35_426
; %bb.412:
	s_cmp_lt_i32 s9, 1
	s_mov_b64 s[6:7], 0
	s_cbranch_scc1 .LBB35_417
; %bb.413:
	s_cmp_gt_i32 s9, 1
	s_cbranch_scc0 .LBB35_418
; %bb.414:
	s_cmp_eq_u32 s9, 2
	s_cbranch_scc0 .LBB35_544
; %bb.415:
	v_cmp_ge_i32_e64 s[14:15], s10, v9
	s_mov_b64 s[16:17], 0
	s_branch .LBB35_420
.LBB35_416:
	v_cmp_gt_i32_e32 vcc, s10, v10
	s_andn2_b64 s[14:15], s[14:15], exec
	s_and_b64 s[16:17], vcc, exec
	s_or_b64 s[14:15], s[14:15], s[16:17]
	s_cbranch_execz .LBB35_409
	s_branch .LBB35_410
.LBB35_417:
                                        ; implicit-def: $sgpr14_sgpr15
	s_mov_b64 s[16:17], 0
	s_cbranch_execnz .LBB35_421
	s_branch .LBB35_422
.LBB35_418:
	s_mov_b64 s[16:17], 0
                                        ; implicit-def: $sgpr14_sgpr15
	s_cbranch_execz .LBB35_420
; %bb.419:
	v_cmp_lt_i32_e32 vcc, s10, v9
	s_andn2_b64 s[14:15], s[14:15], exec
	s_and_b64 s[18:19], vcc, exec
	s_or_b64 s[14:15], s[14:15], s[18:19]
.LBB35_420:
	s_branch .LBB35_422
.LBB35_421:
	s_cmp_lg_u32 s9, 0
	s_mov_b64 s[6:7], -1
	s_cselect_b64 s[16:17], -1, 0
.LBB35_422:
	s_andn2_b64 vcc, exec, s[16:17]
	s_cbranch_vccz .LBB35_431
; %bb.423:
	s_andn2_b64 vcc, exec, s[6:7]
	s_cbranch_vccnz .LBB35_425
.LBB35_424:
	v_cmp_le_i32_e32 vcc, s10, v9
	s_andn2_b64 s[6:7], s[14:15], exec
	s_and_b64 s[14:15], vcc, exec
	s_or_b64 s[14:15], s[6:7], s[14:15]
.LBB35_425:
	v_cndmask_b32_e64 v10, 0, 1, s[14:15]
.LBB35_426:
	s_or_b64 exec, exec, s[4:5]
	v_or_b32_e32 v9, 0xb00, v0
	v_cmp_gt_i32_e32 vcc, s8, v9
                                        ; implicit-def: $vgpr9
	s_and_saveexec_b64 s[4:5], vcc
	s_cbranch_execz .LBB35_441
; %bb.427:
	s_cmp_lt_i32 s9, 1
	s_mov_b64 s[6:7], 0
	s_cbranch_scc1 .LBB35_432
; %bb.428:
	s_cmp_gt_i32 s9, 1
	s_cbranch_scc0 .LBB35_433
; %bb.429:
	s_cmp_eq_u32 s9, 2
	s_cbranch_scc0 .LBB35_545
; %bb.430:
	v_cmp_ge_i32_e64 s[14:15], s10, v8
	s_mov_b64 s[16:17], 0
	s_branch .LBB35_435
.LBB35_431:
	v_cmp_gt_i32_e32 vcc, s10, v9
	s_andn2_b64 s[14:15], s[14:15], exec
	s_and_b64 s[16:17], vcc, exec
	s_or_b64 s[14:15], s[14:15], s[16:17]
	s_cbranch_execz .LBB35_424
	s_branch .LBB35_425
.LBB35_432:
                                        ; implicit-def: $sgpr14_sgpr15
	s_mov_b64 s[16:17], 0
	s_cbranch_execnz .LBB35_436
	s_branch .LBB35_437
.LBB35_433:
	s_mov_b64 s[16:17], 0
                                        ; implicit-def: $sgpr14_sgpr15
	s_cbranch_execz .LBB35_435
; %bb.434:
	v_cmp_lt_i32_e32 vcc, s10, v8
	s_andn2_b64 s[14:15], s[14:15], exec
	s_and_b64 s[18:19], vcc, exec
	s_or_b64 s[14:15], s[14:15], s[18:19]
.LBB35_435:
	s_branch .LBB35_437
.LBB35_436:
	s_cmp_lg_u32 s9, 0
	s_mov_b64 s[6:7], -1
	s_cselect_b64 s[16:17], -1, 0
.LBB35_437:
	s_andn2_b64 vcc, exec, s[16:17]
	s_cbranch_vccz .LBB35_446
; %bb.438:
	s_andn2_b64 vcc, exec, s[6:7]
	s_cbranch_vccnz .LBB35_440
.LBB35_439:
	v_cmp_le_i32_e32 vcc, s10, v8
	s_andn2_b64 s[6:7], s[14:15], exec
	s_and_b64 s[14:15], vcc, exec
	s_or_b64 s[14:15], s[6:7], s[14:15]
.LBB35_440:
	v_cndmask_b32_e64 v9, 0, 1, s[14:15]
.LBB35_441:
	s_or_b64 exec, exec, s[4:5]
	v_or_b32_e32 v8, 0xc00, v0
	v_cmp_gt_i32_e32 vcc, s8, v8
                                        ; implicit-def: $vgpr8
	s_and_saveexec_b64 s[4:5], vcc
	s_cbranch_execz .LBB35_456
; %bb.442:
	s_cmp_lt_i32 s9, 1
	s_mov_b64 s[6:7], 0
	s_cbranch_scc1 .LBB35_447
; %bb.443:
	s_cmp_gt_i32 s9, 1
	s_cbranch_scc0 .LBB35_448
; %bb.444:
	s_cmp_eq_u32 s9, 2
	s_cbranch_scc0 .LBB35_546
; %bb.445:
	v_cmp_ge_i32_e64 s[14:15], s10, v7
	s_mov_b64 s[16:17], 0
	s_branch .LBB35_450
.LBB35_446:
	v_cmp_gt_i32_e32 vcc, s10, v8
	s_andn2_b64 s[14:15], s[14:15], exec
	s_and_b64 s[16:17], vcc, exec
	s_or_b64 s[14:15], s[14:15], s[16:17]
	s_cbranch_execz .LBB35_439
	s_branch .LBB35_440
.LBB35_447:
                                        ; implicit-def: $sgpr14_sgpr15
	s_mov_b64 s[16:17], 0
	s_cbranch_execnz .LBB35_451
	s_branch .LBB35_452
.LBB35_448:
	s_mov_b64 s[16:17], 0
                                        ; implicit-def: $sgpr14_sgpr15
	s_cbranch_execz .LBB35_450
; %bb.449:
	v_cmp_lt_i32_e32 vcc, s10, v7
	s_andn2_b64 s[14:15], s[14:15], exec
	s_and_b64 s[18:19], vcc, exec
	s_or_b64 s[14:15], s[14:15], s[18:19]
.LBB35_450:
	s_branch .LBB35_452
.LBB35_451:
	s_cmp_lg_u32 s9, 0
	s_mov_b64 s[6:7], -1
	s_cselect_b64 s[16:17], -1, 0
.LBB35_452:
	s_andn2_b64 vcc, exec, s[16:17]
	s_cbranch_vccz .LBB35_461
; %bb.453:
	s_andn2_b64 vcc, exec, s[6:7]
	s_cbranch_vccnz .LBB35_455
.LBB35_454:
	v_cmp_le_i32_e32 vcc, s10, v7
	s_andn2_b64 s[6:7], s[14:15], exec
	s_and_b64 s[14:15], vcc, exec
	s_or_b64 s[14:15], s[6:7], s[14:15]
.LBB35_455:
	v_cndmask_b32_e64 v8, 0, 1, s[14:15]
.LBB35_456:
	s_or_b64 exec, exec, s[4:5]
	v_or_b32_e32 v7, 0xd00, v0
	v_cmp_gt_i32_e32 vcc, s8, v7
                                        ; implicit-def: $vgpr7
	s_and_saveexec_b64 s[4:5], vcc
	s_cbranch_execz .LBB35_471
; %bb.457:
	s_cmp_lt_i32 s9, 1
	s_mov_b64 s[6:7], 0
	s_cbranch_scc1 .LBB35_462
; %bb.458:
	s_cmp_gt_i32 s9, 1
	s_cbranch_scc0 .LBB35_463
; %bb.459:
	s_cmp_eq_u32 s9, 2
	s_cbranch_scc0 .LBB35_547
; %bb.460:
	v_cmp_ge_i32_e64 s[14:15], s10, v6
	s_mov_b64 s[16:17], 0
	s_branch .LBB35_465
.LBB35_461:
	v_cmp_gt_i32_e32 vcc, s10, v7
	s_andn2_b64 s[14:15], s[14:15], exec
	s_and_b64 s[16:17], vcc, exec
	s_or_b64 s[14:15], s[14:15], s[16:17]
	s_cbranch_execz .LBB35_454
	s_branch .LBB35_455
.LBB35_462:
                                        ; implicit-def: $sgpr14_sgpr15
	s_mov_b64 s[16:17], 0
	s_cbranch_execnz .LBB35_466
	s_branch .LBB35_467
.LBB35_463:
	s_mov_b64 s[16:17], 0
                                        ; implicit-def: $sgpr14_sgpr15
	s_cbranch_execz .LBB35_465
; %bb.464:
	v_cmp_lt_i32_e32 vcc, s10, v6
	s_andn2_b64 s[14:15], s[14:15], exec
	s_and_b64 s[18:19], vcc, exec
	s_or_b64 s[14:15], s[14:15], s[18:19]
.LBB35_465:
	s_branch .LBB35_467
.LBB35_466:
	s_cmp_lg_u32 s9, 0
	s_mov_b64 s[6:7], -1
	s_cselect_b64 s[16:17], -1, 0
.LBB35_467:
	s_andn2_b64 vcc, exec, s[16:17]
	s_cbranch_vccz .LBB35_476
; %bb.468:
	s_andn2_b64 vcc, exec, s[6:7]
	s_cbranch_vccnz .LBB35_470
.LBB35_469:
	v_cmp_le_i32_e32 vcc, s10, v6
	s_andn2_b64 s[6:7], s[14:15], exec
	s_and_b64 s[14:15], vcc, exec
	s_or_b64 s[14:15], s[6:7], s[14:15]
.LBB35_470:
	v_cndmask_b32_e64 v7, 0, 1, s[14:15]
.LBB35_471:
	s_or_b64 exec, exec, s[4:5]
	v_or_b32_e32 v6, 0xe00, v0
	v_cmp_gt_i32_e32 vcc, s8, v6
                                        ; implicit-def: $vgpr6
	s_and_saveexec_b64 s[4:5], vcc
	s_cbranch_execz .LBB35_486
; %bb.472:
	s_cmp_lt_i32 s9, 1
	s_mov_b64 s[6:7], 0
	s_cbranch_scc1 .LBB35_477
; %bb.473:
	s_cmp_gt_i32 s9, 1
	s_cbranch_scc0 .LBB35_478
; %bb.474:
	s_cmp_eq_u32 s9, 2
	s_cbranch_scc0 .LBB35_548
; %bb.475:
	v_cmp_ge_i32_e64 s[14:15], s10, v5
	s_mov_b64 s[16:17], 0
	s_branch .LBB35_480
.LBB35_476:
	v_cmp_gt_i32_e32 vcc, s10, v6
	s_andn2_b64 s[14:15], s[14:15], exec
	s_and_b64 s[16:17], vcc, exec
	s_or_b64 s[14:15], s[14:15], s[16:17]
	s_cbranch_execz .LBB35_469
	s_branch .LBB35_470
.LBB35_477:
                                        ; implicit-def: $sgpr14_sgpr15
	s_mov_b64 s[16:17], 0
	s_cbranch_execnz .LBB35_481
	s_branch .LBB35_482
.LBB35_478:
	s_mov_b64 s[16:17], 0
                                        ; implicit-def: $sgpr14_sgpr15
	s_cbranch_execz .LBB35_480
; %bb.479:
	v_cmp_lt_i32_e32 vcc, s10, v5
	s_andn2_b64 s[14:15], s[14:15], exec
	s_and_b64 s[18:19], vcc, exec
	s_or_b64 s[14:15], s[14:15], s[18:19]
.LBB35_480:
	s_branch .LBB35_482
.LBB35_481:
	s_cmp_lg_u32 s9, 0
	s_mov_b64 s[6:7], -1
	s_cselect_b64 s[16:17], -1, 0
.LBB35_482:
	s_andn2_b64 vcc, exec, s[16:17]
	s_cbranch_vccz .LBB35_491
; %bb.483:
	s_andn2_b64 vcc, exec, s[6:7]
	s_cbranch_vccnz .LBB35_485
.LBB35_484:
	v_cmp_le_i32_e32 vcc, s10, v5
	s_andn2_b64 s[6:7], s[14:15], exec
	s_and_b64 s[14:15], vcc, exec
	s_or_b64 s[14:15], s[6:7], s[14:15]
.LBB35_485:
	v_cndmask_b32_e64 v6, 0, 1, s[14:15]
.LBB35_486:
	s_or_b64 exec, exec, s[4:5]
	v_or_b32_e32 v5, 0xf00, v0
	v_cmp_gt_i32_e32 vcc, s8, v5
                                        ; implicit-def: $vgpr5
	s_and_saveexec_b64 s[4:5], vcc
	s_cbranch_execz .LBB35_501
; %bb.487:
	s_cmp_lt_i32 s9, 1
	s_mov_b64 s[6:7], 0
	s_cbranch_scc1 .LBB35_492
; %bb.488:
	s_cmp_gt_i32 s9, 1
	s_cbranch_scc0 .LBB35_493
; %bb.489:
	s_cmp_eq_u32 s9, 2
	s_cbranch_scc0 .LBB35_549
; %bb.490:
	v_cmp_ge_i32_e64 s[14:15], s10, v4
	s_mov_b64 s[16:17], 0
	s_branch .LBB35_495
.LBB35_491:
	v_cmp_gt_i32_e32 vcc, s10, v5
	s_andn2_b64 s[14:15], s[14:15], exec
	s_and_b64 s[16:17], vcc, exec
	s_or_b64 s[14:15], s[14:15], s[16:17]
	s_cbranch_execz .LBB35_484
	s_branch .LBB35_485
.LBB35_492:
                                        ; implicit-def: $sgpr14_sgpr15
	s_mov_b64 s[16:17], 0
	s_cbranch_execnz .LBB35_496
	s_branch .LBB35_497
.LBB35_493:
	s_mov_b64 s[16:17], 0
                                        ; implicit-def: $sgpr14_sgpr15
	s_cbranch_execz .LBB35_495
; %bb.494:
	v_cmp_lt_i32_e32 vcc, s10, v4
	s_andn2_b64 s[14:15], s[14:15], exec
	s_and_b64 s[18:19], vcc, exec
	s_or_b64 s[14:15], s[14:15], s[18:19]
.LBB35_495:
	s_branch .LBB35_497
.LBB35_496:
	s_cmp_lg_u32 s9, 0
	s_mov_b64 s[6:7], -1
	s_cselect_b64 s[16:17], -1, 0
.LBB35_497:
	s_andn2_b64 vcc, exec, s[16:17]
	s_cbranch_vccz .LBB35_534
; %bb.498:
	s_andn2_b64 vcc, exec, s[6:7]
	s_cbranch_vccnz .LBB35_500
.LBB35_499:
	v_cmp_le_i32_e32 vcc, s10, v4
	s_andn2_b64 s[6:7], s[14:15], exec
	s_and_b64 s[10:11], vcc, exec
	s_or_b64 s[14:15], s[6:7], s[10:11]
.LBB35_500:
	v_cndmask_b32_e64 v5, 0, 1, s[14:15]
.LBB35_501:
	s_or_b64 exec, exec, s[4:5]
	s_and_saveexec_b64 s[4:5], s[0:1]
	s_xor_b64 s[0:1], exec, s[4:5]
	s_cbranch_execz .LBB35_503
; %bb.502:
	v_mov_b32_e32 v0, v16
	global_store_byte v1, v3, s[12:13]
.LBB35_503:
	s_or_b64 exec, exec, s[0:1]
	v_cmp_gt_i32_e32 vcc, s8, v0
	s_and_saveexec_b64 s[0:1], vcc
	s_cbranch_execnz .LBB35_520
; %bb.504:
	s_or_b64 exec, exec, s[0:1]
	v_cmp_gt_i32_e32 vcc, s8, v0
	s_and_saveexec_b64 s[0:1], vcc
	s_cbranch_execnz .LBB35_521
.LBB35_505:
	s_or_b64 exec, exec, s[0:1]
	v_cmp_gt_i32_e32 vcc, s8, v0
	s_and_saveexec_b64 s[0:1], vcc
	s_cbranch_execnz .LBB35_522
.LBB35_506:
	s_or_b64 exec, exec, s[0:1]
	v_cmp_gt_i32_e32 vcc, s8, v0
	s_and_saveexec_b64 s[0:1], vcc
	s_cbranch_execnz .LBB35_523
.LBB35_507:
	s_or_b64 exec, exec, s[0:1]
	v_cmp_gt_i32_e32 vcc, s8, v0
	s_and_saveexec_b64 s[0:1], vcc
	s_cbranch_execnz .LBB35_524
.LBB35_508:
	s_or_b64 exec, exec, s[0:1]
	v_cmp_gt_i32_e32 vcc, s8, v0
	s_and_saveexec_b64 s[0:1], vcc
	s_cbranch_execnz .LBB35_525
.LBB35_509:
	s_or_b64 exec, exec, s[0:1]
	v_cmp_gt_i32_e32 vcc, s8, v0
	s_and_saveexec_b64 s[0:1], vcc
	s_cbranch_execnz .LBB35_526
.LBB35_510:
	s_or_b64 exec, exec, s[0:1]
	v_cmp_gt_i32_e32 vcc, s8, v0
	s_and_saveexec_b64 s[0:1], vcc
	s_cbranch_execnz .LBB35_527
.LBB35_511:
	s_or_b64 exec, exec, s[0:1]
	v_cmp_gt_i32_e32 vcc, s8, v0
	s_and_saveexec_b64 s[0:1], vcc
	s_cbranch_execnz .LBB35_528
.LBB35_512:
	s_or_b64 exec, exec, s[0:1]
	v_cmp_gt_i32_e32 vcc, s8, v0
	s_and_saveexec_b64 s[0:1], vcc
	s_cbranch_execnz .LBB35_529
.LBB35_513:
	s_or_b64 exec, exec, s[0:1]
	v_cmp_gt_i32_e32 vcc, s8, v0
	s_and_saveexec_b64 s[0:1], vcc
	s_cbranch_execnz .LBB35_530
.LBB35_514:
	s_or_b64 exec, exec, s[0:1]
	v_cmp_gt_i32_e32 vcc, s8, v0
	s_and_saveexec_b64 s[0:1], vcc
	s_cbranch_execnz .LBB35_531
.LBB35_515:
	s_or_b64 exec, exec, s[0:1]
	v_cmp_gt_i32_e32 vcc, s8, v0
	s_and_saveexec_b64 s[0:1], vcc
	s_cbranch_execnz .LBB35_532
.LBB35_516:
	s_or_b64 exec, exec, s[0:1]
	v_cmp_gt_i32_e32 vcc, s8, v0
	s_and_saveexec_b64 s[0:1], vcc
	s_cbranch_execnz .LBB35_533
.LBB35_517:
	s_or_b64 exec, exec, s[0:1]
	v_cmp_gt_i32_e32 vcc, s8, v0
	s_and_saveexec_b64 s[0:1], vcc
	s_cbranch_execz .LBB35_519
.LBB35_518:
	v_add_u32_e32 v0, s2, v0
	global_store_byte v0, v5, s[12:13]
.LBB35_519:
	s_endpgm
.LBB35_520:
	v_add_u32_e32 v1, s2, v0
	v_add_u32_e32 v0, 0x100, v0
	global_store_byte v1, v17, s[12:13]
	s_or_b64 exec, exec, s[0:1]
	v_cmp_gt_i32_e32 vcc, s8, v0
	s_and_saveexec_b64 s[0:1], vcc
	s_cbranch_execz .LBB35_505
.LBB35_521:
	v_add_u32_e32 v1, s2, v0
	v_add_u32_e32 v0, 0x100, v0
	global_store_byte v1, v2, s[12:13]
	s_or_b64 exec, exec, s[0:1]
	v_cmp_gt_i32_e32 vcc, s8, v0
	s_and_saveexec_b64 s[0:1], vcc
	s_cbranch_execz .LBB35_506
.LBB35_522:
	v_add_u32_e32 v1, s2, v0
	v_add_u32_e32 v0, 0x100, v0
	global_store_byte v1, v15, s[12:13]
	s_or_b64 exec, exec, s[0:1]
	v_cmp_gt_i32_e32 vcc, s8, v0
	s_and_saveexec_b64 s[0:1], vcc
	s_cbranch_execz .LBB35_507
.LBB35_523:
	v_add_u32_e32 v1, s2, v0
	v_add_u32_e32 v0, 0x100, v0
	global_store_byte v1, v18, s[12:13]
	s_or_b64 exec, exec, s[0:1]
	v_cmp_gt_i32_e32 vcc, s8, v0
	s_and_saveexec_b64 s[0:1], vcc
	s_cbranch_execz .LBB35_508
.LBB35_524:
	v_add_u32_e32 v1, s2, v0
	v_add_u32_e32 v0, 0x100, v0
	global_store_byte v1, v19, s[12:13]
	s_or_b64 exec, exec, s[0:1]
	v_cmp_gt_i32_e32 vcc, s8, v0
	s_and_saveexec_b64 s[0:1], vcc
	s_cbranch_execz .LBB35_509
.LBB35_525:
	v_add_u32_e32 v1, s2, v0
	v_add_u32_e32 v0, 0x100, v0
	global_store_byte v1, v14, s[12:13]
	s_or_b64 exec, exec, s[0:1]
	v_cmp_gt_i32_e32 vcc, s8, v0
	s_and_saveexec_b64 s[0:1], vcc
	s_cbranch_execz .LBB35_510
.LBB35_526:
	v_add_u32_e32 v1, s2, v0
	v_add_u32_e32 v0, 0x100, v0
	global_store_byte v1, v13, s[12:13]
	s_or_b64 exec, exec, s[0:1]
	v_cmp_gt_i32_e32 vcc, s8, v0
	s_and_saveexec_b64 s[0:1], vcc
	s_cbranch_execz .LBB35_511
.LBB35_527:
	v_add_u32_e32 v1, s2, v0
	v_add_u32_e32 v0, 0x100, v0
	global_store_byte v1, v12, s[12:13]
	s_or_b64 exec, exec, s[0:1]
	v_cmp_gt_i32_e32 vcc, s8, v0
	s_and_saveexec_b64 s[0:1], vcc
	s_cbranch_execz .LBB35_512
.LBB35_528:
	v_add_u32_e32 v1, s2, v0
	v_add_u32_e32 v0, 0x100, v0
	global_store_byte v1, v11, s[12:13]
	s_or_b64 exec, exec, s[0:1]
	v_cmp_gt_i32_e32 vcc, s8, v0
	s_and_saveexec_b64 s[0:1], vcc
	s_cbranch_execz .LBB35_513
.LBB35_529:
	v_add_u32_e32 v1, s2, v0
	v_add_u32_e32 v0, 0x100, v0
	global_store_byte v1, v10, s[12:13]
	s_or_b64 exec, exec, s[0:1]
	v_cmp_gt_i32_e32 vcc, s8, v0
	s_and_saveexec_b64 s[0:1], vcc
	s_cbranch_execz .LBB35_514
.LBB35_530:
	v_add_u32_e32 v1, s2, v0
	v_add_u32_e32 v0, 0x100, v0
	global_store_byte v1, v9, s[12:13]
	s_or_b64 exec, exec, s[0:1]
	v_cmp_gt_i32_e32 vcc, s8, v0
	s_and_saveexec_b64 s[0:1], vcc
	s_cbranch_execz .LBB35_515
.LBB35_531:
	v_add_u32_e32 v1, s2, v0
	v_add_u32_e32 v0, 0x100, v0
	global_store_byte v1, v8, s[12:13]
	s_or_b64 exec, exec, s[0:1]
	v_cmp_gt_i32_e32 vcc, s8, v0
	s_and_saveexec_b64 s[0:1], vcc
	s_cbranch_execz .LBB35_516
.LBB35_532:
	v_add_u32_e32 v1, s2, v0
	v_add_u32_e32 v0, 0x100, v0
	global_store_byte v1, v7, s[12:13]
	s_or_b64 exec, exec, s[0:1]
	v_cmp_gt_i32_e32 vcc, s8, v0
	s_and_saveexec_b64 s[0:1], vcc
	s_cbranch_execz .LBB35_517
.LBB35_533:
	v_add_u32_e32 v1, s2, v0
	v_add_u32_e32 v0, 0x100, v0
	global_store_byte v1, v6, s[12:13]
	s_or_b64 exec, exec, s[0:1]
	v_cmp_gt_i32_e32 vcc, s8, v0
	s_and_saveexec_b64 s[0:1], vcc
	s_cbranch_execnz .LBB35_518
	s_branch .LBB35_519
.LBB35_534:
	v_cmp_gt_i32_e32 vcc, s10, v4
	s_andn2_b64 s[14:15], s[14:15], exec
	s_and_b64 s[16:17], vcc, exec
	s_or_b64 s[14:15], s[14:15], s[16:17]
	s_cbranch_execz .LBB35_499
	s_branch .LBB35_500
.LBB35_535:
	s_mov_b64 s[16:17], -1
                                        ; implicit-def: $sgpr14_sgpr15
	s_branch .LBB35_285
.LBB35_536:
	s_mov_b64 s[16:17], -1
                                        ; implicit-def: $sgpr14_sgpr15
	s_branch .LBB35_300
.LBB35_537:
	s_mov_b64 s[16:17], -1
                                        ; implicit-def: $sgpr14_sgpr15
	s_branch .LBB35_315
.LBB35_538:
	s_mov_b64 s[16:17], -1
                                        ; implicit-def: $sgpr14_sgpr15
	s_branch .LBB35_330
.LBB35_539:
	s_mov_b64 s[16:17], -1
                                        ; implicit-def: $sgpr14_sgpr15
	s_branch .LBB35_345
.LBB35_540:
	s_mov_b64 s[16:17], -1
                                        ; implicit-def: $sgpr14_sgpr15
	s_branch .LBB35_360
.LBB35_541:
	s_mov_b64 s[16:17], -1
                                        ; implicit-def: $sgpr14_sgpr15
	s_branch .LBB35_375
.LBB35_542:
	s_mov_b64 s[16:17], -1
                                        ; implicit-def: $sgpr14_sgpr15
	s_branch .LBB35_390
.LBB35_543:
	s_mov_b64 s[16:17], -1
                                        ; implicit-def: $sgpr14_sgpr15
	s_branch .LBB35_405
.LBB35_544:
	s_mov_b64 s[16:17], -1
                                        ; implicit-def: $sgpr14_sgpr15
	s_branch .LBB35_420
.LBB35_545:
	s_mov_b64 s[16:17], -1
                                        ; implicit-def: $sgpr14_sgpr15
	s_branch .LBB35_435
.LBB35_546:
	s_mov_b64 s[16:17], -1
                                        ; implicit-def: $sgpr14_sgpr15
	s_branch .LBB35_450
.LBB35_547:
	s_mov_b64 s[16:17], -1
                                        ; implicit-def: $sgpr14_sgpr15
	s_branch .LBB35_465
.LBB35_548:
	s_mov_b64 s[16:17], -1
                                        ; implicit-def: $sgpr14_sgpr15
	s_branch .LBB35_480
.LBB35_549:
	s_mov_b64 s[16:17], -1
                                        ; implicit-def: $sgpr14_sgpr15
	s_branch .LBB35_495
	.section	.rodata,"a",@progbits
	.p2align	6, 0x0
	.amdhsa_kernel _ZN2at6native29vectorized_elementwise_kernelILi2EZNS0_21compare_scalar_kernelIiEEvRNS_18TensorIteratorBaseENS0_12_GLOBAL__N_16OpTypeET_EUliE_St5arrayIPcLm2EEEEviT0_T1_
		.amdhsa_group_segment_fixed_size 0
		.amdhsa_private_segment_fixed_size 0
		.amdhsa_kernarg_size 32
		.amdhsa_user_sgpr_count 6
		.amdhsa_user_sgpr_private_segment_buffer 1
		.amdhsa_user_sgpr_dispatch_ptr 0
		.amdhsa_user_sgpr_queue_ptr 0
		.amdhsa_user_sgpr_kernarg_segment_ptr 1
		.amdhsa_user_sgpr_dispatch_id 0
		.amdhsa_user_sgpr_flat_scratch_init 0
		.amdhsa_user_sgpr_private_segment_size 0
		.amdhsa_uses_dynamic_stack 0
		.amdhsa_system_sgpr_private_segment_wavefront_offset 0
		.amdhsa_system_sgpr_workgroup_id_x 1
		.amdhsa_system_sgpr_workgroup_id_y 0
		.amdhsa_system_sgpr_workgroup_id_z 0
		.amdhsa_system_sgpr_workgroup_info 0
		.amdhsa_system_vgpr_workitem_id 0
		.amdhsa_next_free_vgpr 21
		.amdhsa_next_free_sgpr 50
		.amdhsa_reserve_vcc 1
		.amdhsa_reserve_flat_scratch 0
		.amdhsa_float_round_mode_32 0
		.amdhsa_float_round_mode_16_64 0
		.amdhsa_float_denorm_mode_32 3
		.amdhsa_float_denorm_mode_16_64 3
		.amdhsa_dx10_clamp 1
		.amdhsa_ieee_mode 1
		.amdhsa_fp16_overflow 0
		.amdhsa_exception_fp_ieee_invalid_op 0
		.amdhsa_exception_fp_denorm_src 0
		.amdhsa_exception_fp_ieee_div_zero 0
		.amdhsa_exception_fp_ieee_overflow 0
		.amdhsa_exception_fp_ieee_underflow 0
		.amdhsa_exception_fp_ieee_inexact 0
		.amdhsa_exception_int_div_zero 0
	.end_amdhsa_kernel
	.section	.text._ZN2at6native29vectorized_elementwise_kernelILi2EZNS0_21compare_scalar_kernelIiEEvRNS_18TensorIteratorBaseENS0_12_GLOBAL__N_16OpTypeET_EUliE_St5arrayIPcLm2EEEEviT0_T1_,"axG",@progbits,_ZN2at6native29vectorized_elementwise_kernelILi2EZNS0_21compare_scalar_kernelIiEEvRNS_18TensorIteratorBaseENS0_12_GLOBAL__N_16OpTypeET_EUliE_St5arrayIPcLm2EEEEviT0_T1_,comdat
.Lfunc_end35:
	.size	_ZN2at6native29vectorized_elementwise_kernelILi2EZNS0_21compare_scalar_kernelIiEEvRNS_18TensorIteratorBaseENS0_12_GLOBAL__N_16OpTypeET_EUliE_St5arrayIPcLm2EEEEviT0_T1_, .Lfunc_end35-_ZN2at6native29vectorized_elementwise_kernelILi2EZNS0_21compare_scalar_kernelIiEEvRNS_18TensorIteratorBaseENS0_12_GLOBAL__N_16OpTypeET_EUliE_St5arrayIPcLm2EEEEviT0_T1_
                                        ; -- End function
	.set _ZN2at6native29vectorized_elementwise_kernelILi2EZNS0_21compare_scalar_kernelIiEEvRNS_18TensorIteratorBaseENS0_12_GLOBAL__N_16OpTypeET_EUliE_St5arrayIPcLm2EEEEviT0_T1_.num_vgpr, 21
	.set _ZN2at6native29vectorized_elementwise_kernelILi2EZNS0_21compare_scalar_kernelIiEEvRNS_18TensorIteratorBaseENS0_12_GLOBAL__N_16OpTypeET_EUliE_St5arrayIPcLm2EEEEviT0_T1_.num_agpr, 0
	.set _ZN2at6native29vectorized_elementwise_kernelILi2EZNS0_21compare_scalar_kernelIiEEvRNS_18TensorIteratorBaseENS0_12_GLOBAL__N_16OpTypeET_EUliE_St5arrayIPcLm2EEEEviT0_T1_.numbered_sgpr, 50
	.set _ZN2at6native29vectorized_elementwise_kernelILi2EZNS0_21compare_scalar_kernelIiEEvRNS_18TensorIteratorBaseENS0_12_GLOBAL__N_16OpTypeET_EUliE_St5arrayIPcLm2EEEEviT0_T1_.num_named_barrier, 0
	.set _ZN2at6native29vectorized_elementwise_kernelILi2EZNS0_21compare_scalar_kernelIiEEvRNS_18TensorIteratorBaseENS0_12_GLOBAL__N_16OpTypeET_EUliE_St5arrayIPcLm2EEEEviT0_T1_.private_seg_size, 0
	.set _ZN2at6native29vectorized_elementwise_kernelILi2EZNS0_21compare_scalar_kernelIiEEvRNS_18TensorIteratorBaseENS0_12_GLOBAL__N_16OpTypeET_EUliE_St5arrayIPcLm2EEEEviT0_T1_.uses_vcc, 1
	.set _ZN2at6native29vectorized_elementwise_kernelILi2EZNS0_21compare_scalar_kernelIiEEvRNS_18TensorIteratorBaseENS0_12_GLOBAL__N_16OpTypeET_EUliE_St5arrayIPcLm2EEEEviT0_T1_.uses_flat_scratch, 0
	.set _ZN2at6native29vectorized_elementwise_kernelILi2EZNS0_21compare_scalar_kernelIiEEvRNS_18TensorIteratorBaseENS0_12_GLOBAL__N_16OpTypeET_EUliE_St5arrayIPcLm2EEEEviT0_T1_.has_dyn_sized_stack, 0
	.set _ZN2at6native29vectorized_elementwise_kernelILi2EZNS0_21compare_scalar_kernelIiEEvRNS_18TensorIteratorBaseENS0_12_GLOBAL__N_16OpTypeET_EUliE_St5arrayIPcLm2EEEEviT0_T1_.has_recursion, 0
	.set _ZN2at6native29vectorized_elementwise_kernelILi2EZNS0_21compare_scalar_kernelIiEEvRNS_18TensorIteratorBaseENS0_12_GLOBAL__N_16OpTypeET_EUliE_St5arrayIPcLm2EEEEviT0_T1_.has_indirect_call, 0
	.section	.AMDGPU.csdata,"",@progbits
; Kernel info:
; codeLenInByte = 8648
; TotalNumSgprs: 54
; NumVgprs: 21
; ScratchSize: 0
; MemoryBound: 0
; FloatMode: 240
; IeeeMode: 1
; LDSByteSize: 0 bytes/workgroup (compile time only)
; SGPRBlocks: 6
; VGPRBlocks: 5
; NumSGPRsForWavesPerEU: 54
; NumVGPRsForWavesPerEU: 21
; Occupancy: 10
; WaveLimiterHint : 1
; COMPUTE_PGM_RSRC2:SCRATCH_EN: 0
; COMPUTE_PGM_RSRC2:USER_SGPR: 6
; COMPUTE_PGM_RSRC2:TRAP_HANDLER: 0
; COMPUTE_PGM_RSRC2:TGID_X_EN: 1
; COMPUTE_PGM_RSRC2:TGID_Y_EN: 0
; COMPUTE_PGM_RSRC2:TGID_Z_EN: 0
; COMPUTE_PGM_RSRC2:TIDIG_COMP_CNT: 0
	.section	.text._ZN2at6native27unrolled_elementwise_kernelIZNS0_21compare_scalar_kernelIiEEvRNS_18TensorIteratorBaseENS0_12_GLOBAL__N_16OpTypeET_EUliE_St5arrayIPcLm2EELi4E23TrivialOffsetCalculatorILi1EjESD_NS0_6memory15LoadWithoutCastENSE_16StoreWithoutCastEEEviS7_T0_T2_T3_T4_T5_,"axG",@progbits,_ZN2at6native27unrolled_elementwise_kernelIZNS0_21compare_scalar_kernelIiEEvRNS_18TensorIteratorBaseENS0_12_GLOBAL__N_16OpTypeET_EUliE_St5arrayIPcLm2EELi4E23TrivialOffsetCalculatorILi1EjESD_NS0_6memory15LoadWithoutCastENSE_16StoreWithoutCastEEEviS7_T0_T2_T3_T4_T5_,comdat
	.globl	_ZN2at6native27unrolled_elementwise_kernelIZNS0_21compare_scalar_kernelIiEEvRNS_18TensorIteratorBaseENS0_12_GLOBAL__N_16OpTypeET_EUliE_St5arrayIPcLm2EELi4E23TrivialOffsetCalculatorILi1EjESD_NS0_6memory15LoadWithoutCastENSE_16StoreWithoutCastEEEviS7_T0_T2_T3_T4_T5_ ; -- Begin function _ZN2at6native27unrolled_elementwise_kernelIZNS0_21compare_scalar_kernelIiEEvRNS_18TensorIteratorBaseENS0_12_GLOBAL__N_16OpTypeET_EUliE_St5arrayIPcLm2EELi4E23TrivialOffsetCalculatorILi1EjESD_NS0_6memory15LoadWithoutCastENSE_16StoreWithoutCastEEEviS7_T0_T2_T3_T4_T5_
	.p2align	8
	.type	_ZN2at6native27unrolled_elementwise_kernelIZNS0_21compare_scalar_kernelIiEEvRNS_18TensorIteratorBaseENS0_12_GLOBAL__N_16OpTypeET_EUliE_St5arrayIPcLm2EELi4E23TrivialOffsetCalculatorILi1EjESD_NS0_6memory15LoadWithoutCastENSE_16StoreWithoutCastEEEviS7_T0_T2_T3_T4_T5_,@function
_ZN2at6native27unrolled_elementwise_kernelIZNS0_21compare_scalar_kernelIiEEvRNS_18TensorIteratorBaseENS0_12_GLOBAL__N_16OpTypeET_EUliE_St5arrayIPcLm2EELi4E23TrivialOffsetCalculatorILi1EjESD_NS0_6memory15LoadWithoutCastENSE_16StoreWithoutCastEEEviS7_T0_T2_T3_T4_T5_: ; @_ZN2at6native27unrolled_elementwise_kernelIZNS0_21compare_scalar_kernelIiEEvRNS_18TensorIteratorBaseENS0_12_GLOBAL__N_16OpTypeET_EUliE_St5arrayIPcLm2EELi4E23TrivialOffsetCalculatorILi1EjESD_NS0_6memory15LoadWithoutCastENSE_16StoreWithoutCastEEEviS7_T0_T2_T3_T4_T5_
; %bb.0:
	s_load_dwordx8 s[8:15], s[4:5], 0x0
	s_waitcnt lgkmcnt(0)
	s_lshl_b32 s11, s6, 10
	v_mov_b32_e32 v5, 0
	v_or_b32_e32 v1, s11, v0
	v_mov_b32_e32 v4, 0
	s_sub_i32 s8, s8, s11
	v_cmp_gt_i32_e64 s[0:1], s8, v0
	v_mov_b32_e32 v3, 0
	v_mov_b32_e32 v2, 0
	;; [unrolled: 1-line block ×3, first 2 shown]
	s_and_saveexec_b64 s[2:3], s[0:1]
	s_cbranch_execz .LBB36_8
; %bb.1:
	v_mov_b32_e32 v2, 0
	v_lshlrev_b64 v[3:4], 2, v[1:2]
	v_mov_b32_e32 v6, s15
	v_add_co_u32_e32 v3, vcc, s14, v3
	v_addc_co_u32_e32 v4, vcc, v6, v4, vcc
	global_load_dword v6, v[3:4], off
	v_or_b32_e32 v7, 0x100, v0
	v_cmp_gt_u32_e32 vcc, s8, v7
	v_mov_b32_e32 v3, v2
	v_mov_b32_e32 v4, v2
	s_and_saveexec_b64 s[4:5], vcc
	s_cbranch_execz .LBB36_7
; %bb.2:
	v_add_u32_e32 v2, s11, v7
	v_mov_b32_e32 v3, 0
	v_lshlrev_b64 v[7:8], 2, v[2:3]
	v_mov_b32_e32 v2, s15
	v_add_co_u32_e32 v7, vcc, s14, v7
	v_addc_co_u32_e32 v8, vcc, v2, v8, vcc
	global_load_dword v2, v[7:8], off
	v_or_b32_e32 v7, 0x200, v0
	v_cmp_gt_u32_e32 vcc, s8, v7
	v_mov_b32_e32 v4, v3
	s_and_saveexec_b64 s[6:7], vcc
	s_cbranch_execz .LBB36_6
; %bb.3:
	v_add_u32_e32 v3, s11, v7
	v_mov_b32_e32 v4, 0
	v_lshlrev_b64 v[7:8], 2, v[3:4]
	v_mov_b32_e32 v3, s15
	v_add_co_u32_e32 v7, vcc, s14, v7
	v_addc_co_u32_e32 v8, vcc, v3, v8, vcc
	global_load_dword v3, v[7:8], off
	v_or_b32_e32 v7, 0x300, v0
	v_cmp_gt_u32_e32 vcc, s8, v7
	s_and_saveexec_b64 s[16:17], vcc
	s_cbranch_execz .LBB36_5
; %bb.4:
	v_add_u32_e32 v7, s11, v7
	v_mov_b32_e32 v8, 0
	v_lshlrev_b64 v[7:8], 2, v[7:8]
	v_mov_b32_e32 v4, s15
	v_add_co_u32_e32 v7, vcc, s14, v7
	v_addc_co_u32_e32 v8, vcc, v4, v8, vcc
	global_load_dword v4, v[7:8], off
.LBB36_5:
	s_or_b64 exec, exec, s[16:17]
.LBB36_6:
	s_or_b64 exec, exec, s[6:7]
.LBB36_7:
	s_or_b64 exec, exec, s[4:5]
.LBB36_8:
	s_or_b64 exec, exec, s[2:3]
	s_and_saveexec_b64 s[2:3], s[0:1]
	s_cbranch_execz .LBB36_24
; %bb.9:
	s_cmp_lt_i32 s9, 1
	s_mov_b64 s[4:5], 0
	s_cbranch_scc1 .LBB36_13
; %bb.10:
	s_cmp_gt_i32 s9, 1
	s_cbranch_scc0 .LBB36_14
; %bb.11:
	s_cmp_eq_u32 s9, 2
	s_cbranch_scc0 .LBB36_15
; %bb.12:
	s_waitcnt vmcnt(0)
	v_cmp_ge_i32_e64 s[6:7], s10, v6
	s_mov_b64 s[14:15], 0
	s_branch .LBB36_16
.LBB36_13:
                                        ; implicit-def: $sgpr6_sgpr7
	s_mov_b64 s[14:15], 0
	s_cbranch_execnz .LBB36_19
	s_branch .LBB36_20
.LBB36_14:
	s_mov_b64 s[14:15], 0
                                        ; implicit-def: $sgpr6_sgpr7
	s_cbranch_execnz .LBB36_17
	s_branch .LBB36_18
.LBB36_15:
	s_mov_b64 s[14:15], -1
                                        ; implicit-def: $sgpr6_sgpr7
.LBB36_16:
	s_branch .LBB36_18
.LBB36_17:
	s_waitcnt vmcnt(0)
	v_cmp_lt_i32_e32 vcc, s10, v6
	s_andn2_b64 s[6:7], s[6:7], exec
	s_and_b64 s[16:17], vcc, exec
	s_or_b64 s[6:7], s[6:7], s[16:17]
.LBB36_18:
	s_branch .LBB36_20
.LBB36_19:
	s_cmp_lg_u32 s9, 0
	s_mov_b64 s[4:5], -1
	s_cselect_b64 s[14:15], -1, 0
.LBB36_20:
	s_andn2_b64 vcc, exec, s[14:15]
	s_cbranch_vccz .LBB36_29
; %bb.21:
	s_andn2_b64 vcc, exec, s[4:5]
	s_cbranch_vccnz .LBB36_23
.LBB36_22:
	s_waitcnt vmcnt(0)
	v_cmp_le_i32_e32 vcc, s10, v6
	s_andn2_b64 s[4:5], s[6:7], exec
	s_and_b64 s[6:7], vcc, exec
	s_or_b64 s[6:7], s[4:5], s[6:7]
.LBB36_23:
	v_cndmask_b32_e64 v5, 0, 1, s[6:7]
.LBB36_24:
	s_or_b64 exec, exec, s[2:3]
	s_waitcnt vmcnt(0)
	v_or_b32_e32 v6, 0x100, v0
	v_cmp_gt_i32_e32 vcc, s8, v6
	s_and_saveexec_b64 s[2:3], vcc
	s_cbranch_execz .LBB36_39
; %bb.25:
	s_cmp_lt_i32 s9, 1
	s_mov_b64 s[4:5], 0
	s_cbranch_scc1 .LBB36_30
; %bb.26:
	s_cmp_gt_i32 s9, 1
	s_cbranch_scc0 .LBB36_31
; %bb.27:
	s_cmp_eq_u32 s9, 2
	s_cbranch_scc0 .LBB36_79
; %bb.28:
	v_cmp_ge_i32_e64 s[6:7], s10, v2
	s_mov_b64 s[14:15], 0
	s_branch .LBB36_33
.LBB36_29:
	s_waitcnt vmcnt(0)
	v_cmp_gt_i32_e32 vcc, s10, v6
	s_andn2_b64 s[6:7], s[6:7], exec
	s_and_b64 s[14:15], vcc, exec
	s_or_b64 s[6:7], s[6:7], s[14:15]
	s_cbranch_execz .LBB36_22
	s_branch .LBB36_23
.LBB36_30:
                                        ; implicit-def: $sgpr6_sgpr7
	s_mov_b64 s[14:15], 0
	s_cbranch_execnz .LBB36_34
	s_branch .LBB36_35
.LBB36_31:
	s_mov_b64 s[14:15], 0
                                        ; implicit-def: $sgpr6_sgpr7
	s_cbranch_execz .LBB36_33
; %bb.32:
	v_cmp_lt_i32_e32 vcc, s10, v2
	s_andn2_b64 s[6:7], s[6:7], exec
	s_and_b64 s[16:17], vcc, exec
	s_or_b64 s[6:7], s[6:7], s[16:17]
.LBB36_33:
	s_branch .LBB36_35
.LBB36_34:
	s_cmp_lg_u32 s9, 0
	s_mov_b64 s[4:5], -1
	s_cselect_b64 s[14:15], -1, 0
.LBB36_35:
	s_andn2_b64 vcc, exec, s[14:15]
	s_cbranch_vccz .LBB36_44
; %bb.36:
	s_andn2_b64 vcc, exec, s[4:5]
	s_cbranch_vccnz .LBB36_38
.LBB36_37:
	v_cmp_le_i32_e32 vcc, s10, v2
	s_andn2_b64 s[4:5], s[6:7], exec
	s_and_b64 s[6:7], vcc, exec
	s_or_b64 s[6:7], s[4:5], s[6:7]
.LBB36_38:
	v_cndmask_b32_e64 v2, 0, 1, s[6:7]
	v_lshlrev_b16_e32 v2, 8, v2
	v_or_b32_e32 v2, v5, v2
	v_and_b32_e32 v5, 0xffff, v2
.LBB36_39:
	s_or_b64 exec, exec, s[2:3]
	v_or_b32_e32 v2, 0x200, v0
	v_cmp_gt_i32_e32 vcc, s8, v2
	s_and_saveexec_b64 s[2:3], vcc
	s_cbranch_execz .LBB36_54
; %bb.40:
	s_cmp_lt_i32 s9, 1
	s_mov_b64 s[4:5], 0
	s_cbranch_scc1 .LBB36_45
; %bb.41:
	s_cmp_gt_i32 s9, 1
	s_cbranch_scc0 .LBB36_46
; %bb.42:
	s_cmp_eq_u32 s9, 2
	s_cbranch_scc0 .LBB36_80
; %bb.43:
	v_cmp_ge_i32_e64 s[6:7], s10, v3
	s_mov_b64 s[14:15], 0
	s_branch .LBB36_48
.LBB36_44:
	v_cmp_gt_i32_e32 vcc, s10, v2
	s_andn2_b64 s[6:7], s[6:7], exec
	s_and_b64 s[14:15], vcc, exec
	s_or_b64 s[6:7], s[6:7], s[14:15]
	s_cbranch_execz .LBB36_37
	s_branch .LBB36_38
.LBB36_45:
                                        ; implicit-def: $sgpr6_sgpr7
	s_mov_b64 s[14:15], 0
	s_cbranch_execnz .LBB36_49
	s_branch .LBB36_50
.LBB36_46:
	s_mov_b64 s[14:15], 0
                                        ; implicit-def: $sgpr6_sgpr7
	s_cbranch_execz .LBB36_48
; %bb.47:
	v_cmp_lt_i32_e32 vcc, s10, v3
	s_andn2_b64 s[6:7], s[6:7], exec
	s_and_b64 s[16:17], vcc, exec
	s_or_b64 s[6:7], s[6:7], s[16:17]
.LBB36_48:
	s_branch .LBB36_50
.LBB36_49:
	s_cmp_lg_u32 s9, 0
	s_mov_b64 s[4:5], -1
	s_cselect_b64 s[14:15], -1, 0
.LBB36_50:
	s_andn2_b64 vcc, exec, s[14:15]
	s_cbranch_vccz .LBB36_59
; %bb.51:
	s_andn2_b64 vcc, exec, s[4:5]
	s_cbranch_vccnz .LBB36_53
.LBB36_52:
	v_cmp_le_i32_e32 vcc, s10, v3
	s_andn2_b64 s[4:5], s[6:7], exec
	s_and_b64 s[6:7], vcc, exec
	s_or_b64 s[6:7], s[4:5], s[6:7]
.LBB36_53:
	v_cndmask_b32_e64 v2, 0, 1, s[6:7]
	v_lshl_or_b32 v5, v2, 16, v5
.LBB36_54:
	s_or_b64 exec, exec, s[2:3]
	v_or_b32_e32 v2, 0x300, v0
	v_cmp_gt_i32_e32 vcc, s8, v2
	s_and_saveexec_b64 s[2:3], vcc
	s_cbranch_execz .LBB36_69
; %bb.55:
	s_cmp_lt_i32 s9, 1
	s_mov_b64 s[4:5], 0
	s_cbranch_scc1 .LBB36_60
; %bb.56:
	s_cmp_gt_i32 s9, 1
	s_cbranch_scc0 .LBB36_61
; %bb.57:
	s_cmp_eq_u32 s9, 2
	s_cbranch_scc0 .LBB36_81
; %bb.58:
	v_cmp_ge_i32_e64 s[6:7], s10, v4
	s_mov_b64 s[14:15], 0
	s_branch .LBB36_63
.LBB36_59:
	v_cmp_gt_i32_e32 vcc, s10, v3
	s_andn2_b64 s[6:7], s[6:7], exec
	s_and_b64 s[14:15], vcc, exec
	s_or_b64 s[6:7], s[6:7], s[14:15]
	s_cbranch_execz .LBB36_52
	s_branch .LBB36_53
.LBB36_60:
                                        ; implicit-def: $sgpr6_sgpr7
	s_mov_b64 s[14:15], 0
	s_cbranch_execnz .LBB36_64
	s_branch .LBB36_65
.LBB36_61:
	s_mov_b64 s[14:15], 0
                                        ; implicit-def: $sgpr6_sgpr7
	s_cbranch_execz .LBB36_63
; %bb.62:
	v_cmp_lt_i32_e32 vcc, s10, v4
	s_andn2_b64 s[6:7], s[6:7], exec
	s_and_b64 s[16:17], vcc, exec
	s_or_b64 s[6:7], s[6:7], s[16:17]
.LBB36_63:
	s_branch .LBB36_65
.LBB36_64:
	s_cmp_lg_u32 s9, 0
	s_mov_b64 s[4:5], -1
	s_cselect_b64 s[14:15], -1, 0
.LBB36_65:
	s_andn2_b64 vcc, exec, s[14:15]
	s_cbranch_vccz .LBB36_78
; %bb.66:
	s_andn2_b64 vcc, exec, s[4:5]
	s_cbranch_vccnz .LBB36_68
.LBB36_67:
	v_cmp_le_i32_e32 vcc, s10, v4
	s_andn2_b64 s[4:5], s[6:7], exec
	s_and_b64 s[6:7], vcc, exec
	s_or_b64 s[6:7], s[4:5], s[6:7]
.LBB36_68:
	v_cndmask_b32_e64 v2, 0, 1, s[6:7]
	v_lshlrev_b16_e32 v2, 8, v2
	v_or_b32_sdwa v2, v5, v2 dst_sel:WORD_1 dst_unused:UNUSED_PAD src0_sel:WORD_1 src1_sel:DWORD
	s_mov_b32 s4, 0xffff
	v_and_or_b32 v5, v5, s4, v2
.LBB36_69:
	s_or_b64 exec, exec, s[2:3]
	s_and_saveexec_b64 s[2:3], s[0:1]
	s_xor_b64 s[0:1], exec, s[2:3]
	s_cbranch_execz .LBB36_71
; %bb.70:
	v_mov_b32_e32 v0, v6
	global_store_byte v1, v5, s[12:13]
.LBB36_71:
	s_or_b64 exec, exec, s[0:1]
	v_cmp_gt_i32_e32 vcc, s8, v0
	s_and_saveexec_b64 s[0:1], vcc
	s_cbranch_execnz .LBB36_75
; %bb.72:
	s_or_b64 exec, exec, s[0:1]
	v_cmp_gt_i32_e32 vcc, s8, v0
	s_and_saveexec_b64 s[0:1], vcc
	s_cbranch_execnz .LBB36_76
.LBB36_73:
	s_or_b64 exec, exec, s[0:1]
	v_cmp_gt_i32_e32 vcc, s8, v0
	s_and_saveexec_b64 s[0:1], vcc
	s_cbranch_execnz .LBB36_77
.LBB36_74:
	s_endpgm
.LBB36_75:
	v_add_u32_e32 v1, 0x100, v0
	v_add_u32_e32 v0, s11, v0
	v_lshrrev_b32_e32 v2, 8, v5
	global_store_byte v0, v2, s[12:13]
	v_mov_b32_e32 v0, v1
	s_or_b64 exec, exec, s[0:1]
	v_cmp_gt_i32_e32 vcc, s8, v0
	s_and_saveexec_b64 s[0:1], vcc
	s_cbranch_execz .LBB36_73
.LBB36_76:
	v_add_u32_e32 v1, 0x100, v0
	v_add_u32_e32 v0, s11, v0
	global_store_byte_d16_hi v0, v5, s[12:13]
	v_mov_b32_e32 v0, v1
	s_or_b64 exec, exec, s[0:1]
	v_cmp_gt_i32_e32 vcc, s8, v0
	s_and_saveexec_b64 s[0:1], vcc
	s_cbranch_execz .LBB36_74
.LBB36_77:
	v_add_u32_e32 v0, s11, v0
	v_lshrrev_b32_e32 v1, 24, v5
	global_store_byte v0, v1, s[12:13]
	s_endpgm
.LBB36_78:
	v_cmp_gt_i32_e32 vcc, s10, v4
	s_andn2_b64 s[6:7], s[6:7], exec
	s_and_b64 s[14:15], vcc, exec
	s_or_b64 s[6:7], s[6:7], s[14:15]
	s_cbranch_execz .LBB36_67
	s_branch .LBB36_68
.LBB36_79:
	s_mov_b64 s[14:15], -1
                                        ; implicit-def: $sgpr6_sgpr7
	s_branch .LBB36_33
.LBB36_80:
	s_mov_b64 s[14:15], -1
                                        ; implicit-def: $sgpr6_sgpr7
	s_branch .LBB36_48
.LBB36_81:
	s_mov_b64 s[14:15], -1
                                        ; implicit-def: $sgpr6_sgpr7
	s_branch .LBB36_63
	.section	.rodata,"a",@progbits
	.p2align	6, 0x0
	.amdhsa_kernel _ZN2at6native27unrolled_elementwise_kernelIZNS0_21compare_scalar_kernelIiEEvRNS_18TensorIteratorBaseENS0_12_GLOBAL__N_16OpTypeET_EUliE_St5arrayIPcLm2EELi4E23TrivialOffsetCalculatorILi1EjESD_NS0_6memory15LoadWithoutCastENSE_16StoreWithoutCastEEEviS7_T0_T2_T3_T4_T5_
		.amdhsa_group_segment_fixed_size 0
		.amdhsa_private_segment_fixed_size 0
		.amdhsa_kernarg_size 36
		.amdhsa_user_sgpr_count 6
		.amdhsa_user_sgpr_private_segment_buffer 1
		.amdhsa_user_sgpr_dispatch_ptr 0
		.amdhsa_user_sgpr_queue_ptr 0
		.amdhsa_user_sgpr_kernarg_segment_ptr 1
		.amdhsa_user_sgpr_dispatch_id 0
		.amdhsa_user_sgpr_flat_scratch_init 0
		.amdhsa_user_sgpr_private_segment_size 0
		.amdhsa_uses_dynamic_stack 0
		.amdhsa_system_sgpr_private_segment_wavefront_offset 0
		.amdhsa_system_sgpr_workgroup_id_x 1
		.amdhsa_system_sgpr_workgroup_id_y 0
		.amdhsa_system_sgpr_workgroup_id_z 0
		.amdhsa_system_sgpr_workgroup_info 0
		.amdhsa_system_vgpr_workitem_id 0
		.amdhsa_next_free_vgpr 9
		.amdhsa_next_free_sgpr 18
		.amdhsa_reserve_vcc 1
		.amdhsa_reserve_flat_scratch 0
		.amdhsa_float_round_mode_32 0
		.amdhsa_float_round_mode_16_64 0
		.amdhsa_float_denorm_mode_32 3
		.amdhsa_float_denorm_mode_16_64 3
		.amdhsa_dx10_clamp 1
		.amdhsa_ieee_mode 1
		.amdhsa_fp16_overflow 0
		.amdhsa_exception_fp_ieee_invalid_op 0
		.amdhsa_exception_fp_denorm_src 0
		.amdhsa_exception_fp_ieee_div_zero 0
		.amdhsa_exception_fp_ieee_overflow 0
		.amdhsa_exception_fp_ieee_underflow 0
		.amdhsa_exception_fp_ieee_inexact 0
		.amdhsa_exception_int_div_zero 0
	.end_amdhsa_kernel
	.section	.text._ZN2at6native27unrolled_elementwise_kernelIZNS0_21compare_scalar_kernelIiEEvRNS_18TensorIteratorBaseENS0_12_GLOBAL__N_16OpTypeET_EUliE_St5arrayIPcLm2EELi4E23TrivialOffsetCalculatorILi1EjESD_NS0_6memory15LoadWithoutCastENSE_16StoreWithoutCastEEEviS7_T0_T2_T3_T4_T5_,"axG",@progbits,_ZN2at6native27unrolled_elementwise_kernelIZNS0_21compare_scalar_kernelIiEEvRNS_18TensorIteratorBaseENS0_12_GLOBAL__N_16OpTypeET_EUliE_St5arrayIPcLm2EELi4E23TrivialOffsetCalculatorILi1EjESD_NS0_6memory15LoadWithoutCastENSE_16StoreWithoutCastEEEviS7_T0_T2_T3_T4_T5_,comdat
.Lfunc_end36:
	.size	_ZN2at6native27unrolled_elementwise_kernelIZNS0_21compare_scalar_kernelIiEEvRNS_18TensorIteratorBaseENS0_12_GLOBAL__N_16OpTypeET_EUliE_St5arrayIPcLm2EELi4E23TrivialOffsetCalculatorILi1EjESD_NS0_6memory15LoadWithoutCastENSE_16StoreWithoutCastEEEviS7_T0_T2_T3_T4_T5_, .Lfunc_end36-_ZN2at6native27unrolled_elementwise_kernelIZNS0_21compare_scalar_kernelIiEEvRNS_18TensorIteratorBaseENS0_12_GLOBAL__N_16OpTypeET_EUliE_St5arrayIPcLm2EELi4E23TrivialOffsetCalculatorILi1EjESD_NS0_6memory15LoadWithoutCastENSE_16StoreWithoutCastEEEviS7_T0_T2_T3_T4_T5_
                                        ; -- End function
	.set _ZN2at6native27unrolled_elementwise_kernelIZNS0_21compare_scalar_kernelIiEEvRNS_18TensorIteratorBaseENS0_12_GLOBAL__N_16OpTypeET_EUliE_St5arrayIPcLm2EELi4E23TrivialOffsetCalculatorILi1EjESD_NS0_6memory15LoadWithoutCastENSE_16StoreWithoutCastEEEviS7_T0_T2_T3_T4_T5_.num_vgpr, 9
	.set _ZN2at6native27unrolled_elementwise_kernelIZNS0_21compare_scalar_kernelIiEEvRNS_18TensorIteratorBaseENS0_12_GLOBAL__N_16OpTypeET_EUliE_St5arrayIPcLm2EELi4E23TrivialOffsetCalculatorILi1EjESD_NS0_6memory15LoadWithoutCastENSE_16StoreWithoutCastEEEviS7_T0_T2_T3_T4_T5_.num_agpr, 0
	.set _ZN2at6native27unrolled_elementwise_kernelIZNS0_21compare_scalar_kernelIiEEvRNS_18TensorIteratorBaseENS0_12_GLOBAL__N_16OpTypeET_EUliE_St5arrayIPcLm2EELi4E23TrivialOffsetCalculatorILi1EjESD_NS0_6memory15LoadWithoutCastENSE_16StoreWithoutCastEEEviS7_T0_T2_T3_T4_T5_.numbered_sgpr, 18
	.set _ZN2at6native27unrolled_elementwise_kernelIZNS0_21compare_scalar_kernelIiEEvRNS_18TensorIteratorBaseENS0_12_GLOBAL__N_16OpTypeET_EUliE_St5arrayIPcLm2EELi4E23TrivialOffsetCalculatorILi1EjESD_NS0_6memory15LoadWithoutCastENSE_16StoreWithoutCastEEEviS7_T0_T2_T3_T4_T5_.num_named_barrier, 0
	.set _ZN2at6native27unrolled_elementwise_kernelIZNS0_21compare_scalar_kernelIiEEvRNS_18TensorIteratorBaseENS0_12_GLOBAL__N_16OpTypeET_EUliE_St5arrayIPcLm2EELi4E23TrivialOffsetCalculatorILi1EjESD_NS0_6memory15LoadWithoutCastENSE_16StoreWithoutCastEEEviS7_T0_T2_T3_T4_T5_.private_seg_size, 0
	.set _ZN2at6native27unrolled_elementwise_kernelIZNS0_21compare_scalar_kernelIiEEvRNS_18TensorIteratorBaseENS0_12_GLOBAL__N_16OpTypeET_EUliE_St5arrayIPcLm2EELi4E23TrivialOffsetCalculatorILi1EjESD_NS0_6memory15LoadWithoutCastENSE_16StoreWithoutCastEEEviS7_T0_T2_T3_T4_T5_.uses_vcc, 1
	.set _ZN2at6native27unrolled_elementwise_kernelIZNS0_21compare_scalar_kernelIiEEvRNS_18TensorIteratorBaseENS0_12_GLOBAL__N_16OpTypeET_EUliE_St5arrayIPcLm2EELi4E23TrivialOffsetCalculatorILi1EjESD_NS0_6memory15LoadWithoutCastENSE_16StoreWithoutCastEEEviS7_T0_T2_T3_T4_T5_.uses_flat_scratch, 0
	.set _ZN2at6native27unrolled_elementwise_kernelIZNS0_21compare_scalar_kernelIiEEvRNS_18TensorIteratorBaseENS0_12_GLOBAL__N_16OpTypeET_EUliE_St5arrayIPcLm2EELi4E23TrivialOffsetCalculatorILi1EjESD_NS0_6memory15LoadWithoutCastENSE_16StoreWithoutCastEEEviS7_T0_T2_T3_T4_T5_.has_dyn_sized_stack, 0
	.set _ZN2at6native27unrolled_elementwise_kernelIZNS0_21compare_scalar_kernelIiEEvRNS_18TensorIteratorBaseENS0_12_GLOBAL__N_16OpTypeET_EUliE_St5arrayIPcLm2EELi4E23TrivialOffsetCalculatorILi1EjESD_NS0_6memory15LoadWithoutCastENSE_16StoreWithoutCastEEEviS7_T0_T2_T3_T4_T5_.has_recursion, 0
	.set _ZN2at6native27unrolled_elementwise_kernelIZNS0_21compare_scalar_kernelIiEEvRNS_18TensorIteratorBaseENS0_12_GLOBAL__N_16OpTypeET_EUliE_St5arrayIPcLm2EELi4E23TrivialOffsetCalculatorILi1EjESD_NS0_6memory15LoadWithoutCastENSE_16StoreWithoutCastEEEviS7_T0_T2_T3_T4_T5_.has_indirect_call, 0
	.section	.AMDGPU.csdata,"",@progbits
; Kernel info:
; codeLenInByte = 1300
; TotalNumSgprs: 22
; NumVgprs: 9
; ScratchSize: 0
; MemoryBound: 0
; FloatMode: 240
; IeeeMode: 1
; LDSByteSize: 0 bytes/workgroup (compile time only)
; SGPRBlocks: 2
; VGPRBlocks: 2
; NumSGPRsForWavesPerEU: 22
; NumVGPRsForWavesPerEU: 9
; Occupancy: 10
; WaveLimiterHint : 0
; COMPUTE_PGM_RSRC2:SCRATCH_EN: 0
; COMPUTE_PGM_RSRC2:USER_SGPR: 6
; COMPUTE_PGM_RSRC2:TRAP_HANDLER: 0
; COMPUTE_PGM_RSRC2:TGID_X_EN: 1
; COMPUTE_PGM_RSRC2:TGID_Y_EN: 0
; COMPUTE_PGM_RSRC2:TGID_Z_EN: 0
; COMPUTE_PGM_RSRC2:TIDIG_COMP_CNT: 0
	.section	.text._ZN2at6native32elementwise_kernel_manual_unrollILi128ELi8EZNS0_22gpu_kernel_impl_nocastIZNS0_21compare_scalar_kernelIiEEvRNS_18TensorIteratorBaseENS0_12_GLOBAL__N_16OpTypeET_EUliE_EEvS5_RKS8_EUlibE_EEviT1_,"axG",@progbits,_ZN2at6native32elementwise_kernel_manual_unrollILi128ELi8EZNS0_22gpu_kernel_impl_nocastIZNS0_21compare_scalar_kernelIiEEvRNS_18TensorIteratorBaseENS0_12_GLOBAL__N_16OpTypeET_EUliE_EEvS5_RKS8_EUlibE_EEviT1_,comdat
	.globl	_ZN2at6native32elementwise_kernel_manual_unrollILi128ELi8EZNS0_22gpu_kernel_impl_nocastIZNS0_21compare_scalar_kernelIiEEvRNS_18TensorIteratorBaseENS0_12_GLOBAL__N_16OpTypeET_EUliE_EEvS5_RKS8_EUlibE_EEviT1_ ; -- Begin function _ZN2at6native32elementwise_kernel_manual_unrollILi128ELi8EZNS0_22gpu_kernel_impl_nocastIZNS0_21compare_scalar_kernelIiEEvRNS_18TensorIteratorBaseENS0_12_GLOBAL__N_16OpTypeET_EUliE_EEvS5_RKS8_EUlibE_EEviT1_
	.p2align	8
	.type	_ZN2at6native32elementwise_kernel_manual_unrollILi128ELi8EZNS0_22gpu_kernel_impl_nocastIZNS0_21compare_scalar_kernelIiEEvRNS_18TensorIteratorBaseENS0_12_GLOBAL__N_16OpTypeET_EUliE_EEvS5_RKS8_EUlibE_EEviT1_,@function
_ZN2at6native32elementwise_kernel_manual_unrollILi128ELi8EZNS0_22gpu_kernel_impl_nocastIZNS0_21compare_scalar_kernelIiEEvRNS_18TensorIteratorBaseENS0_12_GLOBAL__N_16OpTypeET_EUliE_EEvS5_RKS8_EUlibE_EEviT1_: ; @_ZN2at6native32elementwise_kernel_manual_unrollILi128ELi8EZNS0_22gpu_kernel_impl_nocastIZNS0_21compare_scalar_kernelIiEEvRNS_18TensorIteratorBaseENS0_12_GLOBAL__N_16OpTypeET_EUliE_EEvS5_RKS8_EUlibE_EEviT1_
; %bb.0:
	s_load_dword s57, s[4:5], 0x0
	s_load_dword s33, s[4:5], 0x8
	s_add_u32 s34, s4, 8
	s_addc_u32 s35, s5, 0
	v_lshl_or_b32 v15, s6, 10, v0
	v_or_b32_e32 v22, 0x380, v15
	s_waitcnt lgkmcnt(0)
	s_add_i32 s56, s33, -1
	s_cmp_gt_u32 s56, 1
	v_cmp_le_i32_e32 vcc, s57, v22
	s_cselect_b64 s[36:37], -1, 0
	s_and_saveexec_b64 s[0:1], vcc
	s_xor_b64 s[38:39], exec, s[0:1]
	s_cbranch_execz .LBB37_235
; %bb.1:
	s_load_dwordx4 s[24:27], s[34:35], 0x4
	s_load_dwordx2 s[42:43], s[34:35], 0x14
	s_load_dwordx4 s[20:23], s[34:35], 0xc4
	s_load_dwordx4 s[16:19], s[34:35], 0x148
	s_load_dwordx2 s[40:41], s[34:35], 0x158
	s_cmp_lg_u32 s33, 0
	s_cselect_b64 s[48:49], -1, 0
	s_add_u32 s46, s34, 0xc4
	s_addc_u32 s47, s35, 0
	s_min_u32 s58, s56, 15
	s_cmp_gt_u32 s33, 1
	s_cselect_b64 s[44:45], -1, 0
	v_cmp_gt_i32_e32 vcc, s57, v15
	s_and_saveexec_b64 s[50:51], vcc
	s_cbranch_execnz .LBB37_9
; %bb.2:
	s_or_b64 exec, exec, s[50:51]
	v_cmp_gt_i32_e32 vcc, s57, v15
	s_and_saveexec_b64 s[50:51], vcc
	s_cbranch_execnz .LBB37_38
.LBB37_3:
	s_or_b64 exec, exec, s[50:51]
	v_cmp_gt_i32_e32 vcc, s57, v15
	s_and_saveexec_b64 s[50:51], vcc
	s_cbranch_execnz .LBB37_66
.LBB37_4:
	s_or_b64 exec, exec, s[50:51]
	v_cmp_gt_i32_e32 vcc, s57, v15
	s_and_saveexec_b64 s[50:51], vcc
	s_cbranch_execnz .LBB37_94
.LBB37_5:
	s_or_b64 exec, exec, s[50:51]
	v_cmp_gt_i32_e32 vcc, s57, v15
	s_and_saveexec_b64 s[50:51], vcc
	s_cbranch_execnz .LBB37_122
.LBB37_6:
	s_or_b64 exec, exec, s[50:51]
	v_cmp_gt_i32_e32 vcc, s57, v15
	s_and_saveexec_b64 s[50:51], vcc
	s_cbranch_execnz .LBB37_150
.LBB37_7:
	s_or_b64 exec, exec, s[50:51]
	v_cmp_gt_i32_e32 vcc, s57, v15
	s_and_saveexec_b64 s[50:51], vcc
	s_cbranch_execnz .LBB37_178
.LBB37_8:
	s_or_b64 exec, exec, s[50:51]
	v_cmp_gt_i32_e32 vcc, s57, v15
	s_and_saveexec_b64 s[50:51], vcc
	s_cbranch_execnz .LBB37_206
	s_branch .LBB37_234
.LBB37_9:
	s_andn2_b64 vcc, exec, s[36:37]
	s_cbranch_vccnz .LBB37_14
; %bb.10:
	s_andn2_b64 vcc, exec, s[48:49]
	s_cbranch_vccnz .LBB37_15
; %bb.11:
	s_add_i32 s60, s58, 1
	s_cmp_eq_u32 s56, 2
	s_cbranch_scc1 .LBB37_16
; %bb.12:
	s_and_b32 s59, s60, 28
	v_mov_b32_e32 v2, 0
	s_mov_b32 s61, 0
	s_mov_b64 s[52:53], s[34:35]
	s_mov_b64 s[54:55], s[46:47]
	v_mov_b32_e32 v0, 0
	v_mov_b32_e32 v1, v15
.LBB37_13:                              ; =>This Inner Loop Header: Depth=1
	s_load_dwordx8 s[8:15], s[52:53], 0x4
	s_load_dwordx4 s[28:31], s[52:53], 0x24
	s_load_dwordx8 s[0:7], s[54:55], 0x0
	s_add_u32 s52, s52, 48
	s_addc_u32 s53, s53, 0
	s_waitcnt lgkmcnt(0)
	v_mul_hi_u32 v3, s9, v1
	s_add_i32 s61, s61, 4
	s_add_u32 s54, s54, 32
	s_addc_u32 s55, s55, 0
	v_add_u32_e32 v3, v1, v3
	v_lshrrev_b32_e32 v3, s10, v3
	v_mul_lo_u32 v4, v3, s8
	v_mul_hi_u32 v5, s12, v3
	s_cmp_lg_u32 s59, s61
	v_sub_u32_e32 v1, v1, v4
	v_add_u32_e32 v4, v3, v5
	v_mul_lo_u32 v5, v1, s0
	v_mul_lo_u32 v6, v1, s1
	v_lshrrev_b32_e32 v1, s13, v4
	v_mul_lo_u32 v4, v1, s11
	v_mul_hi_u32 v7, s15, v1
	v_sub_u32_e32 v3, v3, v4
	v_add_u32_e32 v4, v1, v7
	v_lshrrev_b32_e32 v4, s28, v4
	v_mul_hi_u32 v8, s30, v4
	v_mul_lo_u32 v9, v4, s14
	v_mul_lo_u32 v7, v3, s2
	;; [unrolled: 1-line block ×3, first 2 shown]
	v_sub_u32_e32 v9, v1, v9
	v_add_u32_e32 v1, v4, v8
	v_lshrrev_b32_e32 v1, s31, v1
	v_mul_lo_u32 v8, v1, s29
	v_mul_lo_u32 v10, v9, s4
	;; [unrolled: 1-line block ×3, first 2 shown]
	v_add3_u32 v0, v5, v0, v7
	v_sub_u32_e32 v4, v4, v8
	v_mul_lo_u32 v8, v4, s6
	v_mul_lo_u32 v4, v4, s7
	v_add3_u32 v2, v6, v2, v3
	v_add3_u32 v0, v10, v0, v8
	;; [unrolled: 1-line block ×3, first 2 shown]
	s_cbranch_scc1 .LBB37_13
	s_branch .LBB37_17
.LBB37_14:
                                        ; implicit-def: $vgpr0
                                        ; implicit-def: $vgpr2
	s_branch .LBB37_21
.LBB37_15:
	v_mov_b32_e32 v0, 0
	v_mov_b32_e32 v2, 0
	s_branch .LBB37_20
.LBB37_16:
	s_mov_b32 s59, 0
	v_mov_b32_e32 v0, 0
	v_mov_b32_e32 v2, 0
	;; [unrolled: 1-line block ×3, first 2 shown]
.LBB37_17:
	s_and_b32 s4, s60, 3
	s_cmp_eq_u32 s4, 0
	s_cbranch_scc1 .LBB37_20
; %bb.18:
	s_lshl_b32 s0, s59, 3
	s_add_u32 s0, s34, s0
	s_addc_u32 s1, s35, 0
	s_add_u32 s0, s0, 0xc4
	s_addc_u32 s1, s1, 0
	s_mul_i32 s2, s59, 12
	s_add_u32 s2, s34, s2
	s_addc_u32 s3, s35, 0
.LBB37_19:                              ; =>This Inner Loop Header: Depth=1
	s_load_dwordx2 s[6:7], s[2:3], 0x4
	s_load_dword s5, s[2:3], 0xc
	s_load_dwordx2 s[8:9], s[0:1], 0x0
	s_add_u32 s2, s2, 12
	s_addc_u32 s3, s3, 0
	s_waitcnt lgkmcnt(0)
	v_mul_hi_u32 v3, s7, v1
	s_add_u32 s0, s0, 8
	s_addc_u32 s1, s1, 0
	s_add_i32 s4, s4, -1
	v_add_u32_e32 v3, v1, v3
	v_lshrrev_b32_e32 v4, s5, v3
	v_mul_lo_u32 v3, v4, s6
	s_cmp_lg_u32 s4, 0
	v_sub_u32_e32 v3, v1, v3
	v_mad_u64_u32 v[0:1], s[6:7], v3, s8, v[0:1]
	v_mad_u64_u32 v[2:3], s[6:7], v3, s9, v[2:3]
	v_mov_b32_e32 v1, v4
	s_cbranch_scc1 .LBB37_19
.LBB37_20:
	s_cbranch_execnz .LBB37_23
.LBB37_21:
	s_waitcnt lgkmcnt(0)
	v_mul_hi_u32 v0, s25, v15
	s_andn2_b64 vcc, exec, s[44:45]
	v_add_u32_e32 v0, v15, v0
	v_lshrrev_b32_e32 v1, s26, v0
	v_mul_lo_u32 v0, v1, s24
	v_sub_u32_e32 v2, v15, v0
	v_mul_lo_u32 v0, v2, s20
	v_mul_lo_u32 v2, v2, s21
	s_cbranch_vccnz .LBB37_23
; %bb.22:
	v_mul_hi_u32 v3, s42, v1
	v_add_u32_e32 v3, v1, v3
	v_lshrrev_b32_e32 v3, s43, v3
	v_mul_lo_u32 v3, v3, s27
	v_sub_u32_e32 v3, v1, v3
	v_mad_u64_u32 v[0:1], s[0:1], v3, s22, v[0:1]
	v_mad_u64_u32 v[2:3], s[0:1], v3, s23, v[2:3]
.LBB37_23:
	s_waitcnt lgkmcnt(0)
	global_load_dword v1, v2, s[18:19]
	s_cmp_lt_i32 s40, 1
	s_mov_b64 s[0:1], 0
	s_cbranch_scc1 .LBB37_27
; %bb.24:
	s_cmp_gt_i32 s40, 1
	s_cbranch_scc0 .LBB37_28
; %bb.25:
	s_cmp_eq_u32 s40, 2
	s_cbranch_scc0 .LBB37_29
; %bb.26:
	s_waitcnt vmcnt(0)
	v_cmp_ge_i32_e64 s[2:3], s41, v1
	s_mov_b64 s[4:5], 0
	s_branch .LBB37_30
.LBB37_27:
                                        ; implicit-def: $sgpr2_sgpr3
	s_mov_b64 s[4:5], 0
	s_cbranch_execnz .LBB37_33
	s_branch .LBB37_34
.LBB37_28:
	s_mov_b64 s[4:5], 0
                                        ; implicit-def: $sgpr2_sgpr3
	s_cbranch_execnz .LBB37_31
	s_branch .LBB37_32
.LBB37_29:
	s_mov_b64 s[4:5], -1
                                        ; implicit-def: $sgpr2_sgpr3
.LBB37_30:
	s_branch .LBB37_32
.LBB37_31:
	s_waitcnt vmcnt(0)
	v_cmp_lt_i32_e32 vcc, s41, v1
	s_andn2_b64 s[2:3], s[2:3], exec
	s_and_b64 s[6:7], vcc, exec
	s_or_b64 s[2:3], s[2:3], s[6:7]
.LBB37_32:
	s_branch .LBB37_34
.LBB37_33:
	s_cmp_lg_u32 s40, 0
	s_mov_b64 s[0:1], -1
	s_cselect_b64 s[4:5], -1, 0
.LBB37_34:
	s_andn2_b64 vcc, exec, s[4:5]
	s_cbranch_vccz .LBB37_43
; %bb.35:
	s_andn2_b64 vcc, exec, s[0:1]
	s_cbranch_vccnz .LBB37_37
.LBB37_36:
	s_waitcnt vmcnt(0)
	v_cmp_le_i32_e32 vcc, s41, v1
	s_andn2_b64 s[0:1], s[2:3], exec
	s_and_b64 s[2:3], vcc, exec
	s_or_b64 s[2:3], s[0:1], s[2:3]
.LBB37_37:
	s_waitcnt vmcnt(0)
	v_cndmask_b32_e64 v1, 0, 1, s[2:3]
	v_add_u32_e32 v15, 0x80, v15
	global_store_byte v0, v1, s[16:17]
	s_or_b64 exec, exec, s[50:51]
	v_cmp_gt_i32_e32 vcc, s57, v15
	s_and_saveexec_b64 s[50:51], vcc
	s_cbranch_execz .LBB37_3
.LBB37_38:
	s_andn2_b64 vcc, exec, s[36:37]
	s_cbranch_vccnz .LBB37_44
; %bb.39:
	s_andn2_b64 vcc, exec, s[48:49]
	s_cbranch_vccnz .LBB37_45
; %bb.40:
	s_add_i32 s60, s58, 1
	s_cmp_eq_u32 s56, 2
	s_cbranch_scc1 .LBB37_46
; %bb.41:
	s_and_b32 s59, s60, 28
	v_mov_b32_e32 v2, 0
	s_mov_b32 s61, 0
	s_mov_b64 s[52:53], s[34:35]
	s_mov_b64 s[54:55], s[46:47]
	v_mov_b32_e32 v0, 0
	v_mov_b32_e32 v1, v15
.LBB37_42:                              ; =>This Inner Loop Header: Depth=1
	s_load_dwordx8 s[8:15], s[52:53], 0x4
	s_load_dwordx4 s[28:31], s[52:53], 0x24
	s_load_dwordx8 s[0:7], s[54:55], 0x0
	s_add_u32 s52, s52, 48
	s_addc_u32 s53, s53, 0
	s_waitcnt lgkmcnt(0)
	v_mul_hi_u32 v3, s9, v1
	s_add_i32 s61, s61, 4
	s_add_u32 s54, s54, 32
	s_addc_u32 s55, s55, 0
	v_add_u32_e32 v3, v1, v3
	v_lshrrev_b32_e32 v3, s10, v3
	v_mul_lo_u32 v4, v3, s8
	v_mul_hi_u32 v5, s12, v3
	s_cmp_eq_u32 s59, s61
	v_sub_u32_e32 v1, v1, v4
	v_add_u32_e32 v4, v3, v5
	v_mul_lo_u32 v5, v1, s0
	v_mul_lo_u32 v6, v1, s1
	v_lshrrev_b32_e32 v1, s13, v4
	v_mul_lo_u32 v4, v1, s11
	v_mul_hi_u32 v7, s15, v1
	v_sub_u32_e32 v3, v3, v4
	v_add_u32_e32 v4, v1, v7
	v_lshrrev_b32_e32 v4, s28, v4
	v_mul_hi_u32 v8, s30, v4
	v_mul_lo_u32 v9, v4, s14
	v_mul_lo_u32 v7, v3, s2
	;; [unrolled: 1-line block ×3, first 2 shown]
	v_sub_u32_e32 v9, v1, v9
	v_add_u32_e32 v1, v4, v8
	v_lshrrev_b32_e32 v1, s31, v1
	v_mul_lo_u32 v8, v1, s29
	v_mul_lo_u32 v10, v9, s4
	;; [unrolled: 1-line block ×3, first 2 shown]
	v_add3_u32 v0, v5, v0, v7
	v_sub_u32_e32 v4, v4, v8
	v_mul_lo_u32 v8, v4, s6
	v_mul_lo_u32 v4, v4, s7
	v_add3_u32 v2, v6, v2, v3
	v_add3_u32 v0, v10, v0, v8
	;; [unrolled: 1-line block ×3, first 2 shown]
	s_cbranch_scc0 .LBB37_42
	s_branch .LBB37_47
.LBB37_43:
	s_waitcnt vmcnt(0)
	v_cmp_gt_i32_e32 vcc, s41, v1
	s_andn2_b64 s[2:3], s[2:3], exec
	s_and_b64 s[4:5], vcc, exec
	s_or_b64 s[2:3], s[2:3], s[4:5]
	s_cbranch_execz .LBB37_36
	s_branch .LBB37_37
.LBB37_44:
                                        ; implicit-def: $vgpr0
                                        ; implicit-def: $vgpr2
	s_branch .LBB37_51
.LBB37_45:
	v_mov_b32_e32 v0, 0
	v_mov_b32_e32 v2, 0
	s_branch .LBB37_50
.LBB37_46:
	s_mov_b32 s59, 0
	v_mov_b32_e32 v0, 0
	v_mov_b32_e32 v2, 0
	;; [unrolled: 1-line block ×3, first 2 shown]
.LBB37_47:
	s_and_b32 s4, s60, 3
	s_cmp_eq_u32 s4, 0
	s_cbranch_scc1 .LBB37_50
; %bb.48:
	s_lshl_b32 s0, s59, 3
	s_add_u32 s0, s34, s0
	s_addc_u32 s1, s35, 0
	s_add_u32 s0, s0, 0xc4
	s_addc_u32 s1, s1, 0
	s_mul_i32 s2, s59, 12
	s_add_u32 s2, s34, s2
	s_addc_u32 s3, s35, 0
.LBB37_49:                              ; =>This Inner Loop Header: Depth=1
	s_load_dwordx2 s[6:7], s[2:3], 0x4
	s_load_dword s5, s[2:3], 0xc
	s_load_dwordx2 s[8:9], s[0:1], 0x0
	s_add_u32 s2, s2, 12
	s_addc_u32 s3, s3, 0
	s_waitcnt lgkmcnt(0)
	v_mul_hi_u32 v3, s7, v1
	s_add_u32 s0, s0, 8
	s_addc_u32 s1, s1, 0
	s_add_i32 s4, s4, -1
	v_add_u32_e32 v3, v1, v3
	v_lshrrev_b32_e32 v4, s5, v3
	v_mul_lo_u32 v3, v4, s6
	s_cmp_lg_u32 s4, 0
	v_sub_u32_e32 v3, v1, v3
	v_mad_u64_u32 v[0:1], s[6:7], v3, s8, v[0:1]
	v_mad_u64_u32 v[2:3], s[6:7], v3, s9, v[2:3]
	v_mov_b32_e32 v1, v4
	s_cbranch_scc1 .LBB37_49
.LBB37_50:
	s_cbranch_execnz .LBB37_53
.LBB37_51:
	s_waitcnt lgkmcnt(0)
	v_mul_hi_u32 v0, s25, v15
	s_andn2_b64 vcc, exec, s[44:45]
	v_add_u32_e32 v0, v15, v0
	v_lshrrev_b32_e32 v1, s26, v0
	v_mul_lo_u32 v0, v1, s24
	v_sub_u32_e32 v2, v15, v0
	v_mul_lo_u32 v0, v2, s20
	v_mul_lo_u32 v2, v2, s21
	s_cbranch_vccnz .LBB37_53
; %bb.52:
	v_mul_hi_u32 v3, s42, v1
	v_add_u32_e32 v3, v1, v3
	v_lshrrev_b32_e32 v3, s43, v3
	v_mul_lo_u32 v3, v3, s27
	v_sub_u32_e32 v3, v1, v3
	v_mad_u64_u32 v[0:1], s[0:1], v3, s22, v[0:1]
	v_mad_u64_u32 v[2:3], s[0:1], v3, s23, v[2:3]
.LBB37_53:
	s_waitcnt lgkmcnt(0)
	global_load_dword v1, v2, s[18:19]
	s_cmp_lt_i32 s40, 1
	s_mov_b64 s[0:1], 0
	s_cbranch_scc1 .LBB37_57
; %bb.54:
	s_cmp_gt_i32 s40, 1
	s_cbranch_scc0 .LBB37_58
; %bb.55:
	s_cmp_eq_u32 s40, 2
	s_cbranch_scc0 .LBB37_471
; %bb.56:
	s_waitcnt vmcnt(0)
	v_cmp_ge_i32_e64 s[2:3], s41, v1
	s_mov_b64 s[4:5], 0
	s_branch .LBB37_60
.LBB37_57:
                                        ; implicit-def: $sgpr2_sgpr3
	s_mov_b64 s[4:5], 0
	s_cbranch_execnz .LBB37_61
	s_branch .LBB37_62
.LBB37_58:
	s_mov_b64 s[4:5], 0
                                        ; implicit-def: $sgpr2_sgpr3
	s_cbranch_execz .LBB37_60
; %bb.59:
	s_waitcnt vmcnt(0)
	v_cmp_lt_i32_e32 vcc, s41, v1
	s_andn2_b64 s[2:3], s[2:3], exec
	s_and_b64 s[6:7], vcc, exec
	s_or_b64 s[2:3], s[2:3], s[6:7]
.LBB37_60:
	s_branch .LBB37_62
.LBB37_61:
	s_cmp_lg_u32 s40, 0
	s_mov_b64 s[0:1], -1
	s_cselect_b64 s[4:5], -1, 0
.LBB37_62:
	s_andn2_b64 vcc, exec, s[4:5]
	s_cbranch_vccz .LBB37_71
; %bb.63:
	s_andn2_b64 vcc, exec, s[0:1]
	s_cbranch_vccnz .LBB37_65
.LBB37_64:
	s_waitcnt vmcnt(0)
	v_cmp_le_i32_e32 vcc, s41, v1
	s_andn2_b64 s[0:1], s[2:3], exec
	s_and_b64 s[2:3], vcc, exec
	s_or_b64 s[2:3], s[0:1], s[2:3]
.LBB37_65:
	s_waitcnt vmcnt(0)
	v_cndmask_b32_e64 v1, 0, 1, s[2:3]
	v_add_u32_e32 v15, 0x80, v15
	global_store_byte v0, v1, s[16:17]
	s_or_b64 exec, exec, s[50:51]
	v_cmp_gt_i32_e32 vcc, s57, v15
	s_and_saveexec_b64 s[50:51], vcc
	s_cbranch_execz .LBB37_4
.LBB37_66:
	s_andn2_b64 vcc, exec, s[36:37]
	s_cbranch_vccnz .LBB37_72
; %bb.67:
	s_andn2_b64 vcc, exec, s[48:49]
	s_cbranch_vccnz .LBB37_73
; %bb.68:
	s_add_i32 s60, s58, 1
	s_cmp_eq_u32 s56, 2
	s_cbranch_scc1 .LBB37_74
; %bb.69:
	s_and_b32 s59, s60, 28
	v_mov_b32_e32 v2, 0
	s_mov_b32 s61, 0
	s_mov_b64 s[52:53], s[34:35]
	s_mov_b64 s[54:55], s[46:47]
	v_mov_b32_e32 v0, 0
	v_mov_b32_e32 v1, v15
.LBB37_70:                              ; =>This Inner Loop Header: Depth=1
	s_load_dwordx8 s[8:15], s[52:53], 0x4
	s_load_dwordx4 s[28:31], s[52:53], 0x24
	s_load_dwordx8 s[0:7], s[54:55], 0x0
	s_add_u32 s52, s52, 48
	s_addc_u32 s53, s53, 0
	s_waitcnt lgkmcnt(0)
	v_mul_hi_u32 v3, s9, v1
	s_add_i32 s61, s61, 4
	s_add_u32 s54, s54, 32
	s_addc_u32 s55, s55, 0
	v_add_u32_e32 v3, v1, v3
	v_lshrrev_b32_e32 v3, s10, v3
	v_mul_lo_u32 v4, v3, s8
	v_mul_hi_u32 v5, s12, v3
	s_cmp_eq_u32 s59, s61
	v_sub_u32_e32 v1, v1, v4
	v_add_u32_e32 v4, v3, v5
	v_mul_lo_u32 v5, v1, s0
	v_mul_lo_u32 v6, v1, s1
	v_lshrrev_b32_e32 v1, s13, v4
	v_mul_lo_u32 v4, v1, s11
	v_mul_hi_u32 v7, s15, v1
	v_sub_u32_e32 v3, v3, v4
	v_add_u32_e32 v4, v1, v7
	v_lshrrev_b32_e32 v4, s28, v4
	v_mul_hi_u32 v8, s30, v4
	v_mul_lo_u32 v9, v4, s14
	v_mul_lo_u32 v7, v3, s2
	;; [unrolled: 1-line block ×3, first 2 shown]
	v_sub_u32_e32 v9, v1, v9
	v_add_u32_e32 v1, v4, v8
	v_lshrrev_b32_e32 v1, s31, v1
	v_mul_lo_u32 v8, v1, s29
	v_mul_lo_u32 v10, v9, s4
	;; [unrolled: 1-line block ×3, first 2 shown]
	v_add3_u32 v0, v5, v0, v7
	v_sub_u32_e32 v4, v4, v8
	v_mul_lo_u32 v8, v4, s6
	v_mul_lo_u32 v4, v4, s7
	v_add3_u32 v2, v6, v2, v3
	v_add3_u32 v0, v10, v0, v8
	;; [unrolled: 1-line block ×3, first 2 shown]
	s_cbranch_scc0 .LBB37_70
	s_branch .LBB37_75
.LBB37_71:
	s_waitcnt vmcnt(0)
	v_cmp_gt_i32_e32 vcc, s41, v1
	s_andn2_b64 s[2:3], s[2:3], exec
	s_and_b64 s[4:5], vcc, exec
	s_or_b64 s[2:3], s[2:3], s[4:5]
	s_cbranch_execz .LBB37_64
	s_branch .LBB37_65
.LBB37_72:
                                        ; implicit-def: $vgpr0
                                        ; implicit-def: $vgpr2
	s_branch .LBB37_79
.LBB37_73:
	v_mov_b32_e32 v0, 0
	v_mov_b32_e32 v2, 0
	s_branch .LBB37_78
.LBB37_74:
	s_mov_b32 s59, 0
	v_mov_b32_e32 v0, 0
	v_mov_b32_e32 v2, 0
	;; [unrolled: 1-line block ×3, first 2 shown]
.LBB37_75:
	s_and_b32 s4, s60, 3
	s_cmp_eq_u32 s4, 0
	s_cbranch_scc1 .LBB37_78
; %bb.76:
	s_lshl_b32 s0, s59, 3
	s_add_u32 s0, s34, s0
	s_addc_u32 s1, s35, 0
	s_add_u32 s0, s0, 0xc4
	s_addc_u32 s1, s1, 0
	s_mul_i32 s2, s59, 12
	s_add_u32 s2, s34, s2
	s_addc_u32 s3, s35, 0
.LBB37_77:                              ; =>This Inner Loop Header: Depth=1
	s_load_dwordx2 s[6:7], s[2:3], 0x4
	s_load_dword s5, s[2:3], 0xc
	s_load_dwordx2 s[8:9], s[0:1], 0x0
	s_add_u32 s2, s2, 12
	s_addc_u32 s3, s3, 0
	s_waitcnt lgkmcnt(0)
	v_mul_hi_u32 v3, s7, v1
	s_add_u32 s0, s0, 8
	s_addc_u32 s1, s1, 0
	s_add_i32 s4, s4, -1
	v_add_u32_e32 v3, v1, v3
	v_lshrrev_b32_e32 v4, s5, v3
	v_mul_lo_u32 v3, v4, s6
	s_cmp_lg_u32 s4, 0
	v_sub_u32_e32 v3, v1, v3
	v_mad_u64_u32 v[0:1], s[6:7], v3, s8, v[0:1]
	v_mad_u64_u32 v[2:3], s[6:7], v3, s9, v[2:3]
	v_mov_b32_e32 v1, v4
	s_cbranch_scc1 .LBB37_77
.LBB37_78:
	s_cbranch_execnz .LBB37_81
.LBB37_79:
	s_waitcnt lgkmcnt(0)
	v_mul_hi_u32 v0, s25, v15
	s_andn2_b64 vcc, exec, s[44:45]
	v_add_u32_e32 v0, v15, v0
	v_lshrrev_b32_e32 v1, s26, v0
	v_mul_lo_u32 v0, v1, s24
	v_sub_u32_e32 v2, v15, v0
	v_mul_lo_u32 v0, v2, s20
	v_mul_lo_u32 v2, v2, s21
	s_cbranch_vccnz .LBB37_81
; %bb.80:
	v_mul_hi_u32 v3, s42, v1
	v_add_u32_e32 v3, v1, v3
	v_lshrrev_b32_e32 v3, s43, v3
	v_mul_lo_u32 v3, v3, s27
	v_sub_u32_e32 v3, v1, v3
	v_mad_u64_u32 v[0:1], s[0:1], v3, s22, v[0:1]
	v_mad_u64_u32 v[2:3], s[0:1], v3, s23, v[2:3]
.LBB37_81:
	s_waitcnt lgkmcnt(0)
	global_load_dword v1, v2, s[18:19]
	s_cmp_lt_i32 s40, 1
	s_mov_b64 s[0:1], 0
	s_cbranch_scc1 .LBB37_85
; %bb.82:
	s_cmp_gt_i32 s40, 1
	s_cbranch_scc0 .LBB37_86
; %bb.83:
	s_cmp_eq_u32 s40, 2
	s_cbranch_scc0 .LBB37_472
; %bb.84:
	s_waitcnt vmcnt(0)
	v_cmp_ge_i32_e64 s[2:3], s41, v1
	s_mov_b64 s[4:5], 0
	s_branch .LBB37_88
.LBB37_85:
                                        ; implicit-def: $sgpr2_sgpr3
	s_mov_b64 s[4:5], 0
	s_cbranch_execnz .LBB37_89
	s_branch .LBB37_90
.LBB37_86:
	s_mov_b64 s[4:5], 0
                                        ; implicit-def: $sgpr2_sgpr3
	s_cbranch_execz .LBB37_88
; %bb.87:
	s_waitcnt vmcnt(0)
	v_cmp_lt_i32_e32 vcc, s41, v1
	s_andn2_b64 s[2:3], s[2:3], exec
	s_and_b64 s[6:7], vcc, exec
	s_or_b64 s[2:3], s[2:3], s[6:7]
.LBB37_88:
	s_branch .LBB37_90
.LBB37_89:
	s_cmp_lg_u32 s40, 0
	s_mov_b64 s[0:1], -1
	s_cselect_b64 s[4:5], -1, 0
.LBB37_90:
	s_andn2_b64 vcc, exec, s[4:5]
	s_cbranch_vccz .LBB37_99
; %bb.91:
	s_andn2_b64 vcc, exec, s[0:1]
	s_cbranch_vccnz .LBB37_93
.LBB37_92:
	s_waitcnt vmcnt(0)
	v_cmp_le_i32_e32 vcc, s41, v1
	s_andn2_b64 s[0:1], s[2:3], exec
	s_and_b64 s[2:3], vcc, exec
	s_or_b64 s[2:3], s[0:1], s[2:3]
.LBB37_93:
	s_waitcnt vmcnt(0)
	v_cndmask_b32_e64 v1, 0, 1, s[2:3]
	v_add_u32_e32 v15, 0x80, v15
	global_store_byte v0, v1, s[16:17]
	s_or_b64 exec, exec, s[50:51]
	v_cmp_gt_i32_e32 vcc, s57, v15
	s_and_saveexec_b64 s[50:51], vcc
	s_cbranch_execz .LBB37_5
.LBB37_94:
	s_andn2_b64 vcc, exec, s[36:37]
	s_cbranch_vccnz .LBB37_100
; %bb.95:
	s_andn2_b64 vcc, exec, s[48:49]
	s_cbranch_vccnz .LBB37_101
; %bb.96:
	s_add_i32 s60, s58, 1
	s_cmp_eq_u32 s56, 2
	s_cbranch_scc1 .LBB37_102
; %bb.97:
	s_and_b32 s59, s60, 28
	v_mov_b32_e32 v2, 0
	s_mov_b32 s61, 0
	s_mov_b64 s[52:53], s[34:35]
	s_mov_b64 s[54:55], s[46:47]
	v_mov_b32_e32 v0, 0
	v_mov_b32_e32 v1, v15
.LBB37_98:                              ; =>This Inner Loop Header: Depth=1
	s_load_dwordx8 s[8:15], s[52:53], 0x4
	s_load_dwordx4 s[28:31], s[52:53], 0x24
	s_load_dwordx8 s[0:7], s[54:55], 0x0
	s_add_u32 s52, s52, 48
	s_addc_u32 s53, s53, 0
	s_waitcnt lgkmcnt(0)
	v_mul_hi_u32 v3, s9, v1
	s_add_i32 s61, s61, 4
	s_add_u32 s54, s54, 32
	s_addc_u32 s55, s55, 0
	v_add_u32_e32 v3, v1, v3
	v_lshrrev_b32_e32 v3, s10, v3
	v_mul_lo_u32 v4, v3, s8
	v_mul_hi_u32 v5, s12, v3
	s_cmp_eq_u32 s59, s61
	v_sub_u32_e32 v1, v1, v4
	v_add_u32_e32 v4, v3, v5
	v_mul_lo_u32 v5, v1, s0
	v_mul_lo_u32 v6, v1, s1
	v_lshrrev_b32_e32 v1, s13, v4
	v_mul_lo_u32 v4, v1, s11
	v_mul_hi_u32 v7, s15, v1
	v_sub_u32_e32 v3, v3, v4
	v_add_u32_e32 v4, v1, v7
	v_lshrrev_b32_e32 v4, s28, v4
	v_mul_hi_u32 v8, s30, v4
	v_mul_lo_u32 v9, v4, s14
	v_mul_lo_u32 v7, v3, s2
	;; [unrolled: 1-line block ×3, first 2 shown]
	v_sub_u32_e32 v9, v1, v9
	v_add_u32_e32 v1, v4, v8
	v_lshrrev_b32_e32 v1, s31, v1
	v_mul_lo_u32 v8, v1, s29
	v_mul_lo_u32 v10, v9, s4
	;; [unrolled: 1-line block ×3, first 2 shown]
	v_add3_u32 v0, v5, v0, v7
	v_sub_u32_e32 v4, v4, v8
	v_mul_lo_u32 v8, v4, s6
	v_mul_lo_u32 v4, v4, s7
	v_add3_u32 v2, v6, v2, v3
	v_add3_u32 v0, v10, v0, v8
	;; [unrolled: 1-line block ×3, first 2 shown]
	s_cbranch_scc0 .LBB37_98
	s_branch .LBB37_103
.LBB37_99:
	s_waitcnt vmcnt(0)
	v_cmp_gt_i32_e32 vcc, s41, v1
	s_andn2_b64 s[2:3], s[2:3], exec
	s_and_b64 s[4:5], vcc, exec
	s_or_b64 s[2:3], s[2:3], s[4:5]
	s_cbranch_execz .LBB37_92
	s_branch .LBB37_93
.LBB37_100:
                                        ; implicit-def: $vgpr0
                                        ; implicit-def: $vgpr2
	s_branch .LBB37_107
.LBB37_101:
	v_mov_b32_e32 v0, 0
	v_mov_b32_e32 v2, 0
	s_branch .LBB37_106
.LBB37_102:
	s_mov_b32 s59, 0
	v_mov_b32_e32 v0, 0
	v_mov_b32_e32 v2, 0
	;; [unrolled: 1-line block ×3, first 2 shown]
.LBB37_103:
	s_and_b32 s4, s60, 3
	s_cmp_eq_u32 s4, 0
	s_cbranch_scc1 .LBB37_106
; %bb.104:
	s_lshl_b32 s0, s59, 3
	s_add_u32 s0, s34, s0
	s_addc_u32 s1, s35, 0
	s_add_u32 s0, s0, 0xc4
	s_addc_u32 s1, s1, 0
	s_mul_i32 s2, s59, 12
	s_add_u32 s2, s34, s2
	s_addc_u32 s3, s35, 0
.LBB37_105:                             ; =>This Inner Loop Header: Depth=1
	s_load_dwordx2 s[6:7], s[2:3], 0x4
	s_load_dword s5, s[2:3], 0xc
	s_load_dwordx2 s[8:9], s[0:1], 0x0
	s_add_u32 s2, s2, 12
	s_addc_u32 s3, s3, 0
	s_waitcnt lgkmcnt(0)
	v_mul_hi_u32 v3, s7, v1
	s_add_u32 s0, s0, 8
	s_addc_u32 s1, s1, 0
	s_add_i32 s4, s4, -1
	v_add_u32_e32 v3, v1, v3
	v_lshrrev_b32_e32 v4, s5, v3
	v_mul_lo_u32 v3, v4, s6
	s_cmp_lg_u32 s4, 0
	v_sub_u32_e32 v3, v1, v3
	v_mad_u64_u32 v[0:1], s[6:7], v3, s8, v[0:1]
	v_mad_u64_u32 v[2:3], s[6:7], v3, s9, v[2:3]
	v_mov_b32_e32 v1, v4
	s_cbranch_scc1 .LBB37_105
.LBB37_106:
	s_cbranch_execnz .LBB37_109
.LBB37_107:
	s_waitcnt lgkmcnt(0)
	v_mul_hi_u32 v0, s25, v15
	s_andn2_b64 vcc, exec, s[44:45]
	v_add_u32_e32 v0, v15, v0
	v_lshrrev_b32_e32 v1, s26, v0
	v_mul_lo_u32 v0, v1, s24
	v_sub_u32_e32 v2, v15, v0
	v_mul_lo_u32 v0, v2, s20
	v_mul_lo_u32 v2, v2, s21
	s_cbranch_vccnz .LBB37_109
; %bb.108:
	v_mul_hi_u32 v3, s42, v1
	v_add_u32_e32 v3, v1, v3
	v_lshrrev_b32_e32 v3, s43, v3
	v_mul_lo_u32 v3, v3, s27
	v_sub_u32_e32 v3, v1, v3
	v_mad_u64_u32 v[0:1], s[0:1], v3, s22, v[0:1]
	v_mad_u64_u32 v[2:3], s[0:1], v3, s23, v[2:3]
.LBB37_109:
	s_waitcnt lgkmcnt(0)
	global_load_dword v1, v2, s[18:19]
	s_cmp_lt_i32 s40, 1
	s_mov_b64 s[0:1], 0
	s_cbranch_scc1 .LBB37_113
; %bb.110:
	s_cmp_gt_i32 s40, 1
	s_cbranch_scc0 .LBB37_114
; %bb.111:
	s_cmp_eq_u32 s40, 2
	s_cbranch_scc0 .LBB37_473
; %bb.112:
	s_waitcnt vmcnt(0)
	v_cmp_ge_i32_e64 s[2:3], s41, v1
	s_mov_b64 s[4:5], 0
	s_branch .LBB37_116
.LBB37_113:
                                        ; implicit-def: $sgpr2_sgpr3
	s_mov_b64 s[4:5], 0
	s_cbranch_execnz .LBB37_117
	s_branch .LBB37_118
.LBB37_114:
	s_mov_b64 s[4:5], 0
                                        ; implicit-def: $sgpr2_sgpr3
	s_cbranch_execz .LBB37_116
; %bb.115:
	s_waitcnt vmcnt(0)
	v_cmp_lt_i32_e32 vcc, s41, v1
	s_andn2_b64 s[2:3], s[2:3], exec
	s_and_b64 s[6:7], vcc, exec
	s_or_b64 s[2:3], s[2:3], s[6:7]
.LBB37_116:
	s_branch .LBB37_118
.LBB37_117:
	s_cmp_lg_u32 s40, 0
	s_mov_b64 s[0:1], -1
	s_cselect_b64 s[4:5], -1, 0
.LBB37_118:
	s_andn2_b64 vcc, exec, s[4:5]
	s_cbranch_vccz .LBB37_127
; %bb.119:
	s_andn2_b64 vcc, exec, s[0:1]
	s_cbranch_vccnz .LBB37_121
.LBB37_120:
	s_waitcnt vmcnt(0)
	v_cmp_le_i32_e32 vcc, s41, v1
	s_andn2_b64 s[0:1], s[2:3], exec
	s_and_b64 s[2:3], vcc, exec
	s_or_b64 s[2:3], s[0:1], s[2:3]
.LBB37_121:
	s_waitcnt vmcnt(0)
	v_cndmask_b32_e64 v1, 0, 1, s[2:3]
	v_add_u32_e32 v15, 0x80, v15
	global_store_byte v0, v1, s[16:17]
	s_or_b64 exec, exec, s[50:51]
	v_cmp_gt_i32_e32 vcc, s57, v15
	s_and_saveexec_b64 s[50:51], vcc
	s_cbranch_execz .LBB37_6
.LBB37_122:
	s_andn2_b64 vcc, exec, s[36:37]
	s_cbranch_vccnz .LBB37_128
; %bb.123:
	s_andn2_b64 vcc, exec, s[48:49]
	s_cbranch_vccnz .LBB37_129
; %bb.124:
	s_add_i32 s60, s58, 1
	s_cmp_eq_u32 s56, 2
	s_cbranch_scc1 .LBB37_130
; %bb.125:
	s_and_b32 s59, s60, 28
	v_mov_b32_e32 v2, 0
	s_mov_b32 s61, 0
	s_mov_b64 s[52:53], s[34:35]
	s_mov_b64 s[54:55], s[46:47]
	v_mov_b32_e32 v0, 0
	v_mov_b32_e32 v1, v15
.LBB37_126:                             ; =>This Inner Loop Header: Depth=1
	s_load_dwordx8 s[8:15], s[52:53], 0x4
	s_load_dwordx4 s[28:31], s[52:53], 0x24
	s_load_dwordx8 s[0:7], s[54:55], 0x0
	s_add_u32 s52, s52, 48
	s_addc_u32 s53, s53, 0
	s_waitcnt lgkmcnt(0)
	v_mul_hi_u32 v3, s9, v1
	s_add_i32 s61, s61, 4
	s_add_u32 s54, s54, 32
	s_addc_u32 s55, s55, 0
	v_add_u32_e32 v3, v1, v3
	v_lshrrev_b32_e32 v3, s10, v3
	v_mul_lo_u32 v4, v3, s8
	v_mul_hi_u32 v5, s12, v3
	s_cmp_eq_u32 s59, s61
	v_sub_u32_e32 v1, v1, v4
	v_add_u32_e32 v4, v3, v5
	v_mul_lo_u32 v5, v1, s0
	v_mul_lo_u32 v6, v1, s1
	v_lshrrev_b32_e32 v1, s13, v4
	v_mul_lo_u32 v4, v1, s11
	v_mul_hi_u32 v7, s15, v1
	v_sub_u32_e32 v3, v3, v4
	v_add_u32_e32 v4, v1, v7
	v_lshrrev_b32_e32 v4, s28, v4
	v_mul_hi_u32 v8, s30, v4
	v_mul_lo_u32 v9, v4, s14
	v_mul_lo_u32 v7, v3, s2
	;; [unrolled: 1-line block ×3, first 2 shown]
	v_sub_u32_e32 v9, v1, v9
	v_add_u32_e32 v1, v4, v8
	v_lshrrev_b32_e32 v1, s31, v1
	v_mul_lo_u32 v8, v1, s29
	v_mul_lo_u32 v10, v9, s4
	;; [unrolled: 1-line block ×3, first 2 shown]
	v_add3_u32 v0, v5, v0, v7
	v_sub_u32_e32 v4, v4, v8
	v_mul_lo_u32 v8, v4, s6
	v_mul_lo_u32 v4, v4, s7
	v_add3_u32 v2, v6, v2, v3
	v_add3_u32 v0, v10, v0, v8
	;; [unrolled: 1-line block ×3, first 2 shown]
	s_cbranch_scc0 .LBB37_126
	s_branch .LBB37_131
.LBB37_127:
	s_waitcnt vmcnt(0)
	v_cmp_gt_i32_e32 vcc, s41, v1
	s_andn2_b64 s[2:3], s[2:3], exec
	s_and_b64 s[4:5], vcc, exec
	s_or_b64 s[2:3], s[2:3], s[4:5]
	s_cbranch_execz .LBB37_120
	s_branch .LBB37_121
.LBB37_128:
                                        ; implicit-def: $vgpr0
                                        ; implicit-def: $vgpr2
	s_branch .LBB37_135
.LBB37_129:
	v_mov_b32_e32 v0, 0
	v_mov_b32_e32 v2, 0
	s_branch .LBB37_134
.LBB37_130:
	s_mov_b32 s59, 0
	v_mov_b32_e32 v0, 0
	v_mov_b32_e32 v2, 0
	;; [unrolled: 1-line block ×3, first 2 shown]
.LBB37_131:
	s_and_b32 s4, s60, 3
	s_cmp_eq_u32 s4, 0
	s_cbranch_scc1 .LBB37_134
; %bb.132:
	s_lshl_b32 s0, s59, 3
	s_add_u32 s0, s34, s0
	s_addc_u32 s1, s35, 0
	s_add_u32 s0, s0, 0xc4
	s_addc_u32 s1, s1, 0
	s_mul_i32 s2, s59, 12
	s_add_u32 s2, s34, s2
	s_addc_u32 s3, s35, 0
.LBB37_133:                             ; =>This Inner Loop Header: Depth=1
	s_load_dwordx2 s[6:7], s[2:3], 0x4
	s_load_dword s5, s[2:3], 0xc
	s_load_dwordx2 s[8:9], s[0:1], 0x0
	s_add_u32 s2, s2, 12
	s_addc_u32 s3, s3, 0
	s_waitcnt lgkmcnt(0)
	v_mul_hi_u32 v3, s7, v1
	s_add_u32 s0, s0, 8
	s_addc_u32 s1, s1, 0
	s_add_i32 s4, s4, -1
	v_add_u32_e32 v3, v1, v3
	v_lshrrev_b32_e32 v4, s5, v3
	v_mul_lo_u32 v3, v4, s6
	s_cmp_lg_u32 s4, 0
	v_sub_u32_e32 v3, v1, v3
	v_mad_u64_u32 v[0:1], s[6:7], v3, s8, v[0:1]
	v_mad_u64_u32 v[2:3], s[6:7], v3, s9, v[2:3]
	v_mov_b32_e32 v1, v4
	s_cbranch_scc1 .LBB37_133
.LBB37_134:
	s_cbranch_execnz .LBB37_137
.LBB37_135:
	s_waitcnt lgkmcnt(0)
	v_mul_hi_u32 v0, s25, v15
	s_andn2_b64 vcc, exec, s[44:45]
	v_add_u32_e32 v0, v15, v0
	v_lshrrev_b32_e32 v1, s26, v0
	v_mul_lo_u32 v0, v1, s24
	v_sub_u32_e32 v2, v15, v0
	v_mul_lo_u32 v0, v2, s20
	v_mul_lo_u32 v2, v2, s21
	s_cbranch_vccnz .LBB37_137
; %bb.136:
	v_mul_hi_u32 v3, s42, v1
	v_add_u32_e32 v3, v1, v3
	v_lshrrev_b32_e32 v3, s43, v3
	v_mul_lo_u32 v3, v3, s27
	v_sub_u32_e32 v3, v1, v3
	v_mad_u64_u32 v[0:1], s[0:1], v3, s22, v[0:1]
	v_mad_u64_u32 v[2:3], s[0:1], v3, s23, v[2:3]
.LBB37_137:
	s_waitcnt lgkmcnt(0)
	global_load_dword v1, v2, s[18:19]
	s_cmp_lt_i32 s40, 1
	s_mov_b64 s[0:1], 0
	s_cbranch_scc1 .LBB37_141
; %bb.138:
	s_cmp_gt_i32 s40, 1
	s_cbranch_scc0 .LBB37_142
; %bb.139:
	s_cmp_eq_u32 s40, 2
	s_cbranch_scc0 .LBB37_474
; %bb.140:
	s_waitcnt vmcnt(0)
	v_cmp_ge_i32_e64 s[2:3], s41, v1
	s_mov_b64 s[4:5], 0
	s_branch .LBB37_144
.LBB37_141:
                                        ; implicit-def: $sgpr2_sgpr3
	s_mov_b64 s[4:5], 0
	s_cbranch_execnz .LBB37_145
	s_branch .LBB37_146
.LBB37_142:
	s_mov_b64 s[4:5], 0
                                        ; implicit-def: $sgpr2_sgpr3
	s_cbranch_execz .LBB37_144
; %bb.143:
	s_waitcnt vmcnt(0)
	v_cmp_lt_i32_e32 vcc, s41, v1
	s_andn2_b64 s[2:3], s[2:3], exec
	s_and_b64 s[6:7], vcc, exec
	s_or_b64 s[2:3], s[2:3], s[6:7]
.LBB37_144:
	s_branch .LBB37_146
.LBB37_145:
	s_cmp_lg_u32 s40, 0
	s_mov_b64 s[0:1], -1
	s_cselect_b64 s[4:5], -1, 0
.LBB37_146:
	s_andn2_b64 vcc, exec, s[4:5]
	s_cbranch_vccz .LBB37_155
; %bb.147:
	s_andn2_b64 vcc, exec, s[0:1]
	s_cbranch_vccnz .LBB37_149
.LBB37_148:
	s_waitcnt vmcnt(0)
	v_cmp_le_i32_e32 vcc, s41, v1
	s_andn2_b64 s[0:1], s[2:3], exec
	s_and_b64 s[2:3], vcc, exec
	s_or_b64 s[2:3], s[0:1], s[2:3]
.LBB37_149:
	s_waitcnt vmcnt(0)
	v_cndmask_b32_e64 v1, 0, 1, s[2:3]
	v_add_u32_e32 v15, 0x80, v15
	global_store_byte v0, v1, s[16:17]
	s_or_b64 exec, exec, s[50:51]
	v_cmp_gt_i32_e32 vcc, s57, v15
	s_and_saveexec_b64 s[50:51], vcc
	s_cbranch_execz .LBB37_7
.LBB37_150:
	s_andn2_b64 vcc, exec, s[36:37]
	s_cbranch_vccnz .LBB37_156
; %bb.151:
	s_andn2_b64 vcc, exec, s[48:49]
	s_cbranch_vccnz .LBB37_157
; %bb.152:
	s_add_i32 s60, s58, 1
	s_cmp_eq_u32 s56, 2
	s_cbranch_scc1 .LBB37_158
; %bb.153:
	s_and_b32 s59, s60, 28
	v_mov_b32_e32 v2, 0
	s_mov_b32 s61, 0
	s_mov_b64 s[52:53], s[34:35]
	s_mov_b64 s[54:55], s[46:47]
	v_mov_b32_e32 v0, 0
	v_mov_b32_e32 v1, v15
.LBB37_154:                             ; =>This Inner Loop Header: Depth=1
	s_load_dwordx8 s[8:15], s[52:53], 0x4
	s_load_dwordx4 s[28:31], s[52:53], 0x24
	s_load_dwordx8 s[0:7], s[54:55], 0x0
	s_add_u32 s52, s52, 48
	s_addc_u32 s53, s53, 0
	s_waitcnt lgkmcnt(0)
	v_mul_hi_u32 v3, s9, v1
	s_add_i32 s61, s61, 4
	s_add_u32 s54, s54, 32
	s_addc_u32 s55, s55, 0
	v_add_u32_e32 v3, v1, v3
	v_lshrrev_b32_e32 v3, s10, v3
	v_mul_lo_u32 v4, v3, s8
	v_mul_hi_u32 v5, s12, v3
	s_cmp_eq_u32 s59, s61
	v_sub_u32_e32 v1, v1, v4
	v_add_u32_e32 v4, v3, v5
	v_mul_lo_u32 v5, v1, s0
	v_mul_lo_u32 v6, v1, s1
	v_lshrrev_b32_e32 v1, s13, v4
	v_mul_lo_u32 v4, v1, s11
	v_mul_hi_u32 v7, s15, v1
	v_sub_u32_e32 v3, v3, v4
	v_add_u32_e32 v4, v1, v7
	v_lshrrev_b32_e32 v4, s28, v4
	v_mul_hi_u32 v8, s30, v4
	v_mul_lo_u32 v9, v4, s14
	v_mul_lo_u32 v7, v3, s2
	;; [unrolled: 1-line block ×3, first 2 shown]
	v_sub_u32_e32 v9, v1, v9
	v_add_u32_e32 v1, v4, v8
	v_lshrrev_b32_e32 v1, s31, v1
	v_mul_lo_u32 v8, v1, s29
	v_mul_lo_u32 v10, v9, s4
	;; [unrolled: 1-line block ×3, first 2 shown]
	v_add3_u32 v0, v5, v0, v7
	v_sub_u32_e32 v4, v4, v8
	v_mul_lo_u32 v8, v4, s6
	v_mul_lo_u32 v4, v4, s7
	v_add3_u32 v2, v6, v2, v3
	v_add3_u32 v0, v10, v0, v8
	;; [unrolled: 1-line block ×3, first 2 shown]
	s_cbranch_scc0 .LBB37_154
	s_branch .LBB37_159
.LBB37_155:
	s_waitcnt vmcnt(0)
	v_cmp_gt_i32_e32 vcc, s41, v1
	s_andn2_b64 s[2:3], s[2:3], exec
	s_and_b64 s[4:5], vcc, exec
	s_or_b64 s[2:3], s[2:3], s[4:5]
	s_cbranch_execz .LBB37_148
	s_branch .LBB37_149
.LBB37_156:
                                        ; implicit-def: $vgpr0
                                        ; implicit-def: $vgpr2
	s_branch .LBB37_163
.LBB37_157:
	v_mov_b32_e32 v0, 0
	v_mov_b32_e32 v2, 0
	s_branch .LBB37_162
.LBB37_158:
	s_mov_b32 s59, 0
	v_mov_b32_e32 v0, 0
	v_mov_b32_e32 v2, 0
	;; [unrolled: 1-line block ×3, first 2 shown]
.LBB37_159:
	s_and_b32 s4, s60, 3
	s_cmp_eq_u32 s4, 0
	s_cbranch_scc1 .LBB37_162
; %bb.160:
	s_lshl_b32 s0, s59, 3
	s_add_u32 s0, s34, s0
	s_addc_u32 s1, s35, 0
	s_add_u32 s0, s0, 0xc4
	s_addc_u32 s1, s1, 0
	s_mul_i32 s2, s59, 12
	s_add_u32 s2, s34, s2
	s_addc_u32 s3, s35, 0
.LBB37_161:                             ; =>This Inner Loop Header: Depth=1
	s_load_dwordx2 s[6:7], s[2:3], 0x4
	s_load_dword s5, s[2:3], 0xc
	s_load_dwordx2 s[8:9], s[0:1], 0x0
	s_add_u32 s2, s2, 12
	s_addc_u32 s3, s3, 0
	s_waitcnt lgkmcnt(0)
	v_mul_hi_u32 v3, s7, v1
	s_add_u32 s0, s0, 8
	s_addc_u32 s1, s1, 0
	s_add_i32 s4, s4, -1
	v_add_u32_e32 v3, v1, v3
	v_lshrrev_b32_e32 v4, s5, v3
	v_mul_lo_u32 v3, v4, s6
	s_cmp_lg_u32 s4, 0
	v_sub_u32_e32 v3, v1, v3
	v_mad_u64_u32 v[0:1], s[6:7], v3, s8, v[0:1]
	v_mad_u64_u32 v[2:3], s[6:7], v3, s9, v[2:3]
	v_mov_b32_e32 v1, v4
	s_cbranch_scc1 .LBB37_161
.LBB37_162:
	s_cbranch_execnz .LBB37_165
.LBB37_163:
	s_waitcnt lgkmcnt(0)
	v_mul_hi_u32 v0, s25, v15
	s_andn2_b64 vcc, exec, s[44:45]
	v_add_u32_e32 v0, v15, v0
	v_lshrrev_b32_e32 v1, s26, v0
	v_mul_lo_u32 v0, v1, s24
	v_sub_u32_e32 v2, v15, v0
	v_mul_lo_u32 v0, v2, s20
	v_mul_lo_u32 v2, v2, s21
	s_cbranch_vccnz .LBB37_165
; %bb.164:
	v_mul_hi_u32 v3, s42, v1
	v_add_u32_e32 v3, v1, v3
	v_lshrrev_b32_e32 v3, s43, v3
	v_mul_lo_u32 v3, v3, s27
	v_sub_u32_e32 v3, v1, v3
	v_mad_u64_u32 v[0:1], s[0:1], v3, s22, v[0:1]
	v_mad_u64_u32 v[2:3], s[0:1], v3, s23, v[2:3]
.LBB37_165:
	s_waitcnt lgkmcnt(0)
	global_load_dword v1, v2, s[18:19]
	s_cmp_lt_i32 s40, 1
	s_mov_b64 s[0:1], 0
	s_cbranch_scc1 .LBB37_169
; %bb.166:
	s_cmp_gt_i32 s40, 1
	s_cbranch_scc0 .LBB37_170
; %bb.167:
	s_cmp_eq_u32 s40, 2
	s_cbranch_scc0 .LBB37_475
; %bb.168:
	s_waitcnt vmcnt(0)
	v_cmp_ge_i32_e64 s[2:3], s41, v1
	s_mov_b64 s[4:5], 0
	s_branch .LBB37_172
.LBB37_169:
                                        ; implicit-def: $sgpr2_sgpr3
	s_mov_b64 s[4:5], 0
	s_cbranch_execnz .LBB37_173
	s_branch .LBB37_174
.LBB37_170:
	s_mov_b64 s[4:5], 0
                                        ; implicit-def: $sgpr2_sgpr3
	s_cbranch_execz .LBB37_172
; %bb.171:
	s_waitcnt vmcnt(0)
	v_cmp_lt_i32_e32 vcc, s41, v1
	s_andn2_b64 s[2:3], s[2:3], exec
	s_and_b64 s[6:7], vcc, exec
	s_or_b64 s[2:3], s[2:3], s[6:7]
.LBB37_172:
	s_branch .LBB37_174
.LBB37_173:
	s_cmp_lg_u32 s40, 0
	s_mov_b64 s[0:1], -1
	s_cselect_b64 s[4:5], -1, 0
.LBB37_174:
	s_andn2_b64 vcc, exec, s[4:5]
	s_cbranch_vccz .LBB37_183
; %bb.175:
	s_andn2_b64 vcc, exec, s[0:1]
	s_cbranch_vccnz .LBB37_177
.LBB37_176:
	s_waitcnt vmcnt(0)
	v_cmp_le_i32_e32 vcc, s41, v1
	s_andn2_b64 s[0:1], s[2:3], exec
	s_and_b64 s[2:3], vcc, exec
	s_or_b64 s[2:3], s[0:1], s[2:3]
.LBB37_177:
	s_waitcnt vmcnt(0)
	v_cndmask_b32_e64 v1, 0, 1, s[2:3]
	v_add_u32_e32 v15, 0x80, v15
	global_store_byte v0, v1, s[16:17]
	s_or_b64 exec, exec, s[50:51]
	v_cmp_gt_i32_e32 vcc, s57, v15
	s_and_saveexec_b64 s[50:51], vcc
	s_cbranch_execz .LBB37_8
.LBB37_178:
	s_andn2_b64 vcc, exec, s[36:37]
	s_cbranch_vccnz .LBB37_184
; %bb.179:
	s_andn2_b64 vcc, exec, s[48:49]
	s_cbranch_vccnz .LBB37_185
; %bb.180:
	s_add_i32 s60, s58, 1
	s_cmp_eq_u32 s56, 2
	s_cbranch_scc1 .LBB37_186
; %bb.181:
	s_and_b32 s59, s60, 28
	v_mov_b32_e32 v2, 0
	s_mov_b32 s61, 0
	s_mov_b64 s[52:53], s[34:35]
	s_mov_b64 s[54:55], s[46:47]
	v_mov_b32_e32 v0, 0
	v_mov_b32_e32 v1, v15
.LBB37_182:                             ; =>This Inner Loop Header: Depth=1
	s_load_dwordx8 s[8:15], s[52:53], 0x4
	s_load_dwordx4 s[28:31], s[52:53], 0x24
	s_load_dwordx8 s[0:7], s[54:55], 0x0
	s_add_u32 s52, s52, 48
	s_addc_u32 s53, s53, 0
	s_waitcnt lgkmcnt(0)
	v_mul_hi_u32 v3, s9, v1
	s_add_i32 s61, s61, 4
	s_add_u32 s54, s54, 32
	s_addc_u32 s55, s55, 0
	v_add_u32_e32 v3, v1, v3
	v_lshrrev_b32_e32 v3, s10, v3
	v_mul_lo_u32 v4, v3, s8
	v_mul_hi_u32 v5, s12, v3
	s_cmp_eq_u32 s59, s61
	v_sub_u32_e32 v1, v1, v4
	v_add_u32_e32 v4, v3, v5
	v_mul_lo_u32 v5, v1, s0
	v_mul_lo_u32 v6, v1, s1
	v_lshrrev_b32_e32 v1, s13, v4
	v_mul_lo_u32 v4, v1, s11
	v_mul_hi_u32 v7, s15, v1
	v_sub_u32_e32 v3, v3, v4
	v_add_u32_e32 v4, v1, v7
	v_lshrrev_b32_e32 v4, s28, v4
	v_mul_hi_u32 v8, s30, v4
	v_mul_lo_u32 v9, v4, s14
	v_mul_lo_u32 v7, v3, s2
	;; [unrolled: 1-line block ×3, first 2 shown]
	v_sub_u32_e32 v9, v1, v9
	v_add_u32_e32 v1, v4, v8
	v_lshrrev_b32_e32 v1, s31, v1
	v_mul_lo_u32 v8, v1, s29
	v_mul_lo_u32 v10, v9, s4
	;; [unrolled: 1-line block ×3, first 2 shown]
	v_add3_u32 v0, v5, v0, v7
	v_sub_u32_e32 v4, v4, v8
	v_mul_lo_u32 v8, v4, s6
	v_mul_lo_u32 v4, v4, s7
	v_add3_u32 v2, v6, v2, v3
	v_add3_u32 v0, v10, v0, v8
	;; [unrolled: 1-line block ×3, first 2 shown]
	s_cbranch_scc0 .LBB37_182
	s_branch .LBB37_187
.LBB37_183:
	s_waitcnt vmcnt(0)
	v_cmp_gt_i32_e32 vcc, s41, v1
	s_andn2_b64 s[2:3], s[2:3], exec
	s_and_b64 s[4:5], vcc, exec
	s_or_b64 s[2:3], s[2:3], s[4:5]
	s_cbranch_execz .LBB37_176
	s_branch .LBB37_177
.LBB37_184:
                                        ; implicit-def: $vgpr0
                                        ; implicit-def: $vgpr2
	s_branch .LBB37_191
.LBB37_185:
	v_mov_b32_e32 v0, 0
	v_mov_b32_e32 v2, 0
	s_branch .LBB37_190
.LBB37_186:
	s_mov_b32 s59, 0
	v_mov_b32_e32 v0, 0
	v_mov_b32_e32 v2, 0
	;; [unrolled: 1-line block ×3, first 2 shown]
.LBB37_187:
	s_and_b32 s4, s60, 3
	s_cmp_eq_u32 s4, 0
	s_cbranch_scc1 .LBB37_190
; %bb.188:
	s_lshl_b32 s0, s59, 3
	s_add_u32 s0, s34, s0
	s_addc_u32 s1, s35, 0
	s_add_u32 s0, s0, 0xc4
	s_addc_u32 s1, s1, 0
	s_mul_i32 s2, s59, 12
	s_add_u32 s2, s34, s2
	s_addc_u32 s3, s35, 0
.LBB37_189:                             ; =>This Inner Loop Header: Depth=1
	s_load_dwordx2 s[6:7], s[2:3], 0x4
	s_load_dword s5, s[2:3], 0xc
	s_load_dwordx2 s[8:9], s[0:1], 0x0
	s_add_u32 s2, s2, 12
	s_addc_u32 s3, s3, 0
	s_waitcnt lgkmcnt(0)
	v_mul_hi_u32 v3, s7, v1
	s_add_u32 s0, s0, 8
	s_addc_u32 s1, s1, 0
	s_add_i32 s4, s4, -1
	v_add_u32_e32 v3, v1, v3
	v_lshrrev_b32_e32 v4, s5, v3
	v_mul_lo_u32 v3, v4, s6
	s_cmp_lg_u32 s4, 0
	v_sub_u32_e32 v3, v1, v3
	v_mad_u64_u32 v[0:1], s[6:7], v3, s8, v[0:1]
	v_mad_u64_u32 v[2:3], s[6:7], v3, s9, v[2:3]
	v_mov_b32_e32 v1, v4
	s_cbranch_scc1 .LBB37_189
.LBB37_190:
	s_cbranch_execnz .LBB37_193
.LBB37_191:
	s_waitcnt lgkmcnt(0)
	v_mul_hi_u32 v0, s25, v15
	s_andn2_b64 vcc, exec, s[44:45]
	v_add_u32_e32 v0, v15, v0
	v_lshrrev_b32_e32 v1, s26, v0
	v_mul_lo_u32 v0, v1, s24
	v_sub_u32_e32 v2, v15, v0
	v_mul_lo_u32 v0, v2, s20
	v_mul_lo_u32 v2, v2, s21
	s_cbranch_vccnz .LBB37_193
; %bb.192:
	v_mul_hi_u32 v3, s42, v1
	v_add_u32_e32 v3, v1, v3
	v_lshrrev_b32_e32 v3, s43, v3
	v_mul_lo_u32 v3, v3, s27
	v_sub_u32_e32 v3, v1, v3
	v_mad_u64_u32 v[0:1], s[0:1], v3, s22, v[0:1]
	v_mad_u64_u32 v[2:3], s[0:1], v3, s23, v[2:3]
.LBB37_193:
	s_waitcnt lgkmcnt(0)
	global_load_dword v1, v2, s[18:19]
	s_cmp_lt_i32 s40, 1
	s_mov_b64 s[0:1], 0
	s_cbranch_scc1 .LBB37_197
; %bb.194:
	s_cmp_gt_i32 s40, 1
	s_cbranch_scc0 .LBB37_198
; %bb.195:
	s_cmp_eq_u32 s40, 2
	s_cbranch_scc0 .LBB37_476
; %bb.196:
	s_waitcnt vmcnt(0)
	v_cmp_ge_i32_e64 s[2:3], s41, v1
	s_mov_b64 s[4:5], 0
	s_branch .LBB37_200
.LBB37_197:
                                        ; implicit-def: $sgpr2_sgpr3
	s_mov_b64 s[4:5], 0
	s_cbranch_execnz .LBB37_201
	s_branch .LBB37_202
.LBB37_198:
	s_mov_b64 s[4:5], 0
                                        ; implicit-def: $sgpr2_sgpr3
	s_cbranch_execz .LBB37_200
; %bb.199:
	s_waitcnt vmcnt(0)
	v_cmp_lt_i32_e32 vcc, s41, v1
	s_andn2_b64 s[2:3], s[2:3], exec
	s_and_b64 s[6:7], vcc, exec
	s_or_b64 s[2:3], s[2:3], s[6:7]
.LBB37_200:
	s_branch .LBB37_202
.LBB37_201:
	s_cmp_lg_u32 s40, 0
	s_mov_b64 s[0:1], -1
	s_cselect_b64 s[4:5], -1, 0
.LBB37_202:
	s_andn2_b64 vcc, exec, s[4:5]
	s_cbranch_vccz .LBB37_211
; %bb.203:
	s_andn2_b64 vcc, exec, s[0:1]
	s_cbranch_vccnz .LBB37_205
.LBB37_204:
	s_waitcnt vmcnt(0)
	v_cmp_le_i32_e32 vcc, s41, v1
	s_andn2_b64 s[0:1], s[2:3], exec
	s_and_b64 s[2:3], vcc, exec
	s_or_b64 s[2:3], s[0:1], s[2:3]
.LBB37_205:
	s_waitcnt vmcnt(0)
	v_cndmask_b32_e64 v1, 0, 1, s[2:3]
	v_add_u32_e32 v15, 0x80, v15
	global_store_byte v0, v1, s[16:17]
	s_or_b64 exec, exec, s[50:51]
	v_cmp_gt_i32_e32 vcc, s57, v15
	s_and_saveexec_b64 s[50:51], vcc
	s_cbranch_execz .LBB37_234
.LBB37_206:
	s_andn2_b64 vcc, exec, s[36:37]
	s_cbranch_vccnz .LBB37_212
; %bb.207:
	s_andn2_b64 vcc, exec, s[48:49]
	s_cbranch_vccnz .LBB37_213
; %bb.208:
	s_add_i32 s58, s58, 1
	s_cmp_eq_u32 s56, 2
	s_cbranch_scc1 .LBB37_214
; %bb.209:
	s_and_b32 s52, s58, 28
	v_mov_b32_e32 v2, 0
	s_mov_b32 s53, 0
	s_mov_b64 s[48:49], s[34:35]
	v_mov_b32_e32 v0, 0
	v_mov_b32_e32 v1, v15
.LBB37_210:                             ; =>This Inner Loop Header: Depth=1
	s_load_dwordx8 s[8:15], s[48:49], 0x4
	s_load_dwordx4 s[28:31], s[48:49], 0x24
	s_load_dwordx8 s[0:7], s[46:47], 0x0
	s_add_u32 s48, s48, 48
	s_addc_u32 s49, s49, 0
	s_waitcnt lgkmcnt(0)
	v_mul_hi_u32 v3, s9, v1
	s_add_i32 s53, s53, 4
	s_add_u32 s46, s46, 32
	s_addc_u32 s47, s47, 0
	v_add_u32_e32 v3, v1, v3
	v_lshrrev_b32_e32 v3, s10, v3
	v_mul_lo_u32 v4, v3, s8
	v_mul_hi_u32 v5, s12, v3
	s_cmp_eq_u32 s52, s53
	v_sub_u32_e32 v1, v1, v4
	v_add_u32_e32 v4, v3, v5
	v_mul_lo_u32 v5, v1, s0
	v_mul_lo_u32 v6, v1, s1
	v_lshrrev_b32_e32 v1, s13, v4
	v_mul_lo_u32 v4, v1, s11
	v_mul_hi_u32 v7, s15, v1
	v_sub_u32_e32 v3, v3, v4
	v_add_u32_e32 v4, v1, v7
	v_lshrrev_b32_e32 v4, s28, v4
	v_mul_hi_u32 v8, s30, v4
	v_mul_lo_u32 v9, v4, s14
	v_mul_lo_u32 v7, v3, s2
	;; [unrolled: 1-line block ×3, first 2 shown]
	v_sub_u32_e32 v9, v1, v9
	v_add_u32_e32 v1, v4, v8
	v_lshrrev_b32_e32 v1, s31, v1
	v_mul_lo_u32 v8, v1, s29
	v_mul_lo_u32 v10, v9, s4
	;; [unrolled: 1-line block ×3, first 2 shown]
	v_add3_u32 v0, v5, v0, v7
	v_sub_u32_e32 v4, v4, v8
	v_mul_lo_u32 v8, v4, s6
	v_mul_lo_u32 v4, v4, s7
	v_add3_u32 v2, v6, v2, v3
	v_add3_u32 v0, v10, v0, v8
	;; [unrolled: 1-line block ×3, first 2 shown]
	s_cbranch_scc0 .LBB37_210
	s_branch .LBB37_215
.LBB37_211:
	s_waitcnt vmcnt(0)
	v_cmp_gt_i32_e32 vcc, s41, v1
	s_andn2_b64 s[2:3], s[2:3], exec
	s_and_b64 s[4:5], vcc, exec
	s_or_b64 s[2:3], s[2:3], s[4:5]
	s_cbranch_execz .LBB37_204
	s_branch .LBB37_205
.LBB37_212:
                                        ; implicit-def: $vgpr0
                                        ; implicit-def: $vgpr2
	s_branch .LBB37_219
.LBB37_213:
	v_mov_b32_e32 v0, 0
	v_mov_b32_e32 v2, 0
	s_branch .LBB37_218
.LBB37_214:
	s_mov_b32 s52, 0
	v_mov_b32_e32 v0, 0
	v_mov_b32_e32 v2, 0
	;; [unrolled: 1-line block ×3, first 2 shown]
.LBB37_215:
	s_and_b32 s4, s58, 3
	s_cmp_eq_u32 s4, 0
	s_cbranch_scc1 .LBB37_218
; %bb.216:
	s_lshl_b32 s0, s52, 3
	s_add_u32 s0, s34, s0
	s_addc_u32 s1, s35, 0
	s_add_u32 s0, s0, 0xc4
	s_addc_u32 s1, s1, 0
	s_mul_i32 s2, s52, 12
	s_add_u32 s2, s34, s2
	s_addc_u32 s3, s35, 0
.LBB37_217:                             ; =>This Inner Loop Header: Depth=1
	s_load_dwordx2 s[6:7], s[2:3], 0x4
	s_load_dword s5, s[2:3], 0xc
	s_load_dwordx2 s[8:9], s[0:1], 0x0
	s_add_u32 s2, s2, 12
	s_addc_u32 s3, s3, 0
	s_waitcnt lgkmcnt(0)
	v_mul_hi_u32 v3, s7, v1
	s_add_u32 s0, s0, 8
	s_addc_u32 s1, s1, 0
	s_add_i32 s4, s4, -1
	v_add_u32_e32 v3, v1, v3
	v_lshrrev_b32_e32 v4, s5, v3
	v_mul_lo_u32 v3, v4, s6
	s_cmp_lg_u32 s4, 0
	v_sub_u32_e32 v3, v1, v3
	v_mad_u64_u32 v[0:1], s[6:7], v3, s8, v[0:1]
	v_mad_u64_u32 v[2:3], s[6:7], v3, s9, v[2:3]
	v_mov_b32_e32 v1, v4
	s_cbranch_scc1 .LBB37_217
.LBB37_218:
	s_cbranch_execnz .LBB37_221
.LBB37_219:
	s_waitcnt lgkmcnt(0)
	v_mul_hi_u32 v0, s25, v15
	s_andn2_b64 vcc, exec, s[44:45]
	v_add_u32_e32 v0, v15, v0
	v_lshrrev_b32_e32 v1, s26, v0
	v_mul_lo_u32 v0, v1, s24
	v_sub_u32_e32 v2, v15, v0
	v_mul_lo_u32 v0, v2, s20
	v_mul_lo_u32 v2, v2, s21
	s_cbranch_vccnz .LBB37_221
; %bb.220:
	v_mul_hi_u32 v3, s42, v1
	v_add_u32_e32 v3, v1, v3
	v_lshrrev_b32_e32 v3, s43, v3
	v_mul_lo_u32 v3, v3, s27
	v_sub_u32_e32 v3, v1, v3
	v_mad_u64_u32 v[0:1], s[0:1], v3, s22, v[0:1]
	v_mad_u64_u32 v[2:3], s[0:1], v3, s23, v[2:3]
.LBB37_221:
	s_waitcnt lgkmcnt(0)
	global_load_dword v1, v2, s[18:19]
	s_cmp_lt_i32 s40, 1
	s_mov_b64 s[0:1], 0
	s_cbranch_scc1 .LBB37_225
; %bb.222:
	s_cmp_gt_i32 s40, 1
	s_cbranch_scc0 .LBB37_226
; %bb.223:
	s_cmp_eq_u32 s40, 2
	s_cbranch_scc0 .LBB37_477
; %bb.224:
	s_waitcnt vmcnt(0)
	v_cmp_ge_i32_e64 s[2:3], s41, v1
	s_mov_b64 s[4:5], 0
	s_branch .LBB37_228
.LBB37_225:
                                        ; implicit-def: $sgpr2_sgpr3
	s_mov_b64 s[4:5], 0
	s_cbranch_execnz .LBB37_229
	s_branch .LBB37_230
.LBB37_226:
	s_mov_b64 s[4:5], 0
                                        ; implicit-def: $sgpr2_sgpr3
	s_cbranch_execz .LBB37_228
; %bb.227:
	s_waitcnt vmcnt(0)
	v_cmp_lt_i32_e32 vcc, s41, v1
	s_andn2_b64 s[2:3], s[2:3], exec
	s_and_b64 s[6:7], vcc, exec
	s_or_b64 s[2:3], s[2:3], s[6:7]
.LBB37_228:
	s_branch .LBB37_230
.LBB37_229:
	s_cmp_lg_u32 s40, 0
	s_mov_b64 s[0:1], -1
	s_cselect_b64 s[4:5], -1, 0
.LBB37_230:
	s_andn2_b64 vcc, exec, s[4:5]
	s_cbranch_vccz .LBB37_244
; %bb.231:
	s_andn2_b64 vcc, exec, s[0:1]
	s_cbranch_vccnz .LBB37_233
.LBB37_232:
	s_waitcnt vmcnt(0)
	v_cmp_le_i32_e32 vcc, s41, v1
	s_andn2_b64 s[0:1], s[2:3], exec
	s_and_b64 s[2:3], vcc, exec
	s_or_b64 s[2:3], s[0:1], s[2:3]
.LBB37_233:
	s_waitcnt vmcnt(0)
	v_cndmask_b32_e64 v1, 0, 1, s[2:3]
	global_store_byte v0, v1, s[16:17]
.LBB37_234:
	s_or_b64 exec, exec, s[50:51]
                                        ; implicit-def: $vgpr22
                                        ; implicit-def: $vgpr15
.LBB37_235:
	s_andn2_saveexec_b64 s[0:1], s[38:39]
	s_cbranch_execz .LBB37_242
; %bb.236:
	v_cndmask_b32_e64 v0, 0, 1, s[36:37]
	v_cmp_ne_u32_e64 s[0:1], 1, v0
	s_andn2_b64 vcc, exec, s[36:37]
	s_cbranch_vccnz .LBB37_243
; %bb.237:
	s_cmp_lg_u32 s33, 0
	s_waitcnt lgkmcnt(0)
	s_mov_b32 s26, 0
	s_cbranch_scc0 .LBB37_245
; %bb.238:
	s_min_u32 s27, s56, 15
	s_add_i32 s27, s27, 1
	s_cmp_eq_u32 s56, 2
	s_cbranch_scc1 .LBB37_246
; %bb.239:
	s_and_b32 s26, s27, 28
	s_add_u32 s2, s34, 0xc4
	s_addc_u32 s3, s35, 0
	v_mov_b32_e32 v5, 0
	s_mov_b32 s28, 0
	s_mov_b64 s[24:25], s[34:35]
	v_mov_b32_e32 v0, 0
	v_mov_b32_e32 v1, v15
.LBB37_240:                             ; =>This Inner Loop Header: Depth=1
	s_load_dwordx8 s[12:19], s[24:25], 0x4
	s_load_dwordx4 s[20:23], s[24:25], 0x24
	s_load_dwordx8 s[4:11], s[2:3], 0x0
	s_add_u32 s24, s24, 48
	s_addc_u32 s25, s25, 0
	s_waitcnt lgkmcnt(0)
	v_mul_hi_u32 v2, s13, v1
	s_add_i32 s28, s28, 4
	s_add_u32 s2, s2, 32
	s_addc_u32 s3, s3, 0
	v_add_u32_e32 v2, v1, v2
	v_lshrrev_b32_e32 v2, s14, v2
	v_mul_lo_u32 v3, v2, s12
	v_mul_hi_u32 v4, s16, v2
	s_cmp_lg_u32 s26, s28
	v_sub_u32_e32 v1, v1, v3
	v_add_u32_e32 v3, v2, v4
	v_mul_lo_u32 v4, v1, s4
	v_mul_lo_u32 v6, v1, s5
	v_lshrrev_b32_e32 v1, s17, v3
	v_mul_lo_u32 v3, v1, s15
	v_mul_hi_u32 v7, s19, v1
	v_sub_u32_e32 v2, v2, v3
	v_add_u32_e32 v3, v1, v7
	v_lshrrev_b32_e32 v3, s20, v3
	v_mul_hi_u32 v8, s22, v3
	v_mul_lo_u32 v9, v3, s18
	v_mul_lo_u32 v7, v2, s6
	;; [unrolled: 1-line block ×3, first 2 shown]
	v_sub_u32_e32 v9, v1, v9
	v_add_u32_e32 v1, v3, v8
	v_lshrrev_b32_e32 v1, s23, v1
	v_mul_lo_u32 v8, v1, s21
	v_mul_lo_u32 v10, v9, s8
	;; [unrolled: 1-line block ×3, first 2 shown]
	v_add3_u32 v0, v4, v0, v7
	v_sub_u32_e32 v3, v3, v8
	v_mul_lo_u32 v8, v3, s10
	v_mul_lo_u32 v3, v3, s11
	v_add3_u32 v2, v6, v5, v2
	v_add3_u32 v0, v10, v0, v8
	;; [unrolled: 1-line block ×3, first 2 shown]
	s_cbranch_scc1 .LBB37_240
; %bb.241:
	s_and_b32 s6, s27, 3
	s_cmp_eq_u32 s6, 0
	s_cbranch_scc0 .LBB37_247
	s_branch .LBB37_249
.LBB37_242:
	s_endpgm
.LBB37_243:
                                        ; implicit-def: $vgpr0
                                        ; implicit-def: $vgpr5
	s_branch .LBB37_250
.LBB37_244:
	s_waitcnt vmcnt(0)
	v_cmp_gt_i32_e32 vcc, s41, v1
	s_andn2_b64 s[2:3], s[2:3], exec
	s_and_b64 s[4:5], vcc, exec
	s_or_b64 s[2:3], s[2:3], s[4:5]
	s_cbranch_execz .LBB37_232
	s_branch .LBB37_233
.LBB37_245:
	v_mov_b32_e32 v0, 0
	v_mov_b32_e32 v5, 0
	s_branch .LBB37_249
.LBB37_246:
	v_mov_b32_e32 v0, 0
	v_mov_b32_e32 v5, 0
	;; [unrolled: 1-line block ×3, first 2 shown]
	s_and_b32 s6, s27, 3
	s_cmp_eq_u32 s6, 0
	s_cbranch_scc1 .LBB37_249
.LBB37_247:
	s_lshl_b32 s2, s26, 3
	s_add_u32 s2, s34, s2
	s_addc_u32 s3, s35, 0
	s_add_u32 s2, s2, 0xc4
	s_addc_u32 s3, s3, 0
	s_mul_i32 s4, s26, 12
	s_add_u32 s4, s34, s4
	s_addc_u32 s5, s35, 0
.LBB37_248:                             ; =>This Inner Loop Header: Depth=1
	s_load_dwordx2 s[8:9], s[4:5], 0x4
	s_load_dword s7, s[4:5], 0xc
	s_load_dwordx2 s[10:11], s[2:3], 0x0
	s_add_u32 s4, s4, 12
	s_addc_u32 s5, s5, 0
	s_waitcnt lgkmcnt(0)
	v_mul_hi_u32 v2, s9, v1
	s_add_u32 s2, s2, 8
	s_addc_u32 s3, s3, 0
	s_add_i32 s6, s6, -1
	v_add_u32_e32 v2, v1, v2
	v_lshrrev_b32_e32 v2, s7, v2
	v_mul_lo_u32 v3, v2, s8
	s_cmp_lg_u32 s6, 0
	v_sub_u32_e32 v3, v1, v3
	v_mad_u64_u32 v[0:1], s[8:9], v3, s10, v[0:1]
	v_mad_u64_u32 v[5:6], s[8:9], v3, s11, v[5:6]
	v_mov_b32_e32 v1, v2
	s_cbranch_scc1 .LBB37_248
.LBB37_249:
	s_cbranch_execnz .LBB37_252
.LBB37_250:
	s_load_dwordx4 s[4:7], s[34:35], 0x4
	s_load_dwordx2 s[2:3], s[34:35], 0xc4
	s_cmp_lt_u32 s33, 2
	s_waitcnt lgkmcnt(0)
	v_mul_hi_u32 v0, s5, v15
	v_add_u32_e32 v0, v15, v0
	v_lshrrev_b32_e32 v1, s6, v0
	v_mul_lo_u32 v0, v1, s4
	v_sub_u32_e32 v2, v15, v0
	v_mul_lo_u32 v0, v2, s2
	v_mul_lo_u32 v5, v2, s3
	s_cbranch_scc1 .LBB37_252
; %bb.251:
	s_load_dwordx4 s[4:7], s[34:35], 0x10
	s_load_dwordx2 s[2:3], s[34:35], 0xcc
	s_waitcnt lgkmcnt(0)
	v_mul_hi_u32 v2, s5, v1
	v_add_u32_e32 v2, v1, v2
	v_lshrrev_b32_e32 v2, s6, v2
	v_mul_lo_u32 v2, v2, s4
	v_sub_u32_e32 v2, v1, v2
	v_mad_u64_u32 v[0:1], s[4:5], v2, s2, v[0:1]
	v_mad_u64_u32 v[5:6], s[2:3], v2, s3, v[5:6]
.LBB37_252:
	s_and_b64 vcc, exec, s[0:1]
	v_add_u32_e32 v3, 0x80, v15
	s_cbranch_vccnz .LBB37_258
; %bb.253:
	s_cmp_lg_u32 s33, 0
	s_waitcnt lgkmcnt(0)
	s_mov_b32 s26, 0
	s_cbranch_scc0 .LBB37_259
; %bb.254:
	s_min_u32 s27, s56, 15
	s_add_i32 s27, s27, 1
	s_cmp_eq_u32 s56, 2
	s_cbranch_scc1 .LBB37_260
; %bb.255:
	s_and_b32 s26, s27, 28
	s_add_u32 s2, s34, 0xc4
	s_addc_u32 s3, s35, 0
	v_mov_b32_e32 v6, 0
	s_mov_b32 s28, 0
	s_mov_b64 s[24:25], s[34:35]
	v_mov_b32_e32 v1, 0
	v_mov_b32_e32 v2, v3
.LBB37_256:                             ; =>This Inner Loop Header: Depth=1
	s_load_dwordx8 s[12:19], s[24:25], 0x4
	s_load_dwordx4 s[20:23], s[24:25], 0x24
	s_load_dwordx8 s[4:11], s[2:3], 0x0
	s_add_u32 s24, s24, 48
	s_addc_u32 s25, s25, 0
	s_waitcnt lgkmcnt(0)
	v_mul_hi_u32 v4, s13, v2
	s_add_i32 s28, s28, 4
	s_add_u32 s2, s2, 32
	s_addc_u32 s3, s3, 0
	v_add_u32_e32 v4, v2, v4
	v_lshrrev_b32_e32 v4, s14, v4
	v_mul_lo_u32 v7, v4, s12
	v_mul_hi_u32 v8, s16, v4
	s_cmp_lg_u32 s26, s28
	v_sub_u32_e32 v2, v2, v7
	v_add_u32_e32 v7, v4, v8
	v_mul_lo_u32 v8, v2, s4
	v_mul_lo_u32 v9, v2, s5
	v_lshrrev_b32_e32 v2, s17, v7
	v_mul_lo_u32 v7, v2, s15
	v_mul_hi_u32 v10, s19, v2
	v_sub_u32_e32 v4, v4, v7
	v_add_u32_e32 v7, v2, v10
	v_lshrrev_b32_e32 v7, s20, v7
	v_mul_hi_u32 v11, s22, v7
	v_mul_lo_u32 v12, v7, s18
	v_mul_lo_u32 v10, v4, s6
	;; [unrolled: 1-line block ×3, first 2 shown]
	v_sub_u32_e32 v12, v2, v12
	v_add_u32_e32 v2, v7, v11
	v_lshrrev_b32_e32 v2, s23, v2
	v_mul_lo_u32 v11, v2, s21
	v_mul_lo_u32 v13, v12, s8
	;; [unrolled: 1-line block ×3, first 2 shown]
	v_add3_u32 v1, v8, v1, v10
	v_sub_u32_e32 v7, v7, v11
	v_mul_lo_u32 v11, v7, s10
	v_mul_lo_u32 v7, v7, s11
	v_add3_u32 v4, v9, v6, v4
	v_add3_u32 v1, v13, v1, v11
	;; [unrolled: 1-line block ×3, first 2 shown]
	s_cbranch_scc1 .LBB37_256
; %bb.257:
	s_and_b32 s6, s27, 3
	s_cmp_eq_u32 s6, 0
	s_cbranch_scc0 .LBB37_261
	s_branch .LBB37_263
.LBB37_258:
                                        ; implicit-def: $vgpr1
                                        ; implicit-def: $vgpr6
	s_branch .LBB37_264
.LBB37_259:
	v_mov_b32_e32 v1, 0
	v_mov_b32_e32 v6, 0
	s_branch .LBB37_263
.LBB37_260:
	v_mov_b32_e32 v1, 0
	v_mov_b32_e32 v6, 0
	;; [unrolled: 1-line block ×3, first 2 shown]
	s_and_b32 s6, s27, 3
	s_cmp_eq_u32 s6, 0
	s_cbranch_scc1 .LBB37_263
.LBB37_261:
	s_lshl_b32 s2, s26, 3
	s_add_u32 s2, s34, s2
	s_addc_u32 s3, s35, 0
	s_add_u32 s2, s2, 0xc4
	s_addc_u32 s3, s3, 0
	s_mul_i32 s4, s26, 12
	s_add_u32 s4, s34, s4
	s_addc_u32 s5, s35, 0
.LBB37_262:                             ; =>This Inner Loop Header: Depth=1
	s_load_dwordx2 s[8:9], s[4:5], 0x4
	s_load_dword s7, s[4:5], 0xc
	s_load_dwordx2 s[10:11], s[2:3], 0x0
	s_add_u32 s4, s4, 12
	s_addc_u32 s5, s5, 0
	s_waitcnt lgkmcnt(0)
	v_mul_hi_u32 v4, s9, v2
	s_add_u32 s2, s2, 8
	s_addc_u32 s3, s3, 0
	s_add_i32 s6, s6, -1
	v_add_u32_e32 v4, v2, v4
	v_lshrrev_b32_e32 v4, s7, v4
	v_mul_lo_u32 v7, v4, s8
	s_cmp_lg_u32 s6, 0
	v_sub_u32_e32 v7, v2, v7
	v_mad_u64_u32 v[1:2], s[8:9], v7, s10, v[1:2]
	v_mad_u64_u32 v[6:7], s[8:9], v7, s11, v[6:7]
	v_mov_b32_e32 v2, v4
	s_cbranch_scc1 .LBB37_262
.LBB37_263:
	s_cbranch_execnz .LBB37_266
.LBB37_264:
	s_load_dwordx4 s[4:7], s[34:35], 0x4
	s_load_dwordx2 s[2:3], s[34:35], 0xc4
	s_cmp_lt_u32 s33, 2
	s_waitcnt lgkmcnt(0)
	v_mul_hi_u32 v1, s5, v3
	v_add_u32_e32 v1, v3, v1
	v_lshrrev_b32_e32 v2, s6, v1
	v_mul_lo_u32 v1, v2, s4
	v_sub_u32_e32 v3, v3, v1
	v_mul_lo_u32 v1, v3, s2
	v_mul_lo_u32 v6, v3, s3
	s_cbranch_scc1 .LBB37_266
; %bb.265:
	s_load_dwordx4 s[4:7], s[34:35], 0x10
	s_load_dwordx2 s[2:3], s[34:35], 0xcc
	s_waitcnt lgkmcnt(0)
	v_mul_hi_u32 v3, s5, v2
	v_add_u32_e32 v3, v2, v3
	v_lshrrev_b32_e32 v3, s6, v3
	v_mul_lo_u32 v3, v3, s4
	v_sub_u32_e32 v3, v2, v3
	v_mad_u64_u32 v[1:2], s[4:5], v3, s2, v[1:2]
	v_mad_u64_u32 v[6:7], s[2:3], v3, s3, v[6:7]
.LBB37_266:
	s_and_b64 vcc, exec, s[0:1]
	v_add_u32_e32 v4, 0x100, v15
	s_cbranch_vccnz .LBB37_272
; %bb.267:
	s_cmp_lg_u32 s33, 0
	s_waitcnt lgkmcnt(0)
	s_mov_b32 s26, 0
	s_cbranch_scc0 .LBB37_273
; %bb.268:
	s_min_u32 s27, s56, 15
	s_add_i32 s27, s27, 1
	s_cmp_eq_u32 s56, 2
	s_cbranch_scc1 .LBB37_274
; %bb.269:
	s_and_b32 s26, s27, 28
	s_add_u32 s2, s34, 0xc4
	s_addc_u32 s3, s35, 0
	v_mov_b32_e32 v9, 0
	s_mov_b32 s28, 0
	s_mov_b64 s[24:25], s[34:35]
	v_mov_b32_e32 v2, 0
	v_mov_b32_e32 v3, v4
.LBB37_270:                             ; =>This Inner Loop Header: Depth=1
	s_load_dwordx8 s[12:19], s[24:25], 0x4
	s_load_dwordx4 s[20:23], s[24:25], 0x24
	s_load_dwordx8 s[4:11], s[2:3], 0x0
	s_add_u32 s24, s24, 48
	s_addc_u32 s25, s25, 0
	s_waitcnt lgkmcnt(0)
	v_mul_hi_u32 v7, s13, v3
	s_add_i32 s28, s28, 4
	s_add_u32 s2, s2, 32
	s_addc_u32 s3, s3, 0
	v_add_u32_e32 v7, v3, v7
	v_lshrrev_b32_e32 v7, s14, v7
	v_mul_lo_u32 v8, v7, s12
	v_mul_hi_u32 v10, s16, v7
	s_cmp_lg_u32 s26, s28
	v_sub_u32_e32 v3, v3, v8
	v_add_u32_e32 v8, v7, v10
	v_mul_lo_u32 v10, v3, s4
	v_mul_lo_u32 v11, v3, s5
	v_lshrrev_b32_e32 v3, s17, v8
	v_mul_lo_u32 v8, v3, s15
	v_mul_hi_u32 v12, s19, v3
	v_sub_u32_e32 v7, v7, v8
	v_add_u32_e32 v8, v3, v12
	v_lshrrev_b32_e32 v8, s20, v8
	v_mul_hi_u32 v13, s22, v8
	v_mul_lo_u32 v14, v8, s18
	v_mul_lo_u32 v12, v7, s6
	v_mul_lo_u32 v7, v7, s7
	v_sub_u32_e32 v14, v3, v14
	v_add_u32_e32 v3, v8, v13
	v_lshrrev_b32_e32 v3, s23, v3
	v_mul_lo_u32 v13, v3, s21
	v_mul_lo_u32 v16, v14, s8
	v_mul_lo_u32 v14, v14, s9
	v_add3_u32 v2, v10, v2, v12
	v_sub_u32_e32 v8, v8, v13
	v_mul_lo_u32 v13, v8, s10
	v_mul_lo_u32 v8, v8, s11
	v_add3_u32 v7, v11, v9, v7
	v_add3_u32 v2, v16, v2, v13
	;; [unrolled: 1-line block ×3, first 2 shown]
	s_cbranch_scc1 .LBB37_270
; %bb.271:
	s_and_b32 s6, s27, 3
	s_cmp_eq_u32 s6, 0
	s_cbranch_scc0 .LBB37_275
	s_branch .LBB37_277
.LBB37_272:
                                        ; implicit-def: $vgpr2
                                        ; implicit-def: $vgpr9
	s_branch .LBB37_278
.LBB37_273:
	v_mov_b32_e32 v2, 0
	v_mov_b32_e32 v9, 0
	s_branch .LBB37_277
.LBB37_274:
	v_mov_b32_e32 v2, 0
	v_mov_b32_e32 v9, 0
	v_mov_b32_e32 v3, v4
	s_and_b32 s6, s27, 3
	s_cmp_eq_u32 s6, 0
	s_cbranch_scc1 .LBB37_277
.LBB37_275:
	s_lshl_b32 s2, s26, 3
	s_add_u32 s2, s34, s2
	s_addc_u32 s3, s35, 0
	s_add_u32 s2, s2, 0xc4
	s_addc_u32 s3, s3, 0
	s_mul_i32 s4, s26, 12
	s_add_u32 s4, s34, s4
	s_addc_u32 s5, s35, 0
.LBB37_276:                             ; =>This Inner Loop Header: Depth=1
	s_load_dwordx2 s[8:9], s[4:5], 0x4
	s_load_dword s7, s[4:5], 0xc
	s_load_dwordx2 s[10:11], s[2:3], 0x0
	s_add_u32 s4, s4, 12
	s_addc_u32 s5, s5, 0
	s_waitcnt lgkmcnt(0)
	v_mul_hi_u32 v7, s9, v3
	s_add_u32 s2, s2, 8
	s_addc_u32 s3, s3, 0
	s_add_i32 s6, s6, -1
	v_add_u32_e32 v7, v3, v7
	v_lshrrev_b32_e32 v7, s7, v7
	v_mul_lo_u32 v8, v7, s8
	s_cmp_lg_u32 s6, 0
	v_sub_u32_e32 v8, v3, v8
	v_mad_u64_u32 v[2:3], s[8:9], v8, s10, v[2:3]
	v_mad_u64_u32 v[9:10], s[8:9], v8, s11, v[9:10]
	v_mov_b32_e32 v3, v7
	s_cbranch_scc1 .LBB37_276
.LBB37_277:
	s_cbranch_execnz .LBB37_280
.LBB37_278:
	s_load_dwordx4 s[4:7], s[34:35], 0x4
	s_load_dwordx2 s[2:3], s[34:35], 0xc4
	s_cmp_lt_u32 s33, 2
	s_waitcnt lgkmcnt(0)
	v_mul_hi_u32 v2, s5, v4
	v_add_u32_e32 v2, v4, v2
	v_lshrrev_b32_e32 v3, s6, v2
	v_mul_lo_u32 v2, v3, s4
	v_sub_u32_e32 v4, v4, v2
	v_mul_lo_u32 v2, v4, s2
	v_mul_lo_u32 v9, v4, s3
	s_cbranch_scc1 .LBB37_280
; %bb.279:
	s_load_dwordx4 s[4:7], s[34:35], 0x10
	s_load_dwordx2 s[2:3], s[34:35], 0xcc
	s_waitcnt lgkmcnt(0)
	v_mul_hi_u32 v4, s5, v3
	v_add_u32_e32 v4, v3, v4
	v_lshrrev_b32_e32 v4, s6, v4
	v_mul_lo_u32 v4, v4, s4
	v_sub_u32_e32 v4, v3, v4
	v_mad_u64_u32 v[2:3], s[4:5], v4, s2, v[2:3]
	v_mad_u64_u32 v[9:10], s[2:3], v4, s3, v[9:10]
.LBB37_280:
	s_and_b64 vcc, exec, s[0:1]
	v_add_u32_e32 v7, 0x180, v15
	s_cbranch_vccnz .LBB37_286
; %bb.281:
	s_cmp_lg_u32 s33, 0
	s_waitcnt lgkmcnt(0)
	s_mov_b32 s26, 0
	s_cbranch_scc0 .LBB37_287
; %bb.282:
	s_min_u32 s27, s56, 15
	s_add_i32 s27, s27, 1
	s_cmp_eq_u32 s56, 2
	s_cbranch_scc1 .LBB37_288
; %bb.283:
	s_and_b32 s26, s27, 28
	s_add_u32 s2, s34, 0xc4
	s_addc_u32 s3, s35, 0
	v_mov_b32_e32 v12, 0
	s_mov_b32 s28, 0
	s_mov_b64 s[24:25], s[34:35]
	v_mov_b32_e32 v3, 0
	v_mov_b32_e32 v4, v7
.LBB37_284:                             ; =>This Inner Loop Header: Depth=1
	s_load_dwordx8 s[12:19], s[24:25], 0x4
	s_load_dwordx4 s[20:23], s[24:25], 0x24
	s_load_dwordx8 s[4:11], s[2:3], 0x0
	s_add_u32 s24, s24, 48
	s_addc_u32 s25, s25, 0
	s_waitcnt lgkmcnt(0)
	v_mul_hi_u32 v8, s13, v4
	s_add_i32 s28, s28, 4
	s_add_u32 s2, s2, 32
	s_addc_u32 s3, s3, 0
	v_add_u32_e32 v8, v4, v8
	v_lshrrev_b32_e32 v8, s14, v8
	v_mul_lo_u32 v10, v8, s12
	v_mul_hi_u32 v11, s16, v8
	s_cmp_lg_u32 s26, s28
	v_sub_u32_e32 v4, v4, v10
	v_add_u32_e32 v10, v8, v11
	v_mul_lo_u32 v11, v4, s4
	v_mul_lo_u32 v13, v4, s5
	v_lshrrev_b32_e32 v4, s17, v10
	v_mul_lo_u32 v10, v4, s15
	v_mul_hi_u32 v14, s19, v4
	v_sub_u32_e32 v8, v8, v10
	v_add_u32_e32 v10, v4, v14
	v_lshrrev_b32_e32 v10, s20, v10
	v_mul_hi_u32 v16, s22, v10
	v_mul_lo_u32 v17, v10, s18
	v_mul_lo_u32 v14, v8, s6
	;; [unrolled: 1-line block ×3, first 2 shown]
	v_sub_u32_e32 v17, v4, v17
	v_add_u32_e32 v4, v10, v16
	v_lshrrev_b32_e32 v4, s23, v4
	v_mul_lo_u32 v16, v4, s21
	v_mul_lo_u32 v18, v17, s8
	;; [unrolled: 1-line block ×3, first 2 shown]
	v_add3_u32 v3, v11, v3, v14
	v_sub_u32_e32 v10, v10, v16
	v_mul_lo_u32 v16, v10, s10
	v_mul_lo_u32 v10, v10, s11
	v_add3_u32 v8, v13, v12, v8
	v_add3_u32 v3, v18, v3, v16
	;; [unrolled: 1-line block ×3, first 2 shown]
	s_cbranch_scc1 .LBB37_284
; %bb.285:
	s_and_b32 s6, s27, 3
	s_cmp_eq_u32 s6, 0
	s_cbranch_scc0 .LBB37_289
	s_branch .LBB37_291
.LBB37_286:
                                        ; implicit-def: $vgpr3
                                        ; implicit-def: $vgpr12
	s_branch .LBB37_292
.LBB37_287:
	v_mov_b32_e32 v3, 0
	v_mov_b32_e32 v12, 0
	s_branch .LBB37_291
.LBB37_288:
	v_mov_b32_e32 v3, 0
	v_mov_b32_e32 v12, 0
	;; [unrolled: 1-line block ×3, first 2 shown]
	s_and_b32 s6, s27, 3
	s_cmp_eq_u32 s6, 0
	s_cbranch_scc1 .LBB37_291
.LBB37_289:
	s_lshl_b32 s2, s26, 3
	s_add_u32 s2, s34, s2
	s_addc_u32 s3, s35, 0
	s_add_u32 s2, s2, 0xc4
	s_addc_u32 s3, s3, 0
	s_mul_i32 s4, s26, 12
	s_add_u32 s4, s34, s4
	s_addc_u32 s5, s35, 0
.LBB37_290:                             ; =>This Inner Loop Header: Depth=1
	s_load_dwordx2 s[8:9], s[4:5], 0x4
	s_load_dword s7, s[4:5], 0xc
	s_load_dwordx2 s[10:11], s[2:3], 0x0
	s_add_u32 s4, s4, 12
	s_addc_u32 s5, s5, 0
	s_waitcnt lgkmcnt(0)
	v_mul_hi_u32 v8, s9, v4
	s_add_u32 s2, s2, 8
	s_addc_u32 s3, s3, 0
	s_add_i32 s6, s6, -1
	v_add_u32_e32 v8, v4, v8
	v_lshrrev_b32_e32 v8, s7, v8
	v_mul_lo_u32 v10, v8, s8
	s_cmp_lg_u32 s6, 0
	v_sub_u32_e32 v10, v4, v10
	v_mad_u64_u32 v[3:4], s[8:9], v10, s10, v[3:4]
	v_mad_u64_u32 v[12:13], s[8:9], v10, s11, v[12:13]
	v_mov_b32_e32 v4, v8
	s_cbranch_scc1 .LBB37_290
.LBB37_291:
	s_cbranch_execnz .LBB37_294
.LBB37_292:
	s_load_dwordx4 s[4:7], s[34:35], 0x4
	s_load_dwordx2 s[2:3], s[34:35], 0xc4
	s_cmp_lt_u32 s33, 2
	s_waitcnt lgkmcnt(0)
	v_mul_hi_u32 v3, s5, v7
	v_add_u32_e32 v3, v7, v3
	v_lshrrev_b32_e32 v4, s6, v3
	v_mul_lo_u32 v3, v4, s4
	v_sub_u32_e32 v7, v7, v3
	v_mul_lo_u32 v3, v7, s2
	v_mul_lo_u32 v12, v7, s3
	s_cbranch_scc1 .LBB37_294
; %bb.293:
	s_load_dwordx4 s[4:7], s[34:35], 0x10
	s_load_dwordx2 s[2:3], s[34:35], 0xcc
	s_waitcnt lgkmcnt(0)
	v_mul_hi_u32 v7, s5, v4
	v_add_u32_e32 v7, v4, v7
	v_lshrrev_b32_e32 v7, s6, v7
	v_mul_lo_u32 v7, v7, s4
	v_sub_u32_e32 v7, v4, v7
	v_mad_u64_u32 v[3:4], s[4:5], v7, s2, v[3:4]
	v_mad_u64_u32 v[12:13], s[2:3], v7, s3, v[12:13]
.LBB37_294:
	s_and_b64 vcc, exec, s[0:1]
	v_add_u32_e32 v4, 0x200, v15
	s_cbranch_vccnz .LBB37_300
; %bb.295:
	s_cmp_lg_u32 s33, 0
	s_waitcnt lgkmcnt(0)
	s_mov_b32 s26, 0
	s_cbranch_scc0 .LBB37_301
; %bb.296:
	s_min_u32 s27, s56, 15
	s_add_i32 s27, s27, 1
	s_cmp_eq_u32 s56, 2
	s_cbranch_scc1 .LBB37_302
; %bb.297:
	s_and_b32 s26, s27, 28
	s_add_u32 s2, s34, 0xc4
	s_addc_u32 s3, s35, 0
	v_mov_b32_e32 v13, 0
	s_mov_b32 s28, 0
	s_mov_b64 s[24:25], s[34:35]
	v_mov_b32_e32 v7, 0
	v_mov_b32_e32 v8, v4
.LBB37_298:                             ; =>This Inner Loop Header: Depth=1
	s_load_dwordx8 s[12:19], s[24:25], 0x4
	s_load_dwordx4 s[20:23], s[24:25], 0x24
	s_load_dwordx8 s[4:11], s[2:3], 0x0
	s_add_u32 s24, s24, 48
	s_addc_u32 s25, s25, 0
	s_waitcnt lgkmcnt(0)
	v_mul_hi_u32 v10, s13, v8
	s_add_i32 s28, s28, 4
	s_add_u32 s2, s2, 32
	s_addc_u32 s3, s3, 0
	v_add_u32_e32 v10, v8, v10
	v_lshrrev_b32_e32 v10, s14, v10
	v_mul_lo_u32 v11, v10, s12
	v_mul_hi_u32 v14, s16, v10
	s_cmp_lg_u32 s26, s28
	v_sub_u32_e32 v8, v8, v11
	v_add_u32_e32 v11, v10, v14
	v_mul_lo_u32 v14, v8, s4
	v_mul_lo_u32 v16, v8, s5
	v_lshrrev_b32_e32 v8, s17, v11
	v_mul_lo_u32 v11, v8, s15
	v_mul_hi_u32 v17, s19, v8
	v_sub_u32_e32 v10, v10, v11
	v_add_u32_e32 v11, v8, v17
	v_lshrrev_b32_e32 v11, s20, v11
	v_mul_hi_u32 v18, s22, v11
	v_mul_lo_u32 v19, v11, s18
	v_mul_lo_u32 v17, v10, s6
	;; [unrolled: 1-line block ×3, first 2 shown]
	v_sub_u32_e32 v19, v8, v19
	v_add_u32_e32 v8, v11, v18
	v_lshrrev_b32_e32 v8, s23, v8
	v_mul_lo_u32 v18, v8, s21
	v_mul_lo_u32 v20, v19, s8
	;; [unrolled: 1-line block ×3, first 2 shown]
	v_add3_u32 v7, v14, v7, v17
	v_sub_u32_e32 v11, v11, v18
	v_mul_lo_u32 v18, v11, s10
	v_mul_lo_u32 v11, v11, s11
	v_add3_u32 v10, v16, v13, v10
	v_add3_u32 v7, v20, v7, v18
	;; [unrolled: 1-line block ×3, first 2 shown]
	s_cbranch_scc1 .LBB37_298
; %bb.299:
	s_and_b32 s6, s27, 3
	s_cmp_eq_u32 s6, 0
	s_cbranch_scc0 .LBB37_303
	s_branch .LBB37_305
.LBB37_300:
                                        ; implicit-def: $vgpr7
                                        ; implicit-def: $vgpr13
	s_branch .LBB37_306
.LBB37_301:
	v_mov_b32_e32 v7, 0
	v_mov_b32_e32 v13, 0
	s_branch .LBB37_305
.LBB37_302:
	v_mov_b32_e32 v7, 0
	v_mov_b32_e32 v13, 0
	v_mov_b32_e32 v8, v4
	s_and_b32 s6, s27, 3
	s_cmp_eq_u32 s6, 0
	s_cbranch_scc1 .LBB37_305
.LBB37_303:
	s_lshl_b32 s2, s26, 3
	s_add_u32 s2, s34, s2
	s_addc_u32 s3, s35, 0
	s_add_u32 s2, s2, 0xc4
	s_addc_u32 s3, s3, 0
	s_mul_i32 s4, s26, 12
	s_add_u32 s4, s34, s4
	s_addc_u32 s5, s35, 0
.LBB37_304:                             ; =>This Inner Loop Header: Depth=1
	s_load_dwordx2 s[8:9], s[4:5], 0x4
	s_load_dword s7, s[4:5], 0xc
	s_load_dwordx2 s[10:11], s[2:3], 0x0
	s_add_u32 s4, s4, 12
	s_addc_u32 s5, s5, 0
	s_waitcnt lgkmcnt(0)
	v_mul_hi_u32 v10, s9, v8
	s_add_u32 s2, s2, 8
	s_addc_u32 s3, s3, 0
	s_add_i32 s6, s6, -1
	v_add_u32_e32 v10, v8, v10
	v_lshrrev_b32_e32 v10, s7, v10
	v_mul_lo_u32 v11, v10, s8
	s_cmp_lg_u32 s6, 0
	v_sub_u32_e32 v11, v8, v11
	v_mad_u64_u32 v[7:8], s[8:9], v11, s10, v[7:8]
	v_mad_u64_u32 v[13:14], s[8:9], v11, s11, v[13:14]
	v_mov_b32_e32 v8, v10
	s_cbranch_scc1 .LBB37_304
.LBB37_305:
	s_cbranch_execnz .LBB37_308
.LBB37_306:
	s_load_dwordx4 s[4:7], s[34:35], 0x4
	s_load_dwordx2 s[2:3], s[34:35], 0xc4
	s_cmp_lt_u32 s33, 2
	s_waitcnt lgkmcnt(0)
	v_mul_hi_u32 v7, s5, v4
	v_add_u32_e32 v7, v4, v7
	v_lshrrev_b32_e32 v8, s6, v7
	v_mul_lo_u32 v7, v8, s4
	v_sub_u32_e32 v4, v4, v7
	v_mul_lo_u32 v7, v4, s2
	v_mul_lo_u32 v13, v4, s3
	s_cbranch_scc1 .LBB37_308
; %bb.307:
	s_load_dwordx4 s[4:7], s[34:35], 0x10
	s_load_dwordx2 s[2:3], s[34:35], 0xcc
	s_waitcnt lgkmcnt(0)
	v_mul_hi_u32 v4, s5, v8
	v_add_u32_e32 v4, v8, v4
	v_lshrrev_b32_e32 v4, s6, v4
	v_mul_lo_u32 v4, v4, s4
	v_sub_u32_e32 v4, v8, v4
	v_mad_u64_u32 v[7:8], s[4:5], v4, s2, v[7:8]
	v_mad_u64_u32 v[13:14], s[2:3], v4, s3, v[13:14]
.LBB37_308:
	s_and_b64 vcc, exec, s[0:1]
	v_add_u32_e32 v4, 0x280, v15
	s_cbranch_vccnz .LBB37_314
; %bb.309:
	s_cmp_lg_u32 s33, 0
	s_waitcnt lgkmcnt(0)
	s_mov_b32 s26, 0
	s_cbranch_scc0 .LBB37_315
; %bb.310:
	s_min_u32 s27, s56, 15
	s_add_i32 s27, s27, 1
	s_cmp_eq_u32 s56, 2
	s_cbranch_scc1 .LBB37_316
; %bb.311:
	s_and_b32 s26, s27, 28
	s_add_u32 s2, s34, 0xc4
	s_addc_u32 s3, s35, 0
	v_mov_b32_e32 v16, 0
	s_mov_b32 s28, 0
	s_mov_b64 s[24:25], s[34:35]
	v_mov_b32_e32 v10, 0
	v_mov_b32_e32 v8, v4
.LBB37_312:                             ; =>This Inner Loop Header: Depth=1
	s_load_dwordx8 s[12:19], s[24:25], 0x4
	s_load_dwordx4 s[20:23], s[24:25], 0x24
	s_load_dwordx8 s[4:11], s[2:3], 0x0
	s_add_u32 s24, s24, 48
	s_addc_u32 s25, s25, 0
	s_waitcnt lgkmcnt(0)
	v_mul_hi_u32 v11, s13, v8
	s_add_i32 s28, s28, 4
	s_add_u32 s2, s2, 32
	s_addc_u32 s3, s3, 0
	v_add_u32_e32 v11, v8, v11
	v_lshrrev_b32_e32 v11, s14, v11
	v_mul_lo_u32 v14, v11, s12
	v_mul_hi_u32 v17, s16, v11
	s_cmp_lg_u32 s26, s28
	v_sub_u32_e32 v8, v8, v14
	v_add_u32_e32 v14, v11, v17
	v_mul_lo_u32 v17, v8, s4
	v_mul_lo_u32 v18, v8, s5
	v_lshrrev_b32_e32 v8, s17, v14
	v_mul_lo_u32 v14, v8, s15
	v_mul_hi_u32 v19, s19, v8
	v_sub_u32_e32 v11, v11, v14
	v_add_u32_e32 v14, v8, v19
	v_lshrrev_b32_e32 v14, s20, v14
	v_mul_hi_u32 v20, s22, v14
	v_mul_lo_u32 v21, v14, s18
	v_mul_lo_u32 v19, v11, s6
	;; [unrolled: 1-line block ×3, first 2 shown]
	v_sub_u32_e32 v21, v8, v21
	v_add_u32_e32 v8, v14, v20
	v_lshrrev_b32_e32 v8, s23, v8
	v_mul_lo_u32 v20, v8, s21
	v_mul_lo_u32 v23, v21, s8
	;; [unrolled: 1-line block ×3, first 2 shown]
	v_add3_u32 v10, v17, v10, v19
	v_sub_u32_e32 v14, v14, v20
	v_mul_lo_u32 v20, v14, s10
	v_mul_lo_u32 v14, v14, s11
	v_add3_u32 v11, v18, v16, v11
	v_add3_u32 v10, v23, v10, v20
	v_add3_u32 v16, v21, v11, v14
	s_cbranch_scc1 .LBB37_312
; %bb.313:
	s_and_b32 s6, s27, 3
	s_cmp_eq_u32 s6, 0
	s_cbranch_scc0 .LBB37_317
	s_branch .LBB37_319
.LBB37_314:
                                        ; implicit-def: $vgpr10
                                        ; implicit-def: $vgpr16
	s_branch .LBB37_320
.LBB37_315:
	v_mov_b32_e32 v10, 0
	v_mov_b32_e32 v16, 0
	s_branch .LBB37_319
.LBB37_316:
	v_mov_b32_e32 v10, 0
	v_mov_b32_e32 v16, 0
	;; [unrolled: 1-line block ×3, first 2 shown]
	s_and_b32 s6, s27, 3
	s_cmp_eq_u32 s6, 0
	s_cbranch_scc1 .LBB37_319
.LBB37_317:
	s_lshl_b32 s2, s26, 3
	s_add_u32 s2, s34, s2
	s_addc_u32 s3, s35, 0
	s_add_u32 s2, s2, 0xc4
	s_addc_u32 s3, s3, 0
	s_mul_i32 s4, s26, 12
	s_add_u32 s4, s34, s4
	s_addc_u32 s5, s35, 0
.LBB37_318:                             ; =>This Inner Loop Header: Depth=1
	s_load_dwordx2 s[8:9], s[4:5], 0x4
	s_load_dword s7, s[4:5], 0xc
	s_load_dwordx2 s[10:11], s[2:3], 0x0
	s_add_u32 s4, s4, 12
	s_addc_u32 s5, s5, 0
	s_waitcnt lgkmcnt(0)
	v_mul_hi_u32 v11, s9, v8
	s_add_u32 s2, s2, 8
	s_addc_u32 s3, s3, 0
	s_add_i32 s6, s6, -1
	v_add_u32_e32 v11, v8, v11
	v_lshrrev_b32_e32 v14, s7, v11
	v_mul_lo_u32 v11, v14, s8
	s_cmp_lg_u32 s6, 0
	v_sub_u32_e32 v8, v8, v11
	v_mad_u64_u32 v[10:11], s[8:9], v8, s10, v[10:11]
	v_mad_u64_u32 v[16:17], s[8:9], v8, s11, v[16:17]
	v_mov_b32_e32 v8, v14
	s_cbranch_scc1 .LBB37_318
.LBB37_319:
	s_cbranch_execnz .LBB37_322
.LBB37_320:
	s_load_dwordx4 s[4:7], s[34:35], 0x4
	s_load_dwordx2 s[2:3], s[34:35], 0xc4
	s_cmp_lt_u32 s33, 2
	s_waitcnt lgkmcnt(0)
	v_mul_hi_u32 v8, s5, v4
	v_add_u32_e32 v8, v4, v8
	v_lshrrev_b32_e32 v8, s6, v8
	v_mul_lo_u32 v10, v8, s4
	v_sub_u32_e32 v4, v4, v10
	v_mul_lo_u32 v10, v4, s2
	v_mul_lo_u32 v16, v4, s3
	s_cbranch_scc1 .LBB37_322
; %bb.321:
	s_load_dwordx4 s[4:7], s[34:35], 0x10
	s_load_dwordx2 s[2:3], s[34:35], 0xcc
	s_waitcnt lgkmcnt(0)
	v_mul_hi_u32 v4, s5, v8
	v_add_u32_e32 v4, v8, v4
	v_lshrrev_b32_e32 v4, s6, v4
	v_mul_lo_u32 v4, v4, s4
	v_sub_u32_e32 v4, v8, v4
	v_mad_u64_u32 v[10:11], s[4:5], v4, s2, v[10:11]
	v_mad_u64_u32 v[16:17], s[2:3], v4, s3, v[16:17]
.LBB37_322:
	s_and_b64 vcc, exec, s[0:1]
	v_add_u32_e32 v4, 0x300, v15
	s_cbranch_vccnz .LBB37_328
; %bb.323:
	s_cmp_lg_u32 s33, 0
	s_waitcnt lgkmcnt(0)
	s_mov_b32 s26, 0
	s_cbranch_scc0 .LBB37_329
; %bb.324:
	s_min_u32 s27, s56, 15
	s_add_i32 s27, s27, 1
	s_cmp_eq_u32 s56, 2
	s_cbranch_scc1 .LBB37_330
; %bb.325:
	s_and_b32 s26, s27, 28
	s_add_u32 s2, s34, 0xc4
	s_addc_u32 s3, s35, 0
	v_mov_b32_e32 v17, 0
	s_mov_b32 s28, 0
	s_mov_b64 s[24:25], s[34:35]
	v_mov_b32_e32 v14, 0
	v_mov_b32_e32 v8, v4
.LBB37_326:                             ; =>This Inner Loop Header: Depth=1
	s_load_dwordx8 s[12:19], s[24:25], 0x4
	s_load_dwordx4 s[20:23], s[24:25], 0x24
	s_load_dwordx8 s[4:11], s[2:3], 0x0
	s_add_u32 s24, s24, 48
	s_addc_u32 s25, s25, 0
	s_waitcnt lgkmcnt(0)
	v_mul_hi_u32 v11, s13, v8
	s_add_i32 s28, s28, 4
	s_add_u32 s2, s2, 32
	s_addc_u32 s3, s3, 0
	v_add_u32_e32 v11, v8, v11
	v_lshrrev_b32_e32 v11, s14, v11
	v_mul_lo_u32 v15, v11, s12
	v_mul_hi_u32 v18, s16, v11
	s_cmp_lg_u32 s26, s28
	v_sub_u32_e32 v8, v8, v15
	v_add_u32_e32 v15, v11, v18
	v_mul_lo_u32 v18, v8, s4
	v_mul_lo_u32 v19, v8, s5
	v_lshrrev_b32_e32 v8, s17, v15
	v_mul_lo_u32 v15, v8, s15
	v_mul_hi_u32 v20, s19, v8
	v_sub_u32_e32 v11, v11, v15
	v_add_u32_e32 v15, v8, v20
	v_lshrrev_b32_e32 v15, s20, v15
	v_mul_hi_u32 v21, s22, v15
	v_mul_lo_u32 v23, v15, s18
	v_mul_lo_u32 v20, v11, s6
	;; [unrolled: 1-line block ×3, first 2 shown]
	v_sub_u32_e32 v23, v8, v23
	v_add_u32_e32 v8, v15, v21
	v_lshrrev_b32_e32 v8, s23, v8
	v_mul_lo_u32 v21, v8, s21
	v_mul_lo_u32 v24, v23, s8
	;; [unrolled: 1-line block ×3, first 2 shown]
	v_add3_u32 v14, v18, v14, v20
	v_sub_u32_e32 v15, v15, v21
	v_mul_lo_u32 v21, v15, s10
	v_mul_lo_u32 v15, v15, s11
	v_add3_u32 v11, v19, v17, v11
	v_add3_u32 v14, v24, v14, v21
	;; [unrolled: 1-line block ×3, first 2 shown]
	s_cbranch_scc1 .LBB37_326
; %bb.327:
	s_and_b32 s6, s27, 3
	s_cmp_eq_u32 s6, 0
	s_cbranch_scc0 .LBB37_331
	s_branch .LBB37_333
.LBB37_328:
                                        ; implicit-def: $vgpr14
                                        ; implicit-def: $vgpr17
	s_branch .LBB37_334
.LBB37_329:
	v_mov_b32_e32 v14, 0
	v_mov_b32_e32 v17, 0
	s_branch .LBB37_333
.LBB37_330:
	v_mov_b32_e32 v14, 0
	v_mov_b32_e32 v17, 0
	;; [unrolled: 1-line block ×3, first 2 shown]
	s_and_b32 s6, s27, 3
	s_cmp_eq_u32 s6, 0
	s_cbranch_scc1 .LBB37_333
.LBB37_331:
	s_lshl_b32 s2, s26, 3
	s_add_u32 s2, s34, s2
	s_addc_u32 s3, s35, 0
	s_add_u32 s2, s2, 0xc4
	s_addc_u32 s3, s3, 0
	s_mul_i32 s4, s26, 12
	s_add_u32 s4, s34, s4
	s_addc_u32 s5, s35, 0
.LBB37_332:                             ; =>This Inner Loop Header: Depth=1
	s_load_dwordx2 s[8:9], s[4:5], 0x4
	s_load_dword s7, s[4:5], 0xc
	s_load_dwordx2 s[10:11], s[2:3], 0x0
	s_add_u32 s4, s4, 12
	s_addc_u32 s5, s5, 0
	s_waitcnt lgkmcnt(0)
	v_mul_hi_u32 v11, s9, v8
	s_add_u32 s2, s2, 8
	s_addc_u32 s3, s3, 0
	s_add_i32 s6, s6, -1
	v_add_u32_e32 v11, v8, v11
	v_lshrrev_b32_e32 v11, s7, v11
	v_mul_lo_u32 v15, v11, s8
	s_cmp_lg_u32 s6, 0
	v_sub_u32_e32 v8, v8, v15
	v_mad_u64_u32 v[14:15], s[8:9], v8, s10, v[14:15]
	v_mad_u64_u32 v[17:18], s[8:9], v8, s11, v[17:18]
	v_mov_b32_e32 v8, v11
	s_cbranch_scc1 .LBB37_332
.LBB37_333:
	s_cbranch_execnz .LBB37_336
.LBB37_334:
	s_load_dwordx4 s[4:7], s[34:35], 0x4
	s_load_dwordx2 s[2:3], s[34:35], 0xc4
	s_cmp_lt_u32 s33, 2
	s_waitcnt lgkmcnt(0)
	v_mul_hi_u32 v8, s5, v4
	v_add_u32_e32 v8, v4, v8
	v_lshrrev_b32_e32 v8, s6, v8
	v_mul_lo_u32 v11, v8, s4
	v_sub_u32_e32 v4, v4, v11
	v_mul_lo_u32 v14, v4, s2
	v_mul_lo_u32 v17, v4, s3
	s_cbranch_scc1 .LBB37_336
; %bb.335:
	s_load_dwordx4 s[4:7], s[34:35], 0x10
	s_load_dwordx2 s[2:3], s[34:35], 0xcc
	s_waitcnt lgkmcnt(0)
	v_mul_hi_u32 v4, s5, v8
	v_add_u32_e32 v4, v8, v4
	v_lshrrev_b32_e32 v4, s6, v4
	v_mul_lo_u32 v4, v4, s4
	v_sub_u32_e32 v4, v8, v4
	v_mad_u64_u32 v[14:15], s[4:5], v4, s2, v[14:15]
	v_mad_u64_u32 v[17:18], s[2:3], v4, s3, v[17:18]
.LBB37_336:
	s_and_b64 vcc, exec, s[0:1]
	s_cbranch_vccnz .LBB37_342
; %bb.337:
	s_cmp_lg_u32 s33, 0
	s_waitcnt lgkmcnt(0)
	s_mov_b32 s24, 0
	s_cbranch_scc0 .LBB37_343
; %bb.338:
	s_min_u32 s25, s56, 15
	s_add_i32 s25, s25, 1
	s_cmp_eq_u32 s56, 2
	s_cbranch_scc1 .LBB37_344
; %bb.339:
	s_and_b32 s24, s25, 28
	s_add_u32 s20, s34, 0xc4
	s_addc_u32 s21, s35, 0
	v_mov_b32_e32 v20, 0
	s_mov_b32 s26, 0
	s_mov_b64 s[22:23], s[34:35]
	v_mov_b32_e32 v18, 0
	v_mov_b32_e32 v4, v22
.LBB37_340:                             ; =>This Inner Loop Header: Depth=1
	s_load_dwordx8 s[8:15], s[22:23], 0x4
	s_load_dwordx4 s[16:19], s[22:23], 0x24
	s_load_dwordx8 s[0:7], s[20:21], 0x0
	s_add_u32 s22, s22, 48
	s_addc_u32 s23, s23, 0
	s_waitcnt lgkmcnt(0)
	v_mul_hi_u32 v8, s9, v4
	s_add_i32 s26, s26, 4
	s_add_u32 s20, s20, 32
	s_addc_u32 s21, s21, 0
	v_add_u32_e32 v8, v4, v8
	v_lshrrev_b32_e32 v8, s10, v8
	v_mul_lo_u32 v11, v8, s8
	v_mul_hi_u32 v15, s12, v8
	s_cmp_lg_u32 s24, s26
	v_sub_u32_e32 v4, v4, v11
	v_add_u32_e32 v11, v8, v15
	v_mul_lo_u32 v15, v4, s0
	v_mul_lo_u32 v19, v4, s1
	v_lshrrev_b32_e32 v4, s13, v11
	v_mul_lo_u32 v11, v4, s11
	v_mul_hi_u32 v21, s15, v4
	v_sub_u32_e32 v8, v8, v11
	v_add_u32_e32 v11, v4, v21
	v_lshrrev_b32_e32 v11, s16, v11
	v_mul_hi_u32 v23, s18, v11
	v_mul_lo_u32 v24, v11, s14
	v_mul_lo_u32 v21, v8, s2
	;; [unrolled: 1-line block ×3, first 2 shown]
	v_sub_u32_e32 v24, v4, v24
	v_add_u32_e32 v4, v11, v23
	v_lshrrev_b32_e32 v4, s19, v4
	v_mul_lo_u32 v23, v4, s17
	v_mul_lo_u32 v25, v24, s4
	;; [unrolled: 1-line block ×3, first 2 shown]
	v_add3_u32 v15, v15, v18, v21
	v_sub_u32_e32 v11, v11, v23
	v_mul_lo_u32 v23, v11, s6
	v_mul_lo_u32 v11, v11, s7
	v_add3_u32 v8, v19, v20, v8
	v_add3_u32 v18, v25, v15, v23
	;; [unrolled: 1-line block ×3, first 2 shown]
	s_cbranch_scc1 .LBB37_340
; %bb.341:
	s_and_b32 s4, s25, 3
	s_cmp_eq_u32 s4, 0
	s_cbranch_scc0 .LBB37_345
	s_branch .LBB37_347
.LBB37_342:
                                        ; implicit-def: $vgpr18
                                        ; implicit-def: $vgpr20
	s_branch .LBB37_348
.LBB37_343:
	v_mov_b32_e32 v18, 0
	v_mov_b32_e32 v20, 0
	s_branch .LBB37_347
.LBB37_344:
	v_mov_b32_e32 v18, 0
	v_mov_b32_e32 v20, 0
	;; [unrolled: 1-line block ×3, first 2 shown]
	s_and_b32 s4, s25, 3
	s_cmp_eq_u32 s4, 0
	s_cbranch_scc1 .LBB37_347
.LBB37_345:
	s_lshl_b32 s0, s24, 3
	s_add_u32 s0, s34, s0
	s_addc_u32 s1, s35, 0
	s_add_u32 s0, s0, 0xc4
	s_addc_u32 s1, s1, 0
	s_mul_i32 s2, s24, 12
	s_add_u32 s2, s34, s2
	s_addc_u32 s3, s35, 0
.LBB37_346:                             ; =>This Inner Loop Header: Depth=1
	s_load_dwordx2 s[6:7], s[2:3], 0x4
	s_load_dword s5, s[2:3], 0xc
	s_load_dwordx2 s[8:9], s[0:1], 0x0
	s_add_u32 s2, s2, 12
	s_addc_u32 s3, s3, 0
	s_waitcnt lgkmcnt(0)
	v_mul_hi_u32 v8, s7, v4
	s_add_u32 s0, s0, 8
	s_addc_u32 s1, s1, 0
	s_add_i32 s4, s4, -1
	v_add_u32_e32 v8, v4, v8
	v_lshrrev_b32_e32 v8, s5, v8
	v_mul_lo_u32 v11, v8, s6
	s_cmp_lg_u32 s4, 0
	v_sub_u32_e32 v4, v4, v11
	v_mad_u64_u32 v[18:19], s[6:7], v4, s8, v[18:19]
	v_mad_u64_u32 v[20:21], s[6:7], v4, s9, v[20:21]
	v_mov_b32_e32 v4, v8
	s_cbranch_scc1 .LBB37_346
.LBB37_347:
	s_cbranch_execnz .LBB37_350
.LBB37_348:
	s_load_dwordx4 s[0:3], s[34:35], 0x4
	s_load_dwordx2 s[4:5], s[34:35], 0xc4
	s_cmp_lt_u32 s33, 2
	s_waitcnt lgkmcnt(0)
	v_mul_hi_u32 v4, s1, v22
	v_add_u32_e32 v4, v22, v4
	v_lshrrev_b32_e32 v4, s2, v4
	v_mul_lo_u32 v8, v4, s0
	v_sub_u32_e32 v8, v22, v8
	v_mul_lo_u32 v18, v8, s4
	v_mul_lo_u32 v20, v8, s5
	s_cbranch_scc1 .LBB37_350
; %bb.349:
	s_load_dwordx4 s[0:3], s[34:35], 0x10
	s_load_dwordx2 s[4:5], s[34:35], 0xcc
	s_waitcnt lgkmcnt(0)
	v_mul_hi_u32 v8, s1, v4
	v_add_u32_e32 v8, v4, v8
	v_lshrrev_b32_e32 v8, s2, v8
	v_mul_lo_u32 v8, v8, s0
	v_sub_u32_e32 v4, v4, v8
	v_mad_u64_u32 v[18:19], s[0:1], v4, s4, v[18:19]
	v_mad_u64_u32 v[20:21], s[0:1], v4, s5, v[20:21]
.LBB37_350:
	s_load_dwordx4 s[0:3], s[34:35], 0x148
	s_load_dwordx2 s[4:5], s[34:35], 0x158
	s_mov_b64 s[8:9], 0
	s_waitcnt lgkmcnt(0)
	global_load_dword v4, v5, s[2:3]
	s_cmp_lt_i32 s4, 1
	s_cbranch_scc1 .LBB37_354
; %bb.351:
	s_cmp_gt_i32 s4, 1
	s_cbranch_scc0 .LBB37_355
; %bb.352:
	s_cmp_eq_u32 s4, 2
	s_cbranch_scc0 .LBB37_356
; %bb.353:
	s_waitcnt vmcnt(0)
	v_cmp_ge_i32_e64 s[6:7], s5, v4
	s_mov_b64 s[10:11], 0
	s_branch .LBB37_357
.LBB37_354:
                                        ; implicit-def: $sgpr6_sgpr7
	s_mov_b64 s[10:11], 0
	s_cbranch_execnz .LBB37_360
	s_branch .LBB37_361
.LBB37_355:
	s_mov_b64 s[10:11], 0
                                        ; implicit-def: $sgpr6_sgpr7
	s_cbranch_execnz .LBB37_358
	s_branch .LBB37_359
.LBB37_356:
	s_mov_b64 s[10:11], -1
                                        ; implicit-def: $sgpr6_sgpr7
.LBB37_357:
	s_branch .LBB37_359
.LBB37_358:
	s_waitcnt vmcnt(0)
	v_cmp_lt_i32_e32 vcc, s5, v4
	s_andn2_b64 s[6:7], s[6:7], exec
	s_and_b64 s[12:13], vcc, exec
	s_or_b64 s[6:7], s[6:7], s[12:13]
.LBB37_359:
	s_branch .LBB37_361
.LBB37_360:
	s_cmp_lg_u32 s4, 0
	s_mov_b64 s[8:9], -1
	s_cselect_b64 s[10:11], -1, 0
.LBB37_361:
	s_andn2_b64 vcc, exec, s[10:11]
	s_cbranch_vccz .LBB37_367
; %bb.362:
	s_andn2_b64 vcc, exec, s[8:9]
	s_cbranch_vccz .LBB37_368
.LBB37_363:
	global_load_dword v4, v6, s[2:3]
	s_cmp_lt_i32 s4, 1
	s_mov_b64 s[10:11], 0
	s_cbranch_scc1 .LBB37_369
.LBB37_364:
	s_cmp_gt_i32 s4, 1
	s_cbranch_scc0 .LBB37_370
; %bb.365:
	s_cmp_eq_u32 s4, 2
	s_cbranch_scc0 .LBB37_371
; %bb.366:
	s_waitcnt vmcnt(0)
	v_cmp_ge_i32_e64 s[8:9], s5, v4
	s_mov_b64 s[12:13], 0
	s_branch .LBB37_372
.LBB37_367:
	s_waitcnt vmcnt(0)
	v_cmp_gt_i32_e32 vcc, s5, v4
	s_andn2_b64 s[6:7], s[6:7], exec
	s_and_b64 s[10:11], vcc, exec
	s_or_b64 s[6:7], s[6:7], s[10:11]
	s_cbranch_execnz .LBB37_363
.LBB37_368:
	s_waitcnt vmcnt(0)
	v_cmp_le_i32_e32 vcc, s5, v4
	s_andn2_b64 s[6:7], s[6:7], exec
	s_and_b64 s[8:9], vcc, exec
	s_or_b64 s[6:7], s[6:7], s[8:9]
	global_load_dword v4, v6, s[2:3]
	s_cmp_lt_i32 s4, 1
	s_mov_b64 s[10:11], 0
	s_cbranch_scc0 .LBB37_364
.LBB37_369:
                                        ; implicit-def: $sgpr8_sgpr9
	s_mov_b64 s[12:13], 0
	s_cbranch_execnz .LBB37_375
	s_branch .LBB37_376
.LBB37_370:
	s_mov_b64 s[12:13], 0
                                        ; implicit-def: $sgpr8_sgpr9
	s_cbranch_execnz .LBB37_373
	s_branch .LBB37_374
.LBB37_371:
	s_mov_b64 s[12:13], -1
                                        ; implicit-def: $sgpr8_sgpr9
.LBB37_372:
	s_branch .LBB37_374
.LBB37_373:
	s_waitcnt vmcnt(0)
	v_cmp_lt_i32_e32 vcc, s5, v4
	s_andn2_b64 s[8:9], s[8:9], exec
	s_and_b64 s[14:15], vcc, exec
	s_or_b64 s[8:9], s[8:9], s[14:15]
.LBB37_374:
	s_branch .LBB37_376
.LBB37_375:
	s_cmp_lg_u32 s4, 0
	s_mov_b64 s[10:11], -1
	s_cselect_b64 s[12:13], -1, 0
.LBB37_376:
	s_andn2_b64 vcc, exec, s[12:13]
	s_cbranch_vccz .LBB37_382
; %bb.377:
	s_andn2_b64 vcc, exec, s[10:11]
	s_cbranch_vccz .LBB37_383
.LBB37_378:
	global_load_dword v4, v9, s[2:3]
	s_cmp_lt_i32 s4, 1
	s_mov_b64 s[12:13], 0
	s_cbranch_scc1 .LBB37_384
.LBB37_379:
	s_cmp_gt_i32 s4, 1
	s_cbranch_scc0 .LBB37_385
; %bb.380:
	s_cmp_eq_u32 s4, 2
	s_cbranch_scc0 .LBB37_386
; %bb.381:
	s_waitcnt vmcnt(0)
	v_cmp_ge_i32_e64 s[10:11], s5, v4
	s_mov_b64 s[14:15], 0
	s_branch .LBB37_387
.LBB37_382:
	s_waitcnt vmcnt(0)
	v_cmp_gt_i32_e32 vcc, s5, v4
	s_andn2_b64 s[8:9], s[8:9], exec
	s_and_b64 s[12:13], vcc, exec
	s_or_b64 s[8:9], s[8:9], s[12:13]
	s_cbranch_execnz .LBB37_378
.LBB37_383:
	s_waitcnt vmcnt(0)
	v_cmp_le_i32_e32 vcc, s5, v4
	s_andn2_b64 s[8:9], s[8:9], exec
	s_and_b64 s[10:11], vcc, exec
	s_or_b64 s[8:9], s[8:9], s[10:11]
	global_load_dword v4, v9, s[2:3]
	s_cmp_lt_i32 s4, 1
	s_mov_b64 s[12:13], 0
	s_cbranch_scc0 .LBB37_379
.LBB37_384:
                                        ; implicit-def: $sgpr10_sgpr11
	s_mov_b64 s[14:15], 0
	s_cbranch_execnz .LBB37_390
	s_branch .LBB37_391
.LBB37_385:
	s_mov_b64 s[14:15], 0
                                        ; implicit-def: $sgpr10_sgpr11
	s_cbranch_execnz .LBB37_388
	s_branch .LBB37_389
.LBB37_386:
	s_mov_b64 s[14:15], -1
                                        ; implicit-def: $sgpr10_sgpr11
.LBB37_387:
	s_branch .LBB37_389
.LBB37_388:
	s_waitcnt vmcnt(0)
	v_cmp_lt_i32_e32 vcc, s5, v4
	s_andn2_b64 s[10:11], s[10:11], exec
	s_and_b64 s[16:17], vcc, exec
	s_or_b64 s[10:11], s[10:11], s[16:17]
.LBB37_389:
	s_branch .LBB37_391
.LBB37_390:
	s_cmp_lg_u32 s4, 0
	s_mov_b64 s[12:13], -1
	s_cselect_b64 s[14:15], -1, 0
.LBB37_391:
	s_andn2_b64 vcc, exec, s[14:15]
	s_cbranch_vccz .LBB37_397
; %bb.392:
	s_andn2_b64 vcc, exec, s[12:13]
	s_cbranch_vccz .LBB37_398
.LBB37_393:
	global_load_dword v4, v12, s[2:3]
	s_cmp_lt_i32 s4, 1
	s_mov_b64 s[14:15], 0
	s_cbranch_scc1 .LBB37_399
.LBB37_394:
	s_cmp_gt_i32 s4, 1
	s_cbranch_scc0 .LBB37_400
; %bb.395:
	s_cmp_eq_u32 s4, 2
	s_cbranch_scc0 .LBB37_401
; %bb.396:
	s_waitcnt vmcnt(0)
	v_cmp_ge_i32_e64 s[12:13], s5, v4
	s_mov_b64 s[16:17], 0
	s_branch .LBB37_402
.LBB37_397:
	s_waitcnt vmcnt(0)
	v_cmp_gt_i32_e32 vcc, s5, v4
	s_andn2_b64 s[10:11], s[10:11], exec
	s_and_b64 s[14:15], vcc, exec
	s_or_b64 s[10:11], s[10:11], s[14:15]
	s_cbranch_execnz .LBB37_393
.LBB37_398:
	s_waitcnt vmcnt(0)
	v_cmp_le_i32_e32 vcc, s5, v4
	s_andn2_b64 s[10:11], s[10:11], exec
	s_and_b64 s[12:13], vcc, exec
	s_or_b64 s[10:11], s[10:11], s[12:13]
	global_load_dword v4, v12, s[2:3]
	s_cmp_lt_i32 s4, 1
	s_mov_b64 s[14:15], 0
	s_cbranch_scc0 .LBB37_394
.LBB37_399:
                                        ; implicit-def: $sgpr12_sgpr13
	s_mov_b64 s[16:17], 0
	s_cbranch_execnz .LBB37_405
	s_branch .LBB37_406
.LBB37_400:
	s_mov_b64 s[16:17], 0
                                        ; implicit-def: $sgpr12_sgpr13
	s_cbranch_execnz .LBB37_403
	s_branch .LBB37_404
.LBB37_401:
	s_mov_b64 s[16:17], -1
                                        ; implicit-def: $sgpr12_sgpr13
.LBB37_402:
	s_branch .LBB37_404
.LBB37_403:
	s_waitcnt vmcnt(0)
	v_cmp_lt_i32_e32 vcc, s5, v4
	s_andn2_b64 s[12:13], s[12:13], exec
	s_and_b64 s[18:19], vcc, exec
	s_or_b64 s[12:13], s[12:13], s[18:19]
.LBB37_404:
	s_branch .LBB37_406
.LBB37_405:
	s_cmp_lg_u32 s4, 0
	s_mov_b64 s[14:15], -1
	s_cselect_b64 s[16:17], -1, 0
.LBB37_406:
	s_andn2_b64 vcc, exec, s[16:17]
	s_cbranch_vccz .LBB37_412
; %bb.407:
	s_andn2_b64 vcc, exec, s[14:15]
	s_cbranch_vccz .LBB37_413
.LBB37_408:
	global_load_dword v4, v13, s[2:3]
	s_cmp_lt_i32 s4, 1
	s_mov_b64 s[16:17], 0
	s_cbranch_scc1 .LBB37_414
.LBB37_409:
	s_cmp_gt_i32 s4, 1
	s_cbranch_scc0 .LBB37_415
; %bb.410:
	s_cmp_eq_u32 s4, 2
	s_cbranch_scc0 .LBB37_416
; %bb.411:
	s_waitcnt vmcnt(0)
	v_cmp_ge_i32_e64 s[14:15], s5, v4
	s_mov_b64 s[18:19], 0
	s_branch .LBB37_417
.LBB37_412:
	s_waitcnt vmcnt(0)
	v_cmp_gt_i32_e32 vcc, s5, v4
	s_andn2_b64 s[12:13], s[12:13], exec
	s_and_b64 s[16:17], vcc, exec
	s_or_b64 s[12:13], s[12:13], s[16:17]
	s_cbranch_execnz .LBB37_408
.LBB37_413:
	s_waitcnt vmcnt(0)
	v_cmp_le_i32_e32 vcc, s5, v4
	s_andn2_b64 s[12:13], s[12:13], exec
	s_and_b64 s[14:15], vcc, exec
	s_or_b64 s[12:13], s[12:13], s[14:15]
	global_load_dword v4, v13, s[2:3]
	s_cmp_lt_i32 s4, 1
	s_mov_b64 s[16:17], 0
	s_cbranch_scc0 .LBB37_409
.LBB37_414:
                                        ; implicit-def: $sgpr14_sgpr15
	s_mov_b64 s[18:19], 0
	s_cbranch_execnz .LBB37_420
	s_branch .LBB37_421
.LBB37_415:
	s_mov_b64 s[18:19], 0
                                        ; implicit-def: $sgpr14_sgpr15
	s_cbranch_execnz .LBB37_418
	s_branch .LBB37_419
.LBB37_416:
	s_mov_b64 s[18:19], -1
                                        ; implicit-def: $sgpr14_sgpr15
.LBB37_417:
	s_branch .LBB37_419
.LBB37_418:
	s_waitcnt vmcnt(0)
	v_cmp_lt_i32_e32 vcc, s5, v4
	s_andn2_b64 s[14:15], s[14:15], exec
	s_and_b64 s[20:21], vcc, exec
	s_or_b64 s[14:15], s[14:15], s[20:21]
.LBB37_419:
	s_branch .LBB37_421
.LBB37_420:
	s_cmp_lg_u32 s4, 0
	s_mov_b64 s[16:17], -1
	s_cselect_b64 s[18:19], -1, 0
.LBB37_421:
	s_andn2_b64 vcc, exec, s[18:19]
	s_cbranch_vccz .LBB37_427
; %bb.422:
	s_andn2_b64 vcc, exec, s[16:17]
	s_cbranch_vccz .LBB37_428
.LBB37_423:
	global_load_dword v4, v16, s[2:3]
	s_cmp_lt_i32 s4, 1
	s_mov_b64 s[18:19], 0
	s_cbranch_scc1 .LBB37_429
.LBB37_424:
	s_cmp_gt_i32 s4, 1
	s_cbranch_scc0 .LBB37_430
; %bb.425:
	s_cmp_eq_u32 s4, 2
	s_cbranch_scc0 .LBB37_431
; %bb.426:
	s_waitcnt vmcnt(0)
	v_cmp_ge_i32_e64 s[16:17], s5, v4
	s_mov_b64 s[20:21], 0
	s_branch .LBB37_432
.LBB37_427:
	s_waitcnt vmcnt(0)
	v_cmp_gt_i32_e32 vcc, s5, v4
	s_andn2_b64 s[14:15], s[14:15], exec
	s_and_b64 s[18:19], vcc, exec
	s_or_b64 s[14:15], s[14:15], s[18:19]
	s_cbranch_execnz .LBB37_423
.LBB37_428:
	s_waitcnt vmcnt(0)
	v_cmp_le_i32_e32 vcc, s5, v4
	s_andn2_b64 s[14:15], s[14:15], exec
	s_and_b64 s[16:17], vcc, exec
	s_or_b64 s[14:15], s[14:15], s[16:17]
	global_load_dword v4, v16, s[2:3]
	s_cmp_lt_i32 s4, 1
	s_mov_b64 s[18:19], 0
	s_cbranch_scc0 .LBB37_424
.LBB37_429:
                                        ; implicit-def: $sgpr16_sgpr17
	s_mov_b64 s[20:21], 0
	s_cbranch_execnz .LBB37_435
	s_branch .LBB37_436
.LBB37_430:
	s_mov_b64 s[20:21], 0
                                        ; implicit-def: $sgpr16_sgpr17
	s_cbranch_execnz .LBB37_433
	s_branch .LBB37_434
.LBB37_431:
	s_mov_b64 s[20:21], -1
                                        ; implicit-def: $sgpr16_sgpr17
.LBB37_432:
	s_branch .LBB37_434
.LBB37_433:
	s_waitcnt vmcnt(0)
	v_cmp_lt_i32_e32 vcc, s5, v4
	s_andn2_b64 s[16:17], s[16:17], exec
	s_and_b64 s[22:23], vcc, exec
	s_or_b64 s[16:17], s[16:17], s[22:23]
.LBB37_434:
	s_branch .LBB37_436
.LBB37_435:
	s_cmp_lg_u32 s4, 0
	s_mov_b64 s[18:19], -1
	s_cselect_b64 s[20:21], -1, 0
.LBB37_436:
	s_andn2_b64 vcc, exec, s[20:21]
	s_cbranch_vccz .LBB37_442
; %bb.437:
	s_andn2_b64 vcc, exec, s[18:19]
	s_cbranch_vccz .LBB37_443
.LBB37_438:
	global_load_dword v4, v17, s[2:3]
	s_cmp_lt_i32 s4, 1
	s_mov_b64 s[20:21], 0
	s_cbranch_scc1 .LBB37_444
.LBB37_439:
	s_cmp_gt_i32 s4, 1
	s_cbranch_scc0 .LBB37_445
; %bb.440:
	s_cmp_eq_u32 s4, 2
	s_cbranch_scc0 .LBB37_446
; %bb.441:
	s_waitcnt vmcnt(0)
	v_cmp_ge_i32_e64 s[18:19], s5, v4
	s_mov_b64 s[22:23], 0
	s_branch .LBB37_447
.LBB37_442:
	s_waitcnt vmcnt(0)
	v_cmp_gt_i32_e32 vcc, s5, v4
	s_andn2_b64 s[16:17], s[16:17], exec
	s_and_b64 s[20:21], vcc, exec
	s_or_b64 s[16:17], s[16:17], s[20:21]
	s_cbranch_execnz .LBB37_438
.LBB37_443:
	s_waitcnt vmcnt(0)
	v_cmp_le_i32_e32 vcc, s5, v4
	s_andn2_b64 s[16:17], s[16:17], exec
	s_and_b64 s[18:19], vcc, exec
	s_or_b64 s[16:17], s[16:17], s[18:19]
	global_load_dword v4, v17, s[2:3]
	s_cmp_lt_i32 s4, 1
	s_mov_b64 s[20:21], 0
	s_cbranch_scc0 .LBB37_439
.LBB37_444:
                                        ; implicit-def: $sgpr18_sgpr19
	s_mov_b64 s[22:23], 0
	s_cbranch_execnz .LBB37_450
	s_branch .LBB37_451
.LBB37_445:
	s_mov_b64 s[22:23], 0
                                        ; implicit-def: $sgpr18_sgpr19
	s_cbranch_execnz .LBB37_448
	s_branch .LBB37_449
.LBB37_446:
	s_mov_b64 s[22:23], -1
                                        ; implicit-def: $sgpr18_sgpr19
.LBB37_447:
	s_branch .LBB37_449
.LBB37_448:
	s_waitcnt vmcnt(0)
	v_cmp_lt_i32_e32 vcc, s5, v4
	s_andn2_b64 s[18:19], s[18:19], exec
	s_and_b64 s[24:25], vcc, exec
	s_or_b64 s[18:19], s[18:19], s[24:25]
.LBB37_449:
	s_branch .LBB37_451
.LBB37_450:
	s_cmp_lg_u32 s4, 0
	s_mov_b64 s[20:21], -1
	s_cselect_b64 s[22:23], -1, 0
.LBB37_451:
	s_andn2_b64 vcc, exec, s[22:23]
	s_cbranch_vccz .LBB37_457
; %bb.452:
	s_andn2_b64 vcc, exec, s[20:21]
	s_cbranch_vccz .LBB37_458
.LBB37_453:
	global_load_dword v4, v20, s[2:3]
	s_cmp_lt_i32 s4, 1
	s_mov_b64 s[20:21], 0
	s_cbranch_scc1 .LBB37_459
.LBB37_454:
	s_cmp_gt_i32 s4, 1
	s_cbranch_scc0 .LBB37_460
; %bb.455:
	s_cmp_eq_u32 s4, 2
	s_cbranch_scc0 .LBB37_461
; %bb.456:
	s_waitcnt vmcnt(0)
	v_cmp_ge_i32_e64 s[2:3], s5, v4
	s_mov_b64 s[22:23], 0
	s_branch .LBB37_462
.LBB37_457:
	s_waitcnt vmcnt(0)
	v_cmp_gt_i32_e32 vcc, s5, v4
	s_andn2_b64 s[18:19], s[18:19], exec
	s_and_b64 s[22:23], vcc, exec
	s_or_b64 s[18:19], s[18:19], s[22:23]
	s_cbranch_execnz .LBB37_453
.LBB37_458:
	s_waitcnt vmcnt(0)
	v_cmp_le_i32_e32 vcc, s5, v4
	s_andn2_b64 s[18:19], s[18:19], exec
	s_and_b64 s[20:21], vcc, exec
	s_or_b64 s[18:19], s[18:19], s[20:21]
	global_load_dword v4, v20, s[2:3]
	s_cmp_lt_i32 s4, 1
	s_mov_b64 s[20:21], 0
	s_cbranch_scc0 .LBB37_454
.LBB37_459:
                                        ; implicit-def: $sgpr2_sgpr3
	s_mov_b64 s[22:23], 0
	s_cbranch_execnz .LBB37_465
	s_branch .LBB37_466
.LBB37_460:
	s_mov_b64 s[22:23], 0
                                        ; implicit-def: $sgpr2_sgpr3
	s_cbranch_execnz .LBB37_463
	s_branch .LBB37_464
.LBB37_461:
	s_mov_b64 s[22:23], -1
                                        ; implicit-def: $sgpr2_sgpr3
.LBB37_462:
	s_branch .LBB37_464
.LBB37_463:
	s_waitcnt vmcnt(0)
	v_cmp_lt_i32_e32 vcc, s5, v4
	s_andn2_b64 s[2:3], s[2:3], exec
	s_and_b64 s[24:25], vcc, exec
	s_or_b64 s[2:3], s[2:3], s[24:25]
.LBB37_464:
	s_branch .LBB37_466
.LBB37_465:
	s_cmp_lg_u32 s4, 0
	s_mov_b64 s[20:21], -1
	s_cselect_b64 s[22:23], -1, 0
.LBB37_466:
	s_andn2_b64 vcc, exec, s[22:23]
	s_cbranch_vccz .LBB37_470
; %bb.467:
	s_andn2_b64 vcc, exec, s[20:21]
	s_cbranch_vccnz .LBB37_469
.LBB37_468:
	s_waitcnt vmcnt(0)
	v_cmp_le_i32_e32 vcc, s5, v4
	s_andn2_b64 s[2:3], s[2:3], exec
	s_and_b64 s[4:5], vcc, exec
	s_or_b64 s[2:3], s[2:3], s[4:5]
.LBB37_469:
	v_cndmask_b32_e64 v12, 0, 1, s[6:7]
	s_waitcnt vmcnt(0)
	v_cndmask_b32_e64 v4, 0, 1, s[18:19]
	v_cndmask_b32_e64 v5, 0, 1, s[16:17]
	;; [unrolled: 1-line block ×7, first 2 shown]
	global_store_byte v0, v12, s[0:1]
	global_store_byte v1, v11, s[0:1]
	;; [unrolled: 1-line block ×8, first 2 shown]
	s_endpgm
.LBB37_470:
	s_waitcnt vmcnt(0)
	v_cmp_gt_i32_e32 vcc, s5, v4
	s_andn2_b64 s[2:3], s[2:3], exec
	s_and_b64 s[22:23], vcc, exec
	s_or_b64 s[2:3], s[2:3], s[22:23]
	s_cbranch_execz .LBB37_468
	s_branch .LBB37_469
.LBB37_471:
	s_mov_b64 s[4:5], -1
                                        ; implicit-def: $sgpr2_sgpr3
	s_branch .LBB37_60
.LBB37_472:
	s_mov_b64 s[4:5], -1
                                        ; implicit-def: $sgpr2_sgpr3
	s_branch .LBB37_88
.LBB37_473:
	s_mov_b64 s[4:5], -1
                                        ; implicit-def: $sgpr2_sgpr3
	s_branch .LBB37_116
.LBB37_474:
	s_mov_b64 s[4:5], -1
                                        ; implicit-def: $sgpr2_sgpr3
	s_branch .LBB37_144
.LBB37_475:
	s_mov_b64 s[4:5], -1
                                        ; implicit-def: $sgpr2_sgpr3
	s_branch .LBB37_172
.LBB37_476:
	s_mov_b64 s[4:5], -1
                                        ; implicit-def: $sgpr2_sgpr3
	s_branch .LBB37_200
.LBB37_477:
	s_mov_b64 s[4:5], -1
                                        ; implicit-def: $sgpr2_sgpr3
	s_branch .LBB37_228
	.section	.rodata,"a",@progbits
	.p2align	6, 0x0
	.amdhsa_kernel _ZN2at6native32elementwise_kernel_manual_unrollILi128ELi8EZNS0_22gpu_kernel_impl_nocastIZNS0_21compare_scalar_kernelIiEEvRNS_18TensorIteratorBaseENS0_12_GLOBAL__N_16OpTypeET_EUliE_EEvS5_RKS8_EUlibE_EEviT1_
		.amdhsa_group_segment_fixed_size 0
		.amdhsa_private_segment_fixed_size 0
		.amdhsa_kernarg_size 360
		.amdhsa_user_sgpr_count 6
		.amdhsa_user_sgpr_private_segment_buffer 1
		.amdhsa_user_sgpr_dispatch_ptr 0
		.amdhsa_user_sgpr_queue_ptr 0
		.amdhsa_user_sgpr_kernarg_segment_ptr 1
		.amdhsa_user_sgpr_dispatch_id 0
		.amdhsa_user_sgpr_flat_scratch_init 0
		.amdhsa_user_sgpr_private_segment_size 0
		.amdhsa_uses_dynamic_stack 0
		.amdhsa_system_sgpr_private_segment_wavefront_offset 0
		.amdhsa_system_sgpr_workgroup_id_x 1
		.amdhsa_system_sgpr_workgroup_id_y 0
		.amdhsa_system_sgpr_workgroup_id_z 0
		.amdhsa_system_sgpr_workgroup_info 0
		.amdhsa_system_vgpr_workitem_id 0
		.amdhsa_next_free_vgpr 26
		.amdhsa_next_free_sgpr 62
		.amdhsa_reserve_vcc 1
		.amdhsa_reserve_flat_scratch 0
		.amdhsa_float_round_mode_32 0
		.amdhsa_float_round_mode_16_64 0
		.amdhsa_float_denorm_mode_32 3
		.amdhsa_float_denorm_mode_16_64 3
		.amdhsa_dx10_clamp 1
		.amdhsa_ieee_mode 1
		.amdhsa_fp16_overflow 0
		.amdhsa_exception_fp_ieee_invalid_op 0
		.amdhsa_exception_fp_denorm_src 0
		.amdhsa_exception_fp_ieee_div_zero 0
		.amdhsa_exception_fp_ieee_overflow 0
		.amdhsa_exception_fp_ieee_underflow 0
		.amdhsa_exception_fp_ieee_inexact 0
		.amdhsa_exception_int_div_zero 0
	.end_amdhsa_kernel
	.section	.text._ZN2at6native32elementwise_kernel_manual_unrollILi128ELi8EZNS0_22gpu_kernel_impl_nocastIZNS0_21compare_scalar_kernelIiEEvRNS_18TensorIteratorBaseENS0_12_GLOBAL__N_16OpTypeET_EUliE_EEvS5_RKS8_EUlibE_EEviT1_,"axG",@progbits,_ZN2at6native32elementwise_kernel_manual_unrollILi128ELi8EZNS0_22gpu_kernel_impl_nocastIZNS0_21compare_scalar_kernelIiEEvRNS_18TensorIteratorBaseENS0_12_GLOBAL__N_16OpTypeET_EUliE_EEvS5_RKS8_EUlibE_EEviT1_,comdat
.Lfunc_end37:
	.size	_ZN2at6native32elementwise_kernel_manual_unrollILi128ELi8EZNS0_22gpu_kernel_impl_nocastIZNS0_21compare_scalar_kernelIiEEvRNS_18TensorIteratorBaseENS0_12_GLOBAL__N_16OpTypeET_EUliE_EEvS5_RKS8_EUlibE_EEviT1_, .Lfunc_end37-_ZN2at6native32elementwise_kernel_manual_unrollILi128ELi8EZNS0_22gpu_kernel_impl_nocastIZNS0_21compare_scalar_kernelIiEEvRNS_18TensorIteratorBaseENS0_12_GLOBAL__N_16OpTypeET_EUliE_EEvS5_RKS8_EUlibE_EEviT1_
                                        ; -- End function
	.set _ZN2at6native32elementwise_kernel_manual_unrollILi128ELi8EZNS0_22gpu_kernel_impl_nocastIZNS0_21compare_scalar_kernelIiEEvRNS_18TensorIteratorBaseENS0_12_GLOBAL__N_16OpTypeET_EUliE_EEvS5_RKS8_EUlibE_EEviT1_.num_vgpr, 26
	.set _ZN2at6native32elementwise_kernel_manual_unrollILi128ELi8EZNS0_22gpu_kernel_impl_nocastIZNS0_21compare_scalar_kernelIiEEvRNS_18TensorIteratorBaseENS0_12_GLOBAL__N_16OpTypeET_EUliE_EEvS5_RKS8_EUlibE_EEviT1_.num_agpr, 0
	.set _ZN2at6native32elementwise_kernel_manual_unrollILi128ELi8EZNS0_22gpu_kernel_impl_nocastIZNS0_21compare_scalar_kernelIiEEvRNS_18TensorIteratorBaseENS0_12_GLOBAL__N_16OpTypeET_EUliE_EEvS5_RKS8_EUlibE_EEviT1_.numbered_sgpr, 62
	.set _ZN2at6native32elementwise_kernel_manual_unrollILi128ELi8EZNS0_22gpu_kernel_impl_nocastIZNS0_21compare_scalar_kernelIiEEvRNS_18TensorIteratorBaseENS0_12_GLOBAL__N_16OpTypeET_EUliE_EEvS5_RKS8_EUlibE_EEviT1_.num_named_barrier, 0
	.set _ZN2at6native32elementwise_kernel_manual_unrollILi128ELi8EZNS0_22gpu_kernel_impl_nocastIZNS0_21compare_scalar_kernelIiEEvRNS_18TensorIteratorBaseENS0_12_GLOBAL__N_16OpTypeET_EUliE_EEvS5_RKS8_EUlibE_EEviT1_.private_seg_size, 0
	.set _ZN2at6native32elementwise_kernel_manual_unrollILi128ELi8EZNS0_22gpu_kernel_impl_nocastIZNS0_21compare_scalar_kernelIiEEvRNS_18TensorIteratorBaseENS0_12_GLOBAL__N_16OpTypeET_EUliE_EEvS5_RKS8_EUlibE_EEviT1_.uses_vcc, 1
	.set _ZN2at6native32elementwise_kernel_manual_unrollILi128ELi8EZNS0_22gpu_kernel_impl_nocastIZNS0_21compare_scalar_kernelIiEEvRNS_18TensorIteratorBaseENS0_12_GLOBAL__N_16OpTypeET_EUliE_EEvS5_RKS8_EUlibE_EEviT1_.uses_flat_scratch, 0
	.set _ZN2at6native32elementwise_kernel_manual_unrollILi128ELi8EZNS0_22gpu_kernel_impl_nocastIZNS0_21compare_scalar_kernelIiEEvRNS_18TensorIteratorBaseENS0_12_GLOBAL__N_16OpTypeET_EUliE_EEvS5_RKS8_EUlibE_EEviT1_.has_dyn_sized_stack, 0
	.set _ZN2at6native32elementwise_kernel_manual_unrollILi128ELi8EZNS0_22gpu_kernel_impl_nocastIZNS0_21compare_scalar_kernelIiEEvRNS_18TensorIteratorBaseENS0_12_GLOBAL__N_16OpTypeET_EUliE_EEvS5_RKS8_EUlibE_EEviT1_.has_recursion, 0
	.set _ZN2at6native32elementwise_kernel_manual_unrollILi128ELi8EZNS0_22gpu_kernel_impl_nocastIZNS0_21compare_scalar_kernelIiEEvRNS_18TensorIteratorBaseENS0_12_GLOBAL__N_16OpTypeET_EUliE_EEvS5_RKS8_EUlibE_EEviT1_.has_indirect_call, 0
	.section	.AMDGPU.csdata,"",@progbits
; Kernel info:
; codeLenInByte = 14260
; TotalNumSgprs: 66
; NumVgprs: 26
; ScratchSize: 0
; MemoryBound: 0
; FloatMode: 240
; IeeeMode: 1
; LDSByteSize: 0 bytes/workgroup (compile time only)
; SGPRBlocks: 8
; VGPRBlocks: 6
; NumSGPRsForWavesPerEU: 66
; NumVGPRsForWavesPerEU: 26
; Occupancy: 9
; WaveLimiterHint : 1
; COMPUTE_PGM_RSRC2:SCRATCH_EN: 0
; COMPUTE_PGM_RSRC2:USER_SGPR: 6
; COMPUTE_PGM_RSRC2:TRAP_HANDLER: 0
; COMPUTE_PGM_RSRC2:TGID_X_EN: 1
; COMPUTE_PGM_RSRC2:TGID_Y_EN: 0
; COMPUTE_PGM_RSRC2:TGID_Z_EN: 0
; COMPUTE_PGM_RSRC2:TIDIG_COMP_CNT: 0
	.section	.text._ZN2at6native32elementwise_kernel_manual_unrollILi128ELi4EZNS0_15gpu_kernel_implIZNS0_21compare_scalar_kernelIiEEvRNS_18TensorIteratorBaseENS0_12_GLOBAL__N_16OpTypeET_EUliE_EEvS5_RKS8_EUlibE_EEviT1_,"axG",@progbits,_ZN2at6native32elementwise_kernel_manual_unrollILi128ELi4EZNS0_15gpu_kernel_implIZNS0_21compare_scalar_kernelIiEEvRNS_18TensorIteratorBaseENS0_12_GLOBAL__N_16OpTypeET_EUliE_EEvS5_RKS8_EUlibE_EEviT1_,comdat
	.globl	_ZN2at6native32elementwise_kernel_manual_unrollILi128ELi4EZNS0_15gpu_kernel_implIZNS0_21compare_scalar_kernelIiEEvRNS_18TensorIteratorBaseENS0_12_GLOBAL__N_16OpTypeET_EUliE_EEvS5_RKS8_EUlibE_EEviT1_ ; -- Begin function _ZN2at6native32elementwise_kernel_manual_unrollILi128ELi4EZNS0_15gpu_kernel_implIZNS0_21compare_scalar_kernelIiEEvRNS_18TensorIteratorBaseENS0_12_GLOBAL__N_16OpTypeET_EUliE_EEvS5_RKS8_EUlibE_EEviT1_
	.p2align	8
	.type	_ZN2at6native32elementwise_kernel_manual_unrollILi128ELi4EZNS0_15gpu_kernel_implIZNS0_21compare_scalar_kernelIiEEvRNS_18TensorIteratorBaseENS0_12_GLOBAL__N_16OpTypeET_EUliE_EEvS5_RKS8_EUlibE_EEviT1_,@function
_ZN2at6native32elementwise_kernel_manual_unrollILi128ELi4EZNS0_15gpu_kernel_implIZNS0_21compare_scalar_kernelIiEEvRNS_18TensorIteratorBaseENS0_12_GLOBAL__N_16OpTypeET_EUliE_EEvS5_RKS8_EUlibE_EEviT1_: ; @_ZN2at6native32elementwise_kernel_manual_unrollILi128ELi4EZNS0_15gpu_kernel_implIZNS0_21compare_scalar_kernelIiEEvRNS_18TensorIteratorBaseENS0_12_GLOBAL__N_16OpTypeET_EUliE_EEvS5_RKS8_EUlibE_EEviT1_
; %bb.0:
	s_load_dword s33, s[4:5], 0x28
	s_load_dword s40, s[4:5], 0x0
	s_load_dwordx8 s[8:15], s[4:5], 0x8
	v_lshl_or_b32 v2, s6, 9, v0
	v_or_b32_e32 v0, 0x180, v2
	s_waitcnt lgkmcnt(0)
	s_bfe_u32 s44, s33, 0x80008
	v_cmp_le_i32_e32 vcc, s40, v0
	s_mov_b64 s[2:3], 0
	s_mov_b64 s[6:7], 0
	s_and_saveexec_b64 s[0:1], vcc
	s_xor_b64 s[4:5], exec, s[0:1]
	s_cbranch_execz .LBB38_1076
; %bb.1:
	v_cmp_gt_i32_e32 vcc, s40, v2
	s_mov_b64 s[20:21], -1
	s_mov_b64 s[22:23], 0
	s_mov_b64 s[16:17], 0
	s_and_saveexec_b64 s[18:19], vcc
	s_cbranch_execz .LBB38_264
; %bb.2:
	v_mul_lo_u32 v0, v2, s13
	v_mov_b32_e32 v1, s11
	s_and_b32 s20, 0xffff, s44
	s_cmp_lt_i32 s20, 11
	v_ashrrev_i32_e32 v3, 31, v0
	v_add_co_u32_e32 v0, vcc, s10, v0
	v_addc_co_u32_e32 v1, vcc, v1, v3, vcc
	s_cbranch_scc1 .LBB38_9
; %bb.3:
	s_cmp_gt_i32 s20, 25
	s_cbranch_scc0 .LBB38_15
; %bb.4:
	s_cmp_gt_i32 s20, 28
	s_cbranch_scc0 .LBB38_17
; %bb.5:
	s_cmp_gt_i32 s20, 43
	s_cbranch_scc0 .LBB38_19
; %bb.6:
	s_cmp_gt_i32 s20, 45
	s_cbranch_scc0 .LBB38_42
; %bb.7:
	s_cmp_eq_u32 s20, 46
	s_cbranch_scc0 .LBB38_44
; %bb.8:
	global_load_dword v3, v[0:1], off
	s_mov_b64 s[0:1], -1
	s_waitcnt vmcnt(0)
	v_lshlrev_b32_e32 v3, 16, v3
	v_cvt_i32_f32_e32 v3, v3
	s_branch .LBB38_46
.LBB38_9:
                                        ; implicit-def: $vgpr3
	s_mov_b64 s[0:1], 0
	s_cbranch_execnz .LBB38_215
.LBB38_10:
	s_andn2_b64 vcc, exec, s[0:1]
	s_cbranch_vccnz .LBB38_262
.LBB38_11:
	s_cmp_lt_i32 s14, 1
	s_mov_b64 s[0:1], 0
	s_cbranch_scc1 .LBB38_16
; %bb.12:
	s_cmp_gt_i32 s14, 1
	s_cbranch_scc0 .LBB38_18
; %bb.13:
	s_cmp_eq_u32 s14, 2
	s_cbranch_scc0 .LBB38_20
; %bb.14:
	s_waitcnt vmcnt(0)
	v_cmp_ge_i32_e64 s[6:7], s15, v3
	s_mov_b64 s[20:21], 0
	s_branch .LBB38_21
.LBB38_15:
	s_mov_b64 s[0:1], 0
                                        ; implicit-def: $vgpr3
	s_cbranch_execnz .LBB38_182
	s_branch .LBB38_214
.LBB38_16:
                                        ; implicit-def: $sgpr6_sgpr7
	s_mov_b64 s[20:21], 0
	s_cbranch_execnz .LBB38_25
	s_branch .LBB38_26
.LBB38_17:
	s_mov_b64 s[6:7], -1
	s_mov_b64 s[0:1], 0
                                        ; implicit-def: $vgpr3
	s_branch .LBB38_165
.LBB38_18:
	s_mov_b64 s[24:25], -1
	s_mov_b64 s[20:21], 0
                                        ; implicit-def: $sgpr6_sgpr7
	s_branch .LBB38_22
.LBB38_19:
	s_mov_b64 s[6:7], -1
	s_mov_b64 s[0:1], 0
                                        ; implicit-def: $vgpr3
	s_branch .LBB38_160
.LBB38_20:
	s_mov_b64 s[20:21], -1
                                        ; implicit-def: $sgpr6_sgpr7
.LBB38_21:
	s_mov_b64 s[24:25], 0
.LBB38_22:
	s_and_b64 vcc, exec, s[24:25]
	s_cbranch_vccz .LBB38_24
; %bb.23:
	s_waitcnt vmcnt(0)
	v_cmp_lt_i32_e32 vcc, s15, v3
	s_andn2_b64 s[6:7], s[6:7], exec
	s_and_b64 s[24:25], vcc, exec
	s_or_b64 s[6:7], s[6:7], s[24:25]
.LBB38_24:
	s_branch .LBB38_26
.LBB38_25:
	s_cmp_lg_u32 s14, 0
	s_mov_b64 s[0:1], -1
	s_cselect_b64 s[20:21], -1, 0
.LBB38_26:
	s_andn2_b64 vcc, exec, s[20:21]
	s_cbranch_vccnz .LBB38_28
; %bb.27:
	s_waitcnt vmcnt(0)
	v_cmp_gt_i32_e32 vcc, s15, v3
	s_andn2_b64 s[6:7], s[6:7], exec
	s_and_b64 s[20:21], vcc, exec
	s_or_b64 s[6:7], s[6:7], s[20:21]
	s_cbranch_execz .LBB38_29
	s_branch .LBB38_30
.LBB38_28:
	s_andn2_b64 vcc, exec, s[0:1]
	s_cbranch_vccnz .LBB38_30
.LBB38_29:
	s_waitcnt vmcnt(0)
	v_cmp_le_i32_e32 vcc, s15, v3
	s_andn2_b64 s[0:1], s[6:7], exec
	s_and_b64 s[6:7], vcc, exec
	s_or_b64 s[6:7], s[0:1], s[6:7]
.LBB38_30:
	v_mul_lo_u32 v0, v2, s12
	v_mov_b32_e32 v1, s9
	s_and_b32 s28, s33, 0xff
	s_cmp_lt_i32 s28, 11
	s_waitcnt vmcnt(0)
	v_ashrrev_i32_e32 v3, 31, v0
	v_add_co_u32_e32 v0, vcc, s8, v0
	v_addc_co_u32_e32 v1, vcc, v1, v3, vcc
	s_cbranch_scc1 .LBB38_37
; %bb.31:
	s_and_b32 s29, 0xffff, s28
	s_cmp_gt_i32 s29, 25
	s_cbranch_scc0 .LBB38_40
; %bb.32:
	s_cmp_gt_i32 s29, 28
	s_cbranch_scc0 .LBB38_41
; %bb.33:
	;; [unrolled: 3-line block ×4, first 2 shown]
	s_mov_b64 s[24:25], 0
	s_mov_b64 s[0:1], -1
	s_cmp_eq_u32 s29, 46
	s_mov_b64 s[20:21], 0
	s_cbranch_scc0 .LBB38_50
; %bb.36:
	v_cndmask_b32_e64 v3, 0, 1.0, s[6:7]
	v_bfe_u32 v4, v3, 16, 1
	s_movk_i32 s0, 0x7fff
	v_add3_u32 v3, v3, v4, s0
	v_lshrrev_b32_e32 v3, 16, v3
	global_store_dword v[0:1], v3, off
	s_mov_b64 s[20:21], -1
	s_mov_b64 s[0:1], 0
	s_branch .LBB38_50
.LBB38_37:
	s_mov_b64 s[0:1], 0
	s_mov_b64 s[20:21], 0
	s_cbranch_execnz .LBB38_119
.LBB38_38:
	s_andn2_b64 vcc, exec, s[20:21]
	s_cbranch_vccnz .LBB38_157
.LBB38_39:
	v_add_u32_e32 v2, 0x80, v2
	s_mov_b64 s[20:21], -1
	s_branch .LBB38_263
.LBB38_40:
	s_mov_b64 s[24:25], -1
	s_mov_b64 s[0:1], 0
	s_mov_b64 s[20:21], 0
	s_branch .LBB38_77
.LBB38_41:
	s_mov_b64 s[24:25], -1
	s_mov_b64 s[0:1], 0
	s_mov_b64 s[20:21], 0
	s_branch .LBB38_60
.LBB38_42:
	s_mov_b64 s[6:7], -1
	s_branch .LBB38_45
.LBB38_43:
	s_mov_b64 s[24:25], -1
	s_mov_b64 s[0:1], 0
	s_mov_b64 s[20:21], 0
	s_branch .LBB38_56
.LBB38_44:
	s_mov_b64 s[16:17], -1
.LBB38_45:
	s_mov_b64 s[0:1], 0
                                        ; implicit-def: $vgpr3
.LBB38_46:
	s_and_b64 vcc, exec, s[6:7]
	s_cbranch_vccz .LBB38_159
; %bb.47:
	s_cmp_eq_u32 s20, 44
	s_cbranch_scc0 .LBB38_158
; %bb.48:
	global_load_ubyte v3, v[0:1], off
	s_mov_b64 s[0:1], -1
	s_mov_b64 s[16:17], 0
	s_waitcnt vmcnt(0)
	v_lshlrev_b32_e32 v4, 23, v3
	v_cvt_i32_f32_e32 v4, v4
	v_cmp_ne_u32_e32 vcc, 0, v3
	v_cndmask_b32_e32 v3, 0, v4, vcc
	s_branch .LBB38_159
.LBB38_49:
	s_mov_b64 s[24:25], -1
	s_mov_b64 s[0:1], 0
	s_mov_b64 s[20:21], 0
.LBB38_50:
	s_and_b64 vcc, exec, s[24:25]
	s_cbranch_vccz .LBB38_55
; %bb.51:
	s_cmp_eq_u32 s29, 44
	s_mov_b64 s[0:1], -1
	s_cbranch_scc0 .LBB38_55
; %bb.52:
	v_cndmask_b32_e64 v4, 0, 1.0, s[6:7]
	v_lshrrev_b32_e32 v3, 23, v4
	s_movk_i32 s0, 0xff
	v_cmp_ne_u32_e32 vcc, s0, v3
	v_mov_b32_e32 v5, 0xff
	s_and_saveexec_b64 s[20:21], vcc
; %bb.53:
	s_mov_b32 s0, 0x3fffff
	v_and_b32_e32 v5, 0x400000, v4
	v_and_or_b32 v4, v4, s0, v3
	v_cmp_ne_u32_e32 vcc, 0, v5
	v_cmp_ne_u32_e64 s[0:1], 0, v4
	s_and_b64 s[0:1], vcc, s[0:1]
	v_cndmask_b32_e64 v4, 0, 1, s[0:1]
	v_add_u32_e32 v5, v3, v4
; %bb.54:
	s_or_b64 exec, exec, s[20:21]
	s_mov_b64 s[20:21], -1
	s_mov_b64 s[0:1], 0
	global_store_byte v[0:1], v5, off
.LBB38_55:
	s_mov_b64 s[24:25], 0
.LBB38_56:
	s_and_b64 vcc, exec, s[24:25]
	s_cbranch_vccz .LBB38_59
; %bb.57:
	s_cmp_eq_u32 s29, 29
	s_mov_b64 s[0:1], -1
	s_cbranch_scc0 .LBB38_59
; %bb.58:
	s_mov_b32 s0, 0
	v_cndmask_b32_e64 v3, 0, 1, s[6:7]
	v_mov_b32_e32 v4, s0
	global_store_dwordx2 v[0:1], v[3:4], off
	s_mov_b64 s[20:21], -1
	s_mov_b64 s[0:1], 0
.LBB38_59:
	s_mov_b64 s[24:25], 0
.LBB38_60:
	s_and_b64 vcc, exec, s[24:25]
	s_cbranch_vccz .LBB38_76
; %bb.61:
	s_cmp_lt_i32 s29, 27
	s_mov_b64 s[20:21], -1
	s_cbranch_scc1 .LBB38_67
; %bb.62:
	s_cmp_gt_i32 s29, 27
	s_cbranch_scc0 .LBB38_64
; %bb.63:
	v_cndmask_b32_e64 v3, 0, 1, s[6:7]
	s_mov_b64 s[20:21], 0
	global_store_dword v[0:1], v3, off
.LBB38_64:
	s_andn2_b64 vcc, exec, s[20:21]
	s_cbranch_vccnz .LBB38_66
; %bb.65:
	v_cndmask_b32_e64 v3, 0, 1, s[6:7]
	global_store_short v[0:1], v3, off
.LBB38_66:
	s_mov_b64 s[20:21], 0
.LBB38_67:
	s_andn2_b64 vcc, exec, s[20:21]
	s_cbranch_vccnz .LBB38_75
; %bb.68:
	v_cndmask_b32_e64 v4, 0, 1.0, s[6:7]
	s_mov_b32 s20, 0x43800000
	v_cmp_gt_u32_e32 vcc, s20, v4
	v_mov_b32_e32 v5, 0x80
	s_and_saveexec_b64 s[20:21], vcc
	s_cbranch_execz .LBB38_74
; %bb.69:
	s_mov_b32 s24, 0x3bffffff
	v_cmp_lt_u32_e32 vcc, s24, v4
	s_mov_b64 s[24:25], 0
                                        ; implicit-def: $vgpr3
	s_and_saveexec_b64 s[26:27], vcc
	s_xor_b64 s[26:27], exec, s[26:27]
	s_cbranch_execz .LBB38_307
; %bb.70:
	v_bfe_u32 v3, v4, 20, 1
	s_mov_b32 s30, 0x487ffff
	v_add3_u32 v3, v4, v3, s30
	s_mov_b64 s[24:25], exec
	v_lshrrev_b32_e32 v3, 20, v3
                                        ; implicit-def: $vgpr4
	s_andn2_saveexec_b64 s[26:27], s[26:27]
	s_cbranch_execnz .LBB38_308
.LBB38_71:
	s_or_b64 exec, exec, s[26:27]
	v_mov_b32_e32 v5, 0
	s_and_saveexec_b64 s[26:27], s[24:25]
.LBB38_72:
	v_mov_b32_e32 v5, v3
.LBB38_73:
	s_or_b64 exec, exec, s[26:27]
.LBB38_74:
	s_or_b64 exec, exec, s[20:21]
	global_store_byte v[0:1], v5, off
.LBB38_75:
	s_mov_b64 s[20:21], -1
.LBB38_76:
	s_mov_b64 s[24:25], 0
.LBB38_77:
	s_and_b64 vcc, exec, s[24:25]
	s_cbranch_vccz .LBB38_118
; %bb.78:
	s_cmp_gt_i32 s29, 22
	s_mov_b64 s[24:25], -1
	s_cbranch_scc0 .LBB38_110
; %bb.79:
	s_cmp_lt_i32 s29, 24
	s_mov_b64 s[20:21], -1
	s_cbranch_scc1 .LBB38_99
; %bb.80:
	s_cmp_gt_i32 s29, 24
	s_cbranch_scc0 .LBB38_88
; %bb.81:
	v_cndmask_b32_e64 v4, 0, 1.0, s[6:7]
	s_mov_b32 s20, 0x47800000
	v_cmp_gt_u32_e32 vcc, s20, v4
	v_mov_b32_e32 v5, 0x80
	s_and_saveexec_b64 s[20:21], vcc
	s_cbranch_execz .LBB38_87
; %bb.82:
	s_mov_b32 s24, 0x37ffffff
	v_cmp_lt_u32_e32 vcc, s24, v4
	s_mov_b64 s[24:25], 0
                                        ; implicit-def: $vgpr3
	s_and_saveexec_b64 s[26:27], vcc
	s_xor_b64 s[26:27], exec, s[26:27]
	s_cbranch_execz .LBB38_311
; %bb.83:
	v_bfe_u32 v3, v4, 21, 1
	s_mov_b32 s30, 0x88fffff
	v_add3_u32 v3, v4, v3, s30
	s_mov_b64 s[24:25], exec
	v_lshrrev_b32_e32 v3, 21, v3
                                        ; implicit-def: $vgpr4
	s_andn2_saveexec_b64 s[26:27], s[26:27]
	s_cbranch_execnz .LBB38_312
.LBB38_84:
	s_or_b64 exec, exec, s[26:27]
	v_mov_b32_e32 v5, 0
	s_and_saveexec_b64 s[26:27], s[24:25]
.LBB38_85:
	v_mov_b32_e32 v5, v3
.LBB38_86:
	s_or_b64 exec, exec, s[26:27]
.LBB38_87:
	s_or_b64 exec, exec, s[20:21]
	s_mov_b64 s[20:21], 0
	global_store_byte v[0:1], v5, off
.LBB38_88:
	s_and_b64 vcc, exec, s[20:21]
	s_cbranch_vccz .LBB38_98
; %bb.89:
	v_cndmask_b32_e64 v3, 0, 1.0, s[6:7]
	s_mov_b32 s20, 0x43f00000
	v_cmp_gt_u32_e32 vcc, s20, v3
                                        ; implicit-def: $vgpr4
	s_and_saveexec_b64 s[20:21], vcc
	s_xor_b64 s[20:21], exec, s[20:21]
	s_cbranch_execz .LBB38_95
; %bb.90:
	s_mov_b32 s24, 0x3c7fffff
	v_cmp_lt_u32_e32 vcc, s24, v3
                                        ; implicit-def: $vgpr4
	s_and_saveexec_b64 s[24:25], vcc
	s_xor_b64 s[24:25], exec, s[24:25]
; %bb.91:
	v_bfe_u32 v4, v3, 20, 1
	s_mov_b32 s26, 0x407ffff
	v_add3_u32 v3, v3, v4, s26
	v_lshrrev_b32_e32 v4, 20, v3
	v_and_b32_e32 v3, 0xff00000, v3
	s_mov_b32 s26, 0x7f00000
	v_mov_b32_e32 v5, 0x7e
	v_cmp_ne_u32_e32 vcc, s26, v3
	v_cndmask_b32_e32 v4, v5, v4, vcc
                                        ; implicit-def: $vgpr3
; %bb.92:
	s_andn2_saveexec_b64 s[24:25], s[24:25]
; %bb.93:
	v_add_f32_e32 v4, 0x46800000, v3
; %bb.94:
	s_or_b64 exec, exec, s[24:25]
                                        ; implicit-def: $vgpr3
.LBB38_95:
	s_andn2_saveexec_b64 s[20:21], s[20:21]
; %bb.96:
	s_mov_b32 s24, 0x7f800000
	v_mov_b32_e32 v4, 0x7e
	v_mov_b32_e32 v5, 0x7f
	v_cmp_lt_u32_e32 vcc, s24, v3
	v_cndmask_b32_e32 v4, v4, v5, vcc
; %bb.97:
	s_or_b64 exec, exec, s[20:21]
	global_store_byte v[0:1], v4, off
.LBB38_98:
	s_mov_b64 s[20:21], 0
.LBB38_99:
	s_andn2_b64 vcc, exec, s[20:21]
	s_cbranch_vccnz .LBB38_109
; %bb.100:
	v_cndmask_b32_e64 v3, 0, 1.0, s[6:7]
	s_mov_b32 s20, 0x47800000
	v_cmp_gt_u32_e32 vcc, s20, v3
                                        ; implicit-def: $vgpr4
	s_and_saveexec_b64 s[20:21], vcc
	s_xor_b64 s[20:21], exec, s[20:21]
	s_cbranch_execz .LBB38_106
; %bb.101:
	s_mov_b32 s24, 0x387fffff
	v_cmp_lt_u32_e32 vcc, s24, v3
                                        ; implicit-def: $vgpr4
	s_and_saveexec_b64 s[24:25], vcc
	s_xor_b64 s[24:25], exec, s[24:25]
; %bb.102:
	v_bfe_u32 v4, v3, 21, 1
	s_mov_b32 s26, 0x80fffff
	v_add3_u32 v3, v3, v4, s26
	v_lshrrev_b32_e32 v4, 21, v3
                                        ; implicit-def: $vgpr3
; %bb.103:
	s_andn2_saveexec_b64 s[24:25], s[24:25]
; %bb.104:
	v_add_f32_e32 v4, 0x43000000, v3
; %bb.105:
	s_or_b64 exec, exec, s[24:25]
                                        ; implicit-def: $vgpr3
.LBB38_106:
	s_andn2_saveexec_b64 s[20:21], s[20:21]
; %bb.107:
	s_mov_b32 s24, 0x7f800000
	v_mov_b32_e32 v4, 0x7c
	v_mov_b32_e32 v5, 0x7f
	v_cmp_lt_u32_e32 vcc, s24, v3
	v_cndmask_b32_e32 v4, v4, v5, vcc
; %bb.108:
	s_or_b64 exec, exec, s[20:21]
	global_store_byte v[0:1], v4, off
.LBB38_109:
	s_mov_b64 s[24:25], 0
	s_mov_b64 s[20:21], -1
.LBB38_110:
	s_andn2_b64 vcc, exec, s[24:25]
	s_cbranch_vccnz .LBB38_118
; %bb.111:
	s_cmp_gt_i32 s29, 14
	s_mov_b64 s[24:25], -1
	s_cbranch_scc0 .LBB38_115
; %bb.112:
	s_cmp_eq_u32 s29, 15
	s_mov_b64 s[0:1], -1
	s_cbranch_scc0 .LBB38_114
; %bb.113:
	v_cndmask_b32_e64 v3, 0, 1.0, s[6:7]
	v_bfe_u32 v4, v3, 16, 1
	s_movk_i32 s0, 0x7fff
	v_add3_u32 v3, v3, v4, s0
	global_store_short_d16_hi v[0:1], v3, off
	s_mov_b64 s[20:21], -1
	s_mov_b64 s[0:1], 0
.LBB38_114:
	s_mov_b64 s[24:25], 0
.LBB38_115:
	s_and_b64 vcc, exec, s[24:25]
	s_cbranch_vccz .LBB38_118
; %bb.116:
	s_cmp_eq_u32 s29, 11
	s_mov_b64 s[0:1], -1
	s_cbranch_scc0 .LBB38_118
; %bb.117:
	v_cndmask_b32_e64 v3, 0, 1, s[6:7]
	s_mov_b64 s[20:21], -1
	s_mov_b64 s[0:1], 0
	global_store_byte v[0:1], v3, off
.LBB38_118:
	s_branch .LBB38_38
.LBB38_119:
	s_and_b32 s24, 0xffff, s28
	s_cmp_lt_i32 s24, 5
	s_mov_b64 s[20:21], -1
	s_cbranch_scc1 .LBB38_140
; %bb.120:
	s_cmp_lt_i32 s24, 8
	s_cbranch_scc1 .LBB38_130
; %bb.121:
	s_cmp_lt_i32 s24, 9
	s_cbranch_scc1 .LBB38_127
; %bb.122:
	s_cmp_gt_i32 s24, 9
	s_cbranch_scc0 .LBB38_124
; %bb.123:
	v_cndmask_b32_e64 v3, 0, 1, s[6:7]
	v_cvt_f64_u32_e32 v[3:4], v3
	v_mov_b32_e32 v5, 0
	v_mov_b32_e32 v6, v5
	s_mov_b64 s[20:21], 0
	global_store_dwordx4 v[0:1], v[3:6], off
.LBB38_124:
	s_andn2_b64 vcc, exec, s[20:21]
	s_cbranch_vccnz .LBB38_126
; %bb.125:
	v_cndmask_b32_e64 v3, 0, 1.0, s[6:7]
	v_mov_b32_e32 v4, 0
	global_store_dwordx2 v[0:1], v[3:4], off
.LBB38_126:
	s_mov_b64 s[20:21], 0
.LBB38_127:
	s_andn2_b64 vcc, exec, s[20:21]
	s_cbranch_vccnz .LBB38_129
; %bb.128:
	v_cndmask_b32_e64 v3, 0, 1.0, s[6:7]
	v_cvt_f16_f32_e32 v3, v3
	global_store_dword v[0:1], v3, off
.LBB38_129:
	s_mov_b64 s[20:21], 0
.LBB38_130:
	s_andn2_b64 vcc, exec, s[20:21]
	s_cbranch_vccnz .LBB38_139
; %bb.131:
	s_cmp_lt_i32 s24, 6
	s_mov_b64 s[20:21], -1
	s_cbranch_scc1 .LBB38_137
; %bb.132:
	s_cmp_gt_i32 s24, 6
	s_cbranch_scc0 .LBB38_134
; %bb.133:
	v_cndmask_b32_e64 v3, 0, 1, s[6:7]
	v_cvt_f64_u32_e32 v[3:4], v3
	s_mov_b64 s[20:21], 0
	global_store_dwordx2 v[0:1], v[3:4], off
.LBB38_134:
	s_andn2_b64 vcc, exec, s[20:21]
	s_cbranch_vccnz .LBB38_136
; %bb.135:
	v_cndmask_b32_e64 v3, 0, 1.0, s[6:7]
	global_store_dword v[0:1], v3, off
.LBB38_136:
	s_mov_b64 s[20:21], 0
.LBB38_137:
	s_andn2_b64 vcc, exec, s[20:21]
	s_cbranch_vccnz .LBB38_139
; %bb.138:
	v_cndmask_b32_e64 v3, 0, 1.0, s[6:7]
	v_cvt_f16_f32_e32 v3, v3
	global_store_short v[0:1], v3, off
.LBB38_139:
	s_mov_b64 s[20:21], 0
.LBB38_140:
	s_andn2_b64 vcc, exec, s[20:21]
	s_cbranch_vccnz .LBB38_156
; %bb.141:
	s_cmp_lt_i32 s24, 2
	s_mov_b64 s[20:21], -1
	s_cbranch_scc1 .LBB38_151
; %bb.142:
	s_cmp_lt_i32 s24, 3
	s_cbranch_scc1 .LBB38_148
; %bb.143:
	s_cmp_gt_i32 s24, 3
	s_cbranch_scc0 .LBB38_145
; %bb.144:
	s_mov_b32 s20, 0
	v_cndmask_b32_e64 v3, 0, 1, s[6:7]
	v_mov_b32_e32 v4, s20
	global_store_dwordx2 v[0:1], v[3:4], off
	s_mov_b64 s[20:21], 0
.LBB38_145:
	s_andn2_b64 vcc, exec, s[20:21]
	s_cbranch_vccnz .LBB38_147
; %bb.146:
	v_cndmask_b32_e64 v3, 0, 1, s[6:7]
	global_store_dword v[0:1], v3, off
.LBB38_147:
	s_mov_b64 s[20:21], 0
.LBB38_148:
	s_andn2_b64 vcc, exec, s[20:21]
	s_cbranch_vccnz .LBB38_150
; %bb.149:
	v_cndmask_b32_e64 v3, 0, 1, s[6:7]
	global_store_short v[0:1], v3, off
.LBB38_150:
	s_mov_b64 s[20:21], 0
.LBB38_151:
	s_andn2_b64 vcc, exec, s[20:21]
	s_cbranch_vccnz .LBB38_156
; %bb.152:
	s_mov_b64 s[20:21], -1
	s_cmp_gt_i32 s24, 0
	v_cndmask_b32_e64 v3, 0, 1, s[6:7]
	s_cbranch_scc0 .LBB38_154
; %bb.153:
	global_store_byte v[0:1], v3, off
	s_mov_b64 s[20:21], 0
.LBB38_154:
	s_andn2_b64 vcc, exec, s[20:21]
	s_cbranch_vccnz .LBB38_156
; %bb.155:
	global_store_byte v[0:1], v3, off
.LBB38_156:
	s_branch .LBB38_39
.LBB38_157:
	s_mov_b64 s[20:21], 0
                                        ; implicit-def: $vgpr2
	s_branch .LBB38_263
.LBB38_158:
	s_mov_b64 s[16:17], -1
                                        ; implicit-def: $vgpr3
.LBB38_159:
	s_mov_b64 s[6:7], 0
.LBB38_160:
	s_and_b64 vcc, exec, s[6:7]
	s_cbranch_vccz .LBB38_164
; %bb.161:
	s_cmp_eq_u32 s20, 29
	s_cbranch_scc0 .LBB38_163
; %bb.162:
	global_load_dword v3, v[0:1], off
	s_mov_b64 s[0:1], -1
	s_mov_b64 s[16:17], 0
	s_branch .LBB38_164
.LBB38_163:
	s_mov_b64 s[16:17], -1
                                        ; implicit-def: $vgpr3
.LBB38_164:
	s_mov_b64 s[6:7], 0
.LBB38_165:
	s_and_b64 vcc, exec, s[6:7]
	s_cbranch_vccz .LBB38_181
; %bb.166:
	s_cmp_lt_i32 s20, 27
	s_cbranch_scc1 .LBB38_169
; %bb.167:
	s_cmp_gt_i32 s20, 27
	s_cbranch_scc0 .LBB38_170
; %bb.168:
	global_load_dword v3, v[0:1], off
	s_mov_b64 s[0:1], 0
	s_branch .LBB38_171
.LBB38_169:
	s_mov_b64 s[0:1], -1
                                        ; implicit-def: $vgpr3
	s_branch .LBB38_174
.LBB38_170:
	s_mov_b64 s[0:1], -1
                                        ; implicit-def: $vgpr3
.LBB38_171:
	s_andn2_b64 vcc, exec, s[0:1]
	s_cbranch_vccnz .LBB38_173
; %bb.172:
	global_load_ushort v3, v[0:1], off
.LBB38_173:
	s_mov_b64 s[0:1], 0
.LBB38_174:
	s_andn2_b64 vcc, exec, s[0:1]
	s_cbranch_vccnz .LBB38_180
; %bb.175:
	global_load_ubyte v4, v[0:1], off
	s_movk_i32 s0, 0x7f
	s_mov_b64 s[6:7], 0
	s_waitcnt vmcnt(0)
	v_cmp_lt_i16_e32 vcc, s0, v4
	s_and_saveexec_b64 s[0:1], vcc
	s_xor_b64 s[0:1], exec, s[0:1]
	s_cbranch_execz .LBB38_191
; %bb.176:
	s_movk_i32 s6, 0x80
	v_cmp_ne_u16_e32 vcc, s6, v4
	s_and_b64 s[6:7], vcc, exec
	s_andn2_saveexec_b64 s[0:1], s[0:1]
	s_cbranch_execnz .LBB38_192
.LBB38_177:
	s_or_b64 exec, exec, s[0:1]
	v_mov_b32_e32 v3, 0
	s_and_saveexec_b64 s[0:1], s[6:7]
	s_cbranch_execz .LBB38_179
.LBB38_178:
	v_lshlrev_b32_e32 v3, 24, v4
	v_and_b32_e32 v4, 0xffff, v4
	v_and_b32_e32 v5, 7, v4
	v_ffbh_u32_e32 v7, v5
	v_min_u32_e32 v7, 32, v7
	v_subrev_u32_e32 v8, 28, v7
	v_bfe_u32 v6, v4, 3, 4
	v_lshlrev_b32_e32 v4, v8, v4
	v_sub_u32_e32 v7, 29, v7
	v_and_b32_e32 v4, 7, v4
	v_cmp_eq_u32_e32 vcc, 0, v6
	v_cndmask_b32_e32 v6, v6, v7, vcc
	v_cndmask_b32_e32 v4, v5, v4, vcc
	v_mov_b32_e32 v5, 0x3b800000
	v_lshlrev_b32_e32 v4, 20, v4
	v_and_b32_e32 v3, 0x80000000, v3
	v_lshl_add_u32 v5, v6, 23, v5
	v_or3_b32 v3, v3, v5, v4
	v_cvt_i32_f32_e32 v3, v3
.LBB38_179:
	s_or_b64 exec, exec, s[0:1]
.LBB38_180:
	s_mov_b64 s[0:1], -1
.LBB38_181:
	s_branch .LBB38_214
.LBB38_182:
	s_cmp_gt_i32 s20, 22
	s_cbranch_scc0 .LBB38_190
; %bb.183:
	s_cmp_lt_i32 s20, 24
	s_cbranch_scc1 .LBB38_193
; %bb.184:
	s_cmp_gt_i32 s20, 24
	s_cbranch_scc0 .LBB38_194
; %bb.185:
	global_load_ubyte v4, v[0:1], off
	s_movk_i32 s0, 0x7f
	s_mov_b64 s[6:7], 0
	s_waitcnt vmcnt(0)
	v_cmp_lt_i16_e32 vcc, s0, v4
	s_and_saveexec_b64 s[0:1], vcc
	s_xor_b64 s[0:1], exec, s[0:1]
	s_cbranch_execz .LBB38_206
; %bb.186:
	s_movk_i32 s6, 0x80
	v_cmp_ne_u16_e32 vcc, s6, v4
	s_and_b64 s[6:7], vcc, exec
	s_andn2_saveexec_b64 s[0:1], s[0:1]
	s_cbranch_execnz .LBB38_207
.LBB38_187:
	s_or_b64 exec, exec, s[0:1]
	v_mov_b32_e32 v3, 0
	s_and_saveexec_b64 s[0:1], s[6:7]
	s_cbranch_execz .LBB38_189
.LBB38_188:
	v_lshlrev_b32_e32 v3, 24, v4
	v_and_b32_e32 v4, 0xffff, v4
	v_and_b32_e32 v5, 3, v4
	v_ffbh_u32_e32 v7, v5
	v_min_u32_e32 v7, 32, v7
	v_subrev_u32_e32 v8, 29, v7
	v_bfe_u32 v6, v4, 2, 5
	v_lshlrev_b32_e32 v4, v8, v4
	v_sub_u32_e32 v7, 30, v7
	v_and_b32_e32 v4, 3, v4
	v_cmp_eq_u32_e32 vcc, 0, v6
	v_cndmask_b32_e32 v6, v6, v7, vcc
	v_cndmask_b32_e32 v4, v5, v4, vcc
	v_mov_b32_e32 v5, 0x37800000
	v_lshlrev_b32_e32 v4, 21, v4
	v_and_b32_e32 v3, 0x80000000, v3
	v_lshl_add_u32 v5, v6, 23, v5
	v_or3_b32 v3, v3, v5, v4
	v_cvt_i32_f32_e32 v3, v3
.LBB38_189:
	s_or_b64 exec, exec, s[0:1]
	s_mov_b64 s[0:1], 0
	s_branch .LBB38_195
.LBB38_190:
	s_mov_b64 s[6:7], -1
                                        ; implicit-def: $vgpr3
	s_branch .LBB38_201
.LBB38_191:
	s_andn2_saveexec_b64 s[0:1], s[0:1]
	s_cbranch_execz .LBB38_177
.LBB38_192:
	v_cmp_ne_u16_e32 vcc, 0, v4
	s_andn2_b64 s[6:7], s[6:7], exec
	s_and_b64 s[24:25], vcc, exec
	s_or_b64 s[6:7], s[6:7], s[24:25]
	s_or_b64 exec, exec, s[0:1]
	v_mov_b32_e32 v3, 0
	s_and_saveexec_b64 s[0:1], s[6:7]
	s_cbranch_execnz .LBB38_178
	s_branch .LBB38_179
.LBB38_193:
	s_mov_b64 s[0:1], -1
                                        ; implicit-def: $vgpr3
	s_branch .LBB38_198
.LBB38_194:
	s_mov_b64 s[0:1], -1
                                        ; implicit-def: $vgpr3
.LBB38_195:
	s_and_b64 vcc, exec, s[0:1]
	s_cbranch_vccz .LBB38_197
; %bb.196:
	global_load_ubyte v3, v[0:1], off
	s_mov_b32 s0, 0x7f800000
	s_waitcnt vmcnt(0)
	v_lshlrev_b32_e32 v3, 24, v3
	v_and_b32_e32 v4, 0x7f000000, v3
	v_ffbh_u32_e32 v5, v4
	v_min_u32_e32 v5, 32, v5
	v_sub_u32_e64 v5, v5, 4 clamp
	v_lshlrev_b32_e32 v7, v5, v4
	v_lshlrev_b32_e32 v5, 23, v5
	v_lshrrev_b32_e32 v7, 4, v7
	v_add_u32_e32 v6, 0x1000000, v4
	v_sub_u32_e32 v5, v7, v5
	v_ashrrev_i32_e32 v6, 8, v6
	v_add_u32_e32 v5, 0x3c000000, v5
	v_and_or_b32 v5, v6, s0, v5
	v_cmp_ne_u32_e32 vcc, 0, v4
	v_cndmask_b32_e32 v4, 0, v5, vcc
	s_brev_b32 s0, 1
	v_and_or_b32 v3, v3, s0, v4
	v_cvt_i32_f32_e32 v3, v3
.LBB38_197:
	s_mov_b64 s[0:1], 0
.LBB38_198:
	s_andn2_b64 vcc, exec, s[0:1]
	s_cbranch_vccnz .LBB38_200
; %bb.199:
	global_load_ubyte v3, v[0:1], off
	s_movk_i32 s0, 0x7f00
	s_brev_b32 s1, 16
	s_waitcnt vmcnt(0)
	v_lshlrev_b16_e32 v4, 8, v3
	v_lshlrev_b32_e32 v3, 25, v3
	v_lshrrev_b32_e32 v5, 4, v3
	v_and_or_b32 v6, v4, s0, 0.5
	v_or_b32_e32 v5, 0x70000000, v5
	v_add_f32_e32 v6, -0.5, v6
	v_mul_f32_e32 v5, 0x7800000, v5
	v_cmp_gt_u32_e32 vcc, s1, v3
	v_bfe_i32 v4, v4, 0, 16
	v_cndmask_b32_e32 v3, v5, v6, vcc
	s_brev_b32 s0, 1
	v_and_or_b32 v3, v4, s0, v3
	v_cvt_i32_f32_e32 v3, v3
.LBB38_200:
	s_mov_b64 s[6:7], 0
	s_mov_b64 s[0:1], -1
.LBB38_201:
	s_andn2_b64 vcc, exec, s[6:7]
	s_cbranch_vccnz .LBB38_214
; %bb.202:
	s_cmp_gt_i32 s20, 14
	s_cbranch_scc0 .LBB38_205
; %bb.203:
	s_cmp_eq_u32 s20, 15
	s_cbranch_scc0 .LBB38_208
; %bb.204:
	global_load_ushort v3, v[0:1], off
	s_mov_b64 s[0:1], -1
	s_mov_b64 s[16:17], 0
	s_waitcnt vmcnt(0)
	v_lshlrev_b32_e32 v3, 16, v3
	v_cvt_i32_f32_e32 v3, v3
	s_branch .LBB38_209
.LBB38_205:
	s_mov_b64 s[6:7], -1
                                        ; implicit-def: $vgpr3
	s_branch .LBB38_210
.LBB38_206:
	s_andn2_saveexec_b64 s[0:1], s[0:1]
	s_cbranch_execz .LBB38_187
.LBB38_207:
	v_cmp_ne_u16_e32 vcc, 0, v4
	s_andn2_b64 s[6:7], s[6:7], exec
	s_and_b64 s[24:25], vcc, exec
	s_or_b64 s[6:7], s[6:7], s[24:25]
	s_or_b64 exec, exec, s[0:1]
	v_mov_b32_e32 v3, 0
	s_and_saveexec_b64 s[0:1], s[6:7]
	s_cbranch_execnz .LBB38_188
	s_branch .LBB38_189
.LBB38_208:
	s_mov_b64 s[16:17], -1
                                        ; implicit-def: $vgpr3
.LBB38_209:
	s_mov_b64 s[6:7], 0
.LBB38_210:
	s_and_b64 vcc, exec, s[6:7]
	s_cbranch_vccz .LBB38_214
; %bb.211:
	s_cmp_eq_u32 s20, 11
	s_cbranch_scc0 .LBB38_213
; %bb.212:
	global_load_ubyte v3, v[0:1], off
	s_mov_b64 s[0:1], -1
	s_mov_b64 s[16:17], 0
	s_waitcnt vmcnt(0)
	v_cmp_ne_u16_e32 vcc, 0, v3
	v_cndmask_b32_e64 v3, 0, 1, vcc
	s_branch .LBB38_214
.LBB38_213:
	s_mov_b64 s[16:17], -1
                                        ; implicit-def: $vgpr3
.LBB38_214:
	s_branch .LBB38_10
.LBB38_215:
	s_cmp_lt_i32 s20, 5
	s_cbranch_scc1 .LBB38_220
; %bb.216:
	s_cmp_lt_i32 s20, 8
	s_cbranch_scc1 .LBB38_221
; %bb.217:
	;; [unrolled: 3-line block ×3, first 2 shown]
	s_cmp_gt_i32 s20, 9
	s_cbranch_scc0 .LBB38_223
; %bb.219:
	global_load_dwordx2 v[3:4], v[0:1], off
	s_mov_b64 s[0:1], 0
	s_waitcnt vmcnt(0)
	v_cvt_i32_f64_e32 v3, v[3:4]
	s_branch .LBB38_224
.LBB38_220:
                                        ; implicit-def: $vgpr3
	s_branch .LBB38_242
.LBB38_221:
	s_mov_b64 s[0:1], -1
                                        ; implicit-def: $vgpr3
	s_branch .LBB38_230
.LBB38_222:
	s_mov_b64 s[0:1], -1
                                        ; implicit-def: $vgpr3
	s_branch .LBB38_227
.LBB38_223:
	s_mov_b64 s[0:1], -1
                                        ; implicit-def: $vgpr3
.LBB38_224:
	s_andn2_b64 vcc, exec, s[0:1]
	s_cbranch_vccnz .LBB38_226
; %bb.225:
	global_load_dword v3, v[0:1], off
	s_waitcnt vmcnt(0)
	v_cvt_i32_f32_e32 v3, v3
.LBB38_226:
	s_mov_b64 s[0:1], 0
.LBB38_227:
	s_andn2_b64 vcc, exec, s[0:1]
	s_cbranch_vccnz .LBB38_229
; %bb.228:
	global_load_dword v3, v[0:1], off
	s_waitcnt vmcnt(0)
	v_cvt_f32_f16_e32 v3, v3
	v_cvt_i32_f32_e32 v3, v3
.LBB38_229:
	s_mov_b64 s[0:1], 0
.LBB38_230:
	s_andn2_b64 vcc, exec, s[0:1]
	s_cbranch_vccnz .LBB38_241
; %bb.231:
	s_cmp_lt_i32 s20, 6
	s_cbranch_scc1 .LBB38_234
; %bb.232:
	s_cmp_gt_i32 s20, 6
	s_cbranch_scc0 .LBB38_235
; %bb.233:
	global_load_dwordx2 v[3:4], v[0:1], off
	s_mov_b64 s[0:1], 0
	s_waitcnt vmcnt(0)
	v_cvt_i32_f64_e32 v3, v[3:4]
	s_branch .LBB38_236
.LBB38_234:
	s_mov_b64 s[0:1], -1
                                        ; implicit-def: $vgpr3
	s_branch .LBB38_239
.LBB38_235:
	s_mov_b64 s[0:1], -1
                                        ; implicit-def: $vgpr3
.LBB38_236:
	s_andn2_b64 vcc, exec, s[0:1]
	s_cbranch_vccnz .LBB38_238
; %bb.237:
	global_load_dword v3, v[0:1], off
	s_waitcnt vmcnt(0)
	v_cvt_i32_f32_e32 v3, v3
.LBB38_238:
	s_mov_b64 s[0:1], 0
.LBB38_239:
	s_andn2_b64 vcc, exec, s[0:1]
	s_cbranch_vccnz .LBB38_241
; %bb.240:
	global_load_ushort v3, v[0:1], off
	s_waitcnt vmcnt(0)
	v_cvt_f32_f16_e32 v3, v3
	v_cvt_i32_f32_e32 v3, v3
.LBB38_241:
	s_cbranch_execnz .LBB38_261
.LBB38_242:
	s_cmp_lt_i32 s20, 2
	s_cbranch_scc1 .LBB38_246
; %bb.243:
	s_cmp_lt_i32 s20, 3
	s_cbranch_scc1 .LBB38_247
; %bb.244:
	s_cmp_gt_i32 s20, 3
	s_cbranch_scc0 .LBB38_248
; %bb.245:
	global_load_dword v3, v[0:1], off
	s_mov_b64 s[0:1], 0
	s_branch .LBB38_249
.LBB38_246:
	s_mov_b64 s[0:1], -1
                                        ; implicit-def: $vgpr3
	s_branch .LBB38_255
.LBB38_247:
	s_mov_b64 s[0:1], -1
                                        ; implicit-def: $vgpr3
	s_branch .LBB38_252
.LBB38_248:
	s_mov_b64 s[0:1], -1
                                        ; implicit-def: $vgpr3
.LBB38_249:
	s_andn2_b64 vcc, exec, s[0:1]
	s_cbranch_vccnz .LBB38_251
; %bb.250:
	global_load_dword v3, v[0:1], off
.LBB38_251:
	s_mov_b64 s[0:1], 0
.LBB38_252:
	s_andn2_b64 vcc, exec, s[0:1]
	s_cbranch_vccnz .LBB38_254
; %bb.253:
	global_load_sshort v3, v[0:1], off
.LBB38_254:
	s_mov_b64 s[0:1], 0
.LBB38_255:
	s_andn2_b64 vcc, exec, s[0:1]
	s_cbranch_vccnz .LBB38_261
; %bb.256:
	s_cmp_gt_i32 s20, 0
	s_cbranch_scc0 .LBB38_258
; %bb.257:
	global_load_sbyte v3, v[0:1], off
	s_mov_b64 s[0:1], 0
	s_branch .LBB38_259
.LBB38_258:
	s_mov_b64 s[0:1], -1
                                        ; implicit-def: $vgpr3
.LBB38_259:
	s_andn2_b64 vcc, exec, s[0:1]
	s_cbranch_vccnz .LBB38_261
; %bb.260:
	global_load_ubyte v3, v[0:1], off
.LBB38_261:
	s_branch .LBB38_11
.LBB38_262:
	s_mov_b64 s[0:1], 0
                                        ; implicit-def: $vgpr2
	s_mov_b64 s[20:21], 0
.LBB38_263:
	s_and_b64 s[6:7], s[0:1], exec
	s_and_b64 s[16:17], s[16:17], exec
	s_orn2_b64 s[20:21], s[20:21], exec
.LBB38_264:
	s_or_b64 exec, exec, s[18:19]
	s_mov_b64 s[24:25], 0
	s_mov_b64 s[0:1], 0
                                        ; implicit-def: $vgpr0_vgpr1
                                        ; implicit-def: $vgpr3
	s_and_saveexec_b64 s[18:19], s[20:21]
	s_cbranch_execz .LBB38_273
; %bb.265:
	v_cmp_gt_i32_e32 vcc, s40, v2
	s_mov_b64 s[0:1], -1
	s_mov_b64 s[20:21], s[16:17]
	s_mov_b64 s[22:23], s[6:7]
	s_and_saveexec_b64 s[24:25], vcc
	s_cbranch_execz .LBB38_537
; %bb.266:
	v_mul_lo_u32 v0, v2, s13
	v_mov_b32_e32 v1, s11
	s_and_b32 s26, 0xffff, s44
	s_cmp_lt_i32 s26, 11
	s_waitcnt vmcnt(0)
	v_ashrrev_i32_e32 v3, 31, v0
	v_add_co_u32_e32 v0, vcc, s10, v0
	v_addc_co_u32_e32 v1, vcc, v1, v3, vcc
	s_cbranch_scc1 .LBB38_276
; %bb.267:
	s_cmp_gt_i32 s26, 25
	s_cbranch_scc0 .LBB38_282
; %bb.268:
	s_cmp_gt_i32 s26, 28
	s_cbranch_scc0 .LBB38_286
	;; [unrolled: 3-line block ×4, first 2 shown]
; %bb.271:
	s_cmp_eq_u32 s26, 46
	s_mov_b64 s[22:23], 0
	s_cbranch_scc0 .LBB38_313
; %bb.272:
	global_load_dword v3, v[0:1], off
	s_mov_b64 s[20:21], 0
	s_waitcnt vmcnt(0)
	v_lshlrev_b32_e32 v3, 16, v3
	v_cvt_i32_f32_e32 v3, v3
	s_branch .LBB38_314
.LBB38_273:
	s_or_b64 exec, exec, s[18:19]
	s_mov_b64 s[18:19], 0
	s_and_saveexec_b64 s[20:21], s[16:17]
	s_cbranch_execnz .LBB38_892
.LBB38_274:
	s_or_b64 exec, exec, s[20:21]
	s_and_saveexec_b64 s[16:17], s[22:23]
	s_xor_b64 s[16:17], exec, s[16:17]
	s_cbranch_execz .LBB38_893
.LBB38_275:
	global_load_ubyte v3, v[0:1], off
	s_or_b64 s[0:1], s[0:1], exec
	s_waitcnt vmcnt(0)
	v_cmp_ne_u16_e32 vcc, 0, v3
	v_cndmask_b32_e64 v3, 0, 1, vcc
	s_or_b64 exec, exec, s[16:17]
	s_and_saveexec_b64 s[16:17], s[24:25]
	s_cbranch_execz .LBB38_939
	s_branch .LBB38_894
.LBB38_276:
	s_mov_b64 s[0:1], 0
                                        ; implicit-def: $vgpr3
	s_mov_b64 s[20:21], s[16:17]
	s_cbranch_execnz .LBB38_487
.LBB38_277:
	s_andn2_b64 vcc, exec, s[0:1]
	s_cbranch_vccnz .LBB38_535
.LBB38_278:
	s_cmp_lt_i32 s14, 1
	s_mov_b64 s[0:1], 0
	s_cbranch_scc1 .LBB38_283
; %bb.279:
	s_cmp_gt_i32 s14, 1
	s_cbranch_scc0 .LBB38_287
; %bb.280:
	s_cmp_eq_u32 s14, 2
	s_cbranch_scc0 .LBB38_289
; %bb.281:
	s_waitcnt vmcnt(0)
	v_cmp_ge_i32_e64 s[22:23], s15, v3
	s_mov_b64 s[26:27], 0
	s_branch .LBB38_290
.LBB38_282:
	s_mov_b64 s[22:23], -1
	s_mov_b64 s[0:1], 0
	s_mov_b64 s[20:21], s[16:17]
                                        ; implicit-def: $vgpr3
	s_branch .LBB38_453
.LBB38_283:
                                        ; implicit-def: $sgpr22_sgpr23
	s_mov_b64 s[26:27], 0
	s_cbranch_execnz .LBB38_294
.LBB38_284:
	s_andn2_b64 vcc, exec, s[26:27]
	s_cbranch_vccnz .LBB38_295
.LBB38_285:
	s_waitcnt vmcnt(0)
	v_cmp_gt_i32_e32 vcc, s15, v3
	s_andn2_b64 s[22:23], s[22:23], exec
	s_and_b64 s[26:27], vcc, exec
	s_or_b64 s[22:23], s[22:23], s[26:27]
	s_cbranch_execz .LBB38_296
	s_branch .LBB38_297
.LBB38_286:
	s_mov_b64 s[22:23], -1
	s_mov_b64 s[0:1], 0
	s_mov_b64 s[20:21], s[16:17]
                                        ; implicit-def: $vgpr3
	s_branch .LBB38_436
.LBB38_287:
	s_mov_b64 s[28:29], -1
	s_mov_b64 s[26:27], 0
                                        ; implicit-def: $sgpr22_sgpr23
	s_branch .LBB38_291
.LBB38_288:
	s_mov_b64 s[22:23], -1
	s_mov_b64 s[0:1], 0
	s_mov_b64 s[20:21], s[16:17]
                                        ; implicit-def: $vgpr3
	s_branch .LBB38_431
.LBB38_289:
	s_mov_b64 s[26:27], -1
                                        ; implicit-def: $sgpr22_sgpr23
.LBB38_290:
	s_mov_b64 s[28:29], 0
.LBB38_291:
	s_and_b64 vcc, exec, s[28:29]
	s_cbranch_vccz .LBB38_293
; %bb.292:
	s_waitcnt vmcnt(0)
	v_cmp_lt_i32_e32 vcc, s15, v3
	s_andn2_b64 s[22:23], s[22:23], exec
	s_and_b64 s[28:29], vcc, exec
	s_or_b64 s[22:23], s[22:23], s[28:29]
.LBB38_293:
	s_branch .LBB38_284
.LBB38_294:
	s_cmp_lg_u32 s14, 0
	s_mov_b64 s[0:1], -1
	s_cselect_b64 s[26:27], -1, 0
	s_andn2_b64 vcc, exec, s[26:27]
	s_cbranch_vccz .LBB38_285
.LBB38_295:
	s_andn2_b64 vcc, exec, s[0:1]
	s_cbranch_vccnz .LBB38_297
.LBB38_296:
	s_waitcnt vmcnt(0)
	v_cmp_le_i32_e32 vcc, s15, v3
	s_andn2_b64 s[0:1], s[22:23], exec
	s_and_b64 s[22:23], vcc, exec
	s_or_b64 s[22:23], s[0:1], s[22:23]
.LBB38_297:
	v_mul_lo_u32 v0, v2, s12
	v_mov_b32_e32 v1, s9
	s_and_b32 s34, s33, 0xff
	s_cmp_lt_i32 s34, 11
	s_waitcnt vmcnt(0)
	v_ashrrev_i32_e32 v3, 31, v0
	v_add_co_u32_e32 v0, vcc, s8, v0
	v_addc_co_u32_e32 v1, vcc, v1, v3, vcc
	s_cbranch_scc1 .LBB38_304
; %bb.298:
	s_and_b32 s35, 0xffff, s34
	s_cmp_gt_i32 s35, 25
	s_cbranch_scc0 .LBB38_305
; %bb.299:
	s_cmp_gt_i32 s35, 28
	s_cbranch_scc0 .LBB38_306
; %bb.300:
	;; [unrolled: 3-line block ×4, first 2 shown]
	s_mov_b64 s[28:29], 0
	s_mov_b64 s[0:1], -1
	s_cmp_eq_u32 s35, 46
	s_mov_b64 s[26:27], 0
	s_cbranch_scc0 .LBB38_318
; %bb.303:
	v_cndmask_b32_e64 v3, 0, 1.0, s[22:23]
	v_bfe_u32 v4, v3, 16, 1
	s_movk_i32 s0, 0x7fff
	v_add3_u32 v3, v3, v4, s0
	v_lshrrev_b32_e32 v3, 16, v3
	global_store_dword v[0:1], v3, off
	s_mov_b64 s[26:27], -1
	s_mov_b64 s[0:1], 0
	s_branch .LBB38_318
.LBB38_304:
	s_mov_b64 s[28:29], -1
	s_mov_b64 s[26:27], 0
	s_mov_b64 s[0:1], s[6:7]
	s_branch .LBB38_387
.LBB38_305:
	s_mov_b64 s[28:29], -1
	s_mov_b64 s[26:27], 0
	s_mov_b64 s[0:1], s[6:7]
	s_branch .LBB38_345
.LBB38_306:
	s_mov_b64 s[28:29], -1
	s_mov_b64 s[26:27], 0
	s_mov_b64 s[0:1], s[6:7]
	s_branch .LBB38_328
.LBB38_307:
	s_andn2_saveexec_b64 s[26:27], s[26:27]
	s_cbranch_execz .LBB38_71
.LBB38_308:
	v_add_f32_e32 v3, 0x46000000, v4
	v_and_b32_e32 v3, 0xff, v3
	v_cmp_ne_u32_e32 vcc, 0, v3
	s_andn2_b64 s[24:25], s[24:25], exec
	s_and_b64 s[30:31], vcc, exec
	s_or_b64 s[24:25], s[24:25], s[30:31]
	s_or_b64 exec, exec, s[26:27]
	v_mov_b32_e32 v5, 0
	s_and_saveexec_b64 s[26:27], s[24:25]
	s_cbranch_execnz .LBB38_72
	s_branch .LBB38_73
.LBB38_309:
	s_mov_b64 s[22:23], -1
	s_mov_b64 s[0:1], 0
	s_mov_b64 s[20:21], s[16:17]
                                        ; implicit-def: $vgpr3
	s_branch .LBB38_314
.LBB38_310:
	s_mov_b64 s[28:29], -1
	s_mov_b64 s[26:27], 0
	s_mov_b64 s[0:1], s[6:7]
	s_branch .LBB38_324
.LBB38_311:
	s_andn2_saveexec_b64 s[26:27], s[26:27]
	s_cbranch_execz .LBB38_84
.LBB38_312:
	v_add_f32_e32 v3, 0x42800000, v4
	v_and_b32_e32 v3, 0xff, v3
	v_cmp_ne_u32_e32 vcc, 0, v3
	s_andn2_b64 s[24:25], s[24:25], exec
	s_and_b64 s[30:31], vcc, exec
	s_or_b64 s[24:25], s[24:25], s[30:31]
	s_or_b64 exec, exec, s[26:27]
	v_mov_b32_e32 v5, 0
	s_and_saveexec_b64 s[26:27], s[24:25]
	s_cbranch_execnz .LBB38_85
	s_branch .LBB38_86
.LBB38_313:
	s_mov_b64 s[20:21], -1
                                        ; implicit-def: $vgpr3
	s_mov_b64 s[0:1], 0
.LBB38_314:
	s_and_b64 vcc, exec, s[22:23]
	s_cbranch_vccz .LBB38_430
; %bb.315:
	s_cmp_eq_u32 s26, 44
	s_cbranch_scc0 .LBB38_429
; %bb.316:
	global_load_ubyte v3, v[0:1], off
	s_mov_b64 s[0:1], -1
	s_mov_b64 s[20:21], 0
	s_waitcnt vmcnt(0)
	v_lshlrev_b32_e32 v4, 23, v3
	v_cvt_i32_f32_e32 v4, v4
	v_cmp_ne_u32_e32 vcc, 0, v3
	v_cndmask_b32_e32 v3, 0, v4, vcc
	s_branch .LBB38_430
.LBB38_317:
	s_mov_b64 s[28:29], -1
	s_mov_b64 s[26:27], 0
	s_mov_b64 s[0:1], s[6:7]
.LBB38_318:
	s_and_b64 vcc, exec, s[28:29]
	s_cbranch_vccz .LBB38_323
; %bb.319:
	s_cmp_eq_u32 s35, 44
	s_mov_b64 s[0:1], -1
	s_cbranch_scc0 .LBB38_323
; %bb.320:
	v_cndmask_b32_e64 v4, 0, 1.0, s[22:23]
	v_lshrrev_b32_e32 v3, 23, v4
	s_movk_i32 s0, 0xff
	v_cmp_ne_u32_e32 vcc, s0, v3
	v_mov_b32_e32 v5, 0xff
	s_and_saveexec_b64 s[26:27], vcc
; %bb.321:
	s_mov_b32 s0, 0x3fffff
	v_and_b32_e32 v5, 0x400000, v4
	v_and_or_b32 v4, v4, s0, v3
	v_cmp_ne_u32_e32 vcc, 0, v5
	v_cmp_ne_u32_e64 s[0:1], 0, v4
	s_and_b64 s[0:1], vcc, s[0:1]
	v_cndmask_b32_e64 v4, 0, 1, s[0:1]
	v_add_u32_e32 v5, v3, v4
; %bb.322:
	s_or_b64 exec, exec, s[26:27]
	s_mov_b64 s[26:27], -1
	s_mov_b64 s[0:1], 0
	global_store_byte v[0:1], v5, off
.LBB38_323:
	s_mov_b64 s[28:29], 0
.LBB38_324:
	s_and_b64 vcc, exec, s[28:29]
	s_cbranch_vccz .LBB38_327
; %bb.325:
	s_cmp_eq_u32 s35, 29
	s_mov_b64 s[0:1], -1
	s_cbranch_scc0 .LBB38_327
; %bb.326:
	s_mov_b32 s0, 0
	v_cndmask_b32_e64 v3, 0, 1, s[22:23]
	v_mov_b32_e32 v4, s0
	global_store_dwordx2 v[0:1], v[3:4], off
	s_mov_b64 s[26:27], -1
	s_mov_b64 s[0:1], 0
.LBB38_327:
	s_mov_b64 s[28:29], 0
.LBB38_328:
	s_and_b64 vcc, exec, s[28:29]
	s_cbranch_vccz .LBB38_344
; %bb.329:
	s_cmp_lt_i32 s35, 27
	s_mov_b64 s[26:27], -1
	s_cbranch_scc1 .LBB38_335
; %bb.330:
	s_cmp_gt_i32 s35, 27
	s_cbranch_scc0 .LBB38_332
; %bb.331:
	v_cndmask_b32_e64 v3, 0, 1, s[22:23]
	s_mov_b64 s[26:27], 0
	global_store_dword v[0:1], v3, off
.LBB38_332:
	s_andn2_b64 vcc, exec, s[26:27]
	s_cbranch_vccnz .LBB38_334
; %bb.333:
	v_cndmask_b32_e64 v3, 0, 1, s[22:23]
	global_store_short v[0:1], v3, off
.LBB38_334:
	s_mov_b64 s[26:27], 0
.LBB38_335:
	s_andn2_b64 vcc, exec, s[26:27]
	s_cbranch_vccnz .LBB38_343
; %bb.336:
	v_cndmask_b32_e64 v4, 0, 1.0, s[22:23]
	s_mov_b32 s26, 0x43800000
	v_cmp_gt_u32_e32 vcc, s26, v4
	v_mov_b32_e32 v5, 0x80
	s_and_saveexec_b64 s[26:27], vcc
	s_cbranch_execz .LBB38_342
; %bb.337:
	s_mov_b32 s28, 0x3bffffff
	v_cmp_lt_u32_e32 vcc, s28, v4
	s_mov_b64 s[28:29], 0
                                        ; implicit-def: $vgpr3
	s_and_saveexec_b64 s[30:31], vcc
	s_xor_b64 s[30:31], exec, s[30:31]
	s_cbranch_execz .LBB38_550
; %bb.338:
	v_bfe_u32 v3, v4, 20, 1
	s_mov_b32 s36, 0x487ffff
	v_add3_u32 v3, v4, v3, s36
	s_mov_b64 s[28:29], exec
	v_lshrrev_b32_e32 v3, 20, v3
                                        ; implicit-def: $vgpr4
	s_andn2_saveexec_b64 s[30:31], s[30:31]
	s_cbranch_execnz .LBB38_551
.LBB38_339:
	s_or_b64 exec, exec, s[30:31]
	v_mov_b32_e32 v5, 0
	s_and_saveexec_b64 s[30:31], s[28:29]
.LBB38_340:
	v_mov_b32_e32 v5, v3
.LBB38_341:
	s_or_b64 exec, exec, s[30:31]
.LBB38_342:
	s_or_b64 exec, exec, s[26:27]
	global_store_byte v[0:1], v5, off
.LBB38_343:
	s_mov_b64 s[26:27], -1
.LBB38_344:
	s_mov_b64 s[28:29], 0
.LBB38_345:
	s_and_b64 vcc, exec, s[28:29]
	s_cbranch_vccz .LBB38_386
; %bb.346:
	s_cmp_gt_i32 s35, 22
	s_mov_b64 s[28:29], -1
	s_cbranch_scc0 .LBB38_378
; %bb.347:
	s_cmp_lt_i32 s35, 24
	s_mov_b64 s[26:27], -1
	s_cbranch_scc1 .LBB38_367
; %bb.348:
	s_cmp_gt_i32 s35, 24
	s_cbranch_scc0 .LBB38_356
; %bb.349:
	v_cndmask_b32_e64 v4, 0, 1.0, s[22:23]
	s_mov_b32 s26, 0x47800000
	v_cmp_gt_u32_e32 vcc, s26, v4
	v_mov_b32_e32 v5, 0x80
	s_and_saveexec_b64 s[26:27], vcc
	s_cbranch_execz .LBB38_355
; %bb.350:
	s_mov_b32 s28, 0x37ffffff
	v_cmp_lt_u32_e32 vcc, s28, v4
	s_mov_b64 s[28:29], 0
                                        ; implicit-def: $vgpr3
	s_and_saveexec_b64 s[30:31], vcc
	s_xor_b64 s[30:31], exec, s[30:31]
	s_cbranch_execz .LBB38_553
; %bb.351:
	v_bfe_u32 v3, v4, 21, 1
	s_mov_b32 s36, 0x88fffff
	v_add3_u32 v3, v4, v3, s36
	s_mov_b64 s[28:29], exec
	v_lshrrev_b32_e32 v3, 21, v3
                                        ; implicit-def: $vgpr4
	s_andn2_saveexec_b64 s[30:31], s[30:31]
	s_cbranch_execnz .LBB38_554
.LBB38_352:
	s_or_b64 exec, exec, s[30:31]
	v_mov_b32_e32 v5, 0
	s_and_saveexec_b64 s[30:31], s[28:29]
.LBB38_353:
	v_mov_b32_e32 v5, v3
.LBB38_354:
	s_or_b64 exec, exec, s[30:31]
.LBB38_355:
	s_or_b64 exec, exec, s[26:27]
	s_mov_b64 s[26:27], 0
	global_store_byte v[0:1], v5, off
.LBB38_356:
	s_and_b64 vcc, exec, s[26:27]
	s_cbranch_vccz .LBB38_366
; %bb.357:
	v_cndmask_b32_e64 v3, 0, 1.0, s[22:23]
	s_mov_b32 s26, 0x43f00000
	v_cmp_gt_u32_e32 vcc, s26, v3
                                        ; implicit-def: $vgpr4
	s_and_saveexec_b64 s[26:27], vcc
	s_xor_b64 s[26:27], exec, s[26:27]
	s_cbranch_execz .LBB38_363
; %bb.358:
	s_mov_b32 s28, 0x3c7fffff
	v_cmp_lt_u32_e32 vcc, s28, v3
                                        ; implicit-def: $vgpr4
	s_and_saveexec_b64 s[28:29], vcc
	s_xor_b64 s[28:29], exec, s[28:29]
; %bb.359:
	v_bfe_u32 v4, v3, 20, 1
	s_mov_b32 s30, 0x407ffff
	v_add3_u32 v3, v3, v4, s30
	v_lshrrev_b32_e32 v4, 20, v3
	v_and_b32_e32 v3, 0xff00000, v3
	s_mov_b32 s30, 0x7f00000
	v_mov_b32_e32 v5, 0x7e
	v_cmp_ne_u32_e32 vcc, s30, v3
	v_cndmask_b32_e32 v4, v5, v4, vcc
                                        ; implicit-def: $vgpr3
; %bb.360:
	s_andn2_saveexec_b64 s[28:29], s[28:29]
; %bb.361:
	v_add_f32_e32 v4, 0x46800000, v3
; %bb.362:
	s_or_b64 exec, exec, s[28:29]
                                        ; implicit-def: $vgpr3
.LBB38_363:
	s_andn2_saveexec_b64 s[26:27], s[26:27]
; %bb.364:
	s_mov_b32 s28, 0x7f800000
	v_mov_b32_e32 v4, 0x7e
	v_mov_b32_e32 v5, 0x7f
	v_cmp_lt_u32_e32 vcc, s28, v3
	v_cndmask_b32_e32 v4, v4, v5, vcc
; %bb.365:
	s_or_b64 exec, exec, s[26:27]
	global_store_byte v[0:1], v4, off
.LBB38_366:
	s_mov_b64 s[26:27], 0
.LBB38_367:
	s_andn2_b64 vcc, exec, s[26:27]
	s_cbranch_vccnz .LBB38_377
; %bb.368:
	v_cndmask_b32_e64 v3, 0, 1.0, s[22:23]
	s_mov_b32 s26, 0x47800000
	v_cmp_gt_u32_e32 vcc, s26, v3
                                        ; implicit-def: $vgpr4
	s_and_saveexec_b64 s[26:27], vcc
	s_xor_b64 s[26:27], exec, s[26:27]
	s_cbranch_execz .LBB38_374
; %bb.369:
	s_mov_b32 s28, 0x387fffff
	v_cmp_lt_u32_e32 vcc, s28, v3
                                        ; implicit-def: $vgpr4
	s_and_saveexec_b64 s[28:29], vcc
	s_xor_b64 s[28:29], exec, s[28:29]
; %bb.370:
	v_bfe_u32 v4, v3, 21, 1
	s_mov_b32 s30, 0x80fffff
	v_add3_u32 v3, v3, v4, s30
	v_lshrrev_b32_e32 v4, 21, v3
                                        ; implicit-def: $vgpr3
; %bb.371:
	s_andn2_saveexec_b64 s[28:29], s[28:29]
; %bb.372:
	v_add_f32_e32 v4, 0x43000000, v3
; %bb.373:
	s_or_b64 exec, exec, s[28:29]
                                        ; implicit-def: $vgpr3
.LBB38_374:
	s_andn2_saveexec_b64 s[26:27], s[26:27]
; %bb.375:
	s_mov_b32 s28, 0x7f800000
	v_mov_b32_e32 v4, 0x7c
	v_mov_b32_e32 v5, 0x7f
	v_cmp_lt_u32_e32 vcc, s28, v3
	v_cndmask_b32_e32 v4, v4, v5, vcc
; %bb.376:
	s_or_b64 exec, exec, s[26:27]
	global_store_byte v[0:1], v4, off
.LBB38_377:
	s_mov_b64 s[28:29], 0
	s_mov_b64 s[26:27], -1
.LBB38_378:
	s_andn2_b64 vcc, exec, s[28:29]
	s_cbranch_vccnz .LBB38_386
; %bb.379:
	s_cmp_gt_i32 s35, 14
	s_mov_b64 s[28:29], -1
	s_cbranch_scc0 .LBB38_383
; %bb.380:
	s_cmp_eq_u32 s35, 15
	s_mov_b64 s[0:1], -1
	s_cbranch_scc0 .LBB38_382
; %bb.381:
	v_cndmask_b32_e64 v3, 0, 1.0, s[22:23]
	v_bfe_u32 v4, v3, 16, 1
	s_movk_i32 s0, 0x7fff
	v_add3_u32 v3, v3, v4, s0
	global_store_short_d16_hi v[0:1], v3, off
	s_mov_b64 s[26:27], -1
	s_mov_b64 s[0:1], 0
.LBB38_382:
	s_mov_b64 s[28:29], 0
.LBB38_383:
	s_and_b64 vcc, exec, s[28:29]
	s_cbranch_vccz .LBB38_386
; %bb.384:
	s_cmp_eq_u32 s35, 11
	s_mov_b64 s[0:1], -1
	s_cbranch_scc0 .LBB38_386
; %bb.385:
	v_cndmask_b32_e64 v3, 0, 1, s[22:23]
	s_mov_b64 s[26:27], -1
	s_mov_b64 s[0:1], 0
	global_store_byte v[0:1], v3, off
.LBB38_386:
	s_mov_b64 s[28:29], 0
.LBB38_387:
	s_and_b64 vcc, exec, s[28:29]
	s_cbranch_vccz .LBB38_426
; %bb.388:
	s_and_b32 s28, 0xffff, s34
	s_cmp_lt_i32 s28, 5
	s_mov_b64 s[26:27], -1
	s_cbranch_scc1 .LBB38_409
; %bb.389:
	s_cmp_lt_i32 s28, 8
	s_cbranch_scc1 .LBB38_399
; %bb.390:
	s_cmp_lt_i32 s28, 9
	s_cbranch_scc1 .LBB38_396
; %bb.391:
	s_cmp_gt_i32 s28, 9
	s_cbranch_scc0 .LBB38_393
; %bb.392:
	v_cndmask_b32_e64 v3, 0, 1, s[22:23]
	v_cvt_f64_u32_e32 v[3:4], v3
	v_mov_b32_e32 v5, 0
	v_mov_b32_e32 v6, v5
	s_mov_b64 s[26:27], 0
	global_store_dwordx4 v[0:1], v[3:6], off
.LBB38_393:
	s_andn2_b64 vcc, exec, s[26:27]
	s_cbranch_vccnz .LBB38_395
; %bb.394:
	v_cndmask_b32_e64 v3, 0, 1.0, s[22:23]
	v_mov_b32_e32 v4, 0
	global_store_dwordx2 v[0:1], v[3:4], off
.LBB38_395:
	s_mov_b64 s[26:27], 0
.LBB38_396:
	s_andn2_b64 vcc, exec, s[26:27]
	s_cbranch_vccnz .LBB38_398
; %bb.397:
	v_cndmask_b32_e64 v3, 0, 1.0, s[22:23]
	v_cvt_f16_f32_e32 v3, v3
	global_store_dword v[0:1], v3, off
.LBB38_398:
	s_mov_b64 s[26:27], 0
.LBB38_399:
	s_andn2_b64 vcc, exec, s[26:27]
	s_cbranch_vccnz .LBB38_408
; %bb.400:
	s_cmp_lt_i32 s28, 6
	s_mov_b64 s[26:27], -1
	s_cbranch_scc1 .LBB38_406
; %bb.401:
	s_cmp_gt_i32 s28, 6
	s_cbranch_scc0 .LBB38_403
; %bb.402:
	v_cndmask_b32_e64 v3, 0, 1, s[22:23]
	v_cvt_f64_u32_e32 v[3:4], v3
	s_mov_b64 s[26:27], 0
	global_store_dwordx2 v[0:1], v[3:4], off
.LBB38_403:
	s_andn2_b64 vcc, exec, s[26:27]
	s_cbranch_vccnz .LBB38_405
; %bb.404:
	v_cndmask_b32_e64 v3, 0, 1.0, s[22:23]
	global_store_dword v[0:1], v3, off
.LBB38_405:
	s_mov_b64 s[26:27], 0
.LBB38_406:
	s_andn2_b64 vcc, exec, s[26:27]
	s_cbranch_vccnz .LBB38_408
; %bb.407:
	v_cndmask_b32_e64 v3, 0, 1.0, s[22:23]
	v_cvt_f16_f32_e32 v3, v3
	global_store_short v[0:1], v3, off
.LBB38_408:
	s_mov_b64 s[26:27], 0
.LBB38_409:
	s_andn2_b64 vcc, exec, s[26:27]
	s_cbranch_vccnz .LBB38_425
; %bb.410:
	s_cmp_lt_i32 s28, 2
	s_mov_b64 s[26:27], -1
	s_cbranch_scc1 .LBB38_420
; %bb.411:
	s_cmp_lt_i32 s28, 3
	s_cbranch_scc1 .LBB38_417
; %bb.412:
	s_cmp_gt_i32 s28, 3
	s_cbranch_scc0 .LBB38_414
; %bb.413:
	s_mov_b32 s26, 0
	v_cndmask_b32_e64 v3, 0, 1, s[22:23]
	v_mov_b32_e32 v4, s26
	s_mov_b64 s[26:27], 0
	global_store_dwordx2 v[0:1], v[3:4], off
.LBB38_414:
	s_andn2_b64 vcc, exec, s[26:27]
	s_cbranch_vccnz .LBB38_416
; %bb.415:
	v_cndmask_b32_e64 v3, 0, 1, s[22:23]
	global_store_dword v[0:1], v3, off
.LBB38_416:
	s_mov_b64 s[26:27], 0
.LBB38_417:
	s_andn2_b64 vcc, exec, s[26:27]
	s_cbranch_vccnz .LBB38_419
; %bb.418:
	v_cndmask_b32_e64 v3, 0, 1, s[22:23]
	global_store_short v[0:1], v3, off
.LBB38_419:
	s_mov_b64 s[26:27], 0
.LBB38_420:
	s_andn2_b64 vcc, exec, s[26:27]
	s_cbranch_vccnz .LBB38_425
; %bb.421:
	s_mov_b64 s[26:27], -1
	s_cmp_gt_i32 s28, 0
	v_cndmask_b32_e64 v3, 0, 1, s[22:23]
	s_cbranch_scc0 .LBB38_423
; %bb.422:
	s_mov_b64 s[26:27], 0
	global_store_byte v[0:1], v3, off
.LBB38_423:
	s_andn2_b64 vcc, exec, s[26:27]
	s_cbranch_vccnz .LBB38_425
; %bb.424:
	global_store_byte v[0:1], v3, off
.LBB38_425:
	s_mov_b64 s[26:27], -1
.LBB38_426:
	s_andn2_b64 vcc, exec, s[26:27]
	s_cbranch_vccnz .LBB38_428
; %bb.427:
	v_add_u32_e32 v2, 0x80, v2
	s_mov_b64 s[26:27], -1
	s_branch .LBB38_536
.LBB38_428:
	s_mov_b64 s[26:27], 0
                                        ; implicit-def: $vgpr2
	s_branch .LBB38_536
.LBB38_429:
	s_mov_b64 s[20:21], -1
                                        ; implicit-def: $vgpr3
.LBB38_430:
	s_mov_b64 s[22:23], 0
.LBB38_431:
	s_and_b64 vcc, exec, s[22:23]
	s_cbranch_vccz .LBB38_435
; %bb.432:
	s_cmp_eq_u32 s26, 29
	s_cbranch_scc0 .LBB38_434
; %bb.433:
	global_load_dword v3, v[0:1], off
	s_mov_b64 s[0:1], -1
	s_mov_b64 s[20:21], 0
	s_branch .LBB38_435
.LBB38_434:
	s_mov_b64 s[20:21], -1
                                        ; implicit-def: $vgpr3
.LBB38_435:
	s_mov_b64 s[22:23], 0
.LBB38_436:
	s_and_b64 vcc, exec, s[22:23]
	s_cbranch_vccz .LBB38_452
; %bb.437:
	s_cmp_lt_i32 s26, 27
	s_cbranch_scc1 .LBB38_440
; %bb.438:
	s_cmp_gt_i32 s26, 27
	s_cbranch_scc0 .LBB38_441
; %bb.439:
	global_load_dword v3, v[0:1], off
	s_mov_b64 s[0:1], 0
	s_branch .LBB38_442
.LBB38_440:
	s_mov_b64 s[0:1], -1
                                        ; implicit-def: $vgpr3
	s_branch .LBB38_445
.LBB38_441:
	s_mov_b64 s[0:1], -1
                                        ; implicit-def: $vgpr3
.LBB38_442:
	s_andn2_b64 vcc, exec, s[0:1]
	s_cbranch_vccnz .LBB38_444
; %bb.443:
	global_load_ushort v3, v[0:1], off
.LBB38_444:
	s_mov_b64 s[0:1], 0
.LBB38_445:
	s_andn2_b64 vcc, exec, s[0:1]
	s_cbranch_vccnz .LBB38_451
; %bb.446:
	global_load_ubyte v4, v[0:1], off
	s_movk_i32 s0, 0x7f
	s_mov_b64 s[22:23], 0
	s_waitcnt vmcnt(0)
	v_cmp_lt_i16_e32 vcc, s0, v4
	s_and_saveexec_b64 s[0:1], vcc
	s_xor_b64 s[0:1], exec, s[0:1]
	s_cbranch_execz .LBB38_463
; %bb.447:
	s_movk_i32 s22, 0x80
	v_cmp_ne_u16_e32 vcc, s22, v4
	s_and_b64 s[22:23], vcc, exec
	s_andn2_saveexec_b64 s[0:1], s[0:1]
	s_cbranch_execnz .LBB38_464
.LBB38_448:
	s_or_b64 exec, exec, s[0:1]
	v_mov_b32_e32 v3, 0
	s_and_saveexec_b64 s[0:1], s[22:23]
	s_cbranch_execz .LBB38_450
.LBB38_449:
	v_lshlrev_b32_e32 v3, 24, v4
	v_and_b32_e32 v4, 0xffff, v4
	v_and_b32_e32 v5, 7, v4
	v_ffbh_u32_e32 v7, v5
	v_min_u32_e32 v7, 32, v7
	v_subrev_u32_e32 v8, 28, v7
	v_bfe_u32 v6, v4, 3, 4
	v_lshlrev_b32_e32 v4, v8, v4
	v_sub_u32_e32 v7, 29, v7
	v_and_b32_e32 v4, 7, v4
	v_cmp_eq_u32_e32 vcc, 0, v6
	v_cndmask_b32_e32 v6, v6, v7, vcc
	v_cndmask_b32_e32 v4, v5, v4, vcc
	v_mov_b32_e32 v5, 0x3b800000
	v_lshlrev_b32_e32 v4, 20, v4
	v_and_b32_e32 v3, 0x80000000, v3
	v_lshl_add_u32 v5, v6, 23, v5
	v_or3_b32 v3, v3, v5, v4
	v_cvt_i32_f32_e32 v3, v3
.LBB38_450:
	s_or_b64 exec, exec, s[0:1]
.LBB38_451:
	s_mov_b64 s[0:1], -1
.LBB38_452:
	s_mov_b64 s[22:23], 0
.LBB38_453:
	s_and_b64 vcc, exec, s[22:23]
	s_cbranch_vccz .LBB38_486
; %bb.454:
	s_cmp_gt_i32 s26, 22
	s_cbranch_scc0 .LBB38_462
; %bb.455:
	s_cmp_lt_i32 s26, 24
	s_cbranch_scc1 .LBB38_465
; %bb.456:
	s_cmp_gt_i32 s26, 24
	s_cbranch_scc0 .LBB38_466
; %bb.457:
	global_load_ubyte v4, v[0:1], off
	s_movk_i32 s0, 0x7f
	s_mov_b64 s[22:23], 0
	s_waitcnt vmcnt(0)
	v_cmp_lt_i16_e32 vcc, s0, v4
	s_and_saveexec_b64 s[0:1], vcc
	s_xor_b64 s[0:1], exec, s[0:1]
	s_cbranch_execz .LBB38_478
; %bb.458:
	s_movk_i32 s22, 0x80
	v_cmp_ne_u16_e32 vcc, s22, v4
	s_and_b64 s[22:23], vcc, exec
	s_andn2_saveexec_b64 s[0:1], s[0:1]
	s_cbranch_execnz .LBB38_479
.LBB38_459:
	s_or_b64 exec, exec, s[0:1]
	v_mov_b32_e32 v3, 0
	s_and_saveexec_b64 s[0:1], s[22:23]
	s_cbranch_execz .LBB38_461
.LBB38_460:
	v_lshlrev_b32_e32 v3, 24, v4
	v_and_b32_e32 v4, 0xffff, v4
	v_and_b32_e32 v5, 3, v4
	v_ffbh_u32_e32 v7, v5
	v_min_u32_e32 v7, 32, v7
	v_subrev_u32_e32 v8, 29, v7
	v_bfe_u32 v6, v4, 2, 5
	v_lshlrev_b32_e32 v4, v8, v4
	v_sub_u32_e32 v7, 30, v7
	v_and_b32_e32 v4, 3, v4
	v_cmp_eq_u32_e32 vcc, 0, v6
	v_cndmask_b32_e32 v6, v6, v7, vcc
	v_cndmask_b32_e32 v4, v5, v4, vcc
	v_mov_b32_e32 v5, 0x37800000
	v_lshlrev_b32_e32 v4, 21, v4
	v_and_b32_e32 v3, 0x80000000, v3
	v_lshl_add_u32 v5, v6, 23, v5
	v_or3_b32 v3, v3, v5, v4
	v_cvt_i32_f32_e32 v3, v3
.LBB38_461:
	s_or_b64 exec, exec, s[0:1]
	s_mov_b64 s[0:1], 0
	s_branch .LBB38_467
.LBB38_462:
	s_mov_b64 s[22:23], -1
                                        ; implicit-def: $vgpr3
	s_branch .LBB38_473
.LBB38_463:
	s_andn2_saveexec_b64 s[0:1], s[0:1]
	s_cbranch_execz .LBB38_448
.LBB38_464:
	v_cmp_ne_u16_e32 vcc, 0, v4
	s_andn2_b64 s[22:23], s[22:23], exec
	s_and_b64 s[28:29], vcc, exec
	s_or_b64 s[22:23], s[22:23], s[28:29]
	s_or_b64 exec, exec, s[0:1]
	v_mov_b32_e32 v3, 0
	s_and_saveexec_b64 s[0:1], s[22:23]
	s_cbranch_execnz .LBB38_449
	s_branch .LBB38_450
.LBB38_465:
	s_mov_b64 s[0:1], -1
                                        ; implicit-def: $vgpr3
	s_branch .LBB38_470
.LBB38_466:
	s_mov_b64 s[0:1], -1
                                        ; implicit-def: $vgpr3
.LBB38_467:
	s_and_b64 vcc, exec, s[0:1]
	s_cbranch_vccz .LBB38_469
; %bb.468:
	global_load_ubyte v3, v[0:1], off
	s_mov_b32 s0, 0x7f800000
	s_waitcnt vmcnt(0)
	v_lshlrev_b32_e32 v3, 24, v3
	v_and_b32_e32 v4, 0x7f000000, v3
	v_ffbh_u32_e32 v5, v4
	v_min_u32_e32 v5, 32, v5
	v_sub_u32_e64 v5, v5, 4 clamp
	v_lshlrev_b32_e32 v7, v5, v4
	v_lshlrev_b32_e32 v5, 23, v5
	v_lshrrev_b32_e32 v7, 4, v7
	v_add_u32_e32 v6, 0x1000000, v4
	v_sub_u32_e32 v5, v7, v5
	v_ashrrev_i32_e32 v6, 8, v6
	v_add_u32_e32 v5, 0x3c000000, v5
	v_and_or_b32 v5, v6, s0, v5
	v_cmp_ne_u32_e32 vcc, 0, v4
	v_cndmask_b32_e32 v4, 0, v5, vcc
	s_brev_b32 s0, 1
	v_and_or_b32 v3, v3, s0, v4
	v_cvt_i32_f32_e32 v3, v3
.LBB38_469:
	s_mov_b64 s[0:1], 0
.LBB38_470:
	s_andn2_b64 vcc, exec, s[0:1]
	s_cbranch_vccnz .LBB38_472
; %bb.471:
	global_load_ubyte v3, v[0:1], off
	s_movk_i32 s0, 0x7f00
	s_brev_b32 s1, 16
	s_waitcnt vmcnt(0)
	v_lshlrev_b16_e32 v4, 8, v3
	v_lshlrev_b32_e32 v3, 25, v3
	v_lshrrev_b32_e32 v5, 4, v3
	v_and_or_b32 v6, v4, s0, 0.5
	v_or_b32_e32 v5, 0x70000000, v5
	v_add_f32_e32 v6, -0.5, v6
	v_mul_f32_e32 v5, 0x7800000, v5
	v_cmp_gt_u32_e32 vcc, s1, v3
	v_bfe_i32 v4, v4, 0, 16
	v_cndmask_b32_e32 v3, v5, v6, vcc
	s_brev_b32 s0, 1
	v_and_or_b32 v3, v4, s0, v3
	v_cvt_i32_f32_e32 v3, v3
.LBB38_472:
	s_mov_b64 s[22:23], 0
	s_mov_b64 s[0:1], -1
.LBB38_473:
	s_andn2_b64 vcc, exec, s[22:23]
	s_cbranch_vccnz .LBB38_486
; %bb.474:
	s_cmp_gt_i32 s26, 14
	s_cbranch_scc0 .LBB38_477
; %bb.475:
	s_cmp_eq_u32 s26, 15
	s_cbranch_scc0 .LBB38_480
; %bb.476:
	global_load_ushort v3, v[0:1], off
	s_mov_b64 s[0:1], -1
	s_mov_b64 s[20:21], 0
	s_waitcnt vmcnt(0)
	v_lshlrev_b32_e32 v3, 16, v3
	v_cvt_i32_f32_e32 v3, v3
	s_branch .LBB38_481
.LBB38_477:
	s_mov_b64 s[22:23], -1
                                        ; implicit-def: $vgpr3
	s_branch .LBB38_482
.LBB38_478:
	s_andn2_saveexec_b64 s[0:1], s[0:1]
	s_cbranch_execz .LBB38_459
.LBB38_479:
	v_cmp_ne_u16_e32 vcc, 0, v4
	s_andn2_b64 s[22:23], s[22:23], exec
	s_and_b64 s[28:29], vcc, exec
	s_or_b64 s[22:23], s[22:23], s[28:29]
	s_or_b64 exec, exec, s[0:1]
	v_mov_b32_e32 v3, 0
	s_and_saveexec_b64 s[0:1], s[22:23]
	s_cbranch_execnz .LBB38_460
	s_branch .LBB38_461
.LBB38_480:
	s_mov_b64 s[20:21], -1
                                        ; implicit-def: $vgpr3
.LBB38_481:
	s_mov_b64 s[22:23], 0
.LBB38_482:
	s_and_b64 vcc, exec, s[22:23]
	s_cbranch_vccz .LBB38_486
; %bb.483:
	s_cmp_eq_u32 s26, 11
	s_cbranch_scc0 .LBB38_485
; %bb.484:
	global_load_ubyte v3, v[0:1], off
	s_mov_b64 s[0:1], -1
	s_mov_b64 s[20:21], 0
	s_waitcnt vmcnt(0)
	v_cmp_ne_u16_e32 vcc, 0, v3
	v_cndmask_b32_e64 v3, 0, 1, vcc
	s_branch .LBB38_486
.LBB38_485:
	s_mov_b64 s[20:21], -1
                                        ; implicit-def: $vgpr3
.LBB38_486:
	s_branch .LBB38_277
.LBB38_487:
	s_cmp_lt_i32 s26, 5
	s_cbranch_scc1 .LBB38_492
; %bb.488:
	s_cmp_lt_i32 s26, 8
	s_cbranch_scc1 .LBB38_493
; %bb.489:
	;; [unrolled: 3-line block ×3, first 2 shown]
	s_cmp_gt_i32 s26, 9
	s_cbranch_scc0 .LBB38_495
; %bb.491:
	global_load_dwordx2 v[3:4], v[0:1], off
	s_mov_b64 s[0:1], 0
	s_waitcnt vmcnt(0)
	v_cvt_i32_f64_e32 v3, v[3:4]
	s_branch .LBB38_496
.LBB38_492:
	s_mov_b64 s[0:1], -1
                                        ; implicit-def: $vgpr3
	s_branch .LBB38_514
.LBB38_493:
	s_mov_b64 s[0:1], -1
                                        ; implicit-def: $vgpr3
	s_branch .LBB38_502
.LBB38_494:
	s_mov_b64 s[0:1], -1
                                        ; implicit-def: $vgpr3
	s_branch .LBB38_499
.LBB38_495:
	s_mov_b64 s[0:1], -1
                                        ; implicit-def: $vgpr3
.LBB38_496:
	s_andn2_b64 vcc, exec, s[0:1]
	s_cbranch_vccnz .LBB38_498
; %bb.497:
	global_load_dword v3, v[0:1], off
	s_waitcnt vmcnt(0)
	v_cvt_i32_f32_e32 v3, v3
.LBB38_498:
	s_mov_b64 s[0:1], 0
.LBB38_499:
	s_andn2_b64 vcc, exec, s[0:1]
	s_cbranch_vccnz .LBB38_501
; %bb.500:
	global_load_dword v3, v[0:1], off
	s_waitcnt vmcnt(0)
	v_cvt_f32_f16_e32 v3, v3
	v_cvt_i32_f32_e32 v3, v3
.LBB38_501:
	s_mov_b64 s[0:1], 0
.LBB38_502:
	s_andn2_b64 vcc, exec, s[0:1]
	s_cbranch_vccnz .LBB38_513
; %bb.503:
	s_cmp_lt_i32 s26, 6
	s_cbranch_scc1 .LBB38_506
; %bb.504:
	s_cmp_gt_i32 s26, 6
	s_cbranch_scc0 .LBB38_507
; %bb.505:
	global_load_dwordx2 v[3:4], v[0:1], off
	s_mov_b64 s[0:1], 0
	s_waitcnt vmcnt(0)
	v_cvt_i32_f64_e32 v3, v[3:4]
	s_branch .LBB38_508
.LBB38_506:
	s_mov_b64 s[0:1], -1
                                        ; implicit-def: $vgpr3
	s_branch .LBB38_511
.LBB38_507:
	s_mov_b64 s[0:1], -1
                                        ; implicit-def: $vgpr3
.LBB38_508:
	s_andn2_b64 vcc, exec, s[0:1]
	s_cbranch_vccnz .LBB38_510
; %bb.509:
	global_load_dword v3, v[0:1], off
	s_waitcnt vmcnt(0)
	v_cvt_i32_f32_e32 v3, v3
.LBB38_510:
	s_mov_b64 s[0:1], 0
.LBB38_511:
	s_andn2_b64 vcc, exec, s[0:1]
	s_cbranch_vccnz .LBB38_513
; %bb.512:
	global_load_ushort v3, v[0:1], off
	s_waitcnt vmcnt(0)
	v_cvt_f32_f16_e32 v3, v3
	v_cvt_i32_f32_e32 v3, v3
.LBB38_513:
	s_mov_b64 s[0:1], 0
.LBB38_514:
	s_andn2_b64 vcc, exec, s[0:1]
	s_cbranch_vccnz .LBB38_534
; %bb.515:
	s_cmp_lt_i32 s26, 2
	s_cbranch_scc1 .LBB38_519
; %bb.516:
	s_cmp_lt_i32 s26, 3
	s_cbranch_scc1 .LBB38_520
; %bb.517:
	s_cmp_gt_i32 s26, 3
	s_cbranch_scc0 .LBB38_521
; %bb.518:
	global_load_dword v3, v[0:1], off
	s_mov_b64 s[0:1], 0
	s_branch .LBB38_522
.LBB38_519:
	s_mov_b64 s[0:1], -1
                                        ; implicit-def: $vgpr3
	s_branch .LBB38_528
.LBB38_520:
	s_mov_b64 s[0:1], -1
                                        ; implicit-def: $vgpr3
	s_branch .LBB38_525
.LBB38_521:
	s_mov_b64 s[0:1], -1
                                        ; implicit-def: $vgpr3
.LBB38_522:
	s_andn2_b64 vcc, exec, s[0:1]
	s_cbranch_vccnz .LBB38_524
; %bb.523:
	global_load_dword v3, v[0:1], off
.LBB38_524:
	s_mov_b64 s[0:1], 0
.LBB38_525:
	s_andn2_b64 vcc, exec, s[0:1]
	s_cbranch_vccnz .LBB38_527
; %bb.526:
	global_load_sshort v3, v[0:1], off
.LBB38_527:
	s_mov_b64 s[0:1], 0
.LBB38_528:
	s_andn2_b64 vcc, exec, s[0:1]
	s_cbranch_vccnz .LBB38_534
; %bb.529:
	s_cmp_gt_i32 s26, 0
	s_cbranch_scc0 .LBB38_531
; %bb.530:
	global_load_sbyte v3, v[0:1], off
	s_mov_b64 s[0:1], 0
	s_branch .LBB38_532
.LBB38_531:
	s_mov_b64 s[0:1], -1
                                        ; implicit-def: $vgpr3
.LBB38_532:
	s_andn2_b64 vcc, exec, s[0:1]
	s_cbranch_vccnz .LBB38_534
; %bb.533:
	global_load_ubyte v3, v[0:1], off
.LBB38_534:
	s_branch .LBB38_278
.LBB38_535:
	s_mov_b64 s[26:27], 0
                                        ; implicit-def: $vgpr2
	s_mov_b64 s[0:1], s[6:7]
.LBB38_536:
	s_andn2_b64 s[22:23], s[6:7], exec
	s_and_b64 s[0:1], s[0:1], exec
	s_or_b64 s[22:23], s[22:23], s[0:1]
	s_andn2_b64 s[0:1], s[16:17], exec
	s_and_b64 s[20:21], s[20:21], exec
	s_or_b64 s[20:21], s[0:1], s[20:21]
	s_orn2_b64 s[0:1], s[26:27], exec
.LBB38_537:
	s_or_b64 exec, exec, s[24:25]
	s_mov_b64 s[26:27], 0
	s_mov_b64 s[28:29], 0
	;; [unrolled: 1-line block ×3, first 2 shown]
                                        ; implicit-def: $vgpr0_vgpr1
                                        ; implicit-def: $vgpr3
	s_and_saveexec_b64 s[24:25], s[0:1]
	s_cbranch_execz .LBB38_891
; %bb.538:
	v_cmp_gt_i32_e32 vcc, s40, v2
	s_mov_b64 s[36:37], -1
	s_mov_b64 s[0:1], s[20:21]
	s_mov_b64 s[30:31], s[22:23]
	s_and_saveexec_b64 s[26:27], vcc
	s_cbranch_execz .LBB38_809
; %bb.539:
	v_mul_lo_u32 v0, v2, s13
	v_mov_b32_e32 v1, s11
	s_and_b32 s34, 0xffff, s44
	s_cmp_lt_i32 s34, 11
	s_waitcnt vmcnt(0)
	v_ashrrev_i32_e32 v3, 31, v0
	v_add_co_u32_e32 v0, vcc, s10, v0
	v_addc_co_u32_e32 v1, vcc, v1, v3, vcc
	s_cbranch_scc1 .LBB38_546
; %bb.540:
	s_cmp_gt_i32 s34, 25
	s_cbranch_scc0 .LBB38_547
; %bb.541:
	s_cmp_gt_i32 s34, 28
	s_cbranch_scc0 .LBB38_548
	;; [unrolled: 3-line block ×4, first 2 shown]
; %bb.544:
	s_cmp_eq_u32 s34, 46
	s_mov_b64 s[30:31], 0
	s_cbranch_scc0 .LBB38_555
; %bb.545:
	global_load_dword v3, v[0:1], off
	s_mov_b64 s[0:1], -1
	s_waitcnt vmcnt(0)
	v_lshlrev_b32_e32 v3, 16, v3
	v_cvt_i32_f32_e32 v3, v3
	s_branch .LBB38_556
.LBB38_546:
	s_mov_b64 s[30:31], -1
	s_mov_b64 s[0:1], 0
                                        ; implicit-def: $vgpr3
	s_mov_b64 s[28:29], s[20:21]
	s_branch .LBB38_617
.LBB38_547:
	s_mov_b64 s[30:31], -1
	s_mov_b64 s[0:1], 0
	s_mov_b64 s[28:29], s[20:21]
                                        ; implicit-def: $vgpr3
	s_branch .LBB38_583
.LBB38_548:
	s_mov_b64 s[30:31], -1
	s_mov_b64 s[0:1], 0
	s_mov_b64 s[28:29], s[20:21]
                                        ; implicit-def: $vgpr3
	s_branch .LBB38_566
.LBB38_549:
	s_mov_b64 s[30:31], -1
	s_mov_b64 s[0:1], 0
	s_mov_b64 s[28:29], s[20:21]
                                        ; implicit-def: $vgpr3
	s_branch .LBB38_561
.LBB38_550:
	s_andn2_saveexec_b64 s[30:31], s[30:31]
	s_cbranch_execz .LBB38_339
.LBB38_551:
	v_add_f32_e32 v3, 0x46000000, v4
	v_and_b32_e32 v3, 0xff, v3
	v_cmp_ne_u32_e32 vcc, 0, v3
	s_andn2_b64 s[28:29], s[28:29], exec
	s_and_b64 s[36:37], vcc, exec
	s_or_b64 s[28:29], s[28:29], s[36:37]
	s_or_b64 exec, exec, s[30:31]
	v_mov_b32_e32 v5, 0
	s_and_saveexec_b64 s[30:31], s[28:29]
	s_cbranch_execnz .LBB38_340
	s_branch .LBB38_341
.LBB38_552:
	s_mov_b64 s[30:31], -1
	s_mov_b64 s[0:1], 0
	s_mov_b64 s[28:29], s[20:21]
                                        ; implicit-def: $vgpr3
	s_branch .LBB38_556
.LBB38_553:
	s_andn2_saveexec_b64 s[30:31], s[30:31]
	s_cbranch_execz .LBB38_352
.LBB38_554:
	v_add_f32_e32 v3, 0x42800000, v4
	v_and_b32_e32 v3, 0xff, v3
	v_cmp_ne_u32_e32 vcc, 0, v3
	s_andn2_b64 s[28:29], s[28:29], exec
	s_and_b64 s[36:37], vcc, exec
	s_or_b64 s[28:29], s[28:29], s[36:37]
	s_or_b64 exec, exec, s[30:31]
	v_mov_b32_e32 v5, 0
	s_and_saveexec_b64 s[30:31], s[28:29]
	s_cbranch_execnz .LBB38_353
	s_branch .LBB38_354
.LBB38_555:
	s_mov_b64 s[28:29], -1
                                        ; implicit-def: $vgpr3
	s_mov_b64 s[0:1], 0
.LBB38_556:
	s_and_b64 vcc, exec, s[30:31]
	s_cbranch_vccz .LBB38_560
; %bb.557:
	s_cmp_eq_u32 s34, 44
	s_cbranch_scc0 .LBB38_559
; %bb.558:
	global_load_ubyte v3, v[0:1], off
	s_mov_b64 s[0:1], -1
	s_mov_b64 s[28:29], 0
	s_waitcnt vmcnt(0)
	v_lshlrev_b32_e32 v4, 23, v3
	v_cvt_i32_f32_e32 v4, v4
	v_cmp_ne_u32_e32 vcc, 0, v3
	v_cndmask_b32_e32 v3, 0, v4, vcc
	s_branch .LBB38_560
.LBB38_559:
	s_mov_b64 s[28:29], -1
                                        ; implicit-def: $vgpr3
.LBB38_560:
	s_mov_b64 s[30:31], 0
.LBB38_561:
	s_and_b64 vcc, exec, s[30:31]
	s_cbranch_vccz .LBB38_565
; %bb.562:
	s_cmp_eq_u32 s34, 29
	s_cbranch_scc0 .LBB38_564
; %bb.563:
	global_load_dword v3, v[0:1], off
	s_mov_b64 s[0:1], -1
	s_mov_b64 s[28:29], 0
	s_branch .LBB38_565
.LBB38_564:
	s_mov_b64 s[28:29], -1
                                        ; implicit-def: $vgpr3
.LBB38_565:
	s_mov_b64 s[30:31], 0
.LBB38_566:
	s_and_b64 vcc, exec, s[30:31]
	s_cbranch_vccz .LBB38_582
; %bb.567:
	s_cmp_lt_i32 s34, 27
	s_cbranch_scc1 .LBB38_570
; %bb.568:
	s_cmp_gt_i32 s34, 27
	s_cbranch_scc0 .LBB38_571
; %bb.569:
	global_load_dword v3, v[0:1], off
	s_mov_b64 s[0:1], 0
	s_branch .LBB38_572
.LBB38_570:
	s_mov_b64 s[0:1], -1
                                        ; implicit-def: $vgpr3
	s_branch .LBB38_575
.LBB38_571:
	s_mov_b64 s[0:1], -1
                                        ; implicit-def: $vgpr3
.LBB38_572:
	s_andn2_b64 vcc, exec, s[0:1]
	s_cbranch_vccnz .LBB38_574
; %bb.573:
	global_load_ushort v3, v[0:1], off
.LBB38_574:
	s_mov_b64 s[0:1], 0
.LBB38_575:
	s_andn2_b64 vcc, exec, s[0:1]
	s_cbranch_vccnz .LBB38_581
; %bb.576:
	global_load_ubyte v4, v[0:1], off
	s_movk_i32 s0, 0x7f
	s_mov_b64 s[30:31], 0
	s_waitcnt vmcnt(0)
	v_cmp_lt_i16_e32 vcc, s0, v4
	s_and_saveexec_b64 s[0:1], vcc
	s_xor_b64 s[0:1], exec, s[0:1]
	s_cbranch_execz .LBB38_593
; %bb.577:
	s_movk_i32 s30, 0x80
	v_cmp_ne_u16_e32 vcc, s30, v4
	s_and_b64 s[30:31], vcc, exec
	s_andn2_saveexec_b64 s[0:1], s[0:1]
	s_cbranch_execnz .LBB38_594
.LBB38_578:
	s_or_b64 exec, exec, s[0:1]
	v_mov_b32_e32 v3, 0
	s_and_saveexec_b64 s[0:1], s[30:31]
	s_cbranch_execz .LBB38_580
.LBB38_579:
	v_lshlrev_b32_e32 v3, 24, v4
	v_and_b32_e32 v4, 0xffff, v4
	v_and_b32_e32 v5, 7, v4
	v_ffbh_u32_e32 v7, v5
	v_min_u32_e32 v7, 32, v7
	v_subrev_u32_e32 v8, 28, v7
	v_bfe_u32 v6, v4, 3, 4
	v_lshlrev_b32_e32 v4, v8, v4
	v_sub_u32_e32 v7, 29, v7
	v_and_b32_e32 v4, 7, v4
	v_cmp_eq_u32_e32 vcc, 0, v6
	v_cndmask_b32_e32 v6, v6, v7, vcc
	v_cndmask_b32_e32 v4, v5, v4, vcc
	v_mov_b32_e32 v5, 0x3b800000
	v_lshlrev_b32_e32 v4, 20, v4
	v_and_b32_e32 v3, 0x80000000, v3
	v_lshl_add_u32 v5, v6, 23, v5
	v_or3_b32 v3, v3, v5, v4
	v_cvt_i32_f32_e32 v3, v3
.LBB38_580:
	s_or_b64 exec, exec, s[0:1]
.LBB38_581:
	s_mov_b64 s[0:1], -1
.LBB38_582:
	s_mov_b64 s[30:31], 0
.LBB38_583:
	s_and_b64 vcc, exec, s[30:31]
	s_cbranch_vccz .LBB38_616
; %bb.584:
	s_cmp_gt_i32 s34, 22
	s_cbranch_scc0 .LBB38_592
; %bb.585:
	s_cmp_lt_i32 s34, 24
	s_cbranch_scc1 .LBB38_595
; %bb.586:
	s_cmp_gt_i32 s34, 24
	s_cbranch_scc0 .LBB38_596
; %bb.587:
	global_load_ubyte v4, v[0:1], off
	s_movk_i32 s0, 0x7f
	s_mov_b64 s[30:31], 0
	s_waitcnt vmcnt(0)
	v_cmp_lt_i16_e32 vcc, s0, v4
	s_and_saveexec_b64 s[0:1], vcc
	s_xor_b64 s[0:1], exec, s[0:1]
	s_cbranch_execz .LBB38_608
; %bb.588:
	s_movk_i32 s30, 0x80
	v_cmp_ne_u16_e32 vcc, s30, v4
	s_and_b64 s[30:31], vcc, exec
	s_andn2_saveexec_b64 s[0:1], s[0:1]
	s_cbranch_execnz .LBB38_609
.LBB38_589:
	s_or_b64 exec, exec, s[0:1]
	v_mov_b32_e32 v3, 0
	s_and_saveexec_b64 s[0:1], s[30:31]
	s_cbranch_execz .LBB38_591
.LBB38_590:
	v_lshlrev_b32_e32 v3, 24, v4
	v_and_b32_e32 v4, 0xffff, v4
	v_and_b32_e32 v5, 3, v4
	v_ffbh_u32_e32 v7, v5
	v_min_u32_e32 v7, 32, v7
	v_subrev_u32_e32 v8, 29, v7
	v_bfe_u32 v6, v4, 2, 5
	v_lshlrev_b32_e32 v4, v8, v4
	v_sub_u32_e32 v7, 30, v7
	v_and_b32_e32 v4, 3, v4
	v_cmp_eq_u32_e32 vcc, 0, v6
	v_cndmask_b32_e32 v6, v6, v7, vcc
	v_cndmask_b32_e32 v4, v5, v4, vcc
	v_mov_b32_e32 v5, 0x37800000
	v_lshlrev_b32_e32 v4, 21, v4
	v_and_b32_e32 v3, 0x80000000, v3
	v_lshl_add_u32 v5, v6, 23, v5
	v_or3_b32 v3, v3, v5, v4
	v_cvt_i32_f32_e32 v3, v3
.LBB38_591:
	s_or_b64 exec, exec, s[0:1]
	s_mov_b64 s[0:1], 0
	s_branch .LBB38_597
.LBB38_592:
	s_mov_b64 s[30:31], -1
                                        ; implicit-def: $vgpr3
	s_branch .LBB38_603
.LBB38_593:
	s_andn2_saveexec_b64 s[0:1], s[0:1]
	s_cbranch_execz .LBB38_578
.LBB38_594:
	v_cmp_ne_u16_e32 vcc, 0, v4
	s_andn2_b64 s[30:31], s[30:31], exec
	s_and_b64 s[36:37], vcc, exec
	s_or_b64 s[30:31], s[30:31], s[36:37]
	s_or_b64 exec, exec, s[0:1]
	v_mov_b32_e32 v3, 0
	s_and_saveexec_b64 s[0:1], s[30:31]
	s_cbranch_execnz .LBB38_579
	s_branch .LBB38_580
.LBB38_595:
	s_mov_b64 s[0:1], -1
                                        ; implicit-def: $vgpr3
	s_branch .LBB38_600
.LBB38_596:
	s_mov_b64 s[0:1], -1
                                        ; implicit-def: $vgpr3
.LBB38_597:
	s_and_b64 vcc, exec, s[0:1]
	s_cbranch_vccz .LBB38_599
; %bb.598:
	global_load_ubyte v3, v[0:1], off
	s_mov_b32 s0, 0x7f800000
	s_waitcnt vmcnt(0)
	v_lshlrev_b32_e32 v3, 24, v3
	v_and_b32_e32 v4, 0x7f000000, v3
	v_ffbh_u32_e32 v5, v4
	v_min_u32_e32 v5, 32, v5
	v_sub_u32_e64 v5, v5, 4 clamp
	v_lshlrev_b32_e32 v7, v5, v4
	v_lshlrev_b32_e32 v5, 23, v5
	v_lshrrev_b32_e32 v7, 4, v7
	v_add_u32_e32 v6, 0x1000000, v4
	v_sub_u32_e32 v5, v7, v5
	v_ashrrev_i32_e32 v6, 8, v6
	v_add_u32_e32 v5, 0x3c000000, v5
	v_and_or_b32 v5, v6, s0, v5
	v_cmp_ne_u32_e32 vcc, 0, v4
	v_cndmask_b32_e32 v4, 0, v5, vcc
	s_brev_b32 s0, 1
	v_and_or_b32 v3, v3, s0, v4
	v_cvt_i32_f32_e32 v3, v3
.LBB38_599:
	s_mov_b64 s[0:1], 0
.LBB38_600:
	s_andn2_b64 vcc, exec, s[0:1]
	s_cbranch_vccnz .LBB38_602
; %bb.601:
	global_load_ubyte v3, v[0:1], off
	s_movk_i32 s0, 0x7f00
	s_brev_b32 s1, 16
	s_waitcnt vmcnt(0)
	v_lshlrev_b16_e32 v4, 8, v3
	v_lshlrev_b32_e32 v3, 25, v3
	v_lshrrev_b32_e32 v5, 4, v3
	v_and_or_b32 v6, v4, s0, 0.5
	v_or_b32_e32 v5, 0x70000000, v5
	v_add_f32_e32 v6, -0.5, v6
	v_mul_f32_e32 v5, 0x7800000, v5
	v_cmp_gt_u32_e32 vcc, s1, v3
	v_bfe_i32 v4, v4, 0, 16
	v_cndmask_b32_e32 v3, v5, v6, vcc
	s_brev_b32 s0, 1
	v_and_or_b32 v3, v4, s0, v3
	v_cvt_i32_f32_e32 v3, v3
.LBB38_602:
	s_mov_b64 s[30:31], 0
	s_mov_b64 s[0:1], -1
.LBB38_603:
	s_andn2_b64 vcc, exec, s[30:31]
	s_cbranch_vccnz .LBB38_616
; %bb.604:
	s_cmp_gt_i32 s34, 14
	s_cbranch_scc0 .LBB38_607
; %bb.605:
	s_cmp_eq_u32 s34, 15
	s_cbranch_scc0 .LBB38_610
; %bb.606:
	global_load_ushort v3, v[0:1], off
	s_mov_b64 s[0:1], -1
	s_mov_b64 s[28:29], 0
	s_waitcnt vmcnt(0)
	v_lshlrev_b32_e32 v3, 16, v3
	v_cvt_i32_f32_e32 v3, v3
	s_branch .LBB38_611
.LBB38_607:
	s_mov_b64 s[30:31], -1
                                        ; implicit-def: $vgpr3
	s_branch .LBB38_612
.LBB38_608:
	s_andn2_saveexec_b64 s[0:1], s[0:1]
	s_cbranch_execz .LBB38_589
.LBB38_609:
	v_cmp_ne_u16_e32 vcc, 0, v4
	s_andn2_b64 s[30:31], s[30:31], exec
	s_and_b64 s[36:37], vcc, exec
	s_or_b64 s[30:31], s[30:31], s[36:37]
	s_or_b64 exec, exec, s[0:1]
	v_mov_b32_e32 v3, 0
	s_and_saveexec_b64 s[0:1], s[30:31]
	s_cbranch_execnz .LBB38_590
	s_branch .LBB38_591
.LBB38_610:
	s_mov_b64 s[28:29], -1
                                        ; implicit-def: $vgpr3
.LBB38_611:
	s_mov_b64 s[30:31], 0
.LBB38_612:
	s_and_b64 vcc, exec, s[30:31]
	s_cbranch_vccz .LBB38_616
; %bb.613:
	s_cmp_eq_u32 s34, 11
	s_cbranch_scc0 .LBB38_615
; %bb.614:
	global_load_ubyte v3, v[0:1], off
	s_mov_b64 s[0:1], -1
	s_mov_b64 s[28:29], 0
	s_waitcnt vmcnt(0)
	v_cmp_ne_u16_e32 vcc, 0, v3
	v_cndmask_b32_e64 v3, 0, 1, vcc
	s_branch .LBB38_616
.LBB38_615:
	s_mov_b64 s[28:29], -1
                                        ; implicit-def: $vgpr3
.LBB38_616:
	s_mov_b64 s[30:31], 0
.LBB38_617:
	s_and_b64 vcc, exec, s[30:31]
	s_cbranch_vccz .LBB38_666
; %bb.618:
	s_cmp_lt_i32 s34, 5
	s_cbranch_scc1 .LBB38_623
; %bb.619:
	s_cmp_lt_i32 s34, 8
	s_cbranch_scc1 .LBB38_624
	;; [unrolled: 3-line block ×3, first 2 shown]
; %bb.621:
	s_cmp_gt_i32 s34, 9
	s_cbranch_scc0 .LBB38_626
; %bb.622:
	global_load_dwordx2 v[3:4], v[0:1], off
	s_mov_b64 s[0:1], 0
	s_waitcnt vmcnt(0)
	v_cvt_i32_f64_e32 v3, v[3:4]
	s_branch .LBB38_627
.LBB38_623:
	s_mov_b64 s[0:1], -1
                                        ; implicit-def: $vgpr3
	s_branch .LBB38_645
.LBB38_624:
	s_mov_b64 s[0:1], -1
                                        ; implicit-def: $vgpr3
	s_branch .LBB38_633
.LBB38_625:
	s_mov_b64 s[0:1], -1
                                        ; implicit-def: $vgpr3
	s_branch .LBB38_630
.LBB38_626:
	s_mov_b64 s[0:1], -1
                                        ; implicit-def: $vgpr3
.LBB38_627:
	s_andn2_b64 vcc, exec, s[0:1]
	s_cbranch_vccnz .LBB38_629
; %bb.628:
	global_load_dword v3, v[0:1], off
	s_waitcnt vmcnt(0)
	v_cvt_i32_f32_e32 v3, v3
.LBB38_629:
	s_mov_b64 s[0:1], 0
.LBB38_630:
	s_andn2_b64 vcc, exec, s[0:1]
	s_cbranch_vccnz .LBB38_632
; %bb.631:
	global_load_dword v3, v[0:1], off
	s_waitcnt vmcnt(0)
	v_cvt_f32_f16_e32 v3, v3
	v_cvt_i32_f32_e32 v3, v3
.LBB38_632:
	s_mov_b64 s[0:1], 0
.LBB38_633:
	s_andn2_b64 vcc, exec, s[0:1]
	s_cbranch_vccnz .LBB38_644
; %bb.634:
	s_cmp_lt_i32 s34, 6
	s_cbranch_scc1 .LBB38_637
; %bb.635:
	s_cmp_gt_i32 s34, 6
	s_cbranch_scc0 .LBB38_638
; %bb.636:
	global_load_dwordx2 v[3:4], v[0:1], off
	s_mov_b64 s[0:1], 0
	s_waitcnt vmcnt(0)
	v_cvt_i32_f64_e32 v3, v[3:4]
	s_branch .LBB38_639
.LBB38_637:
	s_mov_b64 s[0:1], -1
                                        ; implicit-def: $vgpr3
	s_branch .LBB38_642
.LBB38_638:
	s_mov_b64 s[0:1], -1
                                        ; implicit-def: $vgpr3
.LBB38_639:
	s_andn2_b64 vcc, exec, s[0:1]
	s_cbranch_vccnz .LBB38_641
; %bb.640:
	global_load_dword v3, v[0:1], off
	s_waitcnt vmcnt(0)
	v_cvt_i32_f32_e32 v3, v3
.LBB38_641:
	s_mov_b64 s[0:1], 0
.LBB38_642:
	s_andn2_b64 vcc, exec, s[0:1]
	s_cbranch_vccnz .LBB38_644
; %bb.643:
	global_load_ushort v3, v[0:1], off
	s_waitcnt vmcnt(0)
	v_cvt_f32_f16_e32 v3, v3
	v_cvt_i32_f32_e32 v3, v3
.LBB38_644:
	s_mov_b64 s[0:1], 0
.LBB38_645:
	s_andn2_b64 vcc, exec, s[0:1]
	s_cbranch_vccnz .LBB38_665
; %bb.646:
	s_cmp_lt_i32 s34, 2
	s_cbranch_scc1 .LBB38_650
; %bb.647:
	s_cmp_lt_i32 s34, 3
	s_cbranch_scc1 .LBB38_651
; %bb.648:
	s_cmp_gt_i32 s34, 3
	s_cbranch_scc0 .LBB38_652
; %bb.649:
	global_load_dword v3, v[0:1], off
	s_mov_b64 s[0:1], 0
	s_branch .LBB38_653
.LBB38_650:
	s_mov_b64 s[0:1], -1
                                        ; implicit-def: $vgpr3
	s_branch .LBB38_659
.LBB38_651:
	s_mov_b64 s[0:1], -1
                                        ; implicit-def: $vgpr3
	s_branch .LBB38_656
.LBB38_652:
	s_mov_b64 s[0:1], -1
                                        ; implicit-def: $vgpr3
.LBB38_653:
	s_andn2_b64 vcc, exec, s[0:1]
	s_cbranch_vccnz .LBB38_655
; %bb.654:
	global_load_dword v3, v[0:1], off
.LBB38_655:
	s_mov_b64 s[0:1], 0
.LBB38_656:
	s_andn2_b64 vcc, exec, s[0:1]
	s_cbranch_vccnz .LBB38_658
; %bb.657:
	global_load_sshort v3, v[0:1], off
.LBB38_658:
	s_mov_b64 s[0:1], 0
.LBB38_659:
	s_andn2_b64 vcc, exec, s[0:1]
	s_cbranch_vccnz .LBB38_665
; %bb.660:
	s_cmp_gt_i32 s34, 0
	s_cbranch_scc0 .LBB38_662
; %bb.661:
	global_load_sbyte v3, v[0:1], off
	s_mov_b64 s[0:1], 0
	s_branch .LBB38_663
.LBB38_662:
	s_mov_b64 s[0:1], -1
                                        ; implicit-def: $vgpr3
.LBB38_663:
	s_andn2_b64 vcc, exec, s[0:1]
	s_cbranch_vccnz .LBB38_665
; %bb.664:
	global_load_ubyte v3, v[0:1], off
.LBB38_665:
	s_mov_b64 s[0:1], -1
.LBB38_666:
	s_andn2_b64 vcc, exec, s[0:1]
	s_cbranch_vccnz .LBB38_671
; %bb.667:
	s_cmp_lt_i32 s14, 1
	s_mov_b64 s[0:1], 0
	s_cbranch_scc1 .LBB38_672
; %bb.668:
	s_cmp_gt_i32 s14, 1
	s_cbranch_scc0 .LBB38_673
; %bb.669:
	s_cmp_eq_u32 s14, 2
	s_cbranch_scc0 .LBB38_674
; %bb.670:
	s_waitcnt vmcnt(0)
	v_cmp_ge_i32_e64 s[30:31], s15, v3
	s_mov_b64 s[34:35], 0
	s_branch .LBB38_675
.LBB38_671:
	s_mov_b64 s[34:35], 0
                                        ; implicit-def: $vgpr2
	s_mov_b64 s[0:1], s[22:23]
	s_branch .LBB38_808
.LBB38_672:
	s_mov_b64 s[36:37], -1
                                        ; implicit-def: $sgpr30_sgpr31
	s_mov_b64 s[34:35], 0
	s_branch .LBB38_679
.LBB38_673:
	s_mov_b64 s[36:37], -1
	s_mov_b64 s[34:35], 0
                                        ; implicit-def: $sgpr30_sgpr31
	s_branch .LBB38_676
.LBB38_674:
	s_mov_b64 s[34:35], -1
                                        ; implicit-def: $sgpr30_sgpr31
.LBB38_675:
	s_mov_b64 s[36:37], 0
.LBB38_676:
	s_and_b64 vcc, exec, s[36:37]
	s_cbranch_vccz .LBB38_678
; %bb.677:
	s_waitcnt vmcnt(0)
	v_cmp_lt_i32_e32 vcc, s15, v3
	s_andn2_b64 s[30:31], s[30:31], exec
	s_and_b64 s[36:37], vcc, exec
	s_or_b64 s[30:31], s[30:31], s[36:37]
.LBB38_678:
	s_mov_b64 s[36:37], 0
.LBB38_679:
	s_and_b64 vcc, exec, s[36:37]
	s_cbranch_vccz .LBB38_690
; %bb.680:
	s_cmp_lg_u32 s14, 0
	s_mov_b64 s[0:1], -1
	s_cselect_b64 s[34:35], -1, 0
	s_andn2_b64 vcc, exec, s[34:35]
	s_cbranch_vccz .LBB38_691
.LBB38_681:
	s_andn2_b64 vcc, exec, s[0:1]
	s_cbranch_vccnz .LBB38_683
.LBB38_682:
	s_waitcnt vmcnt(0)
	v_cmp_le_i32_e32 vcc, s15, v3
	s_andn2_b64 s[0:1], s[30:31], exec
	s_and_b64 s[30:31], vcc, exec
	s_or_b64 s[30:31], s[0:1], s[30:31]
.LBB38_683:
	v_mul_lo_u32 v0, v2, s12
	v_mov_b32_e32 v1, s9
	s_and_b32 s41, s33, 0xff
	s_cmp_lt_i32 s41, 11
	s_waitcnt vmcnt(0)
	v_ashrrev_i32_e32 v3, 31, v0
	v_add_co_u32_e32 v0, vcc, s8, v0
	v_addc_co_u32_e32 v1, vcc, v1, v3, vcc
	s_cbranch_scc1 .LBB38_692
; %bb.684:
	s_and_b32 s42, 0xffff, s41
	s_cmp_gt_i32 s42, 25
	s_cbranch_scc0 .LBB38_693
; %bb.685:
	s_cmp_gt_i32 s42, 28
	s_cbranch_scc0 .LBB38_694
; %bb.686:
	;; [unrolled: 3-line block ×4, first 2 shown]
	s_mov_b64 s[36:37], 0
	s_mov_b64 s[0:1], -1
	s_cmp_eq_u32 s42, 46
	s_mov_b64 s[34:35], 0
	s_cbranch_scc0 .LBB38_697
; %bb.689:
	v_cndmask_b32_e64 v3, 0, 1.0, s[30:31]
	v_bfe_u32 v4, v3, 16, 1
	s_movk_i32 s0, 0x7fff
	v_add3_u32 v3, v3, v4, s0
	v_lshrrev_b32_e32 v3, 16, v3
	global_store_dword v[0:1], v3, off
	s_mov_b64 s[34:35], -1
	s_mov_b64 s[0:1], 0
	s_branch .LBB38_697
.LBB38_690:
	s_andn2_b64 vcc, exec, s[34:35]
	s_cbranch_vccnz .LBB38_681
.LBB38_691:
	s_waitcnt vmcnt(0)
	v_cmp_gt_i32_e32 vcc, s15, v3
	s_andn2_b64 s[30:31], s[30:31], exec
	s_and_b64 s[34:35], vcc, exec
	s_or_b64 s[30:31], s[30:31], s[34:35]
	s_cbranch_execz .LBB38_682
	s_branch .LBB38_683
.LBB38_692:
	s_mov_b64 s[36:37], -1
	s_mov_b64 s[34:35], 0
	s_mov_b64 s[0:1], s[22:23]
	s_branch .LBB38_766
.LBB38_693:
	s_mov_b64 s[36:37], -1
	s_mov_b64 s[34:35], 0
	s_mov_b64 s[0:1], s[22:23]
	s_branch .LBB38_724
.LBB38_694:
	s_mov_b64 s[36:37], -1
	s_mov_b64 s[34:35], 0
	s_mov_b64 s[0:1], s[22:23]
	s_branch .LBB38_707
.LBB38_695:
	s_mov_b64 s[36:37], -1
	s_mov_b64 s[34:35], 0
	s_mov_b64 s[0:1], s[22:23]
	s_branch .LBB38_703
.LBB38_696:
	s_mov_b64 s[36:37], -1
	s_mov_b64 s[34:35], 0
	s_mov_b64 s[0:1], s[22:23]
.LBB38_697:
	s_and_b64 vcc, exec, s[36:37]
	s_cbranch_vccz .LBB38_702
; %bb.698:
	s_cmp_eq_u32 s42, 44
	s_mov_b64 s[0:1], -1
	s_cbranch_scc0 .LBB38_702
; %bb.699:
	v_cndmask_b32_e64 v4, 0, 1.0, s[30:31]
	v_lshrrev_b32_e32 v3, 23, v4
	s_movk_i32 s0, 0xff
	v_cmp_ne_u32_e32 vcc, s0, v3
	v_mov_b32_e32 v5, 0xff
	s_and_saveexec_b64 s[34:35], vcc
; %bb.700:
	s_mov_b32 s0, 0x3fffff
	v_and_b32_e32 v5, 0x400000, v4
	v_and_or_b32 v4, v4, s0, v3
	v_cmp_ne_u32_e32 vcc, 0, v5
	v_cmp_ne_u32_e64 s[0:1], 0, v4
	s_and_b64 s[0:1], vcc, s[0:1]
	v_cndmask_b32_e64 v4, 0, 1, s[0:1]
	v_add_u32_e32 v5, v3, v4
; %bb.701:
	s_or_b64 exec, exec, s[34:35]
	s_mov_b64 s[34:35], -1
	s_mov_b64 s[0:1], 0
	global_store_byte v[0:1], v5, off
.LBB38_702:
	s_mov_b64 s[36:37], 0
.LBB38_703:
	s_and_b64 vcc, exec, s[36:37]
	s_cbranch_vccz .LBB38_706
; %bb.704:
	s_cmp_eq_u32 s42, 29
	s_mov_b64 s[0:1], -1
	s_cbranch_scc0 .LBB38_706
; %bb.705:
	s_mov_b32 s0, 0
	v_cndmask_b32_e64 v3, 0, 1, s[30:31]
	v_mov_b32_e32 v4, s0
	global_store_dwordx2 v[0:1], v[3:4], off
	s_mov_b64 s[34:35], -1
	s_mov_b64 s[0:1], 0
.LBB38_706:
	s_mov_b64 s[36:37], 0
.LBB38_707:
	s_and_b64 vcc, exec, s[36:37]
	s_cbranch_vccz .LBB38_723
; %bb.708:
	s_cmp_lt_i32 s42, 27
	s_mov_b64 s[34:35], -1
	s_cbranch_scc1 .LBB38_714
; %bb.709:
	s_cmp_gt_i32 s42, 27
	s_cbranch_scc0 .LBB38_711
; %bb.710:
	v_cndmask_b32_e64 v3, 0, 1, s[30:31]
	s_mov_b64 s[34:35], 0
	global_store_dword v[0:1], v3, off
.LBB38_711:
	s_andn2_b64 vcc, exec, s[34:35]
	s_cbranch_vccnz .LBB38_713
; %bb.712:
	v_cndmask_b32_e64 v3, 0, 1, s[30:31]
	global_store_short v[0:1], v3, off
.LBB38_713:
	s_mov_b64 s[34:35], 0
.LBB38_714:
	s_andn2_b64 vcc, exec, s[34:35]
	s_cbranch_vccnz .LBB38_722
; %bb.715:
	v_cndmask_b32_e64 v4, 0, 1.0, s[30:31]
	s_mov_b32 s34, 0x43800000
	v_cmp_gt_u32_e32 vcc, s34, v4
	v_mov_b32_e32 v5, 0x80
	s_and_saveexec_b64 s[34:35], vcc
	s_cbranch_execz .LBB38_721
; %bb.716:
	s_mov_b32 s36, 0x3bffffff
	v_cmp_lt_u32_e32 vcc, s36, v4
	s_mov_b64 s[36:37], 0
                                        ; implicit-def: $vgpr3
	s_and_saveexec_b64 s[38:39], vcc
	s_xor_b64 s[38:39], exec, s[38:39]
	s_cbranch_execz .LBB38_822
; %bb.717:
	v_bfe_u32 v3, v4, 20, 1
	s_mov_b32 s43, 0x487ffff
	v_add3_u32 v3, v4, v3, s43
	s_mov_b64 s[36:37], exec
	v_lshrrev_b32_e32 v3, 20, v3
                                        ; implicit-def: $vgpr4
	s_andn2_saveexec_b64 s[38:39], s[38:39]
	s_cbranch_execnz .LBB38_823
.LBB38_718:
	s_or_b64 exec, exec, s[38:39]
	v_mov_b32_e32 v5, 0
	s_and_saveexec_b64 s[38:39], s[36:37]
.LBB38_719:
	v_mov_b32_e32 v5, v3
.LBB38_720:
	s_or_b64 exec, exec, s[38:39]
.LBB38_721:
	s_or_b64 exec, exec, s[34:35]
	global_store_byte v[0:1], v5, off
.LBB38_722:
	s_mov_b64 s[34:35], -1
.LBB38_723:
	s_mov_b64 s[36:37], 0
.LBB38_724:
	s_and_b64 vcc, exec, s[36:37]
	s_cbranch_vccz .LBB38_765
; %bb.725:
	s_cmp_gt_i32 s42, 22
	s_mov_b64 s[36:37], -1
	s_cbranch_scc0 .LBB38_757
; %bb.726:
	s_cmp_lt_i32 s42, 24
	s_mov_b64 s[34:35], -1
	s_cbranch_scc1 .LBB38_746
; %bb.727:
	s_cmp_gt_i32 s42, 24
	s_cbranch_scc0 .LBB38_735
; %bb.728:
	v_cndmask_b32_e64 v4, 0, 1.0, s[30:31]
	s_mov_b32 s34, 0x47800000
	v_cmp_gt_u32_e32 vcc, s34, v4
	v_mov_b32_e32 v5, 0x80
	s_and_saveexec_b64 s[34:35], vcc
	s_cbranch_execz .LBB38_734
; %bb.729:
	s_mov_b32 s36, 0x37ffffff
	v_cmp_lt_u32_e32 vcc, s36, v4
	s_mov_b64 s[36:37], 0
                                        ; implicit-def: $vgpr3
	s_and_saveexec_b64 s[38:39], vcc
	s_xor_b64 s[38:39], exec, s[38:39]
	s_cbranch_execz .LBB38_825
; %bb.730:
	v_bfe_u32 v3, v4, 21, 1
	s_mov_b32 s43, 0x88fffff
	v_add3_u32 v3, v4, v3, s43
	s_mov_b64 s[36:37], exec
	v_lshrrev_b32_e32 v3, 21, v3
                                        ; implicit-def: $vgpr4
	s_andn2_saveexec_b64 s[38:39], s[38:39]
	s_cbranch_execnz .LBB38_826
.LBB38_731:
	s_or_b64 exec, exec, s[38:39]
	v_mov_b32_e32 v5, 0
	s_and_saveexec_b64 s[38:39], s[36:37]
.LBB38_732:
	v_mov_b32_e32 v5, v3
.LBB38_733:
	s_or_b64 exec, exec, s[38:39]
.LBB38_734:
	s_or_b64 exec, exec, s[34:35]
	s_mov_b64 s[34:35], 0
	global_store_byte v[0:1], v5, off
.LBB38_735:
	s_and_b64 vcc, exec, s[34:35]
	s_cbranch_vccz .LBB38_745
; %bb.736:
	v_cndmask_b32_e64 v3, 0, 1.0, s[30:31]
	s_mov_b32 s34, 0x43f00000
	v_cmp_gt_u32_e32 vcc, s34, v3
                                        ; implicit-def: $vgpr4
	s_and_saveexec_b64 s[34:35], vcc
	s_xor_b64 s[34:35], exec, s[34:35]
	s_cbranch_execz .LBB38_742
; %bb.737:
	s_mov_b32 s36, 0x3c7fffff
	v_cmp_lt_u32_e32 vcc, s36, v3
                                        ; implicit-def: $vgpr4
	s_and_saveexec_b64 s[36:37], vcc
	s_xor_b64 s[36:37], exec, s[36:37]
; %bb.738:
	v_bfe_u32 v4, v3, 20, 1
	s_mov_b32 s38, 0x407ffff
	v_add3_u32 v3, v3, v4, s38
	v_lshrrev_b32_e32 v4, 20, v3
	v_and_b32_e32 v3, 0xff00000, v3
	s_mov_b32 s38, 0x7f00000
	v_mov_b32_e32 v5, 0x7e
	v_cmp_ne_u32_e32 vcc, s38, v3
	v_cndmask_b32_e32 v4, v5, v4, vcc
                                        ; implicit-def: $vgpr3
; %bb.739:
	s_andn2_saveexec_b64 s[36:37], s[36:37]
; %bb.740:
	v_add_f32_e32 v4, 0x46800000, v3
; %bb.741:
	s_or_b64 exec, exec, s[36:37]
                                        ; implicit-def: $vgpr3
.LBB38_742:
	s_andn2_saveexec_b64 s[34:35], s[34:35]
; %bb.743:
	s_mov_b32 s36, 0x7f800000
	v_mov_b32_e32 v4, 0x7e
	v_mov_b32_e32 v5, 0x7f
	v_cmp_lt_u32_e32 vcc, s36, v3
	v_cndmask_b32_e32 v4, v4, v5, vcc
; %bb.744:
	s_or_b64 exec, exec, s[34:35]
	global_store_byte v[0:1], v4, off
.LBB38_745:
	s_mov_b64 s[34:35], 0
.LBB38_746:
	s_andn2_b64 vcc, exec, s[34:35]
	s_cbranch_vccnz .LBB38_756
; %bb.747:
	v_cndmask_b32_e64 v3, 0, 1.0, s[30:31]
	s_mov_b32 s34, 0x47800000
	v_cmp_gt_u32_e32 vcc, s34, v3
                                        ; implicit-def: $vgpr4
	s_and_saveexec_b64 s[34:35], vcc
	s_xor_b64 s[34:35], exec, s[34:35]
	s_cbranch_execz .LBB38_753
; %bb.748:
	s_mov_b32 s36, 0x387fffff
	v_cmp_lt_u32_e32 vcc, s36, v3
                                        ; implicit-def: $vgpr4
	s_and_saveexec_b64 s[36:37], vcc
	s_xor_b64 s[36:37], exec, s[36:37]
; %bb.749:
	v_bfe_u32 v4, v3, 21, 1
	s_mov_b32 s38, 0x80fffff
	v_add3_u32 v3, v3, v4, s38
	v_lshrrev_b32_e32 v4, 21, v3
                                        ; implicit-def: $vgpr3
; %bb.750:
	s_andn2_saveexec_b64 s[36:37], s[36:37]
; %bb.751:
	v_add_f32_e32 v4, 0x43000000, v3
; %bb.752:
	s_or_b64 exec, exec, s[36:37]
                                        ; implicit-def: $vgpr3
.LBB38_753:
	s_andn2_saveexec_b64 s[34:35], s[34:35]
; %bb.754:
	s_mov_b32 s36, 0x7f800000
	v_mov_b32_e32 v4, 0x7c
	v_mov_b32_e32 v5, 0x7f
	v_cmp_lt_u32_e32 vcc, s36, v3
	v_cndmask_b32_e32 v4, v4, v5, vcc
; %bb.755:
	s_or_b64 exec, exec, s[34:35]
	global_store_byte v[0:1], v4, off
.LBB38_756:
	s_mov_b64 s[36:37], 0
	s_mov_b64 s[34:35], -1
.LBB38_757:
	s_andn2_b64 vcc, exec, s[36:37]
	s_cbranch_vccnz .LBB38_765
; %bb.758:
	s_cmp_gt_i32 s42, 14
	s_mov_b64 s[36:37], -1
	s_cbranch_scc0 .LBB38_762
; %bb.759:
	s_cmp_eq_u32 s42, 15
	s_mov_b64 s[0:1], -1
	s_cbranch_scc0 .LBB38_761
; %bb.760:
	v_cndmask_b32_e64 v3, 0, 1.0, s[30:31]
	v_bfe_u32 v4, v3, 16, 1
	s_movk_i32 s0, 0x7fff
	v_add3_u32 v3, v3, v4, s0
	global_store_short_d16_hi v[0:1], v3, off
	s_mov_b64 s[34:35], -1
	s_mov_b64 s[0:1], 0
.LBB38_761:
	s_mov_b64 s[36:37], 0
.LBB38_762:
	s_and_b64 vcc, exec, s[36:37]
	s_cbranch_vccz .LBB38_765
; %bb.763:
	s_cmp_eq_u32 s42, 11
	s_mov_b64 s[0:1], -1
	s_cbranch_scc0 .LBB38_765
; %bb.764:
	v_cndmask_b32_e64 v3, 0, 1, s[30:31]
	s_mov_b64 s[34:35], -1
	s_mov_b64 s[0:1], 0
	global_store_byte v[0:1], v3, off
.LBB38_765:
	s_mov_b64 s[36:37], 0
.LBB38_766:
	s_and_b64 vcc, exec, s[36:37]
	s_cbranch_vccz .LBB38_805
; %bb.767:
	s_and_b32 s36, 0xffff, s41
	s_cmp_lt_i32 s36, 5
	s_mov_b64 s[34:35], -1
	s_cbranch_scc1 .LBB38_788
; %bb.768:
	s_cmp_lt_i32 s36, 8
	s_cbranch_scc1 .LBB38_778
; %bb.769:
	s_cmp_lt_i32 s36, 9
	s_cbranch_scc1 .LBB38_775
; %bb.770:
	s_cmp_gt_i32 s36, 9
	s_cbranch_scc0 .LBB38_772
; %bb.771:
	v_cndmask_b32_e64 v3, 0, 1, s[30:31]
	v_cvt_f64_u32_e32 v[3:4], v3
	v_mov_b32_e32 v5, 0
	v_mov_b32_e32 v6, v5
	s_mov_b64 s[34:35], 0
	global_store_dwordx4 v[0:1], v[3:6], off
.LBB38_772:
	s_andn2_b64 vcc, exec, s[34:35]
	s_cbranch_vccnz .LBB38_774
; %bb.773:
	v_cndmask_b32_e64 v3, 0, 1.0, s[30:31]
	v_mov_b32_e32 v4, 0
	global_store_dwordx2 v[0:1], v[3:4], off
.LBB38_774:
	s_mov_b64 s[34:35], 0
.LBB38_775:
	s_andn2_b64 vcc, exec, s[34:35]
	s_cbranch_vccnz .LBB38_777
; %bb.776:
	v_cndmask_b32_e64 v3, 0, 1.0, s[30:31]
	v_cvt_f16_f32_e32 v3, v3
	global_store_dword v[0:1], v3, off
.LBB38_777:
	s_mov_b64 s[34:35], 0
.LBB38_778:
	s_andn2_b64 vcc, exec, s[34:35]
	s_cbranch_vccnz .LBB38_787
; %bb.779:
	s_cmp_lt_i32 s36, 6
	s_mov_b64 s[34:35], -1
	s_cbranch_scc1 .LBB38_785
; %bb.780:
	s_cmp_gt_i32 s36, 6
	s_cbranch_scc0 .LBB38_782
; %bb.781:
	v_cndmask_b32_e64 v3, 0, 1, s[30:31]
	v_cvt_f64_u32_e32 v[3:4], v3
	s_mov_b64 s[34:35], 0
	global_store_dwordx2 v[0:1], v[3:4], off
.LBB38_782:
	s_andn2_b64 vcc, exec, s[34:35]
	s_cbranch_vccnz .LBB38_784
; %bb.783:
	v_cndmask_b32_e64 v3, 0, 1.0, s[30:31]
	global_store_dword v[0:1], v3, off
.LBB38_784:
	s_mov_b64 s[34:35], 0
.LBB38_785:
	s_andn2_b64 vcc, exec, s[34:35]
	s_cbranch_vccnz .LBB38_787
; %bb.786:
	v_cndmask_b32_e64 v3, 0, 1.0, s[30:31]
	v_cvt_f16_f32_e32 v3, v3
	global_store_short v[0:1], v3, off
.LBB38_787:
	s_mov_b64 s[34:35], 0
.LBB38_788:
	s_andn2_b64 vcc, exec, s[34:35]
	s_cbranch_vccnz .LBB38_804
; %bb.789:
	s_cmp_lt_i32 s36, 2
	s_mov_b64 s[34:35], -1
	s_cbranch_scc1 .LBB38_799
; %bb.790:
	s_cmp_lt_i32 s36, 3
	s_cbranch_scc1 .LBB38_796
; %bb.791:
	s_cmp_gt_i32 s36, 3
	s_cbranch_scc0 .LBB38_793
; %bb.792:
	s_mov_b32 s34, 0
	v_cndmask_b32_e64 v3, 0, 1, s[30:31]
	v_mov_b32_e32 v4, s34
	s_mov_b64 s[34:35], 0
	global_store_dwordx2 v[0:1], v[3:4], off
.LBB38_793:
	s_andn2_b64 vcc, exec, s[34:35]
	s_cbranch_vccnz .LBB38_795
; %bb.794:
	v_cndmask_b32_e64 v3, 0, 1, s[30:31]
	global_store_dword v[0:1], v3, off
.LBB38_795:
	s_mov_b64 s[34:35], 0
.LBB38_796:
	s_andn2_b64 vcc, exec, s[34:35]
	s_cbranch_vccnz .LBB38_798
; %bb.797:
	v_cndmask_b32_e64 v3, 0, 1, s[30:31]
	global_store_short v[0:1], v3, off
.LBB38_798:
	s_mov_b64 s[34:35], 0
.LBB38_799:
	s_andn2_b64 vcc, exec, s[34:35]
	s_cbranch_vccnz .LBB38_804
; %bb.800:
	s_mov_b64 s[34:35], -1
	s_cmp_gt_i32 s36, 0
	v_cndmask_b32_e64 v3, 0, 1, s[30:31]
	s_cbranch_scc0 .LBB38_802
; %bb.801:
	s_mov_b64 s[34:35], 0
	global_store_byte v[0:1], v3, off
.LBB38_802:
	s_andn2_b64 vcc, exec, s[34:35]
	s_cbranch_vccnz .LBB38_804
; %bb.803:
	global_store_byte v[0:1], v3, off
.LBB38_804:
	s_mov_b64 s[34:35], -1
.LBB38_805:
	s_andn2_b64 vcc, exec, s[34:35]
	s_cbranch_vccnz .LBB38_807
; %bb.806:
	v_add_u32_e32 v2, 0x80, v2
	s_mov_b64 s[34:35], -1
	s_branch .LBB38_808
.LBB38_807:
	s_mov_b64 s[34:35], 0
                                        ; implicit-def: $vgpr2
.LBB38_808:
	s_andn2_b64 s[30:31], s[22:23], exec
	s_and_b64 s[0:1], s[0:1], exec
	s_or_b64 s[30:31], s[30:31], s[0:1]
	s_andn2_b64 s[0:1], s[20:21], exec
	s_and_b64 s[28:29], s[28:29], exec
	s_or_b64 s[0:1], s[0:1], s[28:29]
	s_orn2_b64 s[36:37], s[34:35], exec
.LBB38_809:
	s_or_b64 exec, exec, s[26:27]
	s_mov_b64 s[34:35], 0
	s_mov_b64 s[28:29], 0
	;; [unrolled: 1-line block ×3, first 2 shown]
                                        ; implicit-def: $vgpr0_vgpr1
                                        ; implicit-def: $vgpr3
	s_and_saveexec_b64 s[26:27], s[36:37]
	s_cbranch_execz .LBB38_890
; %bb.810:
	v_cmp_gt_i32_e32 vcc, s40, v2
	s_mov_b64 s[36:37], 0
	s_mov_b64 s[40:41], s[0:1]
	;; [unrolled: 1-line block ×3, first 2 shown]
                                        ; implicit-def: $vgpr0_vgpr1
                                        ; implicit-def: $vgpr3
	s_and_saveexec_b64 s[28:29], vcc
	s_cbranch_execz .LBB38_889
; %bb.811:
	v_mul_lo_u32 v0, v2, s13
	v_mov_b32_e32 v1, s11
	s_and_b32 s42, 0xffff, s44
	s_cmp_lt_i32 s42, 11
	s_waitcnt vmcnt(0)
	v_ashrrev_i32_e32 v3, 31, v0
	v_add_co_u32_e32 v0, vcc, s10, v0
	v_addc_co_u32_e32 v1, vcc, v1, v3, vcc
	s_cbranch_scc1 .LBB38_818
; %bb.812:
	s_cmp_gt_i32 s42, 25
	s_cbranch_scc0 .LBB38_819
; %bb.813:
	s_cmp_gt_i32 s42, 28
	s_cbranch_scc0 .LBB38_820
	;; [unrolled: 3-line block ×4, first 2 shown]
; %bb.816:
	s_cmp_eq_u32 s42, 46
	s_mov_b64 s[40:41], 0
	s_cbranch_scc0 .LBB38_827
; %bb.817:
	global_load_dword v3, v[0:1], off
	s_mov_b64 s[38:39], -1
	s_waitcnt vmcnt(0)
	v_lshlrev_b32_e32 v3, 16, v3
	v_cvt_i32_f32_e32 v3, v3
	s_branch .LBB38_829
.LBB38_818:
	s_mov_b64 s[40:41], -1
                                        ; implicit-def: $vgpr3
	s_mov_b64 s[34:35], s[0:1]
	s_branch .LBB38_888
.LBB38_819:
	s_mov_b64 s[40:41], -1
	s_mov_b64 s[34:35], s[0:1]
                                        ; implicit-def: $vgpr3
	s_branch .LBB38_856
.LBB38_820:
	s_mov_b64 s[40:41], -1
	s_mov_b64 s[34:35], s[0:1]
                                        ; implicit-def: $vgpr3
	s_branch .LBB38_839
.LBB38_821:
	s_mov_b64 s[40:41], -1
	s_mov_b64 s[34:35], s[0:1]
                                        ; implicit-def: $vgpr3
	s_branch .LBB38_834
.LBB38_822:
	s_andn2_saveexec_b64 s[38:39], s[38:39]
	s_cbranch_execz .LBB38_718
.LBB38_823:
	v_add_f32_e32 v3, 0x46000000, v4
	v_and_b32_e32 v3, 0xff, v3
	v_cmp_ne_u32_e32 vcc, 0, v3
	s_andn2_b64 s[36:37], s[36:37], exec
	s_and_b64 s[46:47], vcc, exec
	s_or_b64 s[36:37], s[36:37], s[46:47]
	s_or_b64 exec, exec, s[38:39]
	v_mov_b32_e32 v5, 0
	s_and_saveexec_b64 s[38:39], s[36:37]
	s_cbranch_execnz .LBB38_719
	s_branch .LBB38_720
.LBB38_824:
	s_mov_b64 s[40:41], -1
	s_mov_b64 s[34:35], s[0:1]
	s_branch .LBB38_828
.LBB38_825:
	s_andn2_saveexec_b64 s[38:39], s[38:39]
	s_cbranch_execz .LBB38_731
.LBB38_826:
	v_add_f32_e32 v3, 0x42800000, v4
	v_and_b32_e32 v3, 0xff, v3
	v_cmp_ne_u32_e32 vcc, 0, v3
	s_andn2_b64 s[36:37], s[36:37], exec
	s_and_b64 s[46:47], vcc, exec
	s_or_b64 s[36:37], s[36:37], s[46:47]
	s_or_b64 exec, exec, s[38:39]
	v_mov_b32_e32 v5, 0
	s_and_saveexec_b64 s[38:39], s[36:37]
	s_cbranch_execnz .LBB38_732
	s_branch .LBB38_733
.LBB38_827:
	s_mov_b64 s[34:35], -1
.LBB38_828:
                                        ; implicit-def: $vgpr3
.LBB38_829:
	s_and_b64 vcc, exec, s[40:41]
	s_cbranch_vccz .LBB38_833
; %bb.830:
	s_cmp_eq_u32 s42, 44
	s_cbranch_scc0 .LBB38_832
; %bb.831:
	global_load_ubyte v3, v[0:1], off
	s_mov_b64 s[34:35], 0
	s_mov_b64 s[38:39], -1
	s_waitcnt vmcnt(0)
	v_lshlrev_b32_e32 v4, 23, v3
	v_cvt_i32_f32_e32 v4, v4
	v_cmp_ne_u32_e32 vcc, 0, v3
	v_cndmask_b32_e32 v3, 0, v4, vcc
	s_branch .LBB38_833
.LBB38_832:
	s_mov_b64 s[34:35], -1
                                        ; implicit-def: $vgpr3
.LBB38_833:
	s_mov_b64 s[40:41], 0
.LBB38_834:
	s_and_b64 vcc, exec, s[40:41]
	s_cbranch_vccz .LBB38_838
; %bb.835:
	s_cmp_eq_u32 s42, 29
	s_cbranch_scc0 .LBB38_837
; %bb.836:
	global_load_dword v3, v[0:1], off
	s_mov_b64 s[34:35], 0
	s_mov_b64 s[38:39], -1
	s_branch .LBB38_838
.LBB38_837:
	s_mov_b64 s[34:35], -1
                                        ; implicit-def: $vgpr3
.LBB38_838:
	s_mov_b64 s[40:41], 0
.LBB38_839:
	s_and_b64 vcc, exec, s[40:41]
	s_cbranch_vccz .LBB38_855
; %bb.840:
	s_cmp_lt_i32 s42, 27
	s_cbranch_scc1 .LBB38_843
; %bb.841:
	s_cmp_gt_i32 s42, 27
	s_cbranch_scc0 .LBB38_844
; %bb.842:
	global_load_dword v3, v[0:1], off
	s_mov_b64 s[38:39], 0
	s_branch .LBB38_845
.LBB38_843:
	s_mov_b64 s[38:39], -1
                                        ; implicit-def: $vgpr3
	s_branch .LBB38_848
.LBB38_844:
	s_mov_b64 s[38:39], -1
                                        ; implicit-def: $vgpr3
.LBB38_845:
	s_andn2_b64 vcc, exec, s[38:39]
	s_cbranch_vccnz .LBB38_847
; %bb.846:
	global_load_ushort v3, v[0:1], off
.LBB38_847:
	s_mov_b64 s[38:39], 0
.LBB38_848:
	s_andn2_b64 vcc, exec, s[38:39]
	s_cbranch_vccnz .LBB38_854
; %bb.849:
	global_load_ubyte v4, v[0:1], off
	s_movk_i32 s38, 0x7f
	s_mov_b64 s[40:41], 0
	s_waitcnt vmcnt(0)
	v_cmp_lt_i16_e32 vcc, s38, v4
	s_and_saveexec_b64 s[38:39], vcc
	s_xor_b64 s[38:39], exec, s[38:39]
	s_cbranch_execz .LBB38_866
; %bb.850:
	s_movk_i32 s40, 0x80
	v_cmp_ne_u16_e32 vcc, s40, v4
	s_and_b64 s[40:41], vcc, exec
	s_andn2_saveexec_b64 s[38:39], s[38:39]
	s_cbranch_execnz .LBB38_867
.LBB38_851:
	s_or_b64 exec, exec, s[38:39]
	v_mov_b32_e32 v3, 0
	s_and_saveexec_b64 s[38:39], s[40:41]
	s_cbranch_execz .LBB38_853
.LBB38_852:
	v_lshlrev_b32_e32 v3, 24, v4
	v_and_b32_e32 v4, 0xffff, v4
	v_and_b32_e32 v5, 7, v4
	v_ffbh_u32_e32 v7, v5
	v_min_u32_e32 v7, 32, v7
	v_subrev_u32_e32 v8, 28, v7
	v_bfe_u32 v6, v4, 3, 4
	v_lshlrev_b32_e32 v4, v8, v4
	v_sub_u32_e32 v7, 29, v7
	v_and_b32_e32 v4, 7, v4
	v_cmp_eq_u32_e32 vcc, 0, v6
	v_cndmask_b32_e32 v6, v6, v7, vcc
	v_cndmask_b32_e32 v4, v5, v4, vcc
	v_mov_b32_e32 v5, 0x3b800000
	v_lshlrev_b32_e32 v4, 20, v4
	v_and_b32_e32 v3, 0x80000000, v3
	v_lshl_add_u32 v5, v6, 23, v5
	v_or3_b32 v3, v3, v5, v4
	v_cvt_i32_f32_e32 v3, v3
.LBB38_853:
	s_or_b64 exec, exec, s[38:39]
.LBB38_854:
	s_mov_b64 s[38:39], -1
.LBB38_855:
	s_mov_b64 s[40:41], 0
.LBB38_856:
	s_and_b64 vcc, exec, s[40:41]
	s_cbranch_vccz .LBB38_887
; %bb.857:
	s_cmp_gt_i32 s42, 22
	s_cbranch_scc0 .LBB38_865
; %bb.858:
	s_cmp_lt_i32 s42, 24
	s_cbranch_scc1 .LBB38_868
; %bb.859:
	s_cmp_gt_i32 s42, 24
	s_cbranch_scc0 .LBB38_869
; %bb.860:
	global_load_ubyte v4, v[0:1], off
	s_movk_i32 s36, 0x7f
	s_mov_b64 s[38:39], 0
	s_waitcnt vmcnt(0)
	v_cmp_lt_i16_e32 vcc, s36, v4
	s_and_saveexec_b64 s[36:37], vcc
	s_xor_b64 s[36:37], exec, s[36:37]
	s_cbranch_execz .LBB38_881
; %bb.861:
	s_movk_i32 s38, 0x80
	v_cmp_ne_u16_e32 vcc, s38, v4
	s_and_b64 s[38:39], vcc, exec
	s_andn2_saveexec_b64 s[36:37], s[36:37]
	s_cbranch_execnz .LBB38_882
.LBB38_862:
	s_or_b64 exec, exec, s[36:37]
	v_mov_b32_e32 v3, 0
	s_and_saveexec_b64 s[36:37], s[38:39]
	s_cbranch_execz .LBB38_864
.LBB38_863:
	v_lshlrev_b32_e32 v3, 24, v4
	v_and_b32_e32 v4, 0xffff, v4
	v_and_b32_e32 v5, 3, v4
	v_ffbh_u32_e32 v7, v5
	v_min_u32_e32 v7, 32, v7
	v_subrev_u32_e32 v8, 29, v7
	v_bfe_u32 v6, v4, 2, 5
	v_lshlrev_b32_e32 v4, v8, v4
	v_sub_u32_e32 v7, 30, v7
	v_and_b32_e32 v4, 3, v4
	v_cmp_eq_u32_e32 vcc, 0, v6
	v_cndmask_b32_e32 v6, v6, v7, vcc
	v_cndmask_b32_e32 v4, v5, v4, vcc
	v_mov_b32_e32 v5, 0x37800000
	v_lshlrev_b32_e32 v4, 21, v4
	v_and_b32_e32 v3, 0x80000000, v3
	v_lshl_add_u32 v5, v6, 23, v5
	v_or3_b32 v3, v3, v5, v4
	v_cvt_i32_f32_e32 v3, v3
.LBB38_864:
	s_or_b64 exec, exec, s[36:37]
	s_mov_b64 s[36:37], 0
	s_branch .LBB38_870
.LBB38_865:
	s_mov_b64 s[36:37], -1
                                        ; implicit-def: $vgpr3
	s_branch .LBB38_876
.LBB38_866:
	s_andn2_saveexec_b64 s[38:39], s[38:39]
	s_cbranch_execz .LBB38_851
.LBB38_867:
	v_cmp_ne_u16_e32 vcc, 0, v4
	s_andn2_b64 s[40:41], s[40:41], exec
	s_and_b64 s[46:47], vcc, exec
	s_or_b64 s[40:41], s[40:41], s[46:47]
	s_or_b64 exec, exec, s[38:39]
	v_mov_b32_e32 v3, 0
	s_and_saveexec_b64 s[38:39], s[40:41]
	s_cbranch_execnz .LBB38_852
	s_branch .LBB38_853
.LBB38_868:
	s_mov_b64 s[36:37], -1
                                        ; implicit-def: $vgpr3
	s_branch .LBB38_873
.LBB38_869:
	s_mov_b64 s[36:37], -1
                                        ; implicit-def: $vgpr3
.LBB38_870:
	s_and_b64 vcc, exec, s[36:37]
	s_cbranch_vccz .LBB38_872
; %bb.871:
	global_load_ubyte v3, v[0:1], off
	s_mov_b32 s36, 0x7f800000
	s_waitcnt vmcnt(0)
	v_lshlrev_b32_e32 v3, 24, v3
	v_and_b32_e32 v4, 0x7f000000, v3
	v_ffbh_u32_e32 v5, v4
	v_min_u32_e32 v5, 32, v5
	v_sub_u32_e64 v5, v5, 4 clamp
	v_lshlrev_b32_e32 v7, v5, v4
	v_lshlrev_b32_e32 v5, 23, v5
	v_lshrrev_b32_e32 v7, 4, v7
	v_add_u32_e32 v6, 0x1000000, v4
	v_sub_u32_e32 v5, v7, v5
	v_ashrrev_i32_e32 v6, 8, v6
	v_add_u32_e32 v5, 0x3c000000, v5
	v_and_or_b32 v5, v6, s36, v5
	v_cmp_ne_u32_e32 vcc, 0, v4
	v_cndmask_b32_e32 v4, 0, v5, vcc
	s_brev_b32 s36, 1
	v_and_or_b32 v3, v3, s36, v4
	v_cvt_i32_f32_e32 v3, v3
.LBB38_872:
	s_mov_b64 s[36:37], 0
.LBB38_873:
	s_andn2_b64 vcc, exec, s[36:37]
	s_cbranch_vccnz .LBB38_875
; %bb.874:
	global_load_ubyte v3, v[0:1], off
	s_movk_i32 s36, 0x7f00
	s_brev_b32 s37, 16
	s_waitcnt vmcnt(0)
	v_lshlrev_b16_e32 v4, 8, v3
	v_lshlrev_b32_e32 v3, 25, v3
	v_lshrrev_b32_e32 v5, 4, v3
	v_and_or_b32 v6, v4, s36, 0.5
	v_or_b32_e32 v5, 0x70000000, v5
	v_add_f32_e32 v6, -0.5, v6
	v_mul_f32_e32 v5, 0x7800000, v5
	v_cmp_gt_u32_e32 vcc, s37, v3
	v_bfe_i32 v4, v4, 0, 16
	v_cndmask_b32_e32 v3, v5, v6, vcc
	s_brev_b32 s36, 1
	v_and_or_b32 v3, v4, s36, v3
	v_cvt_i32_f32_e32 v3, v3
.LBB38_875:
	s_mov_b64 s[36:37], 0
	s_mov_b64 s[38:39], -1
.LBB38_876:
	s_andn2_b64 vcc, exec, s[36:37]
	s_mov_b64 s[36:37], 0
	s_cbranch_vccnz .LBB38_887
; %bb.877:
	s_cmp_gt_i32 s42, 14
	s_cbranch_scc0 .LBB38_880
; %bb.878:
	s_cmp_eq_u32 s42, 15
	s_cbranch_scc0 .LBB38_883
; %bb.879:
	global_load_ushort v3, v[0:1], off
	s_mov_b64 s[34:35], 0
	s_mov_b64 s[38:39], -1
	s_waitcnt vmcnt(0)
	v_lshlrev_b32_e32 v3, 16, v3
	v_cvt_i32_f32_e32 v3, v3
	s_branch .LBB38_884
.LBB38_880:
	s_mov_b64 s[40:41], -1
                                        ; implicit-def: $vgpr3
	s_branch .LBB38_885
.LBB38_881:
	s_andn2_saveexec_b64 s[36:37], s[36:37]
	s_cbranch_execz .LBB38_862
.LBB38_882:
	v_cmp_ne_u16_e32 vcc, 0, v4
	s_andn2_b64 s[38:39], s[38:39], exec
	s_and_b64 s[40:41], vcc, exec
	s_or_b64 s[38:39], s[38:39], s[40:41]
	s_or_b64 exec, exec, s[36:37]
	v_mov_b32_e32 v3, 0
	s_and_saveexec_b64 s[36:37], s[38:39]
	s_cbranch_execnz .LBB38_863
	s_branch .LBB38_864
.LBB38_883:
	s_mov_b64 s[34:35], -1
                                        ; implicit-def: $vgpr3
.LBB38_884:
	s_mov_b64 s[40:41], 0
.LBB38_885:
	s_and_b64 vcc, exec, s[40:41]
	s_cbranch_vccz .LBB38_887
; %bb.886:
	s_cmp_lg_u32 s42, 11
	s_cselect_b64 s[40:41], -1, 0
	s_andn2_b64 s[34:35], s[34:35], exec
	s_and_b64 s[40:41], s[40:41], exec
	s_mov_b64 s[36:37], -1
	s_or_b64 s[34:35], s[34:35], s[40:41]
.LBB38_887:
	s_mov_b64 s[40:41], 0
.LBB38_888:
	s_and_b64 s[42:43], s[40:41], exec
	s_andn2_b64 s[40:41], s[0:1], exec
	s_and_b64 s[34:35], s[34:35], exec
	s_and_b64 s[38:39], s[38:39], exec
	s_and_b64 s[36:37], s[36:37], exec
	s_or_b64 s[40:41], s[40:41], s[34:35]
.LBB38_889:
	s_or_b64 exec, exec, s[28:29]
	s_and_b64 s[34:35], s[36:37], exec
	s_andn2_b64 s[0:1], s[0:1], exec
	s_and_b64 s[36:37], s[40:41], exec
	s_and_b64 s[38:39], s[38:39], exec
	;; [unrolled: 1-line block ×3, first 2 shown]
	s_or_b64 s[0:1], s[0:1], s[36:37]
.LBB38_890:
	s_or_b64 exec, exec, s[26:27]
	s_andn2_b64 s[22:23], s[22:23], exec
	s_and_b64 s[26:27], s[30:31], exec
	s_andn2_b64 s[20:21], s[20:21], exec
	s_and_b64 s[0:1], s[0:1], exec
	s_or_b64 s[22:23], s[22:23], s[26:27]
	s_and_b64 s[30:31], s[38:39], exec
	s_and_b64 s[28:29], s[28:29], exec
	;; [unrolled: 1-line block ×3, first 2 shown]
	s_or_b64 s[20:21], s[20:21], s[0:1]
.LBB38_891:
	s_or_b64 exec, exec, s[24:25]
	s_andn2_b64 s[0:1], s[6:7], exec
	s_and_b64 s[6:7], s[22:23], exec
	s_andn2_b64 s[16:17], s[16:17], exec
	s_and_b64 s[20:21], s[20:21], exec
	s_or_b64 s[6:7], s[0:1], s[6:7]
	s_and_b64 s[0:1], s[30:31], exec
	s_and_b64 s[24:25], s[28:29], exec
	;; [unrolled: 1-line block ×3, first 2 shown]
	s_or_b64 s[16:17], s[16:17], s[20:21]
	s_or_b64 exec, exec, s[18:19]
	s_mov_b64 s[18:19], 0
	s_and_saveexec_b64 s[20:21], s[16:17]
	s_cbranch_execz .LBB38_274
.LBB38_892:
	s_mov_b64 s[18:19], exec
	s_andn2_b64 s[22:23], s[22:23], exec
	s_trap 2
	s_or_b64 exec, exec, s[20:21]
	s_and_saveexec_b64 s[16:17], s[22:23]
	s_xor_b64 s[16:17], exec, s[16:17]
	s_cbranch_execnz .LBB38_275
.LBB38_893:
	s_or_b64 exec, exec, s[16:17]
	s_and_saveexec_b64 s[16:17], s[24:25]
	s_cbranch_execz .LBB38_939
.LBB38_894:
	s_sext_i32_i16 s20, s44
	s_cmp_lt_i32 s20, 5
	s_cbranch_scc1 .LBB38_899
; %bb.895:
	s_cmp_lt_i32 s20, 8
	s_cbranch_scc1 .LBB38_900
; %bb.896:
	;; [unrolled: 3-line block ×3, first 2 shown]
	s_cmp_gt_i32 s20, 9
	s_cbranch_scc0 .LBB38_902
; %bb.898:
	global_load_dwordx2 v[3:4], v[0:1], off
	s_mov_b64 s[20:21], 0
	s_waitcnt vmcnt(0)
	v_cvt_i32_f64_e32 v3, v[3:4]
	s_branch .LBB38_903
.LBB38_899:
                                        ; implicit-def: $vgpr3
	s_branch .LBB38_920
.LBB38_900:
                                        ; implicit-def: $vgpr3
	s_branch .LBB38_909
.LBB38_901:
	s_mov_b64 s[20:21], -1
                                        ; implicit-def: $vgpr3
	s_branch .LBB38_906
.LBB38_902:
	s_mov_b64 s[20:21], -1
                                        ; implicit-def: $vgpr3
.LBB38_903:
	s_andn2_b64 vcc, exec, s[20:21]
	s_cbranch_vccnz .LBB38_905
; %bb.904:
	global_load_dword v3, v[0:1], off
	s_waitcnt vmcnt(0)
	v_cvt_i32_f32_e32 v3, v3
.LBB38_905:
	s_mov_b64 s[20:21], 0
.LBB38_906:
	s_andn2_b64 vcc, exec, s[20:21]
	s_cbranch_vccnz .LBB38_908
; %bb.907:
	global_load_dword v3, v[0:1], off
	s_waitcnt vmcnt(0)
	v_cvt_f32_f16_e32 v3, v3
	v_cvt_i32_f32_e32 v3, v3
.LBB38_908:
	s_cbranch_execnz .LBB38_919
.LBB38_909:
	s_sext_i32_i16 s20, s44
	s_cmp_lt_i32 s20, 6
	s_cbranch_scc1 .LBB38_912
; %bb.910:
	s_cmp_gt_i32 s20, 6
	s_cbranch_scc0 .LBB38_913
; %bb.911:
	global_load_dwordx2 v[3:4], v[0:1], off
	s_mov_b64 s[20:21], 0
	s_waitcnt vmcnt(0)
	v_cvt_i32_f64_e32 v3, v[3:4]
	s_branch .LBB38_914
.LBB38_912:
	s_mov_b64 s[20:21], -1
                                        ; implicit-def: $vgpr3
	s_branch .LBB38_917
.LBB38_913:
	s_mov_b64 s[20:21], -1
                                        ; implicit-def: $vgpr3
.LBB38_914:
	s_andn2_b64 vcc, exec, s[20:21]
	s_cbranch_vccnz .LBB38_916
; %bb.915:
	global_load_dword v3, v[0:1], off
	s_waitcnt vmcnt(0)
	v_cvt_i32_f32_e32 v3, v3
.LBB38_916:
	s_mov_b64 s[20:21], 0
.LBB38_917:
	s_andn2_b64 vcc, exec, s[20:21]
	s_cbranch_vccnz .LBB38_919
; %bb.918:
	global_load_ushort v3, v[0:1], off
	s_waitcnt vmcnt(0)
	v_cvt_f32_f16_e32 v3, v3
	v_cvt_i32_f32_e32 v3, v3
.LBB38_919:
	s_cbranch_execnz .LBB38_938
.LBB38_920:
	s_sext_i32_i16 s20, s44
	s_cmp_lt_i32 s20, 2
	s_cbranch_scc1 .LBB38_924
; %bb.921:
	s_cmp_lt_i32 s20, 3
	s_cbranch_scc1 .LBB38_925
; %bb.922:
	s_cmp_gt_i32 s20, 3
	s_cbranch_scc0 .LBB38_926
; %bb.923:
	global_load_dword v3, v[0:1], off
	s_mov_b64 s[20:21], 0
	s_branch .LBB38_927
.LBB38_924:
                                        ; implicit-def: $vgpr3
	s_branch .LBB38_933
.LBB38_925:
	s_mov_b64 s[20:21], -1
                                        ; implicit-def: $vgpr3
	s_branch .LBB38_930
.LBB38_926:
	s_mov_b64 s[20:21], -1
                                        ; implicit-def: $vgpr3
.LBB38_927:
	s_andn2_b64 vcc, exec, s[20:21]
	s_cbranch_vccnz .LBB38_929
; %bb.928:
	global_load_dword v3, v[0:1], off
.LBB38_929:
	s_mov_b64 s[20:21], 0
.LBB38_930:
	s_andn2_b64 vcc, exec, s[20:21]
	s_cbranch_vccnz .LBB38_932
; %bb.931:
	global_load_sshort v3, v[0:1], off
.LBB38_932:
	s_cbranch_execnz .LBB38_938
.LBB38_933:
	s_sext_i32_i16 s20, s44
	s_cmp_gt_i32 s20, 0
	s_cbranch_scc0 .LBB38_935
; %bb.934:
	global_load_sbyte v3, v[0:1], off
	s_mov_b64 s[20:21], 0
	s_branch .LBB38_936
.LBB38_935:
	s_mov_b64 s[20:21], -1
                                        ; implicit-def: $vgpr3
.LBB38_936:
	s_andn2_b64 vcc, exec, s[20:21]
	s_cbranch_vccnz .LBB38_938
; %bb.937:
	global_load_ubyte v3, v[0:1], off
.LBB38_938:
	s_or_b64 s[0:1], s[0:1], exec
.LBB38_939:
	s_or_b64 exec, exec, s[16:17]
	s_mov_b64 s[24:25], 0
	s_mov_b64 s[22:23], 0
                                        ; implicit-def: $sgpr16_sgpr17
                                        ; implicit-def: $sgpr30
                                        ; implicit-def: $vgpr0_vgpr1
	s_and_saveexec_b64 s[20:21], s[0:1]
	s_cbranch_execz .LBB38_944
; %bb.940:
	s_cmp_lt_i32 s14, 1
	s_mov_b64 s[0:1], 0
	s_cbranch_scc1 .LBB38_947
; %bb.941:
	s_cmp_gt_i32 s14, 1
	s_cbranch_scc0 .LBB38_948
; %bb.942:
	s_cmp_eq_u32 s14, 2
	s_cbranch_scc0 .LBB38_949
; %bb.943:
	s_waitcnt vmcnt(0)
	v_cmp_ge_i32_e64 s[16:17], s15, v3
	s_branch .LBB38_951
.LBB38_944:
	s_or_b64 exec, exec, s[20:21]
	s_and_saveexec_b64 s[0:1], s[6:7]
	s_cbranch_execnz .LBB38_1036
.LBB38_945:
	s_or_b64 exec, exec, s[0:1]
	s_and_saveexec_b64 s[0:1], s[24:25]
	s_xor_b64 s[0:1], exec, s[0:1]
	s_cbranch_execz .LBB38_1037
.LBB38_946:
	v_cndmask_b32_e64 v2, 0, 1, s[16:17]
	global_store_byte v[0:1], v2, off
	s_or_b64 exec, exec, s[0:1]
	s_and_saveexec_b64 s[0:1], s[22:23]
	s_xor_b64 s[0:1], exec, s[0:1]
	s_cbranch_execz .LBB38_1075
	s_branch .LBB38_1038
.LBB38_947:
                                        ; implicit-def: $sgpr16_sgpr17
	s_cbranch_execnz .LBB38_954
	s_branch .LBB38_955
.LBB38_948:
	s_mov_b64 s[24:25], -1
	s_branch .LBB38_950
.LBB38_949:
	s_mov_b64 s[22:23], -1
.LBB38_950:
                                        ; implicit-def: $sgpr16_sgpr17
.LBB38_951:
	s_and_b64 vcc, exec, s[24:25]
	s_cbranch_vccz .LBB38_953
; %bb.952:
	s_waitcnt vmcnt(0)
	v_cmp_lt_i32_e32 vcc, s15, v3
	s_andn2_b64 s[16:17], s[16:17], exec
	s_and_b64 s[24:25], vcc, exec
	s_or_b64 s[16:17], s[16:17], s[24:25]
.LBB38_953:
	s_branch .LBB38_955
.LBB38_954:
	s_cmp_lg_u32 s14, 0
	s_mov_b64 s[0:1], -1
	s_cselect_b64 s[22:23], -1, 0
.LBB38_955:
	s_andn2_b64 vcc, exec, s[22:23]
	s_cbranch_vccnz .LBB38_957
; %bb.956:
	s_waitcnt vmcnt(0)
	v_cmp_gt_i32_e32 vcc, s15, v3
	s_andn2_b64 s[16:17], s[16:17], exec
	s_and_b64 s[22:23], vcc, exec
	s_or_b64 s[16:17], s[16:17], s[22:23]
	s_cbranch_execz .LBB38_958
	s_branch .LBB38_959
.LBB38_957:
	s_andn2_b64 vcc, exec, s[0:1]
	s_cbranch_vccnz .LBB38_959
.LBB38_958:
	s_waitcnt vmcnt(0)
	v_cmp_le_i32_e32 vcc, s15, v3
	s_andn2_b64 s[0:1], s[16:17], exec
	s_and_b64 s[16:17], vcc, exec
	s_or_b64 s[16:17], s[0:1], s[16:17]
.LBB38_959:
	v_mul_lo_u32 v0, v2, s12
	v_mov_b32_e32 v1, s9
	s_and_b32 s30, s33, 0xff
	s_cmp_lt_i32 s30, 11
	v_ashrrev_i32_e32 v2, 31, v0
	v_add_co_u32_e32 v0, vcc, s8, v0
	v_addc_co_u32_e32 v1, vcc, v1, v2, vcc
	s_cbranch_scc1 .LBB38_1033
; %bb.960:
	s_and_b32 s31, 0xffff, s30
	s_mov_b64 s[24:25], -1
	s_cmp_gt_i32 s31, 25
	s_mov_b64 s[0:1], s[6:7]
	s_cbranch_scc0 .LBB38_993
; %bb.961:
	s_mov_b64 s[22:23], -1
	s_cmp_gt_i32 s31, 28
	s_mov_b64 s[0:1], s[6:7]
	s_cbranch_scc0 .LBB38_977
; %bb.962:
	s_cmp_gt_i32 s31, 43
	s_mov_b64 s[0:1], s[6:7]
	s_cbranch_scc0 .LBB38_973
; %bb.963:
	;; [unrolled: 4-line block ×3, first 2 shown]
	s_cmp_eq_u32 s31, 46
	s_mov_b64 s[0:1], -1
	s_cbranch_scc0 .LBB38_966
; %bb.965:
	v_cndmask_b32_e64 v2, 0, 1.0, s[16:17]
	s_waitcnt vmcnt(0)
	v_bfe_u32 v3, v2, 16, 1
	s_movk_i32 s0, 0x7fff
	v_add3_u32 v2, v2, v3, s0
	v_lshrrev_b32_e32 v2, 16, v2
	global_store_dword v[0:1], v2, off
	s_mov_b64 s[0:1], 0
.LBB38_966:
	s_mov_b64 s[22:23], 0
.LBB38_967:
	s_and_b64 vcc, exec, s[22:23]
	s_cbranch_vccz .LBB38_972
; %bb.968:
	s_cmp_eq_u32 s31, 44
	s_mov_b64 s[0:1], -1
	s_cbranch_scc0 .LBB38_972
; %bb.969:
	s_waitcnt vmcnt(0)
	v_cndmask_b32_e64 v3, 0, 1.0, s[16:17]
	v_lshrrev_b32_e32 v2, 23, v3
	s_movk_i32 s0, 0xff
	v_cmp_ne_u32_e32 vcc, s0, v2
	v_mov_b32_e32 v4, 0xff
	s_and_saveexec_b64 s[22:23], vcc
; %bb.970:
	s_mov_b32 s0, 0x3fffff
	v_and_b32_e32 v4, 0x400000, v3
	v_and_or_b32 v3, v3, s0, v2
	v_cmp_ne_u32_e32 vcc, 0, v4
	v_cmp_ne_u32_e64 s[0:1], 0, v3
	s_and_b64 s[0:1], vcc, s[0:1]
	v_cndmask_b32_e64 v3, 0, 1, s[0:1]
	v_add_u32_e32 v4, v2, v3
; %bb.971:
	s_or_b64 exec, exec, s[22:23]
	s_mov_b64 s[0:1], 0
	global_store_byte v[0:1], v4, off
.LBB38_972:
	s_mov_b64 s[22:23], 0
.LBB38_973:
	s_and_b64 vcc, exec, s[22:23]
	s_cbranch_vccz .LBB38_976
; %bb.974:
	s_cmp_eq_u32 s31, 29
	s_mov_b64 s[0:1], -1
	s_cbranch_scc0 .LBB38_976
; %bb.975:
	s_mov_b32 s0, 0
	v_cndmask_b32_e64 v2, 0, 1, s[16:17]
	s_waitcnt vmcnt(0)
	v_mov_b32_e32 v3, s0
	global_store_dwordx2 v[0:1], v[2:3], off
	s_mov_b64 s[0:1], 0
.LBB38_976:
	s_mov_b64 s[22:23], 0
.LBB38_977:
	s_and_b64 vcc, exec, s[22:23]
	s_cbranch_vccz .LBB38_992
; %bb.978:
	s_cmp_lt_i32 s31, 27
	s_mov_b64 s[22:23], -1
	s_cbranch_scc1 .LBB38_984
; %bb.979:
	s_cmp_gt_i32 s31, 27
	v_cndmask_b32_e64 v2, 0, 1, s[16:17]
	s_cbranch_scc0 .LBB38_981
; %bb.980:
	s_mov_b64 s[22:23], 0
	global_store_dword v[0:1], v2, off
.LBB38_981:
	s_andn2_b64 vcc, exec, s[22:23]
	s_cbranch_vccnz .LBB38_983
; %bb.982:
	global_store_short v[0:1], v2, off
.LBB38_983:
	s_mov_b64 s[22:23], 0
.LBB38_984:
	s_andn2_b64 vcc, exec, s[22:23]
	s_cbranch_vccnz .LBB38_992
; %bb.985:
	s_waitcnt vmcnt(0)
	v_cndmask_b32_e64 v3, 0, 1.0, s[16:17]
	s_mov_b32 s22, 0x43800000
	v_cmp_gt_u32_e32 vcc, s22, v3
	v_mov_b32_e32 v4, 0x80
	s_and_saveexec_b64 s[22:23], vcc
	s_cbranch_execz .LBB38_991
; %bb.986:
	s_mov_b32 s24, 0x3bffffff
	v_cmp_lt_u32_e32 vcc, s24, v3
	s_mov_b64 s[24:25], 0
                                        ; implicit-def: $vgpr2
	s_and_saveexec_b64 s[26:27], vcc
	s_xor_b64 s[26:27], exec, s[26:27]
	s_cbranch_execz .LBB38_1090
; %bb.987:
	v_bfe_u32 v2, v3, 20, 1
	s_mov_b32 s28, 0x487ffff
	v_add3_u32 v2, v3, v2, s28
	s_mov_b64 s[24:25], exec
	v_lshrrev_b32_e32 v2, 20, v2
                                        ; implicit-def: $vgpr3
	s_andn2_saveexec_b64 s[26:27], s[26:27]
	s_cbranch_execnz .LBB38_1091
.LBB38_988:
	s_or_b64 exec, exec, s[26:27]
	v_mov_b32_e32 v4, 0
	s_and_saveexec_b64 s[26:27], s[24:25]
.LBB38_989:
	v_mov_b32_e32 v4, v2
.LBB38_990:
	s_or_b64 exec, exec, s[26:27]
.LBB38_991:
	s_or_b64 exec, exec, s[22:23]
	global_store_byte v[0:1], v4, off
.LBB38_992:
	s_mov_b64 s[24:25], 0
.LBB38_993:
	s_mov_b64 s[22:23], 0
	s_and_b64 vcc, exec, s[24:25]
	s_cbranch_vccz .LBB38_1034
; %bb.994:
	s_cmp_gt_i32 s31, 22
	s_mov_b64 s[24:25], -1
	s_cbranch_scc0 .LBB38_1026
; %bb.995:
	s_cmp_lt_i32 s31, 24
	s_cbranch_scc1 .LBB38_1015
; %bb.996:
	s_cmp_gt_i32 s31, 24
	s_cbranch_scc0 .LBB38_1004
; %bb.997:
	s_waitcnt vmcnt(0)
	v_cndmask_b32_e64 v3, 0, 1.0, s[16:17]
	s_mov_b32 s24, 0x47800000
	v_cmp_gt_u32_e32 vcc, s24, v3
	v_mov_b32_e32 v4, 0x80
	s_and_saveexec_b64 s[24:25], vcc
	s_cbranch_execz .LBB38_1003
; %bb.998:
	s_mov_b32 s26, 0x37ffffff
	v_cmp_lt_u32_e32 vcc, s26, v3
	s_mov_b64 s[26:27], 0
                                        ; implicit-def: $vgpr2
	s_and_saveexec_b64 s[28:29], vcc
	s_xor_b64 s[28:29], exec, s[28:29]
	s_cbranch_execz .LBB38_1225
; %bb.999:
	v_bfe_u32 v2, v3, 21, 1
	s_mov_b32 s34, 0x88fffff
	v_add3_u32 v2, v3, v2, s34
	s_mov_b64 s[26:27], exec
	v_lshrrev_b32_e32 v2, 21, v2
                                        ; implicit-def: $vgpr3
	s_andn2_saveexec_b64 s[28:29], s[28:29]
	s_cbranch_execnz .LBB38_1226
.LBB38_1000:
	s_or_b64 exec, exec, s[28:29]
	v_mov_b32_e32 v4, 0
	s_and_saveexec_b64 s[28:29], s[26:27]
.LBB38_1001:
	v_mov_b32_e32 v4, v2
.LBB38_1002:
	s_or_b64 exec, exec, s[28:29]
.LBB38_1003:
	s_or_b64 exec, exec, s[24:25]
	s_mov_b64 s[24:25], 0
	global_store_byte v[0:1], v4, off
.LBB38_1004:
	s_and_b64 vcc, exec, s[24:25]
	s_cbranch_vccz .LBB38_1014
; %bb.1005:
	v_cndmask_b32_e64 v2, 0, 1.0, s[16:17]
	s_mov_b32 s24, 0x43f00000
	v_cmp_gt_u32_e32 vcc, s24, v2
                                        ; implicit-def: $vgpr3
	s_and_saveexec_b64 s[24:25], vcc
	s_xor_b64 s[24:25], exec, s[24:25]
	s_cbranch_execz .LBB38_1011
; %bb.1006:
	s_mov_b32 s26, 0x3c7fffff
	v_cmp_lt_u32_e32 vcc, s26, v2
                                        ; implicit-def: $vgpr3
	s_and_saveexec_b64 s[26:27], vcc
	s_xor_b64 s[26:27], exec, s[26:27]
	s_cbranch_execz .LBB38_1008
; %bb.1007:
	s_waitcnt vmcnt(0)
	v_bfe_u32 v3, v2, 20, 1
	s_mov_b32 s28, 0x407ffff
	v_add3_u32 v2, v2, v3, s28
	v_lshrrev_b32_e32 v3, 20, v2
	v_and_b32_e32 v2, 0xff00000, v2
	s_mov_b32 s28, 0x7f00000
	v_mov_b32_e32 v4, 0x7e
	v_cmp_ne_u32_e32 vcc, s28, v2
	v_cndmask_b32_e32 v3, v4, v3, vcc
                                        ; implicit-def: $vgpr2
.LBB38_1008:
	s_andn2_saveexec_b64 s[26:27], s[26:27]
	s_cbranch_execz .LBB38_1010
; %bb.1009:
	s_waitcnt vmcnt(0)
	v_add_f32_e32 v3, 0x46800000, v2
.LBB38_1010:
	s_or_b64 exec, exec, s[26:27]
                                        ; implicit-def: $vgpr2
.LBB38_1011:
	s_andn2_saveexec_b64 s[24:25], s[24:25]
	s_cbranch_execz .LBB38_1013
; %bb.1012:
	s_mov_b32 s26, 0x7f800000
	s_waitcnt vmcnt(0)
	v_mov_b32_e32 v3, 0x7e
	v_mov_b32_e32 v4, 0x7f
	v_cmp_lt_u32_e32 vcc, s26, v2
	v_cndmask_b32_e32 v3, v3, v4, vcc
.LBB38_1013:
	s_or_b64 exec, exec, s[24:25]
	s_waitcnt vmcnt(0)
	global_store_byte v[0:1], v3, off
.LBB38_1014:
	s_mov_b64 s[24:25], 0
.LBB38_1015:
	s_andn2_b64 vcc, exec, s[24:25]
	s_cbranch_vccnz .LBB38_1025
; %bb.1016:
	v_cndmask_b32_e64 v2, 0, 1.0, s[16:17]
	s_mov_b32 s24, 0x47800000
	v_cmp_gt_u32_e32 vcc, s24, v2
                                        ; implicit-def: $vgpr3
	s_and_saveexec_b64 s[24:25], vcc
	s_xor_b64 s[24:25], exec, s[24:25]
	s_cbranch_execz .LBB38_1022
; %bb.1017:
	s_mov_b32 s26, 0x387fffff
	v_cmp_lt_u32_e32 vcc, s26, v2
                                        ; implicit-def: $vgpr3
	s_and_saveexec_b64 s[26:27], vcc
	s_xor_b64 s[26:27], exec, s[26:27]
	s_cbranch_execz .LBB38_1019
; %bb.1018:
	s_waitcnt vmcnt(0)
	v_bfe_u32 v3, v2, 21, 1
	s_mov_b32 s28, 0x80fffff
	v_add3_u32 v2, v2, v3, s28
	v_lshrrev_b32_e32 v3, 21, v2
                                        ; implicit-def: $vgpr2
.LBB38_1019:
	s_andn2_saveexec_b64 s[26:27], s[26:27]
	s_cbranch_execz .LBB38_1021
; %bb.1020:
	s_waitcnt vmcnt(0)
	v_add_f32_e32 v3, 0x43000000, v2
.LBB38_1021:
	s_or_b64 exec, exec, s[26:27]
                                        ; implicit-def: $vgpr2
.LBB38_1022:
	s_andn2_saveexec_b64 s[24:25], s[24:25]
	s_cbranch_execz .LBB38_1024
; %bb.1023:
	s_mov_b32 s26, 0x7f800000
	s_waitcnt vmcnt(0)
	v_mov_b32_e32 v3, 0x7c
	v_mov_b32_e32 v4, 0x7f
	v_cmp_lt_u32_e32 vcc, s26, v2
	v_cndmask_b32_e32 v3, v3, v4, vcc
.LBB38_1024:
	s_or_b64 exec, exec, s[24:25]
	s_waitcnt vmcnt(0)
	global_store_byte v[0:1], v3, off
.LBB38_1025:
	s_mov_b64 s[24:25], 0
.LBB38_1026:
	s_andn2_b64 vcc, exec, s[24:25]
	s_mov_b64 s[24:25], 0
	s_cbranch_vccnz .LBB38_1035
; %bb.1027:
	s_cmp_gt_i32 s31, 14
	s_mov_b64 s[26:27], -1
	s_cbranch_scc0 .LBB38_1031
; %bb.1028:
	s_cmp_eq_u32 s31, 15
	s_mov_b64 s[0:1], -1
	s_cbranch_scc0 .LBB38_1030
; %bb.1029:
	v_cndmask_b32_e64 v2, 0, 1.0, s[16:17]
	s_waitcnt vmcnt(0)
	v_bfe_u32 v3, v2, 16, 1
	s_movk_i32 s0, 0x7fff
	v_add3_u32 v2, v2, v3, s0
	global_store_short_d16_hi v[0:1], v2, off
	s_mov_b64 s[0:1], 0
.LBB38_1030:
	s_mov_b64 s[26:27], 0
.LBB38_1031:
	s_and_b64 vcc, exec, s[26:27]
	s_cbranch_vccz .LBB38_1035
; %bb.1032:
	s_cmp_lg_u32 s31, 11
	s_cselect_b64 s[26:27], -1, 0
	s_andn2_b64 s[0:1], s[0:1], exec
	s_and_b64 s[26:27], s[26:27], exec
	s_mov_b64 s[24:25], -1
	s_or_b64 s[0:1], s[0:1], s[26:27]
	s_branch .LBB38_1035
.LBB38_1033:
	s_mov_b64 s[24:25], 0
	s_mov_b64 s[22:23], -1
	s_mov_b64 s[0:1], s[6:7]
	s_branch .LBB38_1035
.LBB38_1034:
	s_mov_b64 s[24:25], 0
.LBB38_1035:
	s_andn2_b64 s[6:7], s[6:7], exec
	s_and_b64 s[0:1], s[0:1], exec
	s_and_b64 s[22:23], s[22:23], exec
	;; [unrolled: 1-line block ×3, first 2 shown]
	s_or_b64 s[6:7], s[6:7], s[0:1]
	s_or_b64 exec, exec, s[20:21]
	s_and_saveexec_b64 s[0:1], s[6:7]
	s_cbranch_execz .LBB38_945
.LBB38_1036:
	s_or_b64 s[18:19], s[18:19], exec
	s_andn2_b64 s[24:25], s[24:25], exec
	s_trap 2
	s_or_b64 exec, exec, s[0:1]
	s_and_saveexec_b64 s[0:1], s[24:25]
	s_xor_b64 s[0:1], exec, s[0:1]
	s_cbranch_execnz .LBB38_946
.LBB38_1037:
	s_or_b64 exec, exec, s[0:1]
	s_and_saveexec_b64 s[0:1], s[22:23]
	s_xor_b64 s[0:1], exec, s[0:1]
	s_cbranch_execz .LBB38_1075
.LBB38_1038:
	s_sext_i32_i16 s20, s30
	s_cmp_lt_i32 s20, 5
	s_mov_b64 s[6:7], -1
	s_cbranch_scc1 .LBB38_1059
; %bb.1039:
	s_cmp_lt_i32 s20, 8
	s_cbranch_scc1 .LBB38_1049
; %bb.1040:
	s_cmp_lt_i32 s20, 9
	s_cbranch_scc1 .LBB38_1046
; %bb.1041:
	s_cmp_gt_i32 s20, 9
	s_cbranch_scc0 .LBB38_1043
; %bb.1042:
	v_cndmask_b32_e64 v2, 0, 1, s[16:17]
	s_waitcnt vmcnt(0)
	v_cvt_f64_u32_e32 v[2:3], v2
	v_mov_b32_e32 v4, 0
	v_mov_b32_e32 v5, v4
	s_mov_b64 s[6:7], 0
	global_store_dwordx4 v[0:1], v[2:5], off
.LBB38_1043:
	s_andn2_b64 vcc, exec, s[6:7]
	s_cbranch_vccnz .LBB38_1045
; %bb.1044:
	v_cndmask_b32_e64 v2, 0, 1.0, s[16:17]
	s_waitcnt vmcnt(0)
	v_mov_b32_e32 v3, 0
	global_store_dwordx2 v[0:1], v[2:3], off
.LBB38_1045:
	s_mov_b64 s[6:7], 0
.LBB38_1046:
	s_andn2_b64 vcc, exec, s[6:7]
	s_cbranch_vccnz .LBB38_1048
; %bb.1047:
	v_cndmask_b32_e64 v2, 0, 1.0, s[16:17]
	v_cvt_f16_f32_e32 v2, v2
	global_store_dword v[0:1], v2, off
.LBB38_1048:
	s_mov_b64 s[6:7], 0
.LBB38_1049:
	s_andn2_b64 vcc, exec, s[6:7]
	s_cbranch_vccnz .LBB38_1058
; %bb.1050:
	s_sext_i32_i16 s20, s30
	s_cmp_lt_i32 s20, 6
	s_mov_b64 s[6:7], -1
	s_cbranch_scc1 .LBB38_1056
; %bb.1051:
	s_cmp_gt_i32 s20, 6
	s_cbranch_scc0 .LBB38_1053
; %bb.1052:
	v_cndmask_b32_e64 v2, 0, 1, s[16:17]
	s_waitcnt vmcnt(0)
	v_cvt_f64_u32_e32 v[2:3], v2
	s_mov_b64 s[6:7], 0
	global_store_dwordx2 v[0:1], v[2:3], off
.LBB38_1053:
	s_andn2_b64 vcc, exec, s[6:7]
	s_cbranch_vccnz .LBB38_1055
; %bb.1054:
	v_cndmask_b32_e64 v2, 0, 1.0, s[16:17]
	global_store_dword v[0:1], v2, off
.LBB38_1055:
	s_mov_b64 s[6:7], 0
.LBB38_1056:
	s_andn2_b64 vcc, exec, s[6:7]
	s_cbranch_vccnz .LBB38_1058
; %bb.1057:
	v_cndmask_b32_e64 v2, 0, 1.0, s[16:17]
	v_cvt_f16_f32_e32 v2, v2
	global_store_short v[0:1], v2, off
.LBB38_1058:
	s_mov_b64 s[6:7], 0
.LBB38_1059:
	s_andn2_b64 vcc, exec, s[6:7]
	s_cbranch_vccnz .LBB38_1075
; %bb.1060:
	s_sext_i32_i16 s20, s30
	s_cmp_lt_i32 s20, 2
	s_mov_b64 s[6:7], -1
	s_cbranch_scc1 .LBB38_1070
; %bb.1061:
	s_cmp_lt_i32 s20, 3
	s_cbranch_scc1 .LBB38_1067
; %bb.1062:
	s_cmp_gt_i32 s20, 3
	s_cbranch_scc0 .LBB38_1064
; %bb.1063:
	s_mov_b32 s6, 0
	v_cndmask_b32_e64 v2, 0, 1, s[16:17]
	s_waitcnt vmcnt(0)
	v_mov_b32_e32 v3, s6
	s_mov_b64 s[6:7], 0
	global_store_dwordx2 v[0:1], v[2:3], off
.LBB38_1064:
	s_andn2_b64 vcc, exec, s[6:7]
	s_cbranch_vccnz .LBB38_1066
; %bb.1065:
	v_cndmask_b32_e64 v2, 0, 1, s[16:17]
	global_store_dword v[0:1], v2, off
.LBB38_1066:
	s_mov_b64 s[6:7], 0
.LBB38_1067:
	s_andn2_b64 vcc, exec, s[6:7]
	s_cbranch_vccnz .LBB38_1069
; %bb.1068:
	v_cndmask_b32_e64 v2, 0, 1, s[16:17]
	global_store_short v[0:1], v2, off
.LBB38_1069:
	s_mov_b64 s[6:7], 0
.LBB38_1070:
	s_andn2_b64 vcc, exec, s[6:7]
	s_cbranch_vccnz .LBB38_1075
; %bb.1071:
	s_sext_i32_i16 s20, s30
	s_mov_b64 s[6:7], -1
	s_cmp_gt_i32 s20, 0
	v_cndmask_b32_e64 v2, 0, 1, s[16:17]
	s_cbranch_scc0 .LBB38_1073
; %bb.1072:
	s_mov_b64 s[6:7], 0
	global_store_byte v[0:1], v2, off
.LBB38_1073:
	s_andn2_b64 vcc, exec, s[6:7]
	s_cbranch_vccnz .LBB38_1075
; %bb.1074:
	global_store_byte v[0:1], v2, off
.LBB38_1075:
	s_or_b64 exec, exec, s[0:1]
	s_and_b64 s[6:7], s[18:19], exec
                                        ; implicit-def: $vgpr2
.LBB38_1076:
	s_or_saveexec_b64 s[4:5], s[4:5]
	s_mov_b64 s[0:1], 0
                                        ; implicit-def: $sgpr20_sgpr21
                                        ; implicit-def: $sgpr28
                                        ; implicit-def: $vgpr0_vgpr1
	s_xor_b64 exec, exec, s[4:5]
	s_cbranch_execz .LBB38_1626
; %bb.1077:
	s_waitcnt vmcnt(0)
	v_mul_lo_u32 v3, s13, v2
	v_mov_b32_e32 v1, s11
	s_and_b32 s26, 0xffff, s44
	s_cmp_lt_i32 s26, 11
	v_ashrrev_i32_e32 v4, 31, v3
	v_add_co_u32_e32 v0, vcc, s10, v3
	v_addc_co_u32_e32 v1, vcc, v1, v4, vcc
	s_cbranch_scc1 .LBB38_1084
; %bb.1078:
	s_cmp_gt_i32 s26, 25
	s_cbranch_scc0 .LBB38_1086
; %bb.1079:
	s_cmp_gt_i32 s26, 28
	s_cbranch_scc0 .LBB38_1087
	;; [unrolled: 3-line block ×4, first 2 shown]
; %bb.1082:
	s_cmp_eq_u32 s26, 46
	s_mov_b64 s[16:17], 0
	s_cbranch_scc0 .LBB38_1092
; %bb.1083:
	global_load_dword v4, v[0:1], off
	s_mov_b64 s[18:19], -1
	s_waitcnt vmcnt(0)
	v_lshlrev_b32_e32 v4, 16, v4
	v_cvt_i32_f32_e32 v4, v4
	s_branch .LBB38_1093
.LBB38_1084:
	s_mov_b64 s[18:19], 0
                                        ; implicit-def: $vgpr4
	s_mov_b64 s[16:17], s[6:7]
	s_cbranch_execnz .LBB38_1151
.LBB38_1085:
	s_andn2_b64 vcc, exec, s[18:19]
	s_cbranch_vccz .LBB38_1196
	s_branch .LBB38_1623
.LBB38_1086:
	s_mov_b64 s[18:19], 0
                                        ; implicit-def: $vgpr4
	s_cbranch_execnz .LBB38_1118
	s_branch .LBB38_1147
.LBB38_1087:
	s_mov_b64 s[18:19], 0
                                        ; implicit-def: $vgpr4
	s_cbranch_execz .LBB38_1117
	s_branch .LBB38_1102
.LBB38_1088:
	s_mov_b64 s[18:19], 0
                                        ; implicit-def: $vgpr4
	s_cbranch_execnz .LBB38_1098
	s_branch .LBB38_1101
.LBB38_1089:
	s_mov_b64 s[16:17], -1
	s_mov_b64 s[18:19], 0
                                        ; implicit-def: $vgpr4
	s_branch .LBB38_1093
.LBB38_1090:
	s_andn2_saveexec_b64 s[26:27], s[26:27]
	s_cbranch_execz .LBB38_988
.LBB38_1091:
	v_add_f32_e32 v2, 0x46000000, v3
	v_and_b32_e32 v2, 0xff, v2
	v_cmp_ne_u32_e32 vcc, 0, v2
	s_andn2_b64 s[24:25], s[24:25], exec
	s_and_b64 s[28:29], vcc, exec
	s_or_b64 s[24:25], s[24:25], s[28:29]
	s_or_b64 exec, exec, s[26:27]
	v_mov_b32_e32 v4, 0
	s_and_saveexec_b64 s[26:27], s[24:25]
	s_cbranch_execnz .LBB38_989
	s_branch .LBB38_990
.LBB38_1092:
	s_mov_b64 s[0:1], -1
                                        ; implicit-def: $vgpr4
	s_mov_b64 s[18:19], 0
.LBB38_1093:
	s_and_b64 vcc, exec, s[16:17]
	s_cbranch_vccz .LBB38_1096
; %bb.1094:
	s_cmp_eq_u32 s26, 44
	s_cbranch_scc0 .LBB38_1097
; %bb.1095:
	global_load_ubyte v4, v[0:1], off
	s_mov_b64 s[0:1], 0
	s_mov_b64 s[18:19], -1
	s_waitcnt vmcnt(0)
	v_lshlrev_b32_e32 v5, 23, v4
	v_cvt_i32_f32_e32 v5, v5
	v_cmp_ne_u32_e32 vcc, 0, v4
	v_cndmask_b32_e32 v4, 0, v5, vcc
.LBB38_1096:
	s_branch .LBB38_1101
.LBB38_1097:
	s_mov_b64 s[0:1], -1
                                        ; implicit-def: $vgpr4
	s_branch .LBB38_1101
.LBB38_1098:
	s_cmp_eq_u32 s26, 29
	s_cbranch_scc0 .LBB38_1100
; %bb.1099:
	global_load_dword v4, v[0:1], off
	s_mov_b64 s[0:1], 0
	s_mov_b64 s[18:19], -1
	s_branch .LBB38_1101
.LBB38_1100:
	s_mov_b64 s[0:1], -1
                                        ; implicit-def: $vgpr4
.LBB38_1101:
	s_branch .LBB38_1117
.LBB38_1102:
	s_cmp_lt_i32 s26, 27
	s_cbranch_scc1 .LBB38_1105
; %bb.1103:
	s_cmp_gt_i32 s26, 27
	s_cbranch_scc0 .LBB38_1106
; %bb.1104:
	global_load_dword v4, v[0:1], off
	s_mov_b64 s[16:17], 0
	s_branch .LBB38_1107
.LBB38_1105:
	s_mov_b64 s[16:17], -1
                                        ; implicit-def: $vgpr4
	s_branch .LBB38_1110
.LBB38_1106:
	s_mov_b64 s[16:17], -1
                                        ; implicit-def: $vgpr4
.LBB38_1107:
	s_andn2_b64 vcc, exec, s[16:17]
	s_cbranch_vccnz .LBB38_1109
; %bb.1108:
	global_load_ushort v4, v[0:1], off
.LBB38_1109:
	s_mov_b64 s[16:17], 0
.LBB38_1110:
	s_andn2_b64 vcc, exec, s[16:17]
	s_cbranch_vccnz .LBB38_1116
; %bb.1111:
	global_load_ubyte v5, v[0:1], off
	s_movk_i32 s16, 0x7f
	s_mov_b64 s[18:19], 0
	s_waitcnt vmcnt(0)
	v_cmp_lt_i16_e32 vcc, s16, v5
	s_and_saveexec_b64 s[16:17], vcc
	s_xor_b64 s[16:17], exec, s[16:17]
	s_cbranch_execz .LBB38_1127
; %bb.1112:
	s_movk_i32 s18, 0x80
	v_cmp_ne_u16_e32 vcc, s18, v5
	s_and_b64 s[18:19], vcc, exec
	s_andn2_saveexec_b64 s[16:17], s[16:17]
	s_cbranch_execnz .LBB38_1128
.LBB38_1113:
	s_or_b64 exec, exec, s[16:17]
	v_mov_b32_e32 v4, 0
	s_and_saveexec_b64 s[16:17], s[18:19]
	s_cbranch_execz .LBB38_1115
.LBB38_1114:
	v_lshlrev_b32_e32 v4, 24, v5
	v_and_b32_e32 v5, 0xffff, v5
	v_and_b32_e32 v6, 7, v5
	v_ffbh_u32_e32 v8, v6
	v_min_u32_e32 v8, 32, v8
	v_subrev_u32_e32 v9, 28, v8
	v_bfe_u32 v7, v5, 3, 4
	v_lshlrev_b32_e32 v5, v9, v5
	v_sub_u32_e32 v8, 29, v8
	v_and_b32_e32 v5, 7, v5
	v_cmp_eq_u32_e32 vcc, 0, v7
	v_cndmask_b32_e32 v7, v7, v8, vcc
	v_cndmask_b32_e32 v5, v6, v5, vcc
	v_mov_b32_e32 v6, 0x3b800000
	v_lshlrev_b32_e32 v5, 20, v5
	v_and_b32_e32 v4, 0x80000000, v4
	v_lshl_add_u32 v6, v7, 23, v6
	v_or3_b32 v4, v4, v6, v5
	v_cvt_i32_f32_e32 v4, v4
.LBB38_1115:
	s_or_b64 exec, exec, s[16:17]
.LBB38_1116:
	s_mov_b64 s[18:19], -1
.LBB38_1117:
	s_branch .LBB38_1147
.LBB38_1118:
	s_cmp_gt_i32 s26, 22
	s_cbranch_scc0 .LBB38_1126
; %bb.1119:
	s_cmp_lt_i32 s26, 24
	s_cbranch_scc1 .LBB38_1129
; %bb.1120:
	s_cmp_gt_i32 s26, 24
	s_cbranch_scc0 .LBB38_1130
; %bb.1121:
	global_load_ubyte v5, v[0:1], off
	s_movk_i32 s2, 0x7f
	s_mov_b64 s[16:17], 0
	s_waitcnt vmcnt(0)
	v_cmp_lt_i16_e32 vcc, s2, v5
	s_and_saveexec_b64 s[2:3], vcc
	s_xor_b64 s[2:3], exec, s[2:3]
	s_cbranch_execz .LBB38_1141
; %bb.1122:
	s_movk_i32 s16, 0x80
	v_cmp_ne_u16_e32 vcc, s16, v5
	s_and_b64 s[16:17], vcc, exec
	s_andn2_saveexec_b64 s[2:3], s[2:3]
	s_cbranch_execnz .LBB38_1142
.LBB38_1123:
	s_or_b64 exec, exec, s[2:3]
	v_mov_b32_e32 v4, 0
	s_and_saveexec_b64 s[2:3], s[16:17]
	s_cbranch_execz .LBB38_1125
.LBB38_1124:
	v_lshlrev_b32_e32 v4, 24, v5
	v_and_b32_e32 v5, 0xffff, v5
	v_and_b32_e32 v6, 3, v5
	v_ffbh_u32_e32 v8, v6
	v_min_u32_e32 v8, 32, v8
	v_subrev_u32_e32 v9, 29, v8
	v_bfe_u32 v7, v5, 2, 5
	v_lshlrev_b32_e32 v5, v9, v5
	v_sub_u32_e32 v8, 30, v8
	v_and_b32_e32 v5, 3, v5
	v_cmp_eq_u32_e32 vcc, 0, v7
	v_cndmask_b32_e32 v7, v7, v8, vcc
	v_cndmask_b32_e32 v5, v6, v5, vcc
	v_mov_b32_e32 v6, 0x37800000
	v_lshlrev_b32_e32 v5, 21, v5
	v_and_b32_e32 v4, 0x80000000, v4
	v_lshl_add_u32 v6, v7, 23, v6
	v_or3_b32 v4, v4, v6, v5
	v_cvt_i32_f32_e32 v4, v4
.LBB38_1125:
	s_or_b64 exec, exec, s[2:3]
	s_mov_b64 s[2:3], 0
	s_branch .LBB38_1131
.LBB38_1126:
                                        ; implicit-def: $vgpr4
	s_mov_b64 s[2:3], 0
	s_branch .LBB38_1137
.LBB38_1127:
	s_andn2_saveexec_b64 s[16:17], s[16:17]
	s_cbranch_execz .LBB38_1113
.LBB38_1128:
	v_cmp_ne_u16_e32 vcc, 0, v5
	s_andn2_b64 s[18:19], s[18:19], exec
	s_and_b64 s[20:21], vcc, exec
	s_or_b64 s[18:19], s[18:19], s[20:21]
	s_or_b64 exec, exec, s[16:17]
	v_mov_b32_e32 v4, 0
	s_and_saveexec_b64 s[16:17], s[18:19]
	s_cbranch_execnz .LBB38_1114
	s_branch .LBB38_1115
.LBB38_1129:
	s_mov_b64 s[2:3], -1
                                        ; implicit-def: $vgpr4
	s_branch .LBB38_1134
.LBB38_1130:
	s_mov_b64 s[2:3], -1
                                        ; implicit-def: $vgpr4
.LBB38_1131:
	s_and_b64 vcc, exec, s[2:3]
	s_cbranch_vccz .LBB38_1133
; %bb.1132:
	global_load_ubyte v4, v[0:1], off
	s_mov_b32 s2, 0x7f800000
	s_waitcnt vmcnt(0)
	v_lshlrev_b32_e32 v4, 24, v4
	v_and_b32_e32 v5, 0x7f000000, v4
	v_ffbh_u32_e32 v6, v5
	v_min_u32_e32 v6, 32, v6
	v_sub_u32_e64 v6, v6, 4 clamp
	v_lshlrev_b32_e32 v8, v6, v5
	v_lshlrev_b32_e32 v6, 23, v6
	v_lshrrev_b32_e32 v8, 4, v8
	v_add_u32_e32 v7, 0x1000000, v5
	v_sub_u32_e32 v6, v8, v6
	v_ashrrev_i32_e32 v7, 8, v7
	v_add_u32_e32 v6, 0x3c000000, v6
	v_and_or_b32 v6, v7, s2, v6
	v_cmp_ne_u32_e32 vcc, 0, v5
	v_cndmask_b32_e32 v5, 0, v6, vcc
	s_brev_b32 s2, 1
	v_and_or_b32 v4, v4, s2, v5
	v_cvt_i32_f32_e32 v4, v4
.LBB38_1133:
	s_mov_b64 s[2:3], 0
.LBB38_1134:
	s_andn2_b64 vcc, exec, s[2:3]
	s_cbranch_vccnz .LBB38_1136
; %bb.1135:
	global_load_ubyte v4, v[0:1], off
	s_movk_i32 s2, 0x7f00
	s_brev_b32 s3, 16
	s_waitcnt vmcnt(0)
	v_lshlrev_b16_e32 v5, 8, v4
	v_lshlrev_b32_e32 v4, 25, v4
	v_lshrrev_b32_e32 v6, 4, v4
	v_and_or_b32 v7, v5, s2, 0.5
	v_or_b32_e32 v6, 0x70000000, v6
	v_add_f32_e32 v7, -0.5, v7
	v_mul_f32_e32 v6, 0x7800000, v6
	v_cmp_gt_u32_e32 vcc, s3, v4
	v_bfe_i32 v5, v5, 0, 16
	v_cndmask_b32_e32 v4, v6, v7, vcc
	s_brev_b32 s2, 1
	v_and_or_b32 v4, v5, s2, v4
	v_cvt_i32_f32_e32 v4, v4
.LBB38_1136:
	s_mov_b64 s[18:19], -1
	s_mov_b64 s[2:3], 0
	s_cbranch_execnz .LBB38_1147
.LBB38_1137:
	s_cmp_gt_i32 s26, 14
	s_cbranch_scc0 .LBB38_1140
; %bb.1138:
	s_cmp_eq_u32 s26, 15
	s_cbranch_scc0 .LBB38_1143
; %bb.1139:
	global_load_ushort v4, v[0:1], off
	s_mov_b64 s[0:1], 0
	s_mov_b64 s[18:19], -1
	s_waitcnt vmcnt(0)
	v_lshlrev_b32_e32 v4, 16, v4
	v_cvt_i32_f32_e32 v4, v4
	s_branch .LBB38_1144
.LBB38_1140:
	s_mov_b64 s[16:17], -1
                                        ; implicit-def: $vgpr4
	s_branch .LBB38_1145
.LBB38_1141:
	s_andn2_saveexec_b64 s[2:3], s[2:3]
	s_cbranch_execz .LBB38_1123
.LBB38_1142:
	v_cmp_ne_u16_e32 vcc, 0, v5
	s_andn2_b64 s[16:17], s[16:17], exec
	s_and_b64 s[18:19], vcc, exec
	s_or_b64 s[16:17], s[16:17], s[18:19]
	s_or_b64 exec, exec, s[2:3]
	v_mov_b32_e32 v4, 0
	s_and_saveexec_b64 s[2:3], s[16:17]
	s_cbranch_execnz .LBB38_1124
	s_branch .LBB38_1125
.LBB38_1143:
	s_mov_b64 s[0:1], -1
                                        ; implicit-def: $vgpr4
.LBB38_1144:
	s_mov_b64 s[16:17], 0
.LBB38_1145:
	s_and_b64 vcc, exec, s[16:17]
	s_cbranch_vccz .LBB38_1147
; %bb.1146:
	s_cmp_lg_u32 s26, 11
	s_mov_b64 s[2:3], -1
	s_cselect_b64 s[0:1], -1, 0
.LBB38_1147:
	s_and_b64 vcc, exec, s[0:1]
	s_mov_b64 s[16:17], s[6:7]
	s_cbranch_vccnz .LBB38_1223
; %bb.1148:
	s_andn2_b64 vcc, exec, s[2:3]
	s_cbranch_vccnz .LBB38_1150
.LBB38_1149:
	global_load_ubyte v4, v[0:1], off
	s_mov_b64 s[18:19], -1
	s_waitcnt vmcnt(0)
	v_cmp_ne_u16_e32 vcc, 0, v4
	v_cndmask_b32_e64 v4, 0, 1, vcc
.LBB38_1150:
	s_branch .LBB38_1085
.LBB38_1151:
	s_cmp_lt_i32 s26, 5
	s_cbranch_scc1 .LBB38_1156
; %bb.1152:
	s_cmp_lt_i32 s26, 8
	s_cbranch_scc1 .LBB38_1157
; %bb.1153:
	;; [unrolled: 3-line block ×3, first 2 shown]
	s_cmp_gt_i32 s26, 9
	s_cbranch_scc0 .LBB38_1159
; %bb.1155:
	global_load_dwordx2 v[4:5], v[0:1], off
	s_mov_b64 s[0:1], 0
	s_waitcnt vmcnt(0)
	v_cvt_i32_f64_e32 v4, v[4:5]
	s_branch .LBB38_1160
.LBB38_1156:
                                        ; implicit-def: $vgpr4
	s_branch .LBB38_1177
.LBB38_1157:
                                        ; implicit-def: $vgpr4
	s_branch .LBB38_1166
.LBB38_1158:
	s_mov_b64 s[0:1], -1
                                        ; implicit-def: $vgpr4
	s_branch .LBB38_1163
.LBB38_1159:
	s_mov_b64 s[0:1], -1
                                        ; implicit-def: $vgpr4
.LBB38_1160:
	s_andn2_b64 vcc, exec, s[0:1]
	s_cbranch_vccnz .LBB38_1162
; %bb.1161:
	global_load_dword v4, v[0:1], off
	s_waitcnt vmcnt(0)
	v_cvt_i32_f32_e32 v4, v4
.LBB38_1162:
	s_mov_b64 s[0:1], 0
.LBB38_1163:
	s_andn2_b64 vcc, exec, s[0:1]
	s_cbranch_vccnz .LBB38_1165
; %bb.1164:
	global_load_dword v4, v[0:1], off
	s_waitcnt vmcnt(0)
	v_cvt_f32_f16_e32 v4, v4
	v_cvt_i32_f32_e32 v4, v4
.LBB38_1165:
	s_cbranch_execnz .LBB38_1176
.LBB38_1166:
	s_cmp_lt_i32 s26, 6
	s_cbranch_scc1 .LBB38_1169
; %bb.1167:
	s_cmp_gt_i32 s26, 6
	s_cbranch_scc0 .LBB38_1170
; %bb.1168:
	global_load_dwordx2 v[4:5], v[0:1], off
	s_mov_b64 s[0:1], 0
	s_waitcnt vmcnt(0)
	v_cvt_i32_f64_e32 v4, v[4:5]
	s_branch .LBB38_1171
.LBB38_1169:
	s_mov_b64 s[0:1], -1
                                        ; implicit-def: $vgpr4
	s_branch .LBB38_1174
.LBB38_1170:
	s_mov_b64 s[0:1], -1
                                        ; implicit-def: $vgpr4
.LBB38_1171:
	s_andn2_b64 vcc, exec, s[0:1]
	s_cbranch_vccnz .LBB38_1173
; %bb.1172:
	global_load_dword v4, v[0:1], off
	s_waitcnt vmcnt(0)
	v_cvt_i32_f32_e32 v4, v4
.LBB38_1173:
	s_mov_b64 s[0:1], 0
.LBB38_1174:
	s_andn2_b64 vcc, exec, s[0:1]
	s_cbranch_vccnz .LBB38_1176
; %bb.1175:
	global_load_ushort v4, v[0:1], off
	s_waitcnt vmcnt(0)
	v_cvt_f32_f16_e32 v4, v4
	v_cvt_i32_f32_e32 v4, v4
.LBB38_1176:
	s_cbranch_execnz .LBB38_1195
.LBB38_1177:
	s_cmp_lt_i32 s26, 2
	s_cbranch_scc1 .LBB38_1181
; %bb.1178:
	s_cmp_lt_i32 s26, 3
	s_cbranch_scc1 .LBB38_1182
; %bb.1179:
	s_cmp_gt_i32 s26, 3
	s_cbranch_scc0 .LBB38_1183
; %bb.1180:
	global_load_dword v4, v[0:1], off
	s_mov_b64 s[0:1], 0
	s_branch .LBB38_1184
.LBB38_1181:
                                        ; implicit-def: $vgpr4
	s_branch .LBB38_1190
.LBB38_1182:
	s_mov_b64 s[0:1], -1
                                        ; implicit-def: $vgpr4
	s_branch .LBB38_1187
.LBB38_1183:
	s_mov_b64 s[0:1], -1
                                        ; implicit-def: $vgpr4
.LBB38_1184:
	s_andn2_b64 vcc, exec, s[0:1]
	s_cbranch_vccnz .LBB38_1186
; %bb.1185:
	global_load_dword v4, v[0:1], off
.LBB38_1186:
	s_mov_b64 s[0:1], 0
.LBB38_1187:
	s_andn2_b64 vcc, exec, s[0:1]
	s_cbranch_vccnz .LBB38_1189
; %bb.1188:
	global_load_sshort v4, v[0:1], off
.LBB38_1189:
	s_cbranch_execnz .LBB38_1195
.LBB38_1190:
	s_cmp_gt_i32 s26, 0
	s_cbranch_scc0 .LBB38_1192
; %bb.1191:
	global_load_sbyte v4, v[0:1], off
	s_mov_b64 s[0:1], 0
	s_branch .LBB38_1193
.LBB38_1192:
	s_mov_b64 s[0:1], -1
                                        ; implicit-def: $vgpr4
.LBB38_1193:
	s_andn2_b64 vcc, exec, s[0:1]
	s_cbranch_vccnz .LBB38_1195
; %bb.1194:
	global_load_ubyte v4, v[0:1], off
.LBB38_1195:
.LBB38_1196:
	s_cmp_lt_i32 s14, 1
	s_mov_b64 s[0:1], 0
	s_cbranch_scc1 .LBB38_1200
; %bb.1197:
	s_cmp_gt_i32 s14, 1
	s_cbranch_scc0 .LBB38_1201
; %bb.1198:
	s_cmp_eq_u32 s14, 2
	s_cbranch_scc0 .LBB38_1202
; %bb.1199:
	s_waitcnt vmcnt(0)
	v_cmp_ge_i32_e64 s[2:3], s15, v4
	s_mov_b64 s[18:19], 0
	s_branch .LBB38_1203
.LBB38_1200:
                                        ; implicit-def: $sgpr2_sgpr3
	s_mov_b64 s[18:19], 0
	s_cbranch_execnz .LBB38_1206
	s_branch .LBB38_1207
.LBB38_1201:
	s_mov_b64 s[18:19], 0
                                        ; implicit-def: $sgpr2_sgpr3
	s_cbranch_execnz .LBB38_1204
	s_branch .LBB38_1205
.LBB38_1202:
	s_mov_b64 s[18:19], -1
                                        ; implicit-def: $sgpr2_sgpr3
.LBB38_1203:
	s_branch .LBB38_1205
.LBB38_1204:
	s_waitcnt vmcnt(0)
	v_cmp_lt_i32_e32 vcc, s15, v4
	s_andn2_b64 s[2:3], s[2:3], exec
	s_and_b64 s[20:21], vcc, exec
	s_or_b64 s[2:3], s[2:3], s[20:21]
.LBB38_1205:
	s_branch .LBB38_1207
.LBB38_1206:
	s_cmp_lg_u32 s14, 0
	s_mov_b64 s[0:1], -1
	s_cselect_b64 s[18:19], -1, 0
.LBB38_1207:
	s_andn2_b64 vcc, exec, s[18:19]
	s_cbranch_vccnz .LBB38_1209
; %bb.1208:
	s_waitcnt vmcnt(0)
	v_cmp_gt_i32_e32 vcc, s15, v4
	s_andn2_b64 s[2:3], s[2:3], exec
	s_and_b64 s[18:19], vcc, exec
	s_or_b64 s[2:3], s[2:3], s[18:19]
	s_cbranch_execz .LBB38_1210
	s_branch .LBB38_1211
.LBB38_1209:
	s_andn2_b64 vcc, exec, s[0:1]
	s_cbranch_vccnz .LBB38_1211
.LBB38_1210:
	s_waitcnt vmcnt(0)
	v_cmp_le_i32_e32 vcc, s15, v4
	s_andn2_b64 s[0:1], s[2:3], exec
	s_and_b64 s[2:3], vcc, exec
	s_or_b64 s[2:3], s[0:1], s[2:3]
.LBB38_1211:
	s_lshl_b32 s13, s13, 7
	v_add_u32_e32 v3, s13, v3
	v_ashrrev_i32_e32 v1, 31, v3
	s_waitcnt vmcnt(0)
	v_mov_b32_e32 v4, s11
	v_add_co_u32_e32 v0, vcc, s10, v3
	s_cmp_lt_i32 s26, 11
	v_addc_co_u32_e32 v1, vcc, v4, v1, vcc
	s_cbranch_scc1 .LBB38_1218
; %bb.1212:
	s_cmp_gt_i32 s26, 25
	s_mov_b64 s[18:19], 0
	s_cbranch_scc0 .LBB38_1220
; %bb.1213:
	s_cmp_gt_i32 s26, 28
	s_cbranch_scc0 .LBB38_1221
; %bb.1214:
	s_cmp_gt_i32 s26, 43
	s_cbranch_scc0 .LBB38_1222
; %bb.1215:
	s_cmp_gt_i32 s26, 45
	s_cbranch_scc0 .LBB38_1224
; %bb.1216:
	s_cmp_eq_u32 s26, 46
	s_mov_b64 s[22:23], 0
	s_cbranch_scc0 .LBB38_1227
; %bb.1217:
	global_load_dword v4, v[0:1], off
	s_mov_b64 s[0:1], 0
	s_mov_b64 s[20:21], -1
	s_waitcnt vmcnt(0)
	v_lshlrev_b32_e32 v4, 16, v4
	v_cvt_i32_f32_e32 v4, v4
	s_branch .LBB38_1228
.LBB38_1218:
	s_mov_b64 s[20:21], 0
                                        ; implicit-def: $vgpr4
	s_cbranch_execnz .LBB38_1289
.LBB38_1219:
	s_andn2_b64 vcc, exec, s[20:21]
	s_cbranch_vccnz .LBB38_1623
	s_branch .LBB38_1336
.LBB38_1220:
	s_mov_b64 s[20:21], 0
	s_mov_b64 s[0:1], 0
                                        ; implicit-def: $vgpr4
	s_cbranch_execnz .LBB38_1255
	s_branch .LBB38_1285
.LBB38_1221:
	s_mov_b64 s[22:23], -1
	s_mov_b64 s[20:21], 0
	s_mov_b64 s[0:1], 0
                                        ; implicit-def: $vgpr4
	s_branch .LBB38_1238
.LBB38_1222:
	s_mov_b64 s[22:23], -1
	s_mov_b64 s[20:21], 0
	s_mov_b64 s[0:1], 0
                                        ; implicit-def: $vgpr4
	s_branch .LBB38_1233
.LBB38_1223:
	s_or_b64 s[16:17], s[6:7], exec
	s_trap 2
	s_cbranch_execz .LBB38_1149
	s_branch .LBB38_1150
.LBB38_1224:
	s_mov_b64 s[22:23], -1
	s_mov_b64 s[20:21], 0
	s_mov_b64 s[0:1], 0
                                        ; implicit-def: $vgpr4
	s_branch .LBB38_1228
.LBB38_1225:
	s_andn2_saveexec_b64 s[28:29], s[28:29]
	s_cbranch_execz .LBB38_1000
.LBB38_1226:
	v_add_f32_e32 v2, 0x42800000, v3
	v_and_b32_e32 v2, 0xff, v2
	v_cmp_ne_u32_e32 vcc, 0, v2
	s_andn2_b64 s[26:27], s[26:27], exec
	s_and_b64 s[34:35], vcc, exec
	s_or_b64 s[26:27], s[26:27], s[34:35]
	s_or_b64 exec, exec, s[28:29]
	v_mov_b32_e32 v4, 0
	s_and_saveexec_b64 s[28:29], s[26:27]
	s_cbranch_execnz .LBB38_1001
	s_branch .LBB38_1002
.LBB38_1227:
	s_mov_b64 s[0:1], -1
                                        ; implicit-def: $vgpr4
	s_mov_b64 s[20:21], 0
.LBB38_1228:
	s_and_b64 vcc, exec, s[22:23]
	s_cbranch_vccz .LBB38_1232
; %bb.1229:
	s_cmp_eq_u32 s26, 44
	s_cbranch_scc0 .LBB38_1231
; %bb.1230:
	global_load_ubyte v4, v[0:1], off
	s_mov_b64 s[0:1], 0
	s_mov_b64 s[20:21], -1
	s_waitcnt vmcnt(0)
	v_lshlrev_b32_e32 v5, 23, v4
	v_cvt_i32_f32_e32 v5, v5
	v_cmp_ne_u32_e32 vcc, 0, v4
	v_cndmask_b32_e32 v4, 0, v5, vcc
	s_branch .LBB38_1232
.LBB38_1231:
	s_mov_b64 s[0:1], -1
                                        ; implicit-def: $vgpr4
.LBB38_1232:
	s_mov_b64 s[22:23], 0
.LBB38_1233:
	s_and_b64 vcc, exec, s[22:23]
	s_cbranch_vccz .LBB38_1237
; %bb.1234:
	s_cmp_eq_u32 s26, 29
	s_cbranch_scc0 .LBB38_1236
; %bb.1235:
	global_load_dword v4, v[0:1], off
	s_mov_b64 s[0:1], 0
	s_mov_b64 s[20:21], -1
	s_branch .LBB38_1237
.LBB38_1236:
	s_mov_b64 s[0:1], -1
                                        ; implicit-def: $vgpr4
.LBB38_1237:
	s_mov_b64 s[22:23], 0
.LBB38_1238:
	s_and_b64 vcc, exec, s[22:23]
	s_cbranch_vccz .LBB38_1254
; %bb.1239:
	s_cmp_lt_i32 s26, 27
	s_cbranch_scc1 .LBB38_1242
; %bb.1240:
	s_cmp_gt_i32 s26, 27
	s_cbranch_scc0 .LBB38_1243
; %bb.1241:
	global_load_dword v4, v[0:1], off
	s_mov_b64 s[20:21], 0
	s_branch .LBB38_1244
.LBB38_1242:
	s_mov_b64 s[20:21], -1
                                        ; implicit-def: $vgpr4
	s_branch .LBB38_1247
.LBB38_1243:
	s_mov_b64 s[20:21], -1
                                        ; implicit-def: $vgpr4
.LBB38_1244:
	s_andn2_b64 vcc, exec, s[20:21]
	s_cbranch_vccnz .LBB38_1246
; %bb.1245:
	global_load_ushort v4, v[0:1], off
.LBB38_1246:
	s_mov_b64 s[20:21], 0
.LBB38_1247:
	s_andn2_b64 vcc, exec, s[20:21]
	s_cbranch_vccnz .LBB38_1253
; %bb.1248:
	global_load_ubyte v5, v[0:1], off
	s_movk_i32 s20, 0x7f
	s_mov_b64 s[22:23], 0
	s_waitcnt vmcnt(0)
	v_cmp_lt_i16_e32 vcc, s20, v5
	s_and_saveexec_b64 s[20:21], vcc
	s_xor_b64 s[20:21], exec, s[20:21]
	s_cbranch_execz .LBB38_1264
; %bb.1249:
	s_movk_i32 s22, 0x80
	v_cmp_ne_u16_e32 vcc, s22, v5
	s_and_b64 s[22:23], vcc, exec
	s_andn2_saveexec_b64 s[20:21], s[20:21]
	s_cbranch_execnz .LBB38_1265
.LBB38_1250:
	s_or_b64 exec, exec, s[20:21]
	v_mov_b32_e32 v4, 0
	s_and_saveexec_b64 s[20:21], s[22:23]
	s_cbranch_execz .LBB38_1252
.LBB38_1251:
	v_lshlrev_b32_e32 v4, 24, v5
	v_and_b32_e32 v5, 0xffff, v5
	v_and_b32_e32 v6, 7, v5
	v_ffbh_u32_e32 v8, v6
	v_min_u32_e32 v8, 32, v8
	v_subrev_u32_e32 v9, 28, v8
	v_bfe_u32 v7, v5, 3, 4
	v_lshlrev_b32_e32 v5, v9, v5
	v_sub_u32_e32 v8, 29, v8
	v_and_b32_e32 v5, 7, v5
	v_cmp_eq_u32_e32 vcc, 0, v7
	v_cndmask_b32_e32 v7, v7, v8, vcc
	v_cndmask_b32_e32 v5, v6, v5, vcc
	v_mov_b32_e32 v6, 0x3b800000
	v_lshlrev_b32_e32 v5, 20, v5
	v_and_b32_e32 v4, 0x80000000, v4
	v_lshl_add_u32 v6, v7, 23, v6
	v_or3_b32 v4, v4, v6, v5
	v_cvt_i32_f32_e32 v4, v4
.LBB38_1252:
	s_or_b64 exec, exec, s[20:21]
.LBB38_1253:
	s_mov_b64 s[20:21], -1
.LBB38_1254:
	s_branch .LBB38_1285
.LBB38_1255:
	s_cmp_gt_i32 s26, 22
	s_cbranch_scc0 .LBB38_1263
; %bb.1256:
	s_cmp_lt_i32 s26, 24
	s_cbranch_scc1 .LBB38_1266
; %bb.1257:
	s_cmp_gt_i32 s26, 24
	s_cbranch_scc0 .LBB38_1267
; %bb.1258:
	global_load_ubyte v5, v[0:1], off
	s_movk_i32 s18, 0x7f
	s_mov_b64 s[20:21], 0
	s_waitcnt vmcnt(0)
	v_cmp_lt_i16_e32 vcc, s18, v5
	s_and_saveexec_b64 s[18:19], vcc
	s_xor_b64 s[18:19], exec, s[18:19]
	s_cbranch_execz .LBB38_1279
; %bb.1259:
	s_movk_i32 s20, 0x80
	v_cmp_ne_u16_e32 vcc, s20, v5
	s_and_b64 s[20:21], vcc, exec
	s_andn2_saveexec_b64 s[18:19], s[18:19]
	s_cbranch_execnz .LBB38_1280
.LBB38_1260:
	s_or_b64 exec, exec, s[18:19]
	v_mov_b32_e32 v4, 0
	s_and_saveexec_b64 s[18:19], s[20:21]
	s_cbranch_execz .LBB38_1262
.LBB38_1261:
	v_lshlrev_b32_e32 v4, 24, v5
	v_and_b32_e32 v5, 0xffff, v5
	v_and_b32_e32 v6, 3, v5
	v_ffbh_u32_e32 v8, v6
	v_min_u32_e32 v8, 32, v8
	v_subrev_u32_e32 v9, 29, v8
	v_bfe_u32 v7, v5, 2, 5
	v_lshlrev_b32_e32 v5, v9, v5
	v_sub_u32_e32 v8, 30, v8
	v_and_b32_e32 v5, 3, v5
	v_cmp_eq_u32_e32 vcc, 0, v7
	v_cndmask_b32_e32 v7, v7, v8, vcc
	v_cndmask_b32_e32 v5, v6, v5, vcc
	v_mov_b32_e32 v6, 0x37800000
	v_lshlrev_b32_e32 v5, 21, v5
	v_and_b32_e32 v4, 0x80000000, v4
	v_lshl_add_u32 v6, v7, 23, v6
	v_or3_b32 v4, v4, v6, v5
	v_cvt_i32_f32_e32 v4, v4
.LBB38_1262:
	s_or_b64 exec, exec, s[18:19]
	s_mov_b64 s[18:19], 0
	s_branch .LBB38_1268
.LBB38_1263:
	s_mov_b64 s[18:19], -1
                                        ; implicit-def: $vgpr4
	s_branch .LBB38_1274
.LBB38_1264:
	s_andn2_saveexec_b64 s[20:21], s[20:21]
	s_cbranch_execz .LBB38_1250
.LBB38_1265:
	v_cmp_ne_u16_e32 vcc, 0, v5
	s_andn2_b64 s[22:23], s[22:23], exec
	s_and_b64 s[24:25], vcc, exec
	s_or_b64 s[22:23], s[22:23], s[24:25]
	s_or_b64 exec, exec, s[20:21]
	v_mov_b32_e32 v4, 0
	s_and_saveexec_b64 s[20:21], s[22:23]
	s_cbranch_execnz .LBB38_1251
	s_branch .LBB38_1252
.LBB38_1266:
	s_mov_b64 s[18:19], -1
                                        ; implicit-def: $vgpr4
	s_branch .LBB38_1271
.LBB38_1267:
	s_mov_b64 s[18:19], -1
                                        ; implicit-def: $vgpr4
.LBB38_1268:
	s_and_b64 vcc, exec, s[18:19]
	s_cbranch_vccz .LBB38_1270
; %bb.1269:
	global_load_ubyte v4, v[0:1], off
	s_mov_b32 s18, 0x7f800000
	s_waitcnt vmcnt(0)
	v_lshlrev_b32_e32 v4, 24, v4
	v_and_b32_e32 v5, 0x7f000000, v4
	v_ffbh_u32_e32 v6, v5
	v_min_u32_e32 v6, 32, v6
	v_sub_u32_e64 v6, v6, 4 clamp
	v_lshlrev_b32_e32 v8, v6, v5
	v_lshlrev_b32_e32 v6, 23, v6
	v_lshrrev_b32_e32 v8, 4, v8
	v_add_u32_e32 v7, 0x1000000, v5
	v_sub_u32_e32 v6, v8, v6
	v_ashrrev_i32_e32 v7, 8, v7
	v_add_u32_e32 v6, 0x3c000000, v6
	v_and_or_b32 v6, v7, s18, v6
	v_cmp_ne_u32_e32 vcc, 0, v5
	v_cndmask_b32_e32 v5, 0, v6, vcc
	s_brev_b32 s18, 1
	v_and_or_b32 v4, v4, s18, v5
	v_cvt_i32_f32_e32 v4, v4
.LBB38_1270:
	s_mov_b64 s[18:19], 0
.LBB38_1271:
	s_andn2_b64 vcc, exec, s[18:19]
	s_cbranch_vccnz .LBB38_1273
; %bb.1272:
	global_load_ubyte v4, v[0:1], off
	s_movk_i32 s18, 0x7f00
	s_brev_b32 s19, 16
	s_waitcnt vmcnt(0)
	v_lshlrev_b16_e32 v5, 8, v4
	v_lshlrev_b32_e32 v4, 25, v4
	v_lshrrev_b32_e32 v6, 4, v4
	v_and_or_b32 v7, v5, s18, 0.5
	v_or_b32_e32 v6, 0x70000000, v6
	v_add_f32_e32 v7, -0.5, v7
	v_mul_f32_e32 v6, 0x7800000, v6
	v_cmp_gt_u32_e32 vcc, s19, v4
	v_bfe_i32 v5, v5, 0, 16
	v_cndmask_b32_e32 v4, v6, v7, vcc
	s_brev_b32 s18, 1
	v_and_or_b32 v4, v5, s18, v4
	v_cvt_i32_f32_e32 v4, v4
.LBB38_1273:
	s_mov_b64 s[18:19], 0
	s_mov_b64 s[20:21], -1
.LBB38_1274:
	s_andn2_b64 vcc, exec, s[18:19]
	s_mov_b64 s[18:19], 0
	s_cbranch_vccnz .LBB38_1285
; %bb.1275:
	s_cmp_gt_i32 s26, 14
	s_cbranch_scc0 .LBB38_1278
; %bb.1276:
	s_cmp_eq_u32 s26, 15
	s_cbranch_scc0 .LBB38_1281
; %bb.1277:
	global_load_ushort v4, v[0:1], off
	s_mov_b64 s[0:1], 0
	s_mov_b64 s[20:21], -1
	s_waitcnt vmcnt(0)
	v_lshlrev_b32_e32 v4, 16, v4
	v_cvt_i32_f32_e32 v4, v4
	s_branch .LBB38_1282
.LBB38_1278:
	s_mov_b64 s[22:23], -1
                                        ; implicit-def: $vgpr4
	s_branch .LBB38_1283
.LBB38_1279:
	s_andn2_saveexec_b64 s[18:19], s[18:19]
	s_cbranch_execz .LBB38_1260
.LBB38_1280:
	v_cmp_ne_u16_e32 vcc, 0, v5
	s_andn2_b64 s[20:21], s[20:21], exec
	s_and_b64 s[22:23], vcc, exec
	s_or_b64 s[20:21], s[20:21], s[22:23]
	s_or_b64 exec, exec, s[18:19]
	v_mov_b32_e32 v4, 0
	s_and_saveexec_b64 s[18:19], s[20:21]
	s_cbranch_execnz .LBB38_1261
	s_branch .LBB38_1262
.LBB38_1281:
	s_mov_b64 s[0:1], -1
                                        ; implicit-def: $vgpr4
.LBB38_1282:
	s_mov_b64 s[22:23], 0
.LBB38_1283:
	s_and_b64 vcc, exec, s[22:23]
	s_cbranch_vccz .LBB38_1285
; %bb.1284:
	s_cmp_lg_u32 s26, 11
	s_mov_b64 s[18:19], -1
	s_cselect_b64 s[0:1], -1, 0
.LBB38_1285:
	s_and_b64 vcc, exec, s[0:1]
	s_cbranch_vccnz .LBB38_1364
; %bb.1286:
	s_andn2_b64 vcc, exec, s[18:19]
	s_cbranch_vccnz .LBB38_1288
.LBB38_1287:
	global_load_ubyte v4, v[0:1], off
	s_mov_b64 s[20:21], -1
	s_waitcnt vmcnt(0)
	v_cmp_ne_u16_e32 vcc, 0, v4
	v_cndmask_b32_e64 v4, 0, 1, vcc
.LBB38_1288:
	s_branch .LBB38_1219
.LBB38_1289:
	s_cmp_lt_i32 s26, 5
	s_cbranch_scc1 .LBB38_1294
; %bb.1290:
	s_cmp_lt_i32 s26, 8
	s_cbranch_scc1 .LBB38_1295
; %bb.1291:
	;; [unrolled: 3-line block ×3, first 2 shown]
	s_cmp_gt_i32 s26, 9
	s_cbranch_scc0 .LBB38_1297
; %bb.1293:
	global_load_dwordx2 v[4:5], v[0:1], off
	s_mov_b64 s[0:1], 0
	s_waitcnt vmcnt(0)
	v_cvt_i32_f64_e32 v4, v[4:5]
	s_branch .LBB38_1298
.LBB38_1294:
                                        ; implicit-def: $vgpr4
	s_branch .LBB38_1316
.LBB38_1295:
	s_mov_b64 s[0:1], -1
                                        ; implicit-def: $vgpr4
	s_branch .LBB38_1304
.LBB38_1296:
	s_mov_b64 s[0:1], -1
                                        ; implicit-def: $vgpr4
	s_branch .LBB38_1301
.LBB38_1297:
	s_mov_b64 s[0:1], -1
                                        ; implicit-def: $vgpr4
.LBB38_1298:
	s_andn2_b64 vcc, exec, s[0:1]
	s_cbranch_vccnz .LBB38_1300
; %bb.1299:
	global_load_dword v4, v[0:1], off
	s_waitcnt vmcnt(0)
	v_cvt_i32_f32_e32 v4, v4
.LBB38_1300:
	s_mov_b64 s[0:1], 0
.LBB38_1301:
	s_andn2_b64 vcc, exec, s[0:1]
	s_cbranch_vccnz .LBB38_1303
; %bb.1302:
	global_load_dword v4, v[0:1], off
	s_waitcnt vmcnt(0)
	v_cvt_f32_f16_e32 v4, v4
	v_cvt_i32_f32_e32 v4, v4
.LBB38_1303:
	s_mov_b64 s[0:1], 0
.LBB38_1304:
	s_andn2_b64 vcc, exec, s[0:1]
	s_cbranch_vccnz .LBB38_1315
; %bb.1305:
	s_cmp_lt_i32 s26, 6
	s_cbranch_scc1 .LBB38_1308
; %bb.1306:
	s_cmp_gt_i32 s26, 6
	s_cbranch_scc0 .LBB38_1309
; %bb.1307:
	global_load_dwordx2 v[4:5], v[0:1], off
	s_mov_b64 s[0:1], 0
	s_waitcnt vmcnt(0)
	v_cvt_i32_f64_e32 v4, v[4:5]
	s_branch .LBB38_1310
.LBB38_1308:
	s_mov_b64 s[0:1], -1
                                        ; implicit-def: $vgpr4
	s_branch .LBB38_1313
.LBB38_1309:
	s_mov_b64 s[0:1], -1
                                        ; implicit-def: $vgpr4
.LBB38_1310:
	s_andn2_b64 vcc, exec, s[0:1]
	s_cbranch_vccnz .LBB38_1312
; %bb.1311:
	global_load_dword v4, v[0:1], off
	s_waitcnt vmcnt(0)
	v_cvt_i32_f32_e32 v4, v4
.LBB38_1312:
	s_mov_b64 s[0:1], 0
.LBB38_1313:
	s_andn2_b64 vcc, exec, s[0:1]
	s_cbranch_vccnz .LBB38_1315
; %bb.1314:
	global_load_ushort v4, v[0:1], off
	s_waitcnt vmcnt(0)
	v_cvt_f32_f16_e32 v4, v4
	v_cvt_i32_f32_e32 v4, v4
.LBB38_1315:
	s_cbranch_execnz .LBB38_1335
.LBB38_1316:
	s_cmp_lt_i32 s26, 2
	s_cbranch_scc1 .LBB38_1320
; %bb.1317:
	s_cmp_lt_i32 s26, 3
	s_cbranch_scc1 .LBB38_1321
; %bb.1318:
	s_cmp_gt_i32 s26, 3
	s_cbranch_scc0 .LBB38_1322
; %bb.1319:
	global_load_dword v4, v[0:1], off
	s_mov_b64 s[0:1], 0
	s_branch .LBB38_1323
.LBB38_1320:
	s_mov_b64 s[0:1], -1
                                        ; implicit-def: $vgpr4
	s_branch .LBB38_1329
.LBB38_1321:
	s_mov_b64 s[0:1], -1
                                        ; implicit-def: $vgpr4
	s_branch .LBB38_1326
.LBB38_1322:
	s_mov_b64 s[0:1], -1
                                        ; implicit-def: $vgpr4
.LBB38_1323:
	s_andn2_b64 vcc, exec, s[0:1]
	s_cbranch_vccnz .LBB38_1325
; %bb.1324:
	global_load_dword v4, v[0:1], off
.LBB38_1325:
	s_mov_b64 s[0:1], 0
.LBB38_1326:
	s_andn2_b64 vcc, exec, s[0:1]
	s_cbranch_vccnz .LBB38_1328
; %bb.1327:
	global_load_sshort v4, v[0:1], off
.LBB38_1328:
	s_mov_b64 s[0:1], 0
.LBB38_1329:
	s_andn2_b64 vcc, exec, s[0:1]
	s_cbranch_vccnz .LBB38_1335
; %bb.1330:
	s_cmp_gt_i32 s26, 0
	s_cbranch_scc0 .LBB38_1332
; %bb.1331:
	global_load_sbyte v4, v[0:1], off
	s_mov_b64 s[0:1], 0
	s_branch .LBB38_1333
.LBB38_1332:
	s_mov_b64 s[0:1], -1
                                        ; implicit-def: $vgpr4
.LBB38_1333:
	s_andn2_b64 vcc, exec, s[0:1]
	s_cbranch_vccnz .LBB38_1335
; %bb.1334:
	global_load_ubyte v4, v[0:1], off
.LBB38_1335:
.LBB38_1336:
	s_cmp_lt_i32 s14, 1
	s_mov_b64 s[0:1], 0
	s_cbranch_scc1 .LBB38_1340
; %bb.1337:
	s_cmp_gt_i32 s14, 1
	s_cbranch_scc0 .LBB38_1341
; %bb.1338:
	s_cmp_eq_u32 s14, 2
	s_cbranch_scc0 .LBB38_1342
; %bb.1339:
	s_waitcnt vmcnt(0)
	v_cmp_ge_i32_e64 s[18:19], s15, v4
	s_mov_b64 s[20:21], 0
	s_branch .LBB38_1343
.LBB38_1340:
                                        ; implicit-def: $sgpr18_sgpr19
	s_mov_b64 s[20:21], 0
	s_cbranch_execnz .LBB38_1347
	s_branch .LBB38_1348
.LBB38_1341:
	s_mov_b64 s[22:23], -1
	s_mov_b64 s[20:21], 0
                                        ; implicit-def: $sgpr18_sgpr19
	s_branch .LBB38_1344
.LBB38_1342:
	s_mov_b64 s[20:21], -1
                                        ; implicit-def: $sgpr18_sgpr19
.LBB38_1343:
	s_mov_b64 s[22:23], 0
.LBB38_1344:
	s_and_b64 vcc, exec, s[22:23]
	s_cbranch_vccz .LBB38_1346
; %bb.1345:
	s_waitcnt vmcnt(0)
	v_cmp_lt_i32_e32 vcc, s15, v4
	s_andn2_b64 s[18:19], s[18:19], exec
	s_and_b64 s[22:23], vcc, exec
	s_or_b64 s[18:19], s[18:19], s[22:23]
.LBB38_1346:
	s_branch .LBB38_1348
.LBB38_1347:
	s_cmp_lg_u32 s14, 0
	s_mov_b64 s[0:1], -1
	s_cselect_b64 s[20:21], -1, 0
.LBB38_1348:
	s_andn2_b64 vcc, exec, s[20:21]
	s_cbranch_vccnz .LBB38_1350
; %bb.1349:
	s_waitcnt vmcnt(0)
	v_cmp_gt_i32_e32 vcc, s15, v4
	s_andn2_b64 s[18:19], s[18:19], exec
	s_and_b64 s[20:21], vcc, exec
	s_or_b64 s[18:19], s[18:19], s[20:21]
	s_cbranch_execz .LBB38_1351
	s_branch .LBB38_1352
.LBB38_1350:
	s_andn2_b64 vcc, exec, s[0:1]
	s_cbranch_vccnz .LBB38_1352
.LBB38_1351:
	s_waitcnt vmcnt(0)
	v_cmp_le_i32_e32 vcc, s15, v4
	s_andn2_b64 s[0:1], s[18:19], exec
	s_and_b64 s[18:19], vcc, exec
	s_or_b64 s[18:19], s[0:1], s[18:19]
.LBB38_1352:
	v_add_u32_e32 v3, s13, v3
	v_ashrrev_i32_e32 v1, 31, v3
	s_waitcnt vmcnt(0)
	v_mov_b32_e32 v4, s11
	v_add_co_u32_e32 v0, vcc, s10, v3
	s_cmp_lt_i32 s26, 11
	v_addc_co_u32_e32 v1, vcc, v4, v1, vcc
	s_cbranch_scc1 .LBB38_1359
; %bb.1353:
	s_cmp_gt_i32 s26, 25
	s_mov_b64 s[20:21], 0
	s_cbranch_scc0 .LBB38_1361
; %bb.1354:
	s_cmp_gt_i32 s26, 28
	s_cbranch_scc0 .LBB38_1362
; %bb.1355:
	s_cmp_gt_i32 s26, 43
	;; [unrolled: 3-line block ×3, first 2 shown]
	s_cbranch_scc0 .LBB38_1365
; %bb.1357:
	s_cmp_eq_u32 s26, 46
	s_mov_b64 s[24:25], 0
	s_cbranch_scc0 .LBB38_1366
; %bb.1358:
	global_load_dword v4, v[0:1], off
	s_mov_b64 s[0:1], 0
	s_mov_b64 s[22:23], -1
	s_waitcnt vmcnt(0)
	v_lshlrev_b32_e32 v4, 16, v4
	v_cvt_i32_f32_e32 v4, v4
	s_branch .LBB38_1367
.LBB38_1359:
	s_mov_b64 s[22:23], 0
                                        ; implicit-def: $vgpr4
	s_cbranch_execnz .LBB38_1429
.LBB38_1360:
	s_andn2_b64 vcc, exec, s[22:23]
	s_cbranch_vccnz .LBB38_1623
	s_branch .LBB38_1477
.LBB38_1361:
	s_mov_b64 s[24:25], -1
	s_mov_b64 s[22:23], 0
	s_mov_b64 s[0:1], 0
                                        ; implicit-def: $vgpr4
	s_branch .LBB38_1394
.LBB38_1362:
	s_mov_b64 s[24:25], -1
	s_mov_b64 s[22:23], 0
	s_mov_b64 s[0:1], 0
                                        ; implicit-def: $vgpr4
	s_branch .LBB38_1377
.LBB38_1363:
	s_mov_b64 s[24:25], -1
	s_mov_b64 s[22:23], 0
	s_mov_b64 s[0:1], 0
                                        ; implicit-def: $vgpr4
	s_branch .LBB38_1372
.LBB38_1364:
	s_trap 2
	s_or_b64 s[16:17], s[16:17], exec
	s_cbranch_execz .LBB38_1287
	s_branch .LBB38_1288
.LBB38_1365:
	s_mov_b64 s[24:25], -1
	s_mov_b64 s[22:23], 0
	s_mov_b64 s[0:1], 0
                                        ; implicit-def: $vgpr4
	s_branch .LBB38_1367
.LBB38_1366:
	s_mov_b64 s[0:1], -1
                                        ; implicit-def: $vgpr4
	s_mov_b64 s[22:23], 0
.LBB38_1367:
	s_and_b64 vcc, exec, s[24:25]
	s_cbranch_vccz .LBB38_1371
; %bb.1368:
	s_cmp_eq_u32 s26, 44
	s_cbranch_scc0 .LBB38_1370
; %bb.1369:
	global_load_ubyte v4, v[0:1], off
	s_mov_b64 s[0:1], 0
	s_mov_b64 s[22:23], -1
	s_waitcnt vmcnt(0)
	v_lshlrev_b32_e32 v5, 23, v4
	v_cvt_i32_f32_e32 v5, v5
	v_cmp_ne_u32_e32 vcc, 0, v4
	v_cndmask_b32_e32 v4, 0, v5, vcc
	s_branch .LBB38_1371
.LBB38_1370:
	s_mov_b64 s[0:1], -1
                                        ; implicit-def: $vgpr4
.LBB38_1371:
	s_mov_b64 s[24:25], 0
.LBB38_1372:
	s_and_b64 vcc, exec, s[24:25]
	s_cbranch_vccz .LBB38_1376
; %bb.1373:
	s_cmp_eq_u32 s26, 29
	s_cbranch_scc0 .LBB38_1375
; %bb.1374:
	global_load_dword v4, v[0:1], off
	s_mov_b64 s[0:1], 0
	s_mov_b64 s[22:23], -1
	s_branch .LBB38_1376
.LBB38_1375:
	s_mov_b64 s[0:1], -1
                                        ; implicit-def: $vgpr4
.LBB38_1376:
	s_mov_b64 s[24:25], 0
.LBB38_1377:
	s_and_b64 vcc, exec, s[24:25]
	s_cbranch_vccz .LBB38_1393
; %bb.1378:
	s_cmp_lt_i32 s26, 27
	s_cbranch_scc1 .LBB38_1381
; %bb.1379:
	s_cmp_gt_i32 s26, 27
	s_cbranch_scc0 .LBB38_1382
; %bb.1380:
	global_load_dword v4, v[0:1], off
	s_mov_b64 s[22:23], 0
	s_branch .LBB38_1383
.LBB38_1381:
	s_mov_b64 s[22:23], -1
                                        ; implicit-def: $vgpr4
	s_branch .LBB38_1386
.LBB38_1382:
	s_mov_b64 s[22:23], -1
                                        ; implicit-def: $vgpr4
.LBB38_1383:
	s_andn2_b64 vcc, exec, s[22:23]
	s_cbranch_vccnz .LBB38_1385
; %bb.1384:
	global_load_ushort v4, v[0:1], off
.LBB38_1385:
	s_mov_b64 s[22:23], 0
.LBB38_1386:
	s_andn2_b64 vcc, exec, s[22:23]
	s_cbranch_vccnz .LBB38_1392
; %bb.1387:
	global_load_ubyte v5, v[0:1], off
	s_movk_i32 s22, 0x7f
	s_mov_b64 s[24:25], 0
	s_waitcnt vmcnt(0)
	v_cmp_lt_i16_e32 vcc, s22, v5
	s_and_saveexec_b64 s[22:23], vcc
	s_xor_b64 s[22:23], exec, s[22:23]
	s_cbranch_execz .LBB38_1404
; %bb.1388:
	s_movk_i32 s24, 0x80
	v_cmp_ne_u16_e32 vcc, s24, v5
	s_and_b64 s[24:25], vcc, exec
	s_andn2_saveexec_b64 s[22:23], s[22:23]
	s_cbranch_execnz .LBB38_1405
.LBB38_1389:
	s_or_b64 exec, exec, s[22:23]
	v_mov_b32_e32 v4, 0
	s_and_saveexec_b64 s[22:23], s[24:25]
	s_cbranch_execz .LBB38_1391
.LBB38_1390:
	v_lshlrev_b32_e32 v4, 24, v5
	v_and_b32_e32 v5, 0xffff, v5
	v_and_b32_e32 v6, 7, v5
	v_ffbh_u32_e32 v8, v6
	v_min_u32_e32 v8, 32, v8
	v_subrev_u32_e32 v9, 28, v8
	v_bfe_u32 v7, v5, 3, 4
	v_lshlrev_b32_e32 v5, v9, v5
	v_sub_u32_e32 v8, 29, v8
	v_and_b32_e32 v5, 7, v5
	v_cmp_eq_u32_e32 vcc, 0, v7
	v_cndmask_b32_e32 v7, v7, v8, vcc
	v_cndmask_b32_e32 v5, v6, v5, vcc
	v_mov_b32_e32 v6, 0x3b800000
	v_lshlrev_b32_e32 v5, 20, v5
	v_and_b32_e32 v4, 0x80000000, v4
	v_lshl_add_u32 v6, v7, 23, v6
	v_or3_b32 v4, v4, v6, v5
	v_cvt_i32_f32_e32 v4, v4
.LBB38_1391:
	s_or_b64 exec, exec, s[22:23]
.LBB38_1392:
	s_mov_b64 s[22:23], -1
.LBB38_1393:
	s_mov_b64 s[24:25], 0
.LBB38_1394:
	s_and_b64 vcc, exec, s[24:25]
	s_cbranch_vccz .LBB38_1425
; %bb.1395:
	s_cmp_gt_i32 s26, 22
	s_cbranch_scc0 .LBB38_1403
; %bb.1396:
	s_cmp_lt_i32 s26, 24
	s_cbranch_scc1 .LBB38_1406
; %bb.1397:
	s_cmp_gt_i32 s26, 24
	s_cbranch_scc0 .LBB38_1407
; %bb.1398:
	global_load_ubyte v5, v[0:1], off
	s_movk_i32 s20, 0x7f
	s_mov_b64 s[22:23], 0
	s_waitcnt vmcnt(0)
	v_cmp_lt_i16_e32 vcc, s20, v5
	s_and_saveexec_b64 s[20:21], vcc
	s_xor_b64 s[20:21], exec, s[20:21]
	s_cbranch_execz .LBB38_1419
; %bb.1399:
	s_movk_i32 s22, 0x80
	v_cmp_ne_u16_e32 vcc, s22, v5
	s_and_b64 s[22:23], vcc, exec
	s_andn2_saveexec_b64 s[20:21], s[20:21]
	s_cbranch_execnz .LBB38_1420
.LBB38_1400:
	s_or_b64 exec, exec, s[20:21]
	v_mov_b32_e32 v4, 0
	s_and_saveexec_b64 s[20:21], s[22:23]
	s_cbranch_execz .LBB38_1402
.LBB38_1401:
	v_lshlrev_b32_e32 v4, 24, v5
	v_and_b32_e32 v5, 0xffff, v5
	v_and_b32_e32 v6, 3, v5
	v_ffbh_u32_e32 v8, v6
	v_min_u32_e32 v8, 32, v8
	v_subrev_u32_e32 v9, 29, v8
	v_bfe_u32 v7, v5, 2, 5
	v_lshlrev_b32_e32 v5, v9, v5
	v_sub_u32_e32 v8, 30, v8
	v_and_b32_e32 v5, 3, v5
	v_cmp_eq_u32_e32 vcc, 0, v7
	v_cndmask_b32_e32 v7, v7, v8, vcc
	v_cndmask_b32_e32 v5, v6, v5, vcc
	v_mov_b32_e32 v6, 0x37800000
	v_lshlrev_b32_e32 v5, 21, v5
	v_and_b32_e32 v4, 0x80000000, v4
	v_lshl_add_u32 v6, v7, 23, v6
	v_or3_b32 v4, v4, v6, v5
	v_cvt_i32_f32_e32 v4, v4
.LBB38_1402:
	s_or_b64 exec, exec, s[20:21]
	s_mov_b64 s[20:21], 0
	s_branch .LBB38_1408
.LBB38_1403:
	s_mov_b64 s[20:21], -1
                                        ; implicit-def: $vgpr4
	s_branch .LBB38_1414
.LBB38_1404:
	s_andn2_saveexec_b64 s[22:23], s[22:23]
	s_cbranch_execz .LBB38_1389
.LBB38_1405:
	v_cmp_ne_u16_e32 vcc, 0, v5
	s_andn2_b64 s[24:25], s[24:25], exec
	s_and_b64 s[28:29], vcc, exec
	s_or_b64 s[24:25], s[24:25], s[28:29]
	s_or_b64 exec, exec, s[22:23]
	v_mov_b32_e32 v4, 0
	s_and_saveexec_b64 s[22:23], s[24:25]
	s_cbranch_execnz .LBB38_1390
	s_branch .LBB38_1391
.LBB38_1406:
	s_mov_b64 s[20:21], -1
                                        ; implicit-def: $vgpr4
	s_branch .LBB38_1411
.LBB38_1407:
	s_mov_b64 s[20:21], -1
                                        ; implicit-def: $vgpr4
.LBB38_1408:
	s_and_b64 vcc, exec, s[20:21]
	s_cbranch_vccz .LBB38_1410
; %bb.1409:
	global_load_ubyte v4, v[0:1], off
	s_mov_b32 s20, 0x7f800000
	s_waitcnt vmcnt(0)
	v_lshlrev_b32_e32 v4, 24, v4
	v_and_b32_e32 v5, 0x7f000000, v4
	v_ffbh_u32_e32 v6, v5
	v_min_u32_e32 v6, 32, v6
	v_sub_u32_e64 v6, v6, 4 clamp
	v_lshlrev_b32_e32 v8, v6, v5
	v_lshlrev_b32_e32 v6, 23, v6
	v_lshrrev_b32_e32 v8, 4, v8
	v_add_u32_e32 v7, 0x1000000, v5
	v_sub_u32_e32 v6, v8, v6
	v_ashrrev_i32_e32 v7, 8, v7
	v_add_u32_e32 v6, 0x3c000000, v6
	v_and_or_b32 v6, v7, s20, v6
	v_cmp_ne_u32_e32 vcc, 0, v5
	v_cndmask_b32_e32 v5, 0, v6, vcc
	s_brev_b32 s20, 1
	v_and_or_b32 v4, v4, s20, v5
	v_cvt_i32_f32_e32 v4, v4
.LBB38_1410:
	s_mov_b64 s[20:21], 0
.LBB38_1411:
	s_andn2_b64 vcc, exec, s[20:21]
	s_cbranch_vccnz .LBB38_1413
; %bb.1412:
	global_load_ubyte v4, v[0:1], off
	s_movk_i32 s20, 0x7f00
	s_brev_b32 s21, 16
	s_waitcnt vmcnt(0)
	v_lshlrev_b16_e32 v5, 8, v4
	v_lshlrev_b32_e32 v4, 25, v4
	v_lshrrev_b32_e32 v6, 4, v4
	v_and_or_b32 v7, v5, s20, 0.5
	v_or_b32_e32 v6, 0x70000000, v6
	v_add_f32_e32 v7, -0.5, v7
	v_mul_f32_e32 v6, 0x7800000, v6
	v_cmp_gt_u32_e32 vcc, s21, v4
	v_bfe_i32 v5, v5, 0, 16
	v_cndmask_b32_e32 v4, v6, v7, vcc
	s_brev_b32 s20, 1
	v_and_or_b32 v4, v5, s20, v4
	v_cvt_i32_f32_e32 v4, v4
.LBB38_1413:
	s_mov_b64 s[20:21], 0
	s_mov_b64 s[22:23], -1
.LBB38_1414:
	s_andn2_b64 vcc, exec, s[20:21]
	s_mov_b64 s[20:21], 0
	s_cbranch_vccnz .LBB38_1425
; %bb.1415:
	s_cmp_gt_i32 s26, 14
	s_cbranch_scc0 .LBB38_1418
; %bb.1416:
	s_cmp_eq_u32 s26, 15
	s_cbranch_scc0 .LBB38_1421
; %bb.1417:
	global_load_ushort v4, v[0:1], off
	s_mov_b64 s[0:1], 0
	s_mov_b64 s[22:23], -1
	s_waitcnt vmcnt(0)
	v_lshlrev_b32_e32 v4, 16, v4
	v_cvt_i32_f32_e32 v4, v4
	s_branch .LBB38_1422
.LBB38_1418:
	s_mov_b64 s[24:25], -1
                                        ; implicit-def: $vgpr4
	s_branch .LBB38_1423
.LBB38_1419:
	s_andn2_saveexec_b64 s[20:21], s[20:21]
	s_cbranch_execz .LBB38_1400
.LBB38_1420:
	v_cmp_ne_u16_e32 vcc, 0, v5
	s_andn2_b64 s[22:23], s[22:23], exec
	s_and_b64 s[24:25], vcc, exec
	s_or_b64 s[22:23], s[22:23], s[24:25]
	s_or_b64 exec, exec, s[20:21]
	v_mov_b32_e32 v4, 0
	s_and_saveexec_b64 s[20:21], s[22:23]
	s_cbranch_execnz .LBB38_1401
	s_branch .LBB38_1402
.LBB38_1421:
	s_mov_b64 s[0:1], -1
                                        ; implicit-def: $vgpr4
.LBB38_1422:
	s_mov_b64 s[24:25], 0
.LBB38_1423:
	s_and_b64 vcc, exec, s[24:25]
	s_cbranch_vccz .LBB38_1425
; %bb.1424:
	s_cmp_lg_u32 s26, 11
	s_mov_b64 s[20:21], -1
	s_cselect_b64 s[0:1], -1, 0
.LBB38_1425:
	s_and_b64 vcc, exec, s[0:1]
	s_cbranch_vccnz .LBB38_1504
; %bb.1426:
	s_andn2_b64 vcc, exec, s[20:21]
	s_cbranch_vccnz .LBB38_1428
.LBB38_1427:
	global_load_ubyte v4, v[0:1], off
	s_mov_b64 s[22:23], -1
	s_waitcnt vmcnt(0)
	v_cmp_ne_u16_e32 vcc, 0, v4
	v_cndmask_b32_e64 v4, 0, 1, vcc
.LBB38_1428:
	s_branch .LBB38_1360
.LBB38_1429:
	s_cmp_lt_i32 s26, 5
	s_cbranch_scc1 .LBB38_1434
; %bb.1430:
	s_cmp_lt_i32 s26, 8
	s_cbranch_scc1 .LBB38_1435
; %bb.1431:
	;; [unrolled: 3-line block ×3, first 2 shown]
	s_cmp_gt_i32 s26, 9
	s_cbranch_scc0 .LBB38_1437
; %bb.1433:
	global_load_dwordx2 v[4:5], v[0:1], off
	s_mov_b64 s[0:1], 0
	s_waitcnt vmcnt(0)
	v_cvt_i32_f64_e32 v4, v[4:5]
	s_branch .LBB38_1438
.LBB38_1434:
	s_mov_b64 s[0:1], -1
                                        ; implicit-def: $vgpr4
	s_branch .LBB38_1456
.LBB38_1435:
	s_mov_b64 s[0:1], -1
                                        ; implicit-def: $vgpr4
	s_branch .LBB38_1444
.LBB38_1436:
	s_mov_b64 s[0:1], -1
                                        ; implicit-def: $vgpr4
	s_branch .LBB38_1441
.LBB38_1437:
	s_mov_b64 s[0:1], -1
                                        ; implicit-def: $vgpr4
.LBB38_1438:
	s_andn2_b64 vcc, exec, s[0:1]
	s_cbranch_vccnz .LBB38_1440
; %bb.1439:
	global_load_dword v4, v[0:1], off
	s_waitcnt vmcnt(0)
	v_cvt_i32_f32_e32 v4, v4
.LBB38_1440:
	s_mov_b64 s[0:1], 0
.LBB38_1441:
	s_andn2_b64 vcc, exec, s[0:1]
	s_cbranch_vccnz .LBB38_1443
; %bb.1442:
	global_load_dword v4, v[0:1], off
	s_waitcnt vmcnt(0)
	v_cvt_f32_f16_e32 v4, v4
	v_cvt_i32_f32_e32 v4, v4
.LBB38_1443:
	s_mov_b64 s[0:1], 0
.LBB38_1444:
	s_andn2_b64 vcc, exec, s[0:1]
	s_cbranch_vccnz .LBB38_1455
; %bb.1445:
	s_cmp_lt_i32 s26, 6
	s_cbranch_scc1 .LBB38_1448
; %bb.1446:
	s_cmp_gt_i32 s26, 6
	s_cbranch_scc0 .LBB38_1449
; %bb.1447:
	global_load_dwordx2 v[4:5], v[0:1], off
	s_mov_b64 s[0:1], 0
	s_waitcnt vmcnt(0)
	v_cvt_i32_f64_e32 v4, v[4:5]
	s_branch .LBB38_1450
.LBB38_1448:
	s_mov_b64 s[0:1], -1
                                        ; implicit-def: $vgpr4
	s_branch .LBB38_1453
.LBB38_1449:
	s_mov_b64 s[0:1], -1
                                        ; implicit-def: $vgpr4
.LBB38_1450:
	s_andn2_b64 vcc, exec, s[0:1]
	s_cbranch_vccnz .LBB38_1452
; %bb.1451:
	global_load_dword v4, v[0:1], off
	s_waitcnt vmcnt(0)
	v_cvt_i32_f32_e32 v4, v4
.LBB38_1452:
	s_mov_b64 s[0:1], 0
.LBB38_1453:
	s_andn2_b64 vcc, exec, s[0:1]
	s_cbranch_vccnz .LBB38_1455
; %bb.1454:
	global_load_ushort v4, v[0:1], off
	s_waitcnt vmcnt(0)
	v_cvt_f32_f16_e32 v4, v4
	v_cvt_i32_f32_e32 v4, v4
.LBB38_1455:
	s_mov_b64 s[0:1], 0
.LBB38_1456:
	s_andn2_b64 vcc, exec, s[0:1]
	s_cbranch_vccnz .LBB38_1476
; %bb.1457:
	s_cmp_lt_i32 s26, 2
	s_cbranch_scc1 .LBB38_1461
; %bb.1458:
	s_cmp_lt_i32 s26, 3
	s_cbranch_scc1 .LBB38_1462
; %bb.1459:
	s_cmp_gt_i32 s26, 3
	s_cbranch_scc0 .LBB38_1463
; %bb.1460:
	global_load_dword v4, v[0:1], off
	s_mov_b64 s[0:1], 0
	s_branch .LBB38_1464
.LBB38_1461:
	s_mov_b64 s[0:1], -1
                                        ; implicit-def: $vgpr4
	s_branch .LBB38_1470
.LBB38_1462:
	s_mov_b64 s[0:1], -1
                                        ; implicit-def: $vgpr4
	s_branch .LBB38_1467
.LBB38_1463:
	s_mov_b64 s[0:1], -1
                                        ; implicit-def: $vgpr4
.LBB38_1464:
	s_andn2_b64 vcc, exec, s[0:1]
	s_cbranch_vccnz .LBB38_1466
; %bb.1465:
	global_load_dword v4, v[0:1], off
.LBB38_1466:
	s_mov_b64 s[0:1], 0
.LBB38_1467:
	s_andn2_b64 vcc, exec, s[0:1]
	s_cbranch_vccnz .LBB38_1469
; %bb.1468:
	global_load_sshort v4, v[0:1], off
.LBB38_1469:
	s_mov_b64 s[0:1], 0
.LBB38_1470:
	s_andn2_b64 vcc, exec, s[0:1]
	s_cbranch_vccnz .LBB38_1476
; %bb.1471:
	s_cmp_gt_i32 s26, 0
	s_cbranch_scc0 .LBB38_1473
; %bb.1472:
	global_load_sbyte v4, v[0:1], off
	s_mov_b64 s[0:1], 0
	s_branch .LBB38_1474
.LBB38_1473:
	s_mov_b64 s[0:1], -1
                                        ; implicit-def: $vgpr4
.LBB38_1474:
	s_andn2_b64 vcc, exec, s[0:1]
	s_cbranch_vccnz .LBB38_1476
; %bb.1475:
	global_load_ubyte v4, v[0:1], off
.LBB38_1476:
.LBB38_1477:
	s_cmp_lt_i32 s14, 1
	s_mov_b64 s[0:1], 0
	s_cbranch_scc1 .LBB38_1481
; %bb.1478:
	s_cmp_gt_i32 s14, 1
	s_cbranch_scc0 .LBB38_1484
; %bb.1479:
	s_cmp_eq_u32 s14, 2
	s_cbranch_scc0 .LBB38_1485
; %bb.1480:
	s_waitcnt vmcnt(0)
	v_cmp_ge_i32_e64 s[22:23], s15, v4
	s_mov_b64 s[20:21], 0
	s_branch .LBB38_1486
.LBB38_1481:
                                        ; implicit-def: $sgpr22_sgpr23
	s_mov_b64 s[20:21], 0
	s_cbranch_execnz .LBB38_1490
.LBB38_1482:
	s_andn2_b64 vcc, exec, s[20:21]
	s_cbranch_vccnz .LBB38_1491
.LBB38_1483:
	s_waitcnt vmcnt(0)
	v_cmp_gt_i32_e32 vcc, s15, v4
	s_andn2_b64 s[20:21], s[22:23], exec
	s_and_b64 s[22:23], vcc, exec
	s_or_b64 s[22:23], s[20:21], s[22:23]
	s_cbranch_execz .LBB38_1492
	s_branch .LBB38_1493
.LBB38_1484:
	s_mov_b64 s[24:25], -1
	s_mov_b64 s[20:21], 0
                                        ; implicit-def: $sgpr22_sgpr23
	s_branch .LBB38_1487
.LBB38_1485:
	s_mov_b64 s[20:21], -1
                                        ; implicit-def: $sgpr22_sgpr23
.LBB38_1486:
	s_mov_b64 s[24:25], 0
.LBB38_1487:
	s_and_b64 vcc, exec, s[24:25]
	s_cbranch_vccz .LBB38_1489
; %bb.1488:
	s_waitcnt vmcnt(0)
	v_cmp_lt_i32_e32 vcc, s15, v4
	s_andn2_b64 s[22:23], s[22:23], exec
	s_and_b64 s[24:25], vcc, exec
	s_or_b64 s[22:23], s[22:23], s[24:25]
.LBB38_1489:
	s_branch .LBB38_1482
.LBB38_1490:
	s_cmp_lg_u32 s14, 0
	s_mov_b64 s[0:1], -1
	s_cselect_b64 s[20:21], -1, 0
	s_andn2_b64 vcc, exec, s[20:21]
	s_cbranch_vccz .LBB38_1483
.LBB38_1491:
	s_andn2_b64 vcc, exec, s[0:1]
	s_cbranch_vccnz .LBB38_1493
.LBB38_1492:
	s_waitcnt vmcnt(0)
	v_cmp_le_i32_e32 vcc, s15, v4
	s_andn2_b64 s[0:1], s[22:23], exec
	s_and_b64 s[20:21], vcc, exec
	s_or_b64 s[22:23], s[0:1], s[20:21]
.LBB38_1493:
	v_add_u32_e32 v0, s13, v3
	v_ashrrev_i32_e32 v1, 31, v0
	v_mov_b32_e32 v3, s11
	v_add_co_u32_e32 v0, vcc, s10, v0
	s_cmp_lt_i32 s26, 11
	v_addc_co_u32_e32 v1, vcc, v3, v1, vcc
	s_cbranch_scc1 .LBB38_1500
; %bb.1494:
	s_cmp_gt_i32 s26, 25
	s_mov_b64 s[10:11], 0
	s_cbranch_scc0 .LBB38_1501
; %bb.1495:
	s_cmp_gt_i32 s26, 28
	s_cbranch_scc0 .LBB38_1502
; %bb.1496:
	s_cmp_gt_i32 s26, 43
	;; [unrolled: 3-line block ×3, first 2 shown]
	s_cbranch_scc0 .LBB38_1505
; %bb.1498:
	s_cmp_eq_u32 s26, 46
	s_mov_b64 s[24:25], 0
	s_cbranch_scc0 .LBB38_1506
; %bb.1499:
	global_load_dword v3, v[0:1], off
	s_mov_b64 s[0:1], 0
	s_mov_b64 s[20:21], -1
	s_waitcnt vmcnt(0)
	v_lshlrev_b32_e32 v3, 16, v3
	v_cvt_i32_f32_e32 v3, v3
	s_branch .LBB38_1507
.LBB38_1500:
	s_mov_b64 s[0:1], -1
	s_mov_b64 s[20:21], 0
                                        ; implicit-def: $vgpr3
	s_branch .LBB38_1569
.LBB38_1501:
	s_mov_b64 s[24:25], -1
	s_mov_b64 s[20:21], 0
	s_mov_b64 s[0:1], 0
                                        ; implicit-def: $vgpr3
	s_branch .LBB38_1534
.LBB38_1502:
	s_mov_b64 s[24:25], -1
	s_mov_b64 s[20:21], 0
	s_mov_b64 s[0:1], 0
                                        ; implicit-def: $vgpr3
	s_branch .LBB38_1517
.LBB38_1503:
	s_mov_b64 s[24:25], -1
	s_mov_b64 s[20:21], 0
	s_mov_b64 s[0:1], 0
                                        ; implicit-def: $vgpr3
	s_branch .LBB38_1512
.LBB38_1504:
	s_trap 2
	s_or_b64 s[16:17], s[16:17], exec
	s_cbranch_execz .LBB38_1427
	s_branch .LBB38_1428
.LBB38_1505:
	s_mov_b64 s[24:25], -1
	s_mov_b64 s[20:21], 0
	s_mov_b64 s[0:1], 0
                                        ; implicit-def: $vgpr3
	s_branch .LBB38_1507
.LBB38_1506:
	s_mov_b64 s[0:1], -1
                                        ; implicit-def: $vgpr3
	s_mov_b64 s[20:21], 0
.LBB38_1507:
	s_and_b64 vcc, exec, s[24:25]
	s_cbranch_vccz .LBB38_1511
; %bb.1508:
	s_cmp_eq_u32 s26, 44
	s_cbranch_scc0 .LBB38_1510
; %bb.1509:
	global_load_ubyte v3, v[0:1], off
	s_mov_b64 s[0:1], 0
	s_mov_b64 s[20:21], -1
	s_waitcnt vmcnt(0)
	v_lshlrev_b32_e32 v4, 23, v3
	v_cvt_i32_f32_e32 v4, v4
	v_cmp_ne_u32_e32 vcc, 0, v3
	v_cndmask_b32_e32 v3, 0, v4, vcc
	s_branch .LBB38_1511
.LBB38_1510:
	s_mov_b64 s[0:1], -1
                                        ; implicit-def: $vgpr3
.LBB38_1511:
	s_mov_b64 s[24:25], 0
.LBB38_1512:
	s_and_b64 vcc, exec, s[24:25]
	s_cbranch_vccz .LBB38_1516
; %bb.1513:
	s_cmp_eq_u32 s26, 29
	s_cbranch_scc0 .LBB38_1515
; %bb.1514:
	global_load_dword v3, v[0:1], off
	s_mov_b64 s[0:1], 0
	s_mov_b64 s[20:21], -1
	s_branch .LBB38_1516
.LBB38_1515:
	s_mov_b64 s[0:1], -1
                                        ; implicit-def: $vgpr3
.LBB38_1516:
	s_mov_b64 s[24:25], 0
.LBB38_1517:
	s_and_b64 vcc, exec, s[24:25]
	s_cbranch_vccz .LBB38_1533
; %bb.1518:
	s_cmp_lt_i32 s26, 27
	s_cbranch_scc1 .LBB38_1521
; %bb.1519:
	s_cmp_gt_i32 s26, 27
	s_cbranch_scc0 .LBB38_1522
; %bb.1520:
	global_load_dword v3, v[0:1], off
	s_mov_b64 s[20:21], 0
	s_branch .LBB38_1523
.LBB38_1521:
	s_mov_b64 s[20:21], -1
                                        ; implicit-def: $vgpr3
	s_branch .LBB38_1526
.LBB38_1522:
	s_mov_b64 s[20:21], -1
                                        ; implicit-def: $vgpr3
.LBB38_1523:
	s_andn2_b64 vcc, exec, s[20:21]
	s_cbranch_vccnz .LBB38_1525
; %bb.1524:
	global_load_ushort v3, v[0:1], off
.LBB38_1525:
	s_mov_b64 s[20:21], 0
.LBB38_1526:
	s_andn2_b64 vcc, exec, s[20:21]
	s_cbranch_vccnz .LBB38_1532
; %bb.1527:
	global_load_ubyte v4, v[0:1], off
	s_movk_i32 s13, 0x7f
	s_mov_b64 s[24:25], 0
	s_waitcnt vmcnt(0)
	v_cmp_lt_i16_e32 vcc, s13, v4
	s_and_saveexec_b64 s[20:21], vcc
	s_xor_b64 s[20:21], exec, s[20:21]
	s_cbranch_execz .LBB38_1544
; %bb.1528:
	s_movk_i32 s13, 0x80
	v_cmp_ne_u16_e32 vcc, s13, v4
	s_and_b64 s[24:25], vcc, exec
	s_andn2_saveexec_b64 s[20:21], s[20:21]
	s_cbranch_execnz .LBB38_1545
.LBB38_1529:
	s_or_b64 exec, exec, s[20:21]
	v_mov_b32_e32 v3, 0
	s_and_saveexec_b64 s[20:21], s[24:25]
	s_cbranch_execz .LBB38_1531
.LBB38_1530:
	v_lshlrev_b32_e32 v3, 24, v4
	v_and_b32_e32 v4, 0xffff, v4
	v_and_b32_e32 v5, 7, v4
	v_ffbh_u32_e32 v7, v5
	v_min_u32_e32 v7, 32, v7
	v_subrev_u32_e32 v8, 28, v7
	v_bfe_u32 v6, v4, 3, 4
	v_lshlrev_b32_e32 v4, v8, v4
	v_sub_u32_e32 v7, 29, v7
	v_and_b32_e32 v4, 7, v4
	v_cmp_eq_u32_e32 vcc, 0, v6
	v_cndmask_b32_e32 v6, v6, v7, vcc
	v_cndmask_b32_e32 v4, v5, v4, vcc
	v_mov_b32_e32 v5, 0x3b800000
	v_lshlrev_b32_e32 v4, 20, v4
	v_and_b32_e32 v3, 0x80000000, v3
	v_lshl_add_u32 v5, v6, 23, v5
	v_or3_b32 v3, v3, v5, v4
	v_cvt_i32_f32_e32 v3, v3
.LBB38_1531:
	s_or_b64 exec, exec, s[20:21]
.LBB38_1532:
	s_mov_b64 s[20:21], -1
.LBB38_1533:
	s_mov_b64 s[24:25], 0
.LBB38_1534:
	s_and_b64 vcc, exec, s[24:25]
	s_cbranch_vccz .LBB38_1565
; %bb.1535:
	s_cmp_gt_i32 s26, 22
	s_cbranch_scc0 .LBB38_1543
; %bb.1536:
	s_cmp_lt_i32 s26, 24
	s_cbranch_scc1 .LBB38_1546
; %bb.1537:
	s_cmp_gt_i32 s26, 24
	s_cbranch_scc0 .LBB38_1547
; %bb.1538:
	global_load_ubyte v4, v[0:1], off
	s_movk_i32 s10, 0x7f
	s_mov_b64 s[20:21], 0
	s_waitcnt vmcnt(0)
	v_cmp_lt_i16_e32 vcc, s10, v4
	s_and_saveexec_b64 s[10:11], vcc
	s_xor_b64 s[10:11], exec, s[10:11]
	s_cbranch_execz .LBB38_1559
; %bb.1539:
	s_movk_i32 s13, 0x80
	v_cmp_ne_u16_e32 vcc, s13, v4
	s_and_b64 s[20:21], vcc, exec
	s_andn2_saveexec_b64 s[10:11], s[10:11]
	s_cbranch_execnz .LBB38_1560
.LBB38_1540:
	s_or_b64 exec, exec, s[10:11]
	v_mov_b32_e32 v3, 0
	s_and_saveexec_b64 s[10:11], s[20:21]
	s_cbranch_execz .LBB38_1542
.LBB38_1541:
	v_lshlrev_b32_e32 v3, 24, v4
	v_and_b32_e32 v4, 0xffff, v4
	v_and_b32_e32 v5, 3, v4
	v_ffbh_u32_e32 v7, v5
	v_min_u32_e32 v7, 32, v7
	v_subrev_u32_e32 v8, 29, v7
	v_bfe_u32 v6, v4, 2, 5
	v_lshlrev_b32_e32 v4, v8, v4
	v_sub_u32_e32 v7, 30, v7
	v_and_b32_e32 v4, 3, v4
	v_cmp_eq_u32_e32 vcc, 0, v6
	v_cndmask_b32_e32 v6, v6, v7, vcc
	v_cndmask_b32_e32 v4, v5, v4, vcc
	v_mov_b32_e32 v5, 0x37800000
	v_lshlrev_b32_e32 v4, 21, v4
	v_and_b32_e32 v3, 0x80000000, v3
	v_lshl_add_u32 v5, v6, 23, v5
	v_or3_b32 v3, v3, v5, v4
	v_cvt_i32_f32_e32 v3, v3
.LBB38_1542:
	s_or_b64 exec, exec, s[10:11]
	s_mov_b64 s[10:11], 0
	s_branch .LBB38_1548
.LBB38_1543:
	s_mov_b64 s[10:11], -1
                                        ; implicit-def: $vgpr3
	s_branch .LBB38_1554
.LBB38_1544:
	s_andn2_saveexec_b64 s[20:21], s[20:21]
	s_cbranch_execz .LBB38_1529
.LBB38_1545:
	v_cmp_ne_u16_e32 vcc, 0, v4
	s_andn2_b64 s[24:25], s[24:25], exec
	s_and_b64 s[28:29], vcc, exec
	s_or_b64 s[24:25], s[24:25], s[28:29]
	s_or_b64 exec, exec, s[20:21]
	v_mov_b32_e32 v3, 0
	s_and_saveexec_b64 s[20:21], s[24:25]
	s_cbranch_execnz .LBB38_1530
	s_branch .LBB38_1531
.LBB38_1546:
	s_mov_b64 s[10:11], -1
                                        ; implicit-def: $vgpr3
	s_branch .LBB38_1551
.LBB38_1547:
	s_mov_b64 s[10:11], -1
                                        ; implicit-def: $vgpr3
.LBB38_1548:
	s_and_b64 vcc, exec, s[10:11]
	s_cbranch_vccz .LBB38_1550
; %bb.1549:
	global_load_ubyte v3, v[0:1], off
	s_mov_b32 s10, 0x7f800000
	s_waitcnt vmcnt(0)
	v_lshlrev_b32_e32 v3, 24, v3
	v_and_b32_e32 v4, 0x7f000000, v3
	v_ffbh_u32_e32 v5, v4
	v_min_u32_e32 v5, 32, v5
	v_sub_u32_e64 v5, v5, 4 clamp
	v_lshlrev_b32_e32 v7, v5, v4
	v_lshlrev_b32_e32 v5, 23, v5
	v_lshrrev_b32_e32 v7, 4, v7
	v_add_u32_e32 v6, 0x1000000, v4
	v_sub_u32_e32 v5, v7, v5
	v_ashrrev_i32_e32 v6, 8, v6
	v_add_u32_e32 v5, 0x3c000000, v5
	v_and_or_b32 v5, v6, s10, v5
	v_cmp_ne_u32_e32 vcc, 0, v4
	v_cndmask_b32_e32 v4, 0, v5, vcc
	s_brev_b32 s10, 1
	v_and_or_b32 v3, v3, s10, v4
	v_cvt_i32_f32_e32 v3, v3
.LBB38_1550:
	s_mov_b64 s[10:11], 0
.LBB38_1551:
	s_andn2_b64 vcc, exec, s[10:11]
	s_cbranch_vccnz .LBB38_1553
; %bb.1552:
	global_load_ubyte v3, v[0:1], off
	s_movk_i32 s10, 0x7f00
	s_brev_b32 s11, 16
	s_waitcnt vmcnt(0)
	v_lshlrev_b16_e32 v4, 8, v3
	v_lshlrev_b32_e32 v3, 25, v3
	v_lshrrev_b32_e32 v5, 4, v3
	v_and_or_b32 v6, v4, s10, 0.5
	v_or_b32_e32 v5, 0x70000000, v5
	v_add_f32_e32 v6, -0.5, v6
	v_mul_f32_e32 v5, 0x7800000, v5
	v_cmp_gt_u32_e32 vcc, s11, v3
	v_bfe_i32 v4, v4, 0, 16
	v_cndmask_b32_e32 v3, v5, v6, vcc
	s_brev_b32 s10, 1
	v_and_or_b32 v3, v4, s10, v3
	v_cvt_i32_f32_e32 v3, v3
.LBB38_1553:
	s_mov_b64 s[10:11], 0
	s_mov_b64 s[20:21], -1
.LBB38_1554:
	s_andn2_b64 vcc, exec, s[10:11]
	s_mov_b64 s[10:11], 0
	s_cbranch_vccnz .LBB38_1565
; %bb.1555:
	s_cmp_gt_i32 s26, 14
	s_cbranch_scc0 .LBB38_1558
; %bb.1556:
	s_cmp_eq_u32 s26, 15
	s_cbranch_scc0 .LBB38_1561
; %bb.1557:
	global_load_ushort v3, v[0:1], off
	s_mov_b64 s[0:1], 0
	s_mov_b64 s[20:21], -1
	s_waitcnt vmcnt(0)
	v_lshlrev_b32_e32 v3, 16, v3
	v_cvt_i32_f32_e32 v3, v3
	s_branch .LBB38_1562
.LBB38_1558:
	s_mov_b64 s[24:25], -1
                                        ; implicit-def: $vgpr3
	s_branch .LBB38_1563
.LBB38_1559:
	s_andn2_saveexec_b64 s[10:11], s[10:11]
	s_cbranch_execz .LBB38_1540
.LBB38_1560:
	v_cmp_ne_u16_e32 vcc, 0, v4
	s_andn2_b64 s[20:21], s[20:21], exec
	s_and_b64 s[24:25], vcc, exec
	s_or_b64 s[20:21], s[20:21], s[24:25]
	s_or_b64 exec, exec, s[10:11]
	v_mov_b32_e32 v3, 0
	s_and_saveexec_b64 s[10:11], s[20:21]
	s_cbranch_execnz .LBB38_1541
	s_branch .LBB38_1542
.LBB38_1561:
	s_mov_b64 s[0:1], -1
                                        ; implicit-def: $vgpr3
.LBB38_1562:
	s_mov_b64 s[24:25], 0
.LBB38_1563:
	s_and_b64 vcc, exec, s[24:25]
	s_cbranch_vccz .LBB38_1565
; %bb.1564:
	s_cmp_lg_u32 s26, 11
	s_mov_b64 s[10:11], -1
	s_cselect_b64 s[0:1], -1, 0
.LBB38_1565:
	s_and_b64 vcc, exec, s[0:1]
	s_cbranch_vccnz .LBB38_2117
; %bb.1566:
	s_andn2_b64 vcc, exec, s[10:11]
	s_cbranch_vccnz .LBB38_1568
.LBB38_1567:
	global_load_ubyte v3, v[0:1], off
	s_mov_b64 s[20:21], -1
	s_waitcnt vmcnt(0)
	v_cmp_ne_u16_e32 vcc, 0, v3
	v_cndmask_b32_e64 v3, 0, 1, vcc
.LBB38_1568:
	s_mov_b64 s[0:1], 0
.LBB38_1569:
	s_and_b64 vcc, exec, s[0:1]
	s_cbranch_vccz .LBB38_1618
; %bb.1570:
	s_cmp_lt_i32 s26, 5
	s_cbranch_scc1 .LBB38_1575
; %bb.1571:
	s_cmp_lt_i32 s26, 8
	s_cbranch_scc1 .LBB38_1576
; %bb.1572:
	s_cmp_lt_i32 s26, 9
	s_cbranch_scc1 .LBB38_1577
; %bb.1573:
	s_cmp_gt_i32 s26, 9
	s_cbranch_scc0 .LBB38_1578
; %bb.1574:
	global_load_dwordx2 v[3:4], v[0:1], off
	s_mov_b64 s[0:1], 0
	s_waitcnt vmcnt(0)
	v_cvt_i32_f64_e32 v3, v[3:4]
	s_branch .LBB38_1579
.LBB38_1575:
	s_mov_b64 s[0:1], -1
                                        ; implicit-def: $vgpr3
	s_branch .LBB38_1597
.LBB38_1576:
	s_mov_b64 s[0:1], -1
                                        ; implicit-def: $vgpr3
	s_branch .LBB38_1585
.LBB38_1577:
	s_mov_b64 s[0:1], -1
                                        ; implicit-def: $vgpr3
	s_branch .LBB38_1582
.LBB38_1578:
	s_mov_b64 s[0:1], -1
                                        ; implicit-def: $vgpr3
.LBB38_1579:
	s_andn2_b64 vcc, exec, s[0:1]
	s_cbranch_vccnz .LBB38_1581
; %bb.1580:
	global_load_dword v3, v[0:1], off
	s_waitcnt vmcnt(0)
	v_cvt_i32_f32_e32 v3, v3
.LBB38_1581:
	s_mov_b64 s[0:1], 0
.LBB38_1582:
	s_andn2_b64 vcc, exec, s[0:1]
	s_cbranch_vccnz .LBB38_1584
; %bb.1583:
	global_load_dword v3, v[0:1], off
	s_waitcnt vmcnt(0)
	v_cvt_f32_f16_e32 v3, v3
	v_cvt_i32_f32_e32 v3, v3
.LBB38_1584:
	s_mov_b64 s[0:1], 0
.LBB38_1585:
	s_andn2_b64 vcc, exec, s[0:1]
	s_cbranch_vccnz .LBB38_1596
; %bb.1586:
	s_cmp_lt_i32 s26, 6
	s_cbranch_scc1 .LBB38_1589
; %bb.1587:
	s_cmp_gt_i32 s26, 6
	s_cbranch_scc0 .LBB38_1590
; %bb.1588:
	global_load_dwordx2 v[3:4], v[0:1], off
	s_mov_b64 s[0:1], 0
	s_waitcnt vmcnt(0)
	v_cvt_i32_f64_e32 v3, v[3:4]
	s_branch .LBB38_1591
.LBB38_1589:
	s_mov_b64 s[0:1], -1
                                        ; implicit-def: $vgpr3
	s_branch .LBB38_1594
.LBB38_1590:
	s_mov_b64 s[0:1], -1
                                        ; implicit-def: $vgpr3
.LBB38_1591:
	s_andn2_b64 vcc, exec, s[0:1]
	s_cbranch_vccnz .LBB38_1593
; %bb.1592:
	global_load_dword v3, v[0:1], off
	s_waitcnt vmcnt(0)
	v_cvt_i32_f32_e32 v3, v3
.LBB38_1593:
	s_mov_b64 s[0:1], 0
.LBB38_1594:
	s_andn2_b64 vcc, exec, s[0:1]
	s_cbranch_vccnz .LBB38_1596
; %bb.1595:
	global_load_ushort v3, v[0:1], off
	s_waitcnt vmcnt(0)
	v_cvt_f32_f16_e32 v3, v3
	v_cvt_i32_f32_e32 v3, v3
.LBB38_1596:
	s_mov_b64 s[0:1], 0
.LBB38_1597:
	s_andn2_b64 vcc, exec, s[0:1]
	s_cbranch_vccnz .LBB38_1617
; %bb.1598:
	s_cmp_lt_i32 s26, 2
	s_cbranch_scc1 .LBB38_1602
; %bb.1599:
	s_cmp_lt_i32 s26, 3
	s_cbranch_scc1 .LBB38_1603
; %bb.1600:
	s_cmp_gt_i32 s26, 3
	s_cbranch_scc0 .LBB38_1604
; %bb.1601:
	global_load_dword v3, v[0:1], off
	s_mov_b64 s[0:1], 0
	s_branch .LBB38_1605
.LBB38_1602:
	s_mov_b64 s[0:1], -1
                                        ; implicit-def: $vgpr3
	s_branch .LBB38_1611
.LBB38_1603:
	s_mov_b64 s[0:1], -1
                                        ; implicit-def: $vgpr3
	s_branch .LBB38_1608
.LBB38_1604:
	s_mov_b64 s[0:1], -1
                                        ; implicit-def: $vgpr3
.LBB38_1605:
	s_andn2_b64 vcc, exec, s[0:1]
	s_cbranch_vccnz .LBB38_1607
; %bb.1606:
	global_load_dword v3, v[0:1], off
.LBB38_1607:
	s_mov_b64 s[0:1], 0
.LBB38_1608:
	s_andn2_b64 vcc, exec, s[0:1]
	s_cbranch_vccnz .LBB38_1610
; %bb.1609:
	global_load_sshort v3, v[0:1], off
.LBB38_1610:
	s_mov_b64 s[0:1], 0
.LBB38_1611:
	s_andn2_b64 vcc, exec, s[0:1]
	s_cbranch_vccnz .LBB38_1617
; %bb.1612:
	s_cmp_gt_i32 s26, 0
	s_cbranch_scc0 .LBB38_1614
; %bb.1613:
	global_load_sbyte v3, v[0:1], off
	s_mov_b64 s[0:1], 0
	s_branch .LBB38_1615
.LBB38_1614:
	s_mov_b64 s[0:1], -1
                                        ; implicit-def: $vgpr3
.LBB38_1615:
	s_andn2_b64 vcc, exec, s[0:1]
	s_cbranch_vccnz .LBB38_1617
; %bb.1616:
	global_load_ubyte v3, v[0:1], off
.LBB38_1617:
	s_mov_b64 s[20:21], -1
.LBB38_1618:
	s_andn2_b64 vcc, exec, s[20:21]
	s_cbranch_vccnz .LBB38_1623
; %bb.1619:
	s_cmp_lt_i32 s14, 1
	s_mov_b64 s[0:1], 0
	s_cbranch_scc1 .LBB38_1669
; %bb.1620:
	s_cmp_gt_i32 s14, 1
	s_cbranch_scc0 .LBB38_1670
; %bb.1621:
	s_cmp_eq_u32 s14, 2
	s_cbranch_scc0 .LBB38_1671
; %bb.1622:
	s_waitcnt vmcnt(0)
	v_cmp_ge_i32_e64 s[20:21], s15, v3
	s_mov_b64 s[10:11], 0
	s_branch .LBB38_1672
.LBB38_1623:
	s_mov_b64 s[0:1], 0
                                        ; implicit-def: $sgpr20_sgpr21
.LBB38_1624:
	s_mov_b64 s[2:3], 0
                                        ; implicit-def: $sgpr28
                                        ; implicit-def: $vgpr0_vgpr1
.LBB38_1625:
	s_andn2_b64 s[6:7], s[6:7], exec
	s_and_b64 s[8:9], s[16:17], exec
	s_and_b64 s[0:1], s[0:1], exec
	;; [unrolled: 1-line block ×3, first 2 shown]
	s_or_b64 s[6:7], s[6:7], s[8:9]
.LBB38_1626:
	s_or_b64 exec, exec, s[4:5]
	s_and_saveexec_b64 s[4:5], s[6:7]
	s_cbranch_execz .LBB38_1629
; %bb.1627:
	; divergent unreachable
	s_or_b64 exec, exec, s[4:5]
	s_and_saveexec_b64 s[4:5], s[2:3]
	s_xor_b64 s[2:3], exec, s[4:5]
	s_cbranch_execnz .LBB38_1630
.LBB38_1628:
	s_or_b64 exec, exec, s[2:3]
	s_and_saveexec_b64 s[2:3], s[0:1]
	s_cbranch_execnz .LBB38_1631
	s_branch .LBB38_1668
.LBB38_1629:
	s_or_b64 exec, exec, s[4:5]
	s_and_saveexec_b64 s[4:5], s[2:3]
	s_xor_b64 s[2:3], exec, s[4:5]
	s_cbranch_execz .LBB38_1628
.LBB38_1630:
	v_cndmask_b32_e64 v2, 0, 1, s[20:21]
	global_store_byte v[0:1], v2, off
	s_or_b64 exec, exec, s[2:3]
	s_and_saveexec_b64 s[2:3], s[0:1]
	s_cbranch_execz .LBB38_1668
.LBB38_1631:
	s_sext_i32_i16 s2, s28
	s_cmp_lt_i32 s2, 5
	s_mov_b64 s[0:1], -1
	s_cbranch_scc1 .LBB38_1652
; %bb.1632:
	s_cmp_lt_i32 s2, 8
	s_cbranch_scc1 .LBB38_1642
; %bb.1633:
	s_cmp_lt_i32 s2, 9
	s_cbranch_scc1 .LBB38_1639
; %bb.1634:
	s_cmp_gt_i32 s2, 9
	s_cbranch_scc0 .LBB38_1636
; %bb.1635:
	v_cndmask_b32_e64 v2, 0, 1, s[20:21]
	s_waitcnt vmcnt(0)
	v_cvt_f64_u32_e32 v[2:3], v2
	v_mov_b32_e32 v4, 0
	v_mov_b32_e32 v5, v4
	s_mov_b64 s[0:1], 0
	global_store_dwordx4 v[0:1], v[2:5], off
.LBB38_1636:
	s_andn2_b64 vcc, exec, s[0:1]
	s_cbranch_vccnz .LBB38_1638
; %bb.1637:
	v_cndmask_b32_e64 v2, 0, 1.0, s[20:21]
	s_waitcnt vmcnt(0)
	v_mov_b32_e32 v3, 0
	global_store_dwordx2 v[0:1], v[2:3], off
.LBB38_1638:
	s_mov_b64 s[0:1], 0
.LBB38_1639:
	s_andn2_b64 vcc, exec, s[0:1]
	s_cbranch_vccnz .LBB38_1641
; %bb.1640:
	v_cndmask_b32_e64 v2, 0, 1.0, s[20:21]
	v_cvt_f16_f32_e32 v2, v2
	global_store_dword v[0:1], v2, off
.LBB38_1641:
	s_mov_b64 s[0:1], 0
.LBB38_1642:
	s_andn2_b64 vcc, exec, s[0:1]
	s_cbranch_vccnz .LBB38_1651
; %bb.1643:
	s_sext_i32_i16 s2, s28
	s_cmp_lt_i32 s2, 6
	s_mov_b64 s[0:1], -1
	s_cbranch_scc1 .LBB38_1649
; %bb.1644:
	s_cmp_gt_i32 s2, 6
	s_cbranch_scc0 .LBB38_1646
; %bb.1645:
	v_cndmask_b32_e64 v2, 0, 1, s[20:21]
	s_waitcnt vmcnt(0)
	v_cvt_f64_u32_e32 v[2:3], v2
	s_mov_b64 s[0:1], 0
	global_store_dwordx2 v[0:1], v[2:3], off
.LBB38_1646:
	s_andn2_b64 vcc, exec, s[0:1]
	s_cbranch_vccnz .LBB38_1648
; %bb.1647:
	v_cndmask_b32_e64 v2, 0, 1.0, s[20:21]
	global_store_dword v[0:1], v2, off
.LBB38_1648:
	s_mov_b64 s[0:1], 0
.LBB38_1649:
	s_andn2_b64 vcc, exec, s[0:1]
	s_cbranch_vccnz .LBB38_1651
; %bb.1650:
	v_cndmask_b32_e64 v2, 0, 1.0, s[20:21]
	v_cvt_f16_f32_e32 v2, v2
	global_store_short v[0:1], v2, off
.LBB38_1651:
	s_mov_b64 s[0:1], 0
.LBB38_1652:
	s_andn2_b64 vcc, exec, s[0:1]
	s_cbranch_vccnz .LBB38_1668
; %bb.1653:
	s_sext_i32_i16 s2, s28
	s_cmp_lt_i32 s2, 2
	s_mov_b64 s[0:1], -1
	s_cbranch_scc1 .LBB38_1663
; %bb.1654:
	s_cmp_lt_i32 s2, 3
	s_cbranch_scc1 .LBB38_1660
; %bb.1655:
	s_cmp_gt_i32 s2, 3
	s_cbranch_scc0 .LBB38_1657
; %bb.1656:
	s_mov_b32 s0, 0
	v_cndmask_b32_e64 v2, 0, 1, s[20:21]
	s_waitcnt vmcnt(0)
	v_mov_b32_e32 v3, s0
	global_store_dwordx2 v[0:1], v[2:3], off
	s_mov_b64 s[0:1], 0
.LBB38_1657:
	s_andn2_b64 vcc, exec, s[0:1]
	s_cbranch_vccnz .LBB38_1659
; %bb.1658:
	v_cndmask_b32_e64 v2, 0, 1, s[20:21]
	global_store_dword v[0:1], v2, off
.LBB38_1659:
	s_mov_b64 s[0:1], 0
.LBB38_1660:
	s_andn2_b64 vcc, exec, s[0:1]
	s_cbranch_vccnz .LBB38_1662
; %bb.1661:
	v_cndmask_b32_e64 v2, 0, 1, s[20:21]
	global_store_short v[0:1], v2, off
.LBB38_1662:
	s_mov_b64 s[0:1], 0
.LBB38_1663:
	s_andn2_b64 vcc, exec, s[0:1]
	s_cbranch_vccnz .LBB38_1668
; %bb.1664:
	s_sext_i32_i16 s2, s28
	s_mov_b64 s[0:1], -1
	s_cmp_gt_i32 s2, 0
	v_cndmask_b32_e64 v2, 0, 1, s[20:21]
	s_cbranch_scc0 .LBB38_1666
; %bb.1665:
	global_store_byte v[0:1], v2, off
	s_mov_b64 s[0:1], 0
.LBB38_1666:
	s_andn2_b64 vcc, exec, s[0:1]
	s_cbranch_vccnz .LBB38_1668
; %bb.1667:
	global_store_byte v[0:1], v2, off
	s_endpgm
.LBB38_1668:
	s_endpgm
.LBB38_1669:
	s_mov_b64 s[24:25], -1
                                        ; implicit-def: $sgpr20_sgpr21
	s_mov_b64 s[10:11], 0
	s_branch .LBB38_1676
.LBB38_1670:
	s_mov_b64 s[24:25], -1
	s_mov_b64 s[10:11], 0
                                        ; implicit-def: $sgpr20_sgpr21
	s_branch .LBB38_1673
.LBB38_1671:
	s_mov_b64 s[10:11], -1
                                        ; implicit-def: $sgpr20_sgpr21
.LBB38_1672:
	s_mov_b64 s[24:25], 0
.LBB38_1673:
	s_and_b64 vcc, exec, s[24:25]
	s_cbranch_vccz .LBB38_1675
; %bb.1674:
	s_waitcnt vmcnt(0)
	v_cmp_lt_i32_e32 vcc, s15, v3
	s_andn2_b64 s[20:21], s[20:21], exec
	s_and_b64 s[24:25], vcc, exec
	s_or_b64 s[20:21], s[20:21], s[24:25]
.LBB38_1675:
	s_mov_b64 s[24:25], 0
.LBB38_1676:
	s_and_b64 vcc, exec, s[24:25]
	s_cbranch_vccz .LBB38_1758
; %bb.1677:
	s_cmp_lg_u32 s14, 0
	s_mov_b64 s[0:1], -1
	s_cselect_b64 s[10:11], -1, 0
	s_andn2_b64 vcc, exec, s[10:11]
	s_cbranch_vccz .LBB38_1759
.LBB38_1678:
	s_andn2_b64 vcc, exec, s[0:1]
	s_cbranch_vccnz .LBB38_1680
.LBB38_1679:
	s_waitcnt vmcnt(0)
	v_cmp_le_i32_e32 vcc, s15, v3
	s_andn2_b64 s[0:1], s[20:21], exec
	s_and_b64 s[10:11], vcc, exec
	s_or_b64 s[20:21], s[0:1], s[10:11]
.LBB38_1680:
	v_mul_lo_u32 v2, s12, v2
	v_mov_b32_e32 v1, s9
	s_and_b32 s28, s33, 0xff
	s_cmp_lt_i32 s28, 11
	s_waitcnt vmcnt(0)
	v_ashrrev_i32_e32 v3, 31, v2
	v_add_co_u32_e32 v0, vcc, s8, v2
	v_addc_co_u32_e32 v1, vcc, v1, v3, vcc
	s_cbranch_scc1 .LBB38_1760
; %bb.1681:
	s_and_b32 s13, 0xffff, s28
	s_mov_b64 s[24:25], -1
	s_mov_b64 s[10:11], 0
	s_cmp_gt_i32 s13, 25
	s_mov_b64 s[14:15], 0
	s_mov_b64 s[0:1], 0
	s_cbranch_scc0 .LBB38_1714
; %bb.1682:
	s_cmp_gt_i32 s13, 28
	s_cbranch_scc0 .LBB38_1697
; %bb.1683:
	s_cmp_gt_i32 s13, 43
	;; [unrolled: 3-line block ×3, first 2 shown]
	s_cbranch_scc0 .LBB38_1687
; %bb.1685:
	s_mov_b64 s[0:1], -1
	s_mov_b64 s[24:25], 0
	s_cmp_eq_u32 s13, 46
	s_cbranch_scc0 .LBB38_1687
; %bb.1686:
	v_cndmask_b32_e64 v3, 0, 1.0, s[2:3]
	v_bfe_u32 v4, v3, 16, 1
	s_movk_i32 s0, 0x7fff
	v_add3_u32 v3, v3, v4, s0
	v_lshrrev_b32_e32 v3, 16, v3
	global_store_dword v[0:1], v3, off
	s_mov_b64 s[0:1], 0
	s_mov_b64 s[14:15], -1
.LBB38_1687:
	s_and_b64 vcc, exec, s[24:25]
	s_cbranch_vccz .LBB38_1692
; %bb.1688:
	s_cmp_eq_u32 s13, 44
	s_mov_b64 s[0:1], -1
	s_cbranch_scc0 .LBB38_1692
; %bb.1689:
	v_cndmask_b32_e64 v4, 0, 1.0, s[2:3]
	v_lshrrev_b32_e32 v3, 23, v4
	s_movk_i32 s0, 0xff
	v_cmp_ne_u32_e32 vcc, s0, v3
	v_mov_b32_e32 v5, 0xff
	s_and_saveexec_b64 s[14:15], vcc
; %bb.1690:
	s_mov_b32 s0, 0x3fffff
	v_and_b32_e32 v5, 0x400000, v4
	v_and_or_b32 v4, v4, s0, v3
	v_cmp_ne_u32_e32 vcc, 0, v5
	v_cmp_ne_u32_e64 s[0:1], 0, v4
	s_and_b64 s[0:1], vcc, s[0:1]
	v_cndmask_b32_e64 v4, 0, 1, s[0:1]
	v_add_u32_e32 v5, v3, v4
; %bb.1691:
	s_or_b64 exec, exec, s[14:15]
	s_mov_b64 s[0:1], 0
	s_mov_b64 s[14:15], -1
	global_store_byte v[0:1], v5, off
.LBB38_1692:
	s_mov_b64 s[24:25], 0
.LBB38_1693:
	s_and_b64 vcc, exec, s[24:25]
	s_cbranch_vccz .LBB38_1696
; %bb.1694:
	s_cmp_eq_u32 s13, 29
	s_mov_b64 s[0:1], -1
	s_cbranch_scc0 .LBB38_1696
; %bb.1695:
	s_mov_b32 s0, 0
	v_cndmask_b32_e64 v3, 0, 1, s[2:3]
	v_mov_b32_e32 v4, s0
	global_store_dwordx2 v[0:1], v[3:4], off
	s_mov_b64 s[0:1], 0
	s_mov_b64 s[14:15], -1
.LBB38_1696:
	s_mov_b64 s[24:25], 0
.LBB38_1697:
	s_and_b64 vcc, exec, s[24:25]
	s_cbranch_vccz .LBB38_1713
; %bb.1698:
	s_cmp_lt_i32 s13, 27
	s_mov_b64 s[14:15], -1
	s_cbranch_scc1 .LBB38_1704
; %bb.1699:
	s_cmp_gt_i32 s13, 27
	s_cbranch_scc0 .LBB38_1701
; %bb.1700:
	v_cndmask_b32_e64 v3, 0, 1, s[2:3]
	s_mov_b64 s[14:15], 0
	global_store_dword v[0:1], v3, off
.LBB38_1701:
	s_andn2_b64 vcc, exec, s[14:15]
	s_cbranch_vccnz .LBB38_1703
; %bb.1702:
	v_cndmask_b32_e64 v3, 0, 1, s[2:3]
	global_store_short v[0:1], v3, off
.LBB38_1703:
	s_mov_b64 s[14:15], 0
.LBB38_1704:
	s_andn2_b64 vcc, exec, s[14:15]
	s_cbranch_vccnz .LBB38_1712
; %bb.1705:
	v_cndmask_b32_e64 v4, 0, 1.0, s[2:3]
	s_mov_b32 s14, 0x43800000
	v_cmp_gt_u32_e32 vcc, s14, v4
	v_mov_b32_e32 v5, 0x80
	s_and_saveexec_b64 s[14:15], vcc
	s_cbranch_execz .LBB38_1711
; %bb.1706:
	s_mov_b32 s24, 0x3bffffff
	v_cmp_lt_u32_e32 vcc, s24, v4
	s_mov_b64 s[24:25], 0
                                        ; implicit-def: $vgpr3
	s_and_saveexec_b64 s[26:27], vcc
	s_xor_b64 s[26:27], exec, s[26:27]
	s_cbranch_execz .LBB38_2118
; %bb.1707:
	v_bfe_u32 v3, v4, 20, 1
	s_mov_b32 s29, 0x487ffff
	v_add3_u32 v3, v4, v3, s29
	s_mov_b64 s[24:25], exec
	v_lshrrev_b32_e32 v3, 20, v3
                                        ; implicit-def: $vgpr4
	s_andn2_saveexec_b64 s[26:27], s[26:27]
	s_cbranch_execnz .LBB38_2119
.LBB38_1708:
	s_or_b64 exec, exec, s[26:27]
	v_mov_b32_e32 v5, 0
	s_and_saveexec_b64 s[26:27], s[24:25]
.LBB38_1709:
	v_mov_b32_e32 v5, v3
.LBB38_1710:
	s_or_b64 exec, exec, s[26:27]
.LBB38_1711:
	s_or_b64 exec, exec, s[14:15]
	global_store_byte v[0:1], v5, off
.LBB38_1712:
	s_mov_b64 s[14:15], -1
.LBB38_1713:
	s_mov_b64 s[24:25], 0
.LBB38_1714:
	s_and_b64 vcc, exec, s[24:25]
	s_cbranch_vccz .LBB38_1754
; %bb.1715:
	s_cmp_gt_i32 s13, 22
	s_mov_b64 s[10:11], -1
	s_cbranch_scc0 .LBB38_1747
; %bb.1716:
	s_cmp_lt_i32 s13, 24
	s_cbranch_scc1 .LBB38_1736
; %bb.1717:
	s_cmp_gt_i32 s13, 24
	s_cbranch_scc0 .LBB38_1725
; %bb.1718:
	v_cndmask_b32_e64 v4, 0, 1.0, s[2:3]
	s_mov_b32 s10, 0x47800000
	v_cmp_gt_u32_e32 vcc, s10, v4
	v_mov_b32_e32 v5, 0x80
	s_and_saveexec_b64 s[10:11], vcc
	s_cbranch_execz .LBB38_1724
; %bb.1719:
	s_mov_b32 s14, 0x37ffffff
	v_cmp_lt_u32_e32 vcc, s14, v4
	s_mov_b64 s[14:15], 0
                                        ; implicit-def: $vgpr3
	s_and_saveexec_b64 s[24:25], vcc
	s_xor_b64 s[24:25], exec, s[24:25]
	s_cbranch_execz .LBB38_2121
; %bb.1720:
	v_bfe_u32 v3, v4, 21, 1
	s_mov_b32 s26, 0x88fffff
	v_add3_u32 v3, v4, v3, s26
	s_mov_b64 s[14:15], exec
	v_lshrrev_b32_e32 v3, 21, v3
                                        ; implicit-def: $vgpr4
	s_andn2_saveexec_b64 s[24:25], s[24:25]
	s_cbranch_execnz .LBB38_2122
.LBB38_1721:
	s_or_b64 exec, exec, s[24:25]
	v_mov_b32_e32 v5, 0
	s_and_saveexec_b64 s[24:25], s[14:15]
.LBB38_1722:
	v_mov_b32_e32 v5, v3
.LBB38_1723:
	s_or_b64 exec, exec, s[24:25]
.LBB38_1724:
	s_or_b64 exec, exec, s[10:11]
	s_mov_b64 s[10:11], 0
	global_store_byte v[0:1], v5, off
.LBB38_1725:
	s_and_b64 vcc, exec, s[10:11]
	s_cbranch_vccz .LBB38_1735
; %bb.1726:
	v_cndmask_b32_e64 v3, 0, 1.0, s[2:3]
	s_mov_b32 s10, 0x43f00000
	v_cmp_gt_u32_e32 vcc, s10, v3
                                        ; implicit-def: $vgpr4
	s_and_saveexec_b64 s[10:11], vcc
	s_xor_b64 s[10:11], exec, s[10:11]
	s_cbranch_execz .LBB38_1732
; %bb.1727:
	s_mov_b32 s14, 0x3c7fffff
	v_cmp_lt_u32_e32 vcc, s14, v3
                                        ; implicit-def: $vgpr4
	s_and_saveexec_b64 s[14:15], vcc
	s_xor_b64 s[14:15], exec, s[14:15]
; %bb.1728:
	v_bfe_u32 v4, v3, 20, 1
	s_mov_b32 s24, 0x407ffff
	v_add3_u32 v3, v3, v4, s24
	v_lshrrev_b32_e32 v4, 20, v3
	v_and_b32_e32 v3, 0xff00000, v3
	s_mov_b32 s24, 0x7f00000
	v_mov_b32_e32 v5, 0x7e
	v_cmp_ne_u32_e32 vcc, s24, v3
	v_cndmask_b32_e32 v4, v5, v4, vcc
                                        ; implicit-def: $vgpr3
; %bb.1729:
	s_andn2_saveexec_b64 s[14:15], s[14:15]
; %bb.1730:
	v_add_f32_e32 v4, 0x46800000, v3
; %bb.1731:
	s_or_b64 exec, exec, s[14:15]
                                        ; implicit-def: $vgpr3
.LBB38_1732:
	s_andn2_saveexec_b64 s[10:11], s[10:11]
; %bb.1733:
	s_mov_b32 s14, 0x7f800000
	v_mov_b32_e32 v4, 0x7e
	v_mov_b32_e32 v5, 0x7f
	v_cmp_lt_u32_e32 vcc, s14, v3
	v_cndmask_b32_e32 v4, v4, v5, vcc
; %bb.1734:
	s_or_b64 exec, exec, s[10:11]
	global_store_byte v[0:1], v4, off
.LBB38_1735:
	s_mov_b64 s[10:11], 0
.LBB38_1736:
	s_andn2_b64 vcc, exec, s[10:11]
	s_cbranch_vccnz .LBB38_1746
; %bb.1737:
	v_cndmask_b32_e64 v3, 0, 1.0, s[2:3]
	s_mov_b32 s10, 0x47800000
	v_cmp_gt_u32_e32 vcc, s10, v3
                                        ; implicit-def: $vgpr4
	s_and_saveexec_b64 s[10:11], vcc
	s_xor_b64 s[10:11], exec, s[10:11]
	s_cbranch_execz .LBB38_1743
; %bb.1738:
	s_mov_b32 s14, 0x387fffff
	v_cmp_lt_u32_e32 vcc, s14, v3
                                        ; implicit-def: $vgpr4
	s_and_saveexec_b64 s[14:15], vcc
	s_xor_b64 s[14:15], exec, s[14:15]
; %bb.1739:
	v_bfe_u32 v4, v3, 21, 1
	s_mov_b32 s24, 0x80fffff
	v_add3_u32 v3, v3, v4, s24
	v_lshrrev_b32_e32 v4, 21, v3
                                        ; implicit-def: $vgpr3
; %bb.1740:
	s_andn2_saveexec_b64 s[14:15], s[14:15]
; %bb.1741:
	v_add_f32_e32 v4, 0x43000000, v3
; %bb.1742:
	s_or_b64 exec, exec, s[14:15]
                                        ; implicit-def: $vgpr3
.LBB38_1743:
	s_andn2_saveexec_b64 s[10:11], s[10:11]
; %bb.1744:
	s_mov_b32 s14, 0x7f800000
	v_mov_b32_e32 v4, 0x7c
	v_mov_b32_e32 v5, 0x7f
	v_cmp_lt_u32_e32 vcc, s14, v3
	v_cndmask_b32_e32 v4, v4, v5, vcc
; %bb.1745:
	s_or_b64 exec, exec, s[10:11]
	global_store_byte v[0:1], v4, off
.LBB38_1746:
	s_mov_b64 s[10:11], 0
	s_mov_b64 s[14:15], -1
.LBB38_1747:
	s_andn2_b64 vcc, exec, s[10:11]
	s_mov_b64 s[10:11], 0
	s_cbranch_vccnz .LBB38_1754
; %bb.1748:
	s_cmp_gt_i32 s13, 14
	s_mov_b64 s[24:25], -1
	s_cbranch_scc0 .LBB38_1752
; %bb.1749:
	s_cmp_eq_u32 s13, 15
	s_mov_b64 s[0:1], -1
	s_cbranch_scc0 .LBB38_1751
; %bb.1750:
	v_cndmask_b32_e64 v3, 0, 1.0, s[2:3]
	v_bfe_u32 v4, v3, 16, 1
	s_movk_i32 s0, 0x7fff
	v_add3_u32 v3, v3, v4, s0
	global_store_short_d16_hi v[0:1], v3, off
	s_mov_b64 s[0:1], 0
	s_mov_b64 s[14:15], -1
.LBB38_1751:
	s_mov_b64 s[24:25], 0
.LBB38_1752:
	s_and_b64 vcc, exec, s[24:25]
	s_cbranch_vccz .LBB38_1754
; %bb.1753:
	s_cmp_lg_u32 s13, 11
	s_mov_b64 s[10:11], -1
	s_cselect_b64 s[0:1], -1, 0
.LBB38_1754:
	s_and_b64 vcc, exec, s[0:1]
	s_cbranch_vccnz .LBB38_2120
; %bb.1755:
	s_andn2_b64 vcc, exec, s[10:11]
	s_cbranch_vccnz .LBB38_1757
.LBB38_1756:
	v_cndmask_b32_e64 v3, 0, 1, s[2:3]
	s_mov_b64 s[14:15], -1
	global_store_byte v[0:1], v3, off
.LBB38_1757:
	s_mov_b64 s[0:1], 0
	s_branch .LBB38_1761
.LBB38_1758:
	s_andn2_b64 vcc, exec, s[10:11]
	s_cbranch_vccnz .LBB38_1678
.LBB38_1759:
	s_waitcnt vmcnt(0)
	v_cmp_gt_i32_e32 vcc, s15, v3
	s_andn2_b64 s[10:11], s[20:21], exec
	s_and_b64 s[20:21], vcc, exec
	s_or_b64 s[20:21], s[10:11], s[20:21]
	s_cbranch_execz .LBB38_1679
	s_branch .LBB38_1680
.LBB38_1760:
	s_mov_b64 s[0:1], -1
	s_mov_b64 s[14:15], 0
.LBB38_1761:
	s_and_b64 vcc, exec, s[0:1]
	s_cbranch_vccz .LBB38_1800
; %bb.1762:
	s_and_b32 s10, 0xffff, s28
	s_cmp_lt_i32 s10, 5
	s_mov_b64 s[0:1], -1
	s_cbranch_scc1 .LBB38_1783
; %bb.1763:
	s_cmp_lt_i32 s10, 8
	s_cbranch_scc1 .LBB38_1773
; %bb.1764:
	s_cmp_lt_i32 s10, 9
	s_cbranch_scc1 .LBB38_1770
; %bb.1765:
	s_cmp_gt_i32 s10, 9
	s_cbranch_scc0 .LBB38_1767
; %bb.1766:
	v_cndmask_b32_e64 v3, 0, 1, s[2:3]
	v_cvt_f64_u32_e32 v[3:4], v3
	v_mov_b32_e32 v5, 0
	v_mov_b32_e32 v6, v5
	s_mov_b64 s[0:1], 0
	global_store_dwordx4 v[0:1], v[3:6], off
.LBB38_1767:
	s_andn2_b64 vcc, exec, s[0:1]
	s_cbranch_vccnz .LBB38_1769
; %bb.1768:
	v_cndmask_b32_e64 v3, 0, 1.0, s[2:3]
	v_mov_b32_e32 v4, 0
	global_store_dwordx2 v[0:1], v[3:4], off
.LBB38_1769:
	s_mov_b64 s[0:1], 0
.LBB38_1770:
	s_andn2_b64 vcc, exec, s[0:1]
	s_cbranch_vccnz .LBB38_1772
; %bb.1771:
	v_cndmask_b32_e64 v3, 0, 1.0, s[2:3]
	v_cvt_f16_f32_e32 v3, v3
	global_store_dword v[0:1], v3, off
.LBB38_1772:
	s_mov_b64 s[0:1], 0
.LBB38_1773:
	s_andn2_b64 vcc, exec, s[0:1]
	s_cbranch_vccnz .LBB38_1782
; %bb.1774:
	s_cmp_lt_i32 s10, 6
	s_mov_b64 s[0:1], -1
	s_cbranch_scc1 .LBB38_1780
; %bb.1775:
	s_cmp_gt_i32 s10, 6
	s_cbranch_scc0 .LBB38_1777
; %bb.1776:
	v_cndmask_b32_e64 v3, 0, 1, s[2:3]
	v_cvt_f64_u32_e32 v[3:4], v3
	s_mov_b64 s[0:1], 0
	global_store_dwordx2 v[0:1], v[3:4], off
.LBB38_1777:
	s_andn2_b64 vcc, exec, s[0:1]
	s_cbranch_vccnz .LBB38_1779
; %bb.1778:
	v_cndmask_b32_e64 v3, 0, 1.0, s[2:3]
	global_store_dword v[0:1], v3, off
.LBB38_1779:
	s_mov_b64 s[0:1], 0
.LBB38_1780:
	s_andn2_b64 vcc, exec, s[0:1]
	s_cbranch_vccnz .LBB38_1782
; %bb.1781:
	v_cndmask_b32_e64 v3, 0, 1.0, s[2:3]
	v_cvt_f16_f32_e32 v3, v3
	global_store_short v[0:1], v3, off
.LBB38_1782:
	s_mov_b64 s[0:1], 0
.LBB38_1783:
	s_andn2_b64 vcc, exec, s[0:1]
	s_cbranch_vccnz .LBB38_1799
; %bb.1784:
	s_cmp_lt_i32 s10, 2
	s_mov_b64 s[0:1], -1
	s_cbranch_scc1 .LBB38_1794
; %bb.1785:
	s_cmp_lt_i32 s10, 3
	s_cbranch_scc1 .LBB38_1791
; %bb.1786:
	s_cmp_gt_i32 s10, 3
	s_cbranch_scc0 .LBB38_1788
; %bb.1787:
	s_mov_b32 s0, 0
	v_cndmask_b32_e64 v3, 0, 1, s[2:3]
	v_mov_b32_e32 v4, s0
	global_store_dwordx2 v[0:1], v[3:4], off
	s_mov_b64 s[0:1], 0
.LBB38_1788:
	s_andn2_b64 vcc, exec, s[0:1]
	s_cbranch_vccnz .LBB38_1790
; %bb.1789:
	v_cndmask_b32_e64 v3, 0, 1, s[2:3]
	global_store_dword v[0:1], v3, off
.LBB38_1790:
	s_mov_b64 s[0:1], 0
.LBB38_1791:
	s_andn2_b64 vcc, exec, s[0:1]
	s_cbranch_vccnz .LBB38_1793
; %bb.1792:
	v_cndmask_b32_e64 v3, 0, 1, s[2:3]
	global_store_short v[0:1], v3, off
.LBB38_1793:
	s_mov_b64 s[0:1], 0
.LBB38_1794:
	s_andn2_b64 vcc, exec, s[0:1]
	s_cbranch_vccnz .LBB38_1799
; %bb.1795:
	s_mov_b64 s[0:1], -1
	s_cmp_gt_i32 s10, 0
	v_cndmask_b32_e64 v3, 0, 1, s[2:3]
	s_cbranch_scc0 .LBB38_1797
; %bb.1796:
	global_store_byte v[0:1], v3, off
	s_mov_b64 s[0:1], 0
.LBB38_1797:
	s_andn2_b64 vcc, exec, s[0:1]
	s_cbranch_vccnz .LBB38_1799
; %bb.1798:
	global_store_byte v[0:1], v3, off
.LBB38_1799:
	s_mov_b64 s[14:15], -1
.LBB38_1800:
	s_andn2_b64 vcc, exec, s[14:15]
	s_cbranch_vccnz .LBB38_2115
; %bb.1801:
	s_lshl_b32 s24, s12, 7
	v_add_u32_e32 v2, s24, v2
	v_ashrrev_i32_e32 v1, 31, v2
	v_mov_b32_e32 v3, s9
	v_add_co_u32_e32 v0, vcc, s8, v2
	s_cmp_lt_i32 s28, 11
	v_addc_co_u32_e32 v1, vcc, v3, v1, vcc
	s_cbranch_scc1 .LBB38_1879
; %bb.1802:
	s_and_b32 s25, 0xffff, s28
	s_mov_b64 s[12:13], -1
	s_mov_b64 s[2:3], 0
	s_cmp_gt_i32 s25, 25
	s_mov_b64 s[10:11], 0
	s_mov_b64 s[0:1], 0
	s_cbranch_scc0 .LBB38_1835
; %bb.1803:
	s_cmp_gt_i32 s25, 28
	s_cbranch_scc0 .LBB38_1818
; %bb.1804:
	s_cmp_gt_i32 s25, 43
	;; [unrolled: 3-line block ×3, first 2 shown]
	s_cbranch_scc0 .LBB38_1808
; %bb.1806:
	s_mov_b64 s[0:1], -1
	s_mov_b64 s[12:13], 0
	s_cmp_eq_u32 s25, 46
	s_cbranch_scc0 .LBB38_1808
; %bb.1807:
	v_cndmask_b32_e64 v3, 0, 1.0, s[18:19]
	v_bfe_u32 v4, v3, 16, 1
	s_movk_i32 s0, 0x7fff
	v_add3_u32 v3, v3, v4, s0
	v_lshrrev_b32_e32 v3, 16, v3
	global_store_dword v[0:1], v3, off
	s_mov_b64 s[0:1], 0
	s_mov_b64 s[10:11], -1
.LBB38_1808:
	s_and_b64 vcc, exec, s[12:13]
	s_cbranch_vccz .LBB38_1813
; %bb.1809:
	s_cmp_eq_u32 s25, 44
	s_mov_b64 s[0:1], -1
	s_cbranch_scc0 .LBB38_1813
; %bb.1810:
	v_cndmask_b32_e64 v4, 0, 1.0, s[18:19]
	v_lshrrev_b32_e32 v3, 23, v4
	s_movk_i32 s0, 0xff
	v_cmp_ne_u32_e32 vcc, s0, v3
	v_mov_b32_e32 v5, 0xff
	s_and_saveexec_b64 s[10:11], vcc
; %bb.1811:
	s_mov_b32 s0, 0x3fffff
	v_and_b32_e32 v5, 0x400000, v4
	v_and_or_b32 v4, v4, s0, v3
	v_cmp_ne_u32_e32 vcc, 0, v5
	v_cmp_ne_u32_e64 s[0:1], 0, v4
	s_and_b64 s[0:1], vcc, s[0:1]
	v_cndmask_b32_e64 v4, 0, 1, s[0:1]
	v_add_u32_e32 v5, v3, v4
; %bb.1812:
	s_or_b64 exec, exec, s[10:11]
	s_mov_b64 s[0:1], 0
	s_mov_b64 s[10:11], -1
	global_store_byte v[0:1], v5, off
.LBB38_1813:
	s_mov_b64 s[12:13], 0
.LBB38_1814:
	s_and_b64 vcc, exec, s[12:13]
	s_cbranch_vccz .LBB38_1817
; %bb.1815:
	s_cmp_eq_u32 s25, 29
	s_mov_b64 s[0:1], -1
	s_cbranch_scc0 .LBB38_1817
; %bb.1816:
	s_mov_b32 s0, 0
	v_cndmask_b32_e64 v3, 0, 1, s[18:19]
	v_mov_b32_e32 v4, s0
	global_store_dwordx2 v[0:1], v[3:4], off
	s_mov_b64 s[0:1], 0
	s_mov_b64 s[10:11], -1
.LBB38_1817:
	s_mov_b64 s[12:13], 0
.LBB38_1818:
	s_and_b64 vcc, exec, s[12:13]
	s_cbranch_vccz .LBB38_1834
; %bb.1819:
	s_cmp_lt_i32 s25, 27
	s_mov_b64 s[10:11], -1
	s_cbranch_scc1 .LBB38_1825
; %bb.1820:
	s_cmp_gt_i32 s25, 27
	s_cbranch_scc0 .LBB38_1822
; %bb.1821:
	v_cndmask_b32_e64 v3, 0, 1, s[18:19]
	s_mov_b64 s[10:11], 0
	global_store_dword v[0:1], v3, off
.LBB38_1822:
	s_andn2_b64 vcc, exec, s[10:11]
	s_cbranch_vccnz .LBB38_1824
; %bb.1823:
	v_cndmask_b32_e64 v3, 0, 1, s[18:19]
	global_store_short v[0:1], v3, off
.LBB38_1824:
	s_mov_b64 s[10:11], 0
.LBB38_1825:
	s_andn2_b64 vcc, exec, s[10:11]
	s_cbranch_vccnz .LBB38_1833
; %bb.1826:
	v_cndmask_b32_e64 v4, 0, 1.0, s[18:19]
	s_mov_b32 s10, 0x43800000
	v_cmp_gt_u32_e32 vcc, s10, v4
	v_mov_b32_e32 v5, 0x80
	s_and_saveexec_b64 s[10:11], vcc
	s_cbranch_execz .LBB38_1832
; %bb.1827:
	s_mov_b32 s12, 0x3bffffff
	v_cmp_lt_u32_e32 vcc, s12, v4
	s_mov_b64 s[12:13], 0
                                        ; implicit-def: $vgpr3
	s_and_saveexec_b64 s[14:15], vcc
	s_xor_b64 s[14:15], exec, s[14:15]
	s_cbranch_execz .LBB38_2123
; %bb.1828:
	v_bfe_u32 v3, v4, 20, 1
	s_mov_b32 s26, 0x487ffff
	v_add3_u32 v3, v4, v3, s26
	s_mov_b64 s[12:13], exec
	v_lshrrev_b32_e32 v3, 20, v3
                                        ; implicit-def: $vgpr4
	s_andn2_saveexec_b64 s[14:15], s[14:15]
	s_cbranch_execnz .LBB38_2124
.LBB38_1829:
	s_or_b64 exec, exec, s[14:15]
	v_mov_b32_e32 v5, 0
	s_and_saveexec_b64 s[14:15], s[12:13]
.LBB38_1830:
	v_mov_b32_e32 v5, v3
.LBB38_1831:
	s_or_b64 exec, exec, s[14:15]
.LBB38_1832:
	s_or_b64 exec, exec, s[10:11]
	global_store_byte v[0:1], v5, off
.LBB38_1833:
	s_mov_b64 s[10:11], -1
.LBB38_1834:
	s_mov_b64 s[12:13], 0
.LBB38_1835:
	s_and_b64 vcc, exec, s[12:13]
	s_cbranch_vccz .LBB38_1875
; %bb.1836:
	s_cmp_gt_i32 s25, 22
	s_mov_b64 s[2:3], -1
	s_cbranch_scc0 .LBB38_1868
; %bb.1837:
	s_cmp_lt_i32 s25, 24
	s_cbranch_scc1 .LBB38_1857
; %bb.1838:
	s_cmp_gt_i32 s25, 24
	s_cbranch_scc0 .LBB38_1846
; %bb.1839:
	v_cndmask_b32_e64 v4, 0, 1.0, s[18:19]
	s_mov_b32 s2, 0x47800000
	v_cmp_gt_u32_e32 vcc, s2, v4
	v_mov_b32_e32 v5, 0x80
	s_and_saveexec_b64 s[2:3], vcc
	s_cbranch_execz .LBB38_1845
; %bb.1840:
	s_mov_b32 s10, 0x37ffffff
	v_cmp_lt_u32_e32 vcc, s10, v4
	s_mov_b64 s[10:11], 0
                                        ; implicit-def: $vgpr3
	s_and_saveexec_b64 s[12:13], vcc
	s_xor_b64 s[12:13], exec, s[12:13]
	s_cbranch_execz .LBB38_2126
; %bb.1841:
	v_bfe_u32 v3, v4, 21, 1
	s_mov_b32 s14, 0x88fffff
	v_add3_u32 v3, v4, v3, s14
	s_mov_b64 s[10:11], exec
	v_lshrrev_b32_e32 v3, 21, v3
                                        ; implicit-def: $vgpr4
	s_andn2_saveexec_b64 s[12:13], s[12:13]
	s_cbranch_execnz .LBB38_2127
.LBB38_1842:
	s_or_b64 exec, exec, s[12:13]
	v_mov_b32_e32 v5, 0
	s_and_saveexec_b64 s[12:13], s[10:11]
.LBB38_1843:
	v_mov_b32_e32 v5, v3
.LBB38_1844:
	s_or_b64 exec, exec, s[12:13]
.LBB38_1845:
	s_or_b64 exec, exec, s[2:3]
	s_mov_b64 s[2:3], 0
	global_store_byte v[0:1], v5, off
.LBB38_1846:
	s_and_b64 vcc, exec, s[2:3]
	s_cbranch_vccz .LBB38_1856
; %bb.1847:
	v_cndmask_b32_e64 v3, 0, 1.0, s[18:19]
	s_mov_b32 s2, 0x43f00000
	v_cmp_gt_u32_e32 vcc, s2, v3
                                        ; implicit-def: $vgpr4
	s_and_saveexec_b64 s[2:3], vcc
	s_xor_b64 s[2:3], exec, s[2:3]
	s_cbranch_execz .LBB38_1853
; %bb.1848:
	s_mov_b32 s10, 0x3c7fffff
	v_cmp_lt_u32_e32 vcc, s10, v3
                                        ; implicit-def: $vgpr4
	s_and_saveexec_b64 s[10:11], vcc
	s_xor_b64 s[10:11], exec, s[10:11]
; %bb.1849:
	v_bfe_u32 v4, v3, 20, 1
	s_mov_b32 s12, 0x407ffff
	v_add3_u32 v3, v3, v4, s12
	v_lshrrev_b32_e32 v4, 20, v3
	v_and_b32_e32 v3, 0xff00000, v3
	s_mov_b32 s12, 0x7f00000
	v_mov_b32_e32 v5, 0x7e
	v_cmp_ne_u32_e32 vcc, s12, v3
	v_cndmask_b32_e32 v4, v5, v4, vcc
                                        ; implicit-def: $vgpr3
; %bb.1850:
	s_andn2_saveexec_b64 s[10:11], s[10:11]
; %bb.1851:
	v_add_f32_e32 v4, 0x46800000, v3
; %bb.1852:
	s_or_b64 exec, exec, s[10:11]
                                        ; implicit-def: $vgpr3
.LBB38_1853:
	s_andn2_saveexec_b64 s[2:3], s[2:3]
; %bb.1854:
	s_mov_b32 s10, 0x7f800000
	v_mov_b32_e32 v4, 0x7e
	v_mov_b32_e32 v5, 0x7f
	v_cmp_lt_u32_e32 vcc, s10, v3
	v_cndmask_b32_e32 v4, v4, v5, vcc
; %bb.1855:
	s_or_b64 exec, exec, s[2:3]
	global_store_byte v[0:1], v4, off
.LBB38_1856:
	s_mov_b64 s[2:3], 0
.LBB38_1857:
	s_andn2_b64 vcc, exec, s[2:3]
	s_cbranch_vccnz .LBB38_1867
; %bb.1858:
	v_cndmask_b32_e64 v3, 0, 1.0, s[18:19]
	s_mov_b32 s2, 0x47800000
	v_cmp_gt_u32_e32 vcc, s2, v3
                                        ; implicit-def: $vgpr4
	s_and_saveexec_b64 s[2:3], vcc
	s_xor_b64 s[2:3], exec, s[2:3]
	s_cbranch_execz .LBB38_1864
; %bb.1859:
	s_mov_b32 s10, 0x387fffff
	v_cmp_lt_u32_e32 vcc, s10, v3
                                        ; implicit-def: $vgpr4
	s_and_saveexec_b64 s[10:11], vcc
	s_xor_b64 s[10:11], exec, s[10:11]
; %bb.1860:
	v_bfe_u32 v4, v3, 21, 1
	s_mov_b32 s12, 0x80fffff
	v_add3_u32 v3, v3, v4, s12
	v_lshrrev_b32_e32 v4, 21, v3
                                        ; implicit-def: $vgpr3
; %bb.1861:
	s_andn2_saveexec_b64 s[10:11], s[10:11]
; %bb.1862:
	v_add_f32_e32 v4, 0x43000000, v3
; %bb.1863:
	s_or_b64 exec, exec, s[10:11]
                                        ; implicit-def: $vgpr3
.LBB38_1864:
	s_andn2_saveexec_b64 s[2:3], s[2:3]
; %bb.1865:
	s_mov_b32 s10, 0x7f800000
	v_mov_b32_e32 v4, 0x7c
	v_mov_b32_e32 v5, 0x7f
	v_cmp_lt_u32_e32 vcc, s10, v3
	v_cndmask_b32_e32 v4, v4, v5, vcc
; %bb.1866:
	s_or_b64 exec, exec, s[2:3]
	global_store_byte v[0:1], v4, off
.LBB38_1867:
	s_mov_b64 s[2:3], 0
	s_mov_b64 s[10:11], -1
.LBB38_1868:
	s_andn2_b64 vcc, exec, s[2:3]
	s_mov_b64 s[2:3], 0
	s_cbranch_vccnz .LBB38_1875
; %bb.1869:
	s_cmp_gt_i32 s25, 14
	s_mov_b64 s[12:13], -1
	s_cbranch_scc0 .LBB38_1873
; %bb.1870:
	s_cmp_eq_u32 s25, 15
	s_mov_b64 s[0:1], -1
	s_cbranch_scc0 .LBB38_1872
; %bb.1871:
	v_cndmask_b32_e64 v3, 0, 1.0, s[18:19]
	v_bfe_u32 v4, v3, 16, 1
	s_movk_i32 s0, 0x7fff
	v_add3_u32 v3, v3, v4, s0
	global_store_short_d16_hi v[0:1], v3, off
	s_mov_b64 s[0:1], 0
	s_mov_b64 s[10:11], -1
.LBB38_1872:
	s_mov_b64 s[12:13], 0
.LBB38_1873:
	s_and_b64 vcc, exec, s[12:13]
	s_cbranch_vccz .LBB38_1875
; %bb.1874:
	s_cmp_lg_u32 s25, 11
	s_mov_b64 s[2:3], -1
	s_cselect_b64 s[0:1], -1, 0
.LBB38_1875:
	s_and_b64 vcc, exec, s[0:1]
	s_cbranch_vccnz .LBB38_2125
; %bb.1876:
	s_andn2_b64 vcc, exec, s[2:3]
	s_cbranch_vccnz .LBB38_1878
.LBB38_1877:
	v_cndmask_b32_e64 v3, 0, 1, s[18:19]
	s_mov_b64 s[10:11], -1
	global_store_byte v[0:1], v3, off
.LBB38_1878:
	s_mov_b64 s[0:1], 0
	s_branch .LBB38_1880
.LBB38_1879:
	s_mov_b64 s[0:1], -1
	s_mov_b64 s[10:11], 0
.LBB38_1880:
	s_and_b64 vcc, exec, s[0:1]
	s_cbranch_vccz .LBB38_1919
; %bb.1881:
	s_and_b32 s2, 0xffff, s28
	s_cmp_lt_i32 s2, 5
	s_mov_b64 s[0:1], -1
	s_cbranch_scc1 .LBB38_1902
; %bb.1882:
	s_cmp_lt_i32 s2, 8
	s_cbranch_scc1 .LBB38_1892
; %bb.1883:
	s_cmp_lt_i32 s2, 9
	s_cbranch_scc1 .LBB38_1889
; %bb.1884:
	s_cmp_gt_i32 s2, 9
	s_cbranch_scc0 .LBB38_1886
; %bb.1885:
	v_cndmask_b32_e64 v3, 0, 1, s[18:19]
	v_cvt_f64_u32_e32 v[3:4], v3
	v_mov_b32_e32 v5, 0
	v_mov_b32_e32 v6, v5
	s_mov_b64 s[0:1], 0
	global_store_dwordx4 v[0:1], v[3:6], off
.LBB38_1886:
	s_andn2_b64 vcc, exec, s[0:1]
	s_cbranch_vccnz .LBB38_1888
; %bb.1887:
	v_cndmask_b32_e64 v3, 0, 1.0, s[18:19]
	v_mov_b32_e32 v4, 0
	global_store_dwordx2 v[0:1], v[3:4], off
.LBB38_1888:
	s_mov_b64 s[0:1], 0
.LBB38_1889:
	s_andn2_b64 vcc, exec, s[0:1]
	s_cbranch_vccnz .LBB38_1891
; %bb.1890:
	v_cndmask_b32_e64 v3, 0, 1.0, s[18:19]
	v_cvt_f16_f32_e32 v3, v3
	global_store_dword v[0:1], v3, off
.LBB38_1891:
	s_mov_b64 s[0:1], 0
.LBB38_1892:
	s_andn2_b64 vcc, exec, s[0:1]
	s_cbranch_vccnz .LBB38_1901
; %bb.1893:
	s_cmp_lt_i32 s2, 6
	s_mov_b64 s[0:1], -1
	s_cbranch_scc1 .LBB38_1899
; %bb.1894:
	s_cmp_gt_i32 s2, 6
	s_cbranch_scc0 .LBB38_1896
; %bb.1895:
	v_cndmask_b32_e64 v3, 0, 1, s[18:19]
	v_cvt_f64_u32_e32 v[3:4], v3
	s_mov_b64 s[0:1], 0
	global_store_dwordx2 v[0:1], v[3:4], off
.LBB38_1896:
	s_andn2_b64 vcc, exec, s[0:1]
	s_cbranch_vccnz .LBB38_1898
; %bb.1897:
	v_cndmask_b32_e64 v3, 0, 1.0, s[18:19]
	global_store_dword v[0:1], v3, off
.LBB38_1898:
	s_mov_b64 s[0:1], 0
.LBB38_1899:
	s_andn2_b64 vcc, exec, s[0:1]
	s_cbranch_vccnz .LBB38_1901
; %bb.1900:
	v_cndmask_b32_e64 v3, 0, 1.0, s[18:19]
	v_cvt_f16_f32_e32 v3, v3
	global_store_short v[0:1], v3, off
.LBB38_1901:
	s_mov_b64 s[0:1], 0
.LBB38_1902:
	s_andn2_b64 vcc, exec, s[0:1]
	s_cbranch_vccnz .LBB38_1918
; %bb.1903:
	s_cmp_lt_i32 s2, 2
	s_mov_b64 s[0:1], -1
	s_cbranch_scc1 .LBB38_1913
; %bb.1904:
	s_cmp_lt_i32 s2, 3
	s_cbranch_scc1 .LBB38_1910
; %bb.1905:
	s_cmp_gt_i32 s2, 3
	s_cbranch_scc0 .LBB38_1907
; %bb.1906:
	s_mov_b32 s0, 0
	v_cndmask_b32_e64 v3, 0, 1, s[18:19]
	v_mov_b32_e32 v4, s0
	global_store_dwordx2 v[0:1], v[3:4], off
	s_mov_b64 s[0:1], 0
.LBB38_1907:
	s_andn2_b64 vcc, exec, s[0:1]
	s_cbranch_vccnz .LBB38_1909
; %bb.1908:
	v_cndmask_b32_e64 v3, 0, 1, s[18:19]
	global_store_dword v[0:1], v3, off
.LBB38_1909:
	s_mov_b64 s[0:1], 0
.LBB38_1910:
	s_andn2_b64 vcc, exec, s[0:1]
	s_cbranch_vccnz .LBB38_1912
; %bb.1911:
	v_cndmask_b32_e64 v3, 0, 1, s[18:19]
	global_store_short v[0:1], v3, off
.LBB38_1912:
	s_mov_b64 s[0:1], 0
.LBB38_1913:
	s_andn2_b64 vcc, exec, s[0:1]
	s_cbranch_vccnz .LBB38_1918
; %bb.1914:
	s_mov_b64 s[0:1], -1
	s_cmp_gt_i32 s2, 0
	v_cndmask_b32_e64 v3, 0, 1, s[18:19]
	s_cbranch_scc0 .LBB38_1916
; %bb.1915:
	global_store_byte v[0:1], v3, off
	s_mov_b64 s[0:1], 0
.LBB38_1916:
	s_andn2_b64 vcc, exec, s[0:1]
	s_cbranch_vccnz .LBB38_1918
; %bb.1917:
	global_store_byte v[0:1], v3, off
.LBB38_1918:
	s_mov_b64 s[10:11], -1
.LBB38_1919:
	s_andn2_b64 vcc, exec, s[10:11]
	s_cbranch_vccnz .LBB38_2115
; %bb.1920:
	v_add_u32_e32 v2, s24, v2
	v_ashrrev_i32_e32 v1, 31, v2
	v_mov_b32_e32 v3, s9
	v_add_co_u32_e32 v0, vcc, s8, v2
	s_cmp_lt_i32 s28, 11
	v_addc_co_u32_e32 v1, vcc, v3, v1, vcc
	s_cbranch_scc1 .LBB38_1998
; %bb.1921:
	s_and_b32 s18, 0xffff, s28
	s_mov_b64 s[12:13], -1
	s_mov_b64 s[2:3], 0
	s_cmp_gt_i32 s18, 25
	s_mov_b64 s[10:11], 0
	s_mov_b64 s[0:1], 0
	s_cbranch_scc0 .LBB38_1954
; %bb.1922:
	s_cmp_gt_i32 s18, 28
	s_cbranch_scc0 .LBB38_1937
; %bb.1923:
	s_cmp_gt_i32 s18, 43
	;; [unrolled: 3-line block ×3, first 2 shown]
	s_cbranch_scc0 .LBB38_1927
; %bb.1925:
	s_mov_b64 s[0:1], -1
	s_mov_b64 s[12:13], 0
	s_cmp_eq_u32 s18, 46
	s_cbranch_scc0 .LBB38_1927
; %bb.1926:
	v_cndmask_b32_e64 v3, 0, 1.0, s[22:23]
	v_bfe_u32 v4, v3, 16, 1
	s_movk_i32 s0, 0x7fff
	v_add3_u32 v3, v3, v4, s0
	v_lshrrev_b32_e32 v3, 16, v3
	global_store_dword v[0:1], v3, off
	s_mov_b64 s[0:1], 0
	s_mov_b64 s[10:11], -1
.LBB38_1927:
	s_and_b64 vcc, exec, s[12:13]
	s_cbranch_vccz .LBB38_1932
; %bb.1928:
	s_cmp_eq_u32 s18, 44
	s_mov_b64 s[0:1], -1
	s_cbranch_scc0 .LBB38_1932
; %bb.1929:
	v_cndmask_b32_e64 v4, 0, 1.0, s[22:23]
	v_lshrrev_b32_e32 v3, 23, v4
	s_movk_i32 s0, 0xff
	v_cmp_ne_u32_e32 vcc, s0, v3
	v_mov_b32_e32 v5, 0xff
	s_and_saveexec_b64 s[10:11], vcc
; %bb.1930:
	s_mov_b32 s0, 0x3fffff
	v_and_b32_e32 v5, 0x400000, v4
	v_and_or_b32 v4, v4, s0, v3
	v_cmp_ne_u32_e32 vcc, 0, v5
	v_cmp_ne_u32_e64 s[0:1], 0, v4
	s_and_b64 s[0:1], vcc, s[0:1]
	v_cndmask_b32_e64 v4, 0, 1, s[0:1]
	v_add_u32_e32 v5, v3, v4
; %bb.1931:
	s_or_b64 exec, exec, s[10:11]
	s_mov_b64 s[0:1], 0
	s_mov_b64 s[10:11], -1
	global_store_byte v[0:1], v5, off
.LBB38_1932:
	s_mov_b64 s[12:13], 0
.LBB38_1933:
	s_and_b64 vcc, exec, s[12:13]
	s_cbranch_vccz .LBB38_1936
; %bb.1934:
	s_cmp_eq_u32 s18, 29
	s_mov_b64 s[0:1], -1
	s_cbranch_scc0 .LBB38_1936
; %bb.1935:
	s_mov_b32 s0, 0
	v_cndmask_b32_e64 v3, 0, 1, s[22:23]
	v_mov_b32_e32 v4, s0
	global_store_dwordx2 v[0:1], v[3:4], off
	s_mov_b64 s[0:1], 0
	s_mov_b64 s[10:11], -1
.LBB38_1936:
	s_mov_b64 s[12:13], 0
.LBB38_1937:
	s_and_b64 vcc, exec, s[12:13]
	s_cbranch_vccz .LBB38_1953
; %bb.1938:
	s_cmp_lt_i32 s18, 27
	s_mov_b64 s[10:11], -1
	s_cbranch_scc1 .LBB38_1944
; %bb.1939:
	s_cmp_gt_i32 s18, 27
	s_cbranch_scc0 .LBB38_1941
; %bb.1940:
	v_cndmask_b32_e64 v3, 0, 1, s[22:23]
	s_mov_b64 s[10:11], 0
	global_store_dword v[0:1], v3, off
.LBB38_1941:
	s_andn2_b64 vcc, exec, s[10:11]
	s_cbranch_vccnz .LBB38_1943
; %bb.1942:
	v_cndmask_b32_e64 v3, 0, 1, s[22:23]
	global_store_short v[0:1], v3, off
.LBB38_1943:
	s_mov_b64 s[10:11], 0
.LBB38_1944:
	s_andn2_b64 vcc, exec, s[10:11]
	s_cbranch_vccnz .LBB38_1952
; %bb.1945:
	v_cndmask_b32_e64 v4, 0, 1.0, s[22:23]
	s_mov_b32 s10, 0x43800000
	v_cmp_gt_u32_e32 vcc, s10, v4
	v_mov_b32_e32 v5, 0x80
	s_and_saveexec_b64 s[10:11], vcc
	s_cbranch_execz .LBB38_1951
; %bb.1946:
	s_mov_b32 s12, 0x3bffffff
	v_cmp_lt_u32_e32 vcc, s12, v4
	s_mov_b64 s[12:13], 0
                                        ; implicit-def: $vgpr3
	s_and_saveexec_b64 s[14:15], vcc
	s_xor_b64 s[14:15], exec, s[14:15]
	s_cbranch_execz .LBB38_2128
; %bb.1947:
	v_bfe_u32 v3, v4, 20, 1
	s_mov_b32 s19, 0x487ffff
	v_add3_u32 v3, v4, v3, s19
	s_mov_b64 s[12:13], exec
	v_lshrrev_b32_e32 v3, 20, v3
                                        ; implicit-def: $vgpr4
	s_andn2_saveexec_b64 s[14:15], s[14:15]
	s_cbranch_execnz .LBB38_2129
.LBB38_1948:
	s_or_b64 exec, exec, s[14:15]
	v_mov_b32_e32 v5, 0
	s_and_saveexec_b64 s[14:15], s[12:13]
.LBB38_1949:
	v_mov_b32_e32 v5, v3
.LBB38_1950:
	s_or_b64 exec, exec, s[14:15]
.LBB38_1951:
	s_or_b64 exec, exec, s[10:11]
	global_store_byte v[0:1], v5, off
.LBB38_1952:
	s_mov_b64 s[10:11], -1
.LBB38_1953:
	s_mov_b64 s[12:13], 0
.LBB38_1954:
	s_and_b64 vcc, exec, s[12:13]
	s_cbranch_vccz .LBB38_1994
; %bb.1955:
	s_cmp_gt_i32 s18, 22
	s_mov_b64 s[2:3], -1
	s_cbranch_scc0 .LBB38_1987
; %bb.1956:
	s_cmp_lt_i32 s18, 24
	s_cbranch_scc1 .LBB38_1976
; %bb.1957:
	s_cmp_gt_i32 s18, 24
	s_cbranch_scc0 .LBB38_1965
; %bb.1958:
	v_cndmask_b32_e64 v4, 0, 1.0, s[22:23]
	s_mov_b32 s2, 0x47800000
	v_cmp_gt_u32_e32 vcc, s2, v4
	v_mov_b32_e32 v5, 0x80
	s_and_saveexec_b64 s[2:3], vcc
	s_cbranch_execz .LBB38_1964
; %bb.1959:
	s_mov_b32 s10, 0x37ffffff
	v_cmp_lt_u32_e32 vcc, s10, v4
	s_mov_b64 s[10:11], 0
                                        ; implicit-def: $vgpr3
	s_and_saveexec_b64 s[12:13], vcc
	s_xor_b64 s[12:13], exec, s[12:13]
	s_cbranch_execz .LBB38_2131
; %bb.1960:
	v_bfe_u32 v3, v4, 21, 1
	s_mov_b32 s14, 0x88fffff
	v_add3_u32 v3, v4, v3, s14
	s_mov_b64 s[10:11], exec
	v_lshrrev_b32_e32 v3, 21, v3
                                        ; implicit-def: $vgpr4
	s_andn2_saveexec_b64 s[12:13], s[12:13]
	s_cbranch_execnz .LBB38_2132
.LBB38_1961:
	s_or_b64 exec, exec, s[12:13]
	v_mov_b32_e32 v5, 0
	s_and_saveexec_b64 s[12:13], s[10:11]
.LBB38_1962:
	v_mov_b32_e32 v5, v3
.LBB38_1963:
	s_or_b64 exec, exec, s[12:13]
.LBB38_1964:
	s_or_b64 exec, exec, s[2:3]
	s_mov_b64 s[2:3], 0
	global_store_byte v[0:1], v5, off
.LBB38_1965:
	s_and_b64 vcc, exec, s[2:3]
	s_cbranch_vccz .LBB38_1975
; %bb.1966:
	v_cndmask_b32_e64 v3, 0, 1.0, s[22:23]
	s_mov_b32 s2, 0x43f00000
	v_cmp_gt_u32_e32 vcc, s2, v3
                                        ; implicit-def: $vgpr4
	s_and_saveexec_b64 s[2:3], vcc
	s_xor_b64 s[2:3], exec, s[2:3]
	s_cbranch_execz .LBB38_1972
; %bb.1967:
	s_mov_b32 s10, 0x3c7fffff
	v_cmp_lt_u32_e32 vcc, s10, v3
                                        ; implicit-def: $vgpr4
	s_and_saveexec_b64 s[10:11], vcc
	s_xor_b64 s[10:11], exec, s[10:11]
; %bb.1968:
	v_bfe_u32 v4, v3, 20, 1
	s_mov_b32 s12, 0x407ffff
	v_add3_u32 v3, v3, v4, s12
	v_lshrrev_b32_e32 v4, 20, v3
	v_and_b32_e32 v3, 0xff00000, v3
	s_mov_b32 s12, 0x7f00000
	v_mov_b32_e32 v5, 0x7e
	v_cmp_ne_u32_e32 vcc, s12, v3
	v_cndmask_b32_e32 v4, v5, v4, vcc
                                        ; implicit-def: $vgpr3
; %bb.1969:
	s_andn2_saveexec_b64 s[10:11], s[10:11]
; %bb.1970:
	v_add_f32_e32 v4, 0x46800000, v3
; %bb.1971:
	s_or_b64 exec, exec, s[10:11]
                                        ; implicit-def: $vgpr3
.LBB38_1972:
	s_andn2_saveexec_b64 s[2:3], s[2:3]
; %bb.1973:
	s_mov_b32 s10, 0x7f800000
	v_mov_b32_e32 v4, 0x7e
	v_mov_b32_e32 v5, 0x7f
	v_cmp_lt_u32_e32 vcc, s10, v3
	v_cndmask_b32_e32 v4, v4, v5, vcc
; %bb.1974:
	s_or_b64 exec, exec, s[2:3]
	global_store_byte v[0:1], v4, off
.LBB38_1975:
	s_mov_b64 s[2:3], 0
.LBB38_1976:
	s_andn2_b64 vcc, exec, s[2:3]
	s_cbranch_vccnz .LBB38_1986
; %bb.1977:
	v_cndmask_b32_e64 v3, 0, 1.0, s[22:23]
	s_mov_b32 s2, 0x47800000
	v_cmp_gt_u32_e32 vcc, s2, v3
                                        ; implicit-def: $vgpr4
	s_and_saveexec_b64 s[2:3], vcc
	s_xor_b64 s[2:3], exec, s[2:3]
	s_cbranch_execz .LBB38_1983
; %bb.1978:
	s_mov_b32 s10, 0x387fffff
	v_cmp_lt_u32_e32 vcc, s10, v3
                                        ; implicit-def: $vgpr4
	s_and_saveexec_b64 s[10:11], vcc
	s_xor_b64 s[10:11], exec, s[10:11]
; %bb.1979:
	v_bfe_u32 v4, v3, 21, 1
	s_mov_b32 s12, 0x80fffff
	v_add3_u32 v3, v3, v4, s12
	v_lshrrev_b32_e32 v4, 21, v3
                                        ; implicit-def: $vgpr3
; %bb.1980:
	s_andn2_saveexec_b64 s[10:11], s[10:11]
; %bb.1981:
	v_add_f32_e32 v4, 0x43000000, v3
; %bb.1982:
	s_or_b64 exec, exec, s[10:11]
                                        ; implicit-def: $vgpr3
.LBB38_1983:
	s_andn2_saveexec_b64 s[2:3], s[2:3]
; %bb.1984:
	s_mov_b32 s10, 0x7f800000
	v_mov_b32_e32 v4, 0x7c
	v_mov_b32_e32 v5, 0x7f
	v_cmp_lt_u32_e32 vcc, s10, v3
	v_cndmask_b32_e32 v4, v4, v5, vcc
; %bb.1985:
	s_or_b64 exec, exec, s[2:3]
	global_store_byte v[0:1], v4, off
.LBB38_1986:
	s_mov_b64 s[2:3], 0
	s_mov_b64 s[10:11], -1
.LBB38_1987:
	s_andn2_b64 vcc, exec, s[2:3]
	s_mov_b64 s[2:3], 0
	s_cbranch_vccnz .LBB38_1994
; %bb.1988:
	s_cmp_gt_i32 s18, 14
	s_mov_b64 s[12:13], -1
	s_cbranch_scc0 .LBB38_1992
; %bb.1989:
	s_cmp_eq_u32 s18, 15
	s_mov_b64 s[0:1], -1
	s_cbranch_scc0 .LBB38_1991
; %bb.1990:
	v_cndmask_b32_e64 v3, 0, 1.0, s[22:23]
	v_bfe_u32 v4, v3, 16, 1
	s_movk_i32 s0, 0x7fff
	v_add3_u32 v3, v3, v4, s0
	global_store_short_d16_hi v[0:1], v3, off
	s_mov_b64 s[0:1], 0
	s_mov_b64 s[10:11], -1
.LBB38_1991:
	s_mov_b64 s[12:13], 0
.LBB38_1992:
	s_and_b64 vcc, exec, s[12:13]
	s_cbranch_vccz .LBB38_1994
; %bb.1993:
	s_cmp_lg_u32 s18, 11
	s_mov_b64 s[2:3], -1
	s_cselect_b64 s[0:1], -1, 0
.LBB38_1994:
	s_and_b64 vcc, exec, s[0:1]
	s_cbranch_vccnz .LBB38_2130
; %bb.1995:
	s_andn2_b64 vcc, exec, s[2:3]
	s_cbranch_vccnz .LBB38_1997
.LBB38_1996:
	v_cndmask_b32_e64 v3, 0, 1, s[22:23]
	s_mov_b64 s[10:11], -1
	global_store_byte v[0:1], v3, off
.LBB38_1997:
	s_mov_b64 s[0:1], 0
	s_branch .LBB38_1999
.LBB38_1998:
	s_mov_b64 s[0:1], -1
	s_mov_b64 s[10:11], 0
.LBB38_1999:
	s_and_b64 vcc, exec, s[0:1]
	s_cbranch_vccz .LBB38_2038
; %bb.2000:
	s_and_b32 s2, 0xffff, s28
	s_cmp_lt_i32 s2, 5
	s_mov_b64 s[0:1], -1
	s_cbranch_scc1 .LBB38_2021
; %bb.2001:
	s_cmp_lt_i32 s2, 8
	s_cbranch_scc1 .LBB38_2011
; %bb.2002:
	s_cmp_lt_i32 s2, 9
	s_cbranch_scc1 .LBB38_2008
; %bb.2003:
	s_cmp_gt_i32 s2, 9
	s_cbranch_scc0 .LBB38_2005
; %bb.2004:
	v_cndmask_b32_e64 v3, 0, 1, s[22:23]
	v_cvt_f64_u32_e32 v[3:4], v3
	v_mov_b32_e32 v5, 0
	v_mov_b32_e32 v6, v5
	s_mov_b64 s[0:1], 0
	global_store_dwordx4 v[0:1], v[3:6], off
.LBB38_2005:
	s_andn2_b64 vcc, exec, s[0:1]
	s_cbranch_vccnz .LBB38_2007
; %bb.2006:
	v_cndmask_b32_e64 v3, 0, 1.0, s[22:23]
	v_mov_b32_e32 v4, 0
	global_store_dwordx2 v[0:1], v[3:4], off
.LBB38_2007:
	s_mov_b64 s[0:1], 0
.LBB38_2008:
	s_andn2_b64 vcc, exec, s[0:1]
	s_cbranch_vccnz .LBB38_2010
; %bb.2009:
	v_cndmask_b32_e64 v3, 0, 1.0, s[22:23]
	v_cvt_f16_f32_e32 v3, v3
	global_store_dword v[0:1], v3, off
.LBB38_2010:
	s_mov_b64 s[0:1], 0
.LBB38_2011:
	s_andn2_b64 vcc, exec, s[0:1]
	s_cbranch_vccnz .LBB38_2020
; %bb.2012:
	s_cmp_lt_i32 s2, 6
	s_mov_b64 s[0:1], -1
	s_cbranch_scc1 .LBB38_2018
; %bb.2013:
	s_cmp_gt_i32 s2, 6
	s_cbranch_scc0 .LBB38_2015
; %bb.2014:
	v_cndmask_b32_e64 v3, 0, 1, s[22:23]
	v_cvt_f64_u32_e32 v[3:4], v3
	s_mov_b64 s[0:1], 0
	global_store_dwordx2 v[0:1], v[3:4], off
.LBB38_2015:
	s_andn2_b64 vcc, exec, s[0:1]
	s_cbranch_vccnz .LBB38_2017
; %bb.2016:
	v_cndmask_b32_e64 v3, 0, 1.0, s[22:23]
	global_store_dword v[0:1], v3, off
.LBB38_2017:
	s_mov_b64 s[0:1], 0
.LBB38_2018:
	s_andn2_b64 vcc, exec, s[0:1]
	s_cbranch_vccnz .LBB38_2020
; %bb.2019:
	v_cndmask_b32_e64 v3, 0, 1.0, s[22:23]
	v_cvt_f16_f32_e32 v3, v3
	global_store_short v[0:1], v3, off
.LBB38_2020:
	s_mov_b64 s[0:1], 0
.LBB38_2021:
	s_andn2_b64 vcc, exec, s[0:1]
	s_cbranch_vccnz .LBB38_2037
; %bb.2022:
	s_cmp_lt_i32 s2, 2
	s_mov_b64 s[0:1], -1
	s_cbranch_scc1 .LBB38_2032
; %bb.2023:
	s_cmp_lt_i32 s2, 3
	s_cbranch_scc1 .LBB38_2029
; %bb.2024:
	s_cmp_gt_i32 s2, 3
	s_cbranch_scc0 .LBB38_2026
; %bb.2025:
	s_mov_b32 s0, 0
	v_cndmask_b32_e64 v3, 0, 1, s[22:23]
	v_mov_b32_e32 v4, s0
	global_store_dwordx2 v[0:1], v[3:4], off
	s_mov_b64 s[0:1], 0
.LBB38_2026:
	s_andn2_b64 vcc, exec, s[0:1]
	s_cbranch_vccnz .LBB38_2028
; %bb.2027:
	v_cndmask_b32_e64 v3, 0, 1, s[22:23]
	global_store_dword v[0:1], v3, off
.LBB38_2028:
	s_mov_b64 s[0:1], 0
.LBB38_2029:
	s_andn2_b64 vcc, exec, s[0:1]
	s_cbranch_vccnz .LBB38_2031
; %bb.2030:
	v_cndmask_b32_e64 v3, 0, 1, s[22:23]
	global_store_short v[0:1], v3, off
.LBB38_2031:
	s_mov_b64 s[0:1], 0
.LBB38_2032:
	s_andn2_b64 vcc, exec, s[0:1]
	s_cbranch_vccnz .LBB38_2037
; %bb.2033:
	s_mov_b64 s[0:1], -1
	s_cmp_gt_i32 s2, 0
	v_cndmask_b32_e64 v3, 0, 1, s[22:23]
	s_cbranch_scc0 .LBB38_2035
; %bb.2034:
	global_store_byte v[0:1], v3, off
	s_mov_b64 s[0:1], 0
.LBB38_2035:
	s_andn2_b64 vcc, exec, s[0:1]
	s_cbranch_vccnz .LBB38_2037
; %bb.2036:
	global_store_byte v[0:1], v3, off
.LBB38_2037:
	s_mov_b64 s[10:11], -1
.LBB38_2038:
	s_andn2_b64 vcc, exec, s[10:11]
	s_cbranch_vccnz .LBB38_2115
; %bb.2039:
	v_add_u32_e32 v0, s24, v2
	v_ashrrev_i32_e32 v1, 31, v0
	v_mov_b32_e32 v2, s9
	v_add_co_u32_e32 v0, vcc, s8, v0
	s_cmp_lt_i32 s28, 11
	v_addc_co_u32_e32 v1, vcc, v2, v1, vcc
	s_cbranch_scc1 .LBB38_2116
; %bb.2040:
	s_and_b32 s14, 0xffff, s28
	s_mov_b64 s[8:9], -1
	s_mov_b64 s[2:3], 0
	s_cmp_gt_i32 s14, 25
	s_mov_b64 s[0:1], 0
	s_cbranch_scc0 .LBB38_2073
; %bb.2041:
	s_cmp_gt_i32 s14, 28
	s_cbranch_scc0 .LBB38_2057
; %bb.2042:
	s_cmp_gt_i32 s14, 43
	;; [unrolled: 3-line block ×3, first 2 shown]
	s_cbranch_scc0 .LBB38_2047
; %bb.2044:
	s_cmp_eq_u32 s14, 46
	s_mov_b64 s[0:1], -1
	s_cbranch_scc0 .LBB38_2046
; %bb.2045:
	v_cndmask_b32_e64 v2, 0, 1.0, s[20:21]
	v_bfe_u32 v3, v2, 16, 1
	s_movk_i32 s0, 0x7fff
	v_add3_u32 v2, v2, v3, s0
	v_lshrrev_b32_e32 v2, 16, v2
	global_store_dword v[0:1], v2, off
	s_mov_b64 s[0:1], 0
.LBB38_2046:
	s_mov_b64 s[8:9], 0
.LBB38_2047:
	s_and_b64 vcc, exec, s[8:9]
	s_cbranch_vccz .LBB38_2052
; %bb.2048:
	s_cmp_eq_u32 s14, 44
	s_mov_b64 s[0:1], -1
	s_cbranch_scc0 .LBB38_2052
; %bb.2049:
	v_cndmask_b32_e64 v3, 0, 1.0, s[20:21]
	v_lshrrev_b32_e32 v2, 23, v3
	s_movk_i32 s0, 0xff
	v_cmp_ne_u32_e32 vcc, s0, v2
	v_mov_b32_e32 v4, 0xff
	s_and_saveexec_b64 s[8:9], vcc
; %bb.2050:
	s_mov_b32 s0, 0x3fffff
	v_and_b32_e32 v4, 0x400000, v3
	v_and_or_b32 v3, v3, s0, v2
	v_cmp_ne_u32_e32 vcc, 0, v4
	v_cmp_ne_u32_e64 s[0:1], 0, v3
	s_and_b64 s[0:1], vcc, s[0:1]
	v_cndmask_b32_e64 v3, 0, 1, s[0:1]
	v_add_u32_e32 v4, v2, v3
; %bb.2051:
	s_or_b64 exec, exec, s[8:9]
	s_mov_b64 s[0:1], 0
	global_store_byte v[0:1], v4, off
.LBB38_2052:
	s_mov_b64 s[8:9], 0
.LBB38_2053:
	s_and_b64 vcc, exec, s[8:9]
	s_cbranch_vccz .LBB38_2056
; %bb.2054:
	s_cmp_eq_u32 s14, 29
	s_mov_b64 s[0:1], -1
	s_cbranch_scc0 .LBB38_2056
; %bb.2055:
	s_mov_b32 s0, 0
	v_cndmask_b32_e64 v2, 0, 1, s[20:21]
	v_mov_b32_e32 v3, s0
	global_store_dwordx2 v[0:1], v[2:3], off
	s_mov_b64 s[0:1], 0
.LBB38_2056:
	s_mov_b64 s[8:9], 0
.LBB38_2057:
	s_and_b64 vcc, exec, s[8:9]
	s_cbranch_vccz .LBB38_2072
; %bb.2058:
	s_cmp_lt_i32 s14, 27
	s_mov_b64 s[8:9], -1
	s_cbranch_scc1 .LBB38_2064
; %bb.2059:
	s_cmp_gt_i32 s14, 27
	v_cndmask_b32_e64 v2, 0, 1, s[20:21]
	s_cbranch_scc0 .LBB38_2061
; %bb.2060:
	global_store_dword v[0:1], v2, off
	s_mov_b64 s[8:9], 0
.LBB38_2061:
	s_andn2_b64 vcc, exec, s[8:9]
	s_cbranch_vccnz .LBB38_2063
; %bb.2062:
	global_store_short v[0:1], v2, off
.LBB38_2063:
	s_mov_b64 s[8:9], 0
.LBB38_2064:
	s_andn2_b64 vcc, exec, s[8:9]
	s_cbranch_vccnz .LBB38_2072
; %bb.2065:
	v_cndmask_b32_e64 v3, 0, 1.0, s[20:21]
	s_mov_b32 s8, 0x43800000
	v_cmp_gt_u32_e32 vcc, s8, v3
	v_mov_b32_e32 v4, 0x80
	s_and_saveexec_b64 s[8:9], vcc
	s_cbranch_execz .LBB38_2071
; %bb.2066:
	s_mov_b32 s10, 0x3bffffff
	v_cmp_lt_u32_e32 vcc, s10, v3
	s_mov_b64 s[10:11], 0
                                        ; implicit-def: $vgpr2
	s_and_saveexec_b64 s[12:13], vcc
	s_xor_b64 s[12:13], exec, s[12:13]
	s_cbranch_execz .LBB38_2133
; %bb.2067:
	v_bfe_u32 v2, v3, 20, 1
	s_mov_b32 s15, 0x487ffff
	v_add3_u32 v2, v3, v2, s15
	s_mov_b64 s[10:11], exec
	v_lshrrev_b32_e32 v2, 20, v2
                                        ; implicit-def: $vgpr3
	s_andn2_saveexec_b64 s[12:13], s[12:13]
	s_cbranch_execnz .LBB38_2134
.LBB38_2068:
	s_or_b64 exec, exec, s[12:13]
	v_mov_b32_e32 v4, 0
	s_and_saveexec_b64 s[12:13], s[10:11]
.LBB38_2069:
	v_mov_b32_e32 v4, v2
.LBB38_2070:
	s_or_b64 exec, exec, s[12:13]
.LBB38_2071:
	s_or_b64 exec, exec, s[8:9]
	global_store_byte v[0:1], v4, off
.LBB38_2072:
	s_mov_b64 s[8:9], 0
.LBB38_2073:
	s_and_b64 vcc, exec, s[8:9]
	s_cbranch_vccz .LBB38_2113
; %bb.2074:
	s_cmp_gt_i32 s14, 22
	s_mov_b64 s[2:3], -1
	s_cbranch_scc0 .LBB38_2106
; %bb.2075:
	s_cmp_lt_i32 s14, 24
	s_cbranch_scc1 .LBB38_2095
; %bb.2076:
	s_cmp_gt_i32 s14, 24
	s_cbranch_scc0 .LBB38_2084
; %bb.2077:
	v_cndmask_b32_e64 v3, 0, 1.0, s[20:21]
	s_mov_b32 s2, 0x47800000
	v_cmp_gt_u32_e32 vcc, s2, v3
	v_mov_b32_e32 v4, 0x80
	s_and_saveexec_b64 s[2:3], vcc
	s_cbranch_execz .LBB38_2083
; %bb.2078:
	s_mov_b32 s8, 0x37ffffff
	v_cmp_lt_u32_e32 vcc, s8, v3
	s_mov_b64 s[8:9], 0
                                        ; implicit-def: $vgpr2
	s_and_saveexec_b64 s[10:11], vcc
	s_xor_b64 s[10:11], exec, s[10:11]
	s_cbranch_execz .LBB38_2136
; %bb.2079:
	v_bfe_u32 v2, v3, 21, 1
	s_mov_b32 s12, 0x88fffff
	v_add3_u32 v2, v3, v2, s12
	s_mov_b64 s[8:9], exec
	v_lshrrev_b32_e32 v2, 21, v2
                                        ; implicit-def: $vgpr3
	s_andn2_saveexec_b64 s[10:11], s[10:11]
	s_cbranch_execnz .LBB38_2137
.LBB38_2080:
	s_or_b64 exec, exec, s[10:11]
	v_mov_b32_e32 v4, 0
	s_and_saveexec_b64 s[10:11], s[8:9]
.LBB38_2081:
	v_mov_b32_e32 v4, v2
.LBB38_2082:
	s_or_b64 exec, exec, s[10:11]
.LBB38_2083:
	s_or_b64 exec, exec, s[2:3]
	s_mov_b64 s[2:3], 0
	global_store_byte v[0:1], v4, off
.LBB38_2084:
	s_and_b64 vcc, exec, s[2:3]
	s_cbranch_vccz .LBB38_2094
; %bb.2085:
	v_cndmask_b32_e64 v2, 0, 1.0, s[20:21]
	s_mov_b32 s2, 0x43f00000
	v_cmp_gt_u32_e32 vcc, s2, v2
                                        ; implicit-def: $vgpr3
	s_and_saveexec_b64 s[2:3], vcc
	s_xor_b64 s[2:3], exec, s[2:3]
	s_cbranch_execz .LBB38_2091
; %bb.2086:
	s_mov_b32 s8, 0x3c7fffff
	v_cmp_lt_u32_e32 vcc, s8, v2
                                        ; implicit-def: $vgpr3
	s_and_saveexec_b64 s[8:9], vcc
	s_xor_b64 s[8:9], exec, s[8:9]
; %bb.2087:
	v_bfe_u32 v3, v2, 20, 1
	s_mov_b32 s10, 0x407ffff
	v_add3_u32 v2, v2, v3, s10
	v_lshrrev_b32_e32 v3, 20, v2
	v_and_b32_e32 v2, 0xff00000, v2
	s_mov_b32 s10, 0x7f00000
	v_mov_b32_e32 v4, 0x7e
	v_cmp_ne_u32_e32 vcc, s10, v2
	v_cndmask_b32_e32 v3, v4, v3, vcc
                                        ; implicit-def: $vgpr2
; %bb.2088:
	s_andn2_saveexec_b64 s[8:9], s[8:9]
; %bb.2089:
	v_add_f32_e32 v3, 0x46800000, v2
; %bb.2090:
	s_or_b64 exec, exec, s[8:9]
                                        ; implicit-def: $vgpr2
.LBB38_2091:
	s_andn2_saveexec_b64 s[2:3], s[2:3]
; %bb.2092:
	s_mov_b32 s8, 0x7f800000
	v_mov_b32_e32 v3, 0x7e
	v_mov_b32_e32 v4, 0x7f
	v_cmp_lt_u32_e32 vcc, s8, v2
	v_cndmask_b32_e32 v3, v3, v4, vcc
; %bb.2093:
	s_or_b64 exec, exec, s[2:3]
	global_store_byte v[0:1], v3, off
.LBB38_2094:
	s_mov_b64 s[2:3], 0
.LBB38_2095:
	s_andn2_b64 vcc, exec, s[2:3]
	s_cbranch_vccnz .LBB38_2105
; %bb.2096:
	v_cndmask_b32_e64 v2, 0, 1.0, s[20:21]
	s_mov_b32 s2, 0x47800000
	v_cmp_gt_u32_e32 vcc, s2, v2
                                        ; implicit-def: $vgpr3
	s_and_saveexec_b64 s[2:3], vcc
	s_xor_b64 s[2:3], exec, s[2:3]
	s_cbranch_execz .LBB38_2102
; %bb.2097:
	s_mov_b32 s8, 0x387fffff
	v_cmp_lt_u32_e32 vcc, s8, v2
                                        ; implicit-def: $vgpr3
	s_and_saveexec_b64 s[8:9], vcc
	s_xor_b64 s[8:9], exec, s[8:9]
; %bb.2098:
	v_bfe_u32 v3, v2, 21, 1
	s_mov_b32 s10, 0x80fffff
	v_add3_u32 v2, v2, v3, s10
	v_lshrrev_b32_e32 v3, 21, v2
                                        ; implicit-def: $vgpr2
; %bb.2099:
	s_andn2_saveexec_b64 s[8:9], s[8:9]
; %bb.2100:
	v_add_f32_e32 v3, 0x43000000, v2
; %bb.2101:
	s_or_b64 exec, exec, s[8:9]
                                        ; implicit-def: $vgpr2
.LBB38_2102:
	s_andn2_saveexec_b64 s[2:3], s[2:3]
; %bb.2103:
	s_mov_b32 s8, 0x7f800000
	v_mov_b32_e32 v3, 0x7c
	v_mov_b32_e32 v4, 0x7f
	v_cmp_lt_u32_e32 vcc, s8, v2
	v_cndmask_b32_e32 v3, v3, v4, vcc
; %bb.2104:
	s_or_b64 exec, exec, s[2:3]
	global_store_byte v[0:1], v3, off
.LBB38_2105:
	s_mov_b64 s[2:3], 0
.LBB38_2106:
	s_andn2_b64 vcc, exec, s[2:3]
	s_mov_b64 s[2:3], 0
	s_cbranch_vccnz .LBB38_2113
; %bb.2107:
	s_cmp_gt_i32 s14, 14
	s_mov_b64 s[8:9], -1
	s_cbranch_scc0 .LBB38_2111
; %bb.2108:
	s_cmp_eq_u32 s14, 15
	s_mov_b64 s[0:1], -1
	s_cbranch_scc0 .LBB38_2110
; %bb.2109:
	v_cndmask_b32_e64 v2, 0, 1.0, s[20:21]
	v_bfe_u32 v3, v2, 16, 1
	s_movk_i32 s0, 0x7fff
	v_add3_u32 v2, v2, v3, s0
	global_store_short_d16_hi v[0:1], v2, off
	s_mov_b64 s[0:1], 0
.LBB38_2110:
	s_mov_b64 s[8:9], 0
.LBB38_2111:
	s_and_b64 vcc, exec, s[8:9]
	s_cbranch_vccz .LBB38_2113
; %bb.2112:
	s_cmp_lg_u32 s14, 11
	s_mov_b64 s[2:3], -1
	s_cselect_b64 s[0:1], -1, 0
.LBB38_2113:
	s_and_b64 vcc, exec, s[0:1]
	s_cbranch_vccnz .LBB38_2135
.LBB38_2114:
	s_mov_b64 s[0:1], 0
	s_branch .LBB38_1625
.LBB38_2115:
	s_mov_b64 s[0:1], 0
	s_branch .LBB38_1624
.LBB38_2116:
	s_mov_b64 s[2:3], 0
	s_mov_b64 s[0:1], -1
	s_branch .LBB38_1625
.LBB38_2117:
	s_trap 2
	s_or_b64 s[16:17], s[16:17], exec
	s_cbranch_execz .LBB38_1567
	s_branch .LBB38_1568
.LBB38_2118:
	s_andn2_saveexec_b64 s[26:27], s[26:27]
	s_cbranch_execz .LBB38_1708
.LBB38_2119:
	v_add_f32_e32 v3, 0x46000000, v4
	v_and_b32_e32 v3, 0xff, v3
	v_cmp_ne_u32_e32 vcc, 0, v3
	s_andn2_b64 s[24:25], s[24:25], exec
	s_and_b64 s[30:31], vcc, exec
	s_or_b64 s[24:25], s[24:25], s[30:31]
	s_or_b64 exec, exec, s[26:27]
	v_mov_b32_e32 v5, 0
	s_and_saveexec_b64 s[26:27], s[24:25]
	s_cbranch_execnz .LBB38_1709
	s_branch .LBB38_1710
.LBB38_2120:
	s_trap 2
	s_or_b64 s[16:17], s[16:17], exec
	s_cbranch_execz .LBB38_1756
	s_branch .LBB38_1757
.LBB38_2121:
	s_andn2_saveexec_b64 s[24:25], s[24:25]
	s_cbranch_execz .LBB38_1721
.LBB38_2122:
	v_add_f32_e32 v3, 0x42800000, v4
	v_and_b32_e32 v3, 0xff, v3
	v_cmp_ne_u32_e32 vcc, 0, v3
	s_andn2_b64 s[14:15], s[14:15], exec
	s_and_b64 s[26:27], vcc, exec
	s_or_b64 s[14:15], s[14:15], s[26:27]
	s_or_b64 exec, exec, s[24:25]
	v_mov_b32_e32 v5, 0
	s_and_saveexec_b64 s[24:25], s[14:15]
	s_cbranch_execnz .LBB38_1722
	s_branch .LBB38_1723
.LBB38_2123:
	s_andn2_saveexec_b64 s[14:15], s[14:15]
	s_cbranch_execz .LBB38_1829
.LBB38_2124:
	v_add_f32_e32 v3, 0x46000000, v4
	v_and_b32_e32 v3, 0xff, v3
	v_cmp_ne_u32_e32 vcc, 0, v3
	s_andn2_b64 s[12:13], s[12:13], exec
	s_and_b64 s[26:27], vcc, exec
	s_or_b64 s[12:13], s[12:13], s[26:27]
	s_or_b64 exec, exec, s[14:15]
	v_mov_b32_e32 v5, 0
	s_and_saveexec_b64 s[14:15], s[12:13]
	s_cbranch_execnz .LBB38_1830
	s_branch .LBB38_1831
.LBB38_2125:
	s_trap 2
	s_or_b64 s[16:17], s[16:17], exec
	s_cbranch_execz .LBB38_1877
	s_branch .LBB38_1878
.LBB38_2126:
	s_andn2_saveexec_b64 s[12:13], s[12:13]
	s_cbranch_execz .LBB38_1842
.LBB38_2127:
	v_add_f32_e32 v3, 0x42800000, v4
	v_and_b32_e32 v3, 0xff, v3
	v_cmp_ne_u32_e32 vcc, 0, v3
	s_andn2_b64 s[10:11], s[10:11], exec
	s_and_b64 s[14:15], vcc, exec
	s_or_b64 s[10:11], s[10:11], s[14:15]
	s_or_b64 exec, exec, s[12:13]
	v_mov_b32_e32 v5, 0
	s_and_saveexec_b64 s[12:13], s[10:11]
	s_cbranch_execnz .LBB38_1843
	s_branch .LBB38_1844
.LBB38_2128:
	s_andn2_saveexec_b64 s[14:15], s[14:15]
	s_cbranch_execz .LBB38_1948
.LBB38_2129:
	v_add_f32_e32 v3, 0x46000000, v4
	v_and_b32_e32 v3, 0xff, v3
	v_cmp_ne_u32_e32 vcc, 0, v3
	s_andn2_b64 s[12:13], s[12:13], exec
	s_and_b64 s[26:27], vcc, exec
	s_or_b64 s[12:13], s[12:13], s[26:27]
	s_or_b64 exec, exec, s[14:15]
	v_mov_b32_e32 v5, 0
	s_and_saveexec_b64 s[14:15], s[12:13]
	s_cbranch_execnz .LBB38_1949
	s_branch .LBB38_1950
.LBB38_2130:
	s_trap 2
	s_or_b64 s[16:17], s[16:17], exec
	s_cbranch_execz .LBB38_1996
	s_branch .LBB38_1997
.LBB38_2131:
	s_andn2_saveexec_b64 s[12:13], s[12:13]
	s_cbranch_execz .LBB38_1961
.LBB38_2132:
	v_add_f32_e32 v3, 0x42800000, v4
	v_and_b32_e32 v3, 0xff, v3
	v_cmp_ne_u32_e32 vcc, 0, v3
	s_andn2_b64 s[10:11], s[10:11], exec
	s_and_b64 s[14:15], vcc, exec
	s_or_b64 s[10:11], s[10:11], s[14:15]
	s_or_b64 exec, exec, s[12:13]
	v_mov_b32_e32 v5, 0
	s_and_saveexec_b64 s[12:13], s[10:11]
	s_cbranch_execnz .LBB38_1962
	s_branch .LBB38_1963
.LBB38_2133:
	s_andn2_saveexec_b64 s[12:13], s[12:13]
	s_cbranch_execz .LBB38_2068
.LBB38_2134:
	v_add_f32_e32 v2, 0x46000000, v3
	v_and_b32_e32 v2, 0xff, v2
	v_cmp_ne_u32_e32 vcc, 0, v2
	s_andn2_b64 s[10:11], s[10:11], exec
	s_and_b64 s[18:19], vcc, exec
	s_or_b64 s[10:11], s[10:11], s[18:19]
	s_or_b64 exec, exec, s[12:13]
	v_mov_b32_e32 v4, 0
	s_and_saveexec_b64 s[12:13], s[10:11]
	s_cbranch_execnz .LBB38_2069
	s_branch .LBB38_2070
.LBB38_2135:
	s_mov_b64 s[2:3], 0
	s_or_b64 s[16:17], s[16:17], exec
	s_trap 2
	s_branch .LBB38_2114
.LBB38_2136:
	s_andn2_saveexec_b64 s[10:11], s[10:11]
	s_cbranch_execz .LBB38_2080
.LBB38_2137:
	v_add_f32_e32 v2, 0x42800000, v3
	v_and_b32_e32 v2, 0xff, v2
	v_cmp_ne_u32_e32 vcc, 0, v2
	s_andn2_b64 s[8:9], s[8:9], exec
	s_and_b64 s[12:13], vcc, exec
	s_or_b64 s[8:9], s[8:9], s[12:13]
	s_or_b64 exec, exec, s[10:11]
	v_mov_b32_e32 v4, 0
	s_and_saveexec_b64 s[10:11], s[8:9]
	s_cbranch_execnz .LBB38_2081
	s_branch .LBB38_2082
	.section	.rodata,"a",@progbits
	.p2align	6, 0x0
	.amdhsa_kernel _ZN2at6native32elementwise_kernel_manual_unrollILi128ELi4EZNS0_15gpu_kernel_implIZNS0_21compare_scalar_kernelIiEEvRNS_18TensorIteratorBaseENS0_12_GLOBAL__N_16OpTypeET_EUliE_EEvS5_RKS8_EUlibE_EEviT1_
		.amdhsa_group_segment_fixed_size 0
		.amdhsa_private_segment_fixed_size 0
		.amdhsa_kernarg_size 48
		.amdhsa_user_sgpr_count 6
		.amdhsa_user_sgpr_private_segment_buffer 1
		.amdhsa_user_sgpr_dispatch_ptr 0
		.amdhsa_user_sgpr_queue_ptr 0
		.amdhsa_user_sgpr_kernarg_segment_ptr 1
		.amdhsa_user_sgpr_dispatch_id 0
		.amdhsa_user_sgpr_flat_scratch_init 0
		.amdhsa_user_sgpr_private_segment_size 0
		.amdhsa_uses_dynamic_stack 0
		.amdhsa_system_sgpr_private_segment_wavefront_offset 0
		.amdhsa_system_sgpr_workgroup_id_x 1
		.amdhsa_system_sgpr_workgroup_id_y 0
		.amdhsa_system_sgpr_workgroup_id_z 0
		.amdhsa_system_sgpr_workgroup_info 0
		.amdhsa_system_vgpr_workitem_id 0
		.amdhsa_next_free_vgpr 10
		.amdhsa_next_free_sgpr 48
		.amdhsa_reserve_vcc 1
		.amdhsa_reserve_flat_scratch 0
		.amdhsa_float_round_mode_32 0
		.amdhsa_float_round_mode_16_64 0
		.amdhsa_float_denorm_mode_32 3
		.amdhsa_float_denorm_mode_16_64 3
		.amdhsa_dx10_clamp 1
		.amdhsa_ieee_mode 1
		.amdhsa_fp16_overflow 0
		.amdhsa_exception_fp_ieee_invalid_op 0
		.amdhsa_exception_fp_denorm_src 0
		.amdhsa_exception_fp_ieee_div_zero 0
		.amdhsa_exception_fp_ieee_overflow 0
		.amdhsa_exception_fp_ieee_underflow 0
		.amdhsa_exception_fp_ieee_inexact 0
		.amdhsa_exception_int_div_zero 0
	.end_amdhsa_kernel
	.section	.text._ZN2at6native32elementwise_kernel_manual_unrollILi128ELi4EZNS0_15gpu_kernel_implIZNS0_21compare_scalar_kernelIiEEvRNS_18TensorIteratorBaseENS0_12_GLOBAL__N_16OpTypeET_EUliE_EEvS5_RKS8_EUlibE_EEviT1_,"axG",@progbits,_ZN2at6native32elementwise_kernel_manual_unrollILi128ELi4EZNS0_15gpu_kernel_implIZNS0_21compare_scalar_kernelIiEEvRNS_18TensorIteratorBaseENS0_12_GLOBAL__N_16OpTypeET_EUliE_EEvS5_RKS8_EUlibE_EEviT1_,comdat
.Lfunc_end38:
	.size	_ZN2at6native32elementwise_kernel_manual_unrollILi128ELi4EZNS0_15gpu_kernel_implIZNS0_21compare_scalar_kernelIiEEvRNS_18TensorIteratorBaseENS0_12_GLOBAL__N_16OpTypeET_EUliE_EEvS5_RKS8_EUlibE_EEviT1_, .Lfunc_end38-_ZN2at6native32elementwise_kernel_manual_unrollILi128ELi4EZNS0_15gpu_kernel_implIZNS0_21compare_scalar_kernelIiEEvRNS_18TensorIteratorBaseENS0_12_GLOBAL__N_16OpTypeET_EUliE_EEvS5_RKS8_EUlibE_EEviT1_
                                        ; -- End function
	.set _ZN2at6native32elementwise_kernel_manual_unrollILi128ELi4EZNS0_15gpu_kernel_implIZNS0_21compare_scalar_kernelIiEEvRNS_18TensorIteratorBaseENS0_12_GLOBAL__N_16OpTypeET_EUliE_EEvS5_RKS8_EUlibE_EEviT1_.num_vgpr, 10
	.set _ZN2at6native32elementwise_kernel_manual_unrollILi128ELi4EZNS0_15gpu_kernel_implIZNS0_21compare_scalar_kernelIiEEvRNS_18TensorIteratorBaseENS0_12_GLOBAL__N_16OpTypeET_EUliE_EEvS5_RKS8_EUlibE_EEviT1_.num_agpr, 0
	.set _ZN2at6native32elementwise_kernel_manual_unrollILi128ELi4EZNS0_15gpu_kernel_implIZNS0_21compare_scalar_kernelIiEEvRNS_18TensorIteratorBaseENS0_12_GLOBAL__N_16OpTypeET_EUliE_EEvS5_RKS8_EUlibE_EEviT1_.numbered_sgpr, 48
	.set _ZN2at6native32elementwise_kernel_manual_unrollILi128ELi4EZNS0_15gpu_kernel_implIZNS0_21compare_scalar_kernelIiEEvRNS_18TensorIteratorBaseENS0_12_GLOBAL__N_16OpTypeET_EUliE_EEvS5_RKS8_EUlibE_EEviT1_.num_named_barrier, 0
	.set _ZN2at6native32elementwise_kernel_manual_unrollILi128ELi4EZNS0_15gpu_kernel_implIZNS0_21compare_scalar_kernelIiEEvRNS_18TensorIteratorBaseENS0_12_GLOBAL__N_16OpTypeET_EUliE_EEvS5_RKS8_EUlibE_EEviT1_.private_seg_size, 0
	.set _ZN2at6native32elementwise_kernel_manual_unrollILi128ELi4EZNS0_15gpu_kernel_implIZNS0_21compare_scalar_kernelIiEEvRNS_18TensorIteratorBaseENS0_12_GLOBAL__N_16OpTypeET_EUliE_EEvS5_RKS8_EUlibE_EEviT1_.uses_vcc, 1
	.set _ZN2at6native32elementwise_kernel_manual_unrollILi128ELi4EZNS0_15gpu_kernel_implIZNS0_21compare_scalar_kernelIiEEvRNS_18TensorIteratorBaseENS0_12_GLOBAL__N_16OpTypeET_EUliE_EEvS5_RKS8_EUlibE_EEviT1_.uses_flat_scratch, 0
	.set _ZN2at6native32elementwise_kernel_manual_unrollILi128ELi4EZNS0_15gpu_kernel_implIZNS0_21compare_scalar_kernelIiEEvRNS_18TensorIteratorBaseENS0_12_GLOBAL__N_16OpTypeET_EUliE_EEvS5_RKS8_EUlibE_EEviT1_.has_dyn_sized_stack, 0
	.set _ZN2at6native32elementwise_kernel_manual_unrollILi128ELi4EZNS0_15gpu_kernel_implIZNS0_21compare_scalar_kernelIiEEvRNS_18TensorIteratorBaseENS0_12_GLOBAL__N_16OpTypeET_EUliE_EEvS5_RKS8_EUlibE_EEviT1_.has_recursion, 0
	.set _ZN2at6native32elementwise_kernel_manual_unrollILi128ELi4EZNS0_15gpu_kernel_implIZNS0_21compare_scalar_kernelIiEEvRNS_18TensorIteratorBaseENS0_12_GLOBAL__N_16OpTypeET_EUliE_EEvS5_RKS8_EUlibE_EEviT1_.has_indirect_call, 0
	.section	.AMDGPU.csdata,"",@progbits
; Kernel info:
; codeLenInByte = 30716
; TotalNumSgprs: 52
; NumVgprs: 10
; ScratchSize: 0
; MemoryBound: 1
; FloatMode: 240
; IeeeMode: 1
; LDSByteSize: 0 bytes/workgroup (compile time only)
; SGPRBlocks: 6
; VGPRBlocks: 2
; NumSGPRsForWavesPerEU: 52
; NumVGPRsForWavesPerEU: 10
; Occupancy: 10
; WaveLimiterHint : 0
; COMPUTE_PGM_RSRC2:SCRATCH_EN: 0
; COMPUTE_PGM_RSRC2:USER_SGPR: 6
; COMPUTE_PGM_RSRC2:TRAP_HANDLER: 0
; COMPUTE_PGM_RSRC2:TGID_X_EN: 1
; COMPUTE_PGM_RSRC2:TGID_Y_EN: 0
; COMPUTE_PGM_RSRC2:TGID_Z_EN: 0
; COMPUTE_PGM_RSRC2:TIDIG_COMP_CNT: 0
	.section	.text._ZN2at6native32elementwise_kernel_manual_unrollILi128ELi4EZNS0_15gpu_kernel_implIZNS0_21compare_scalar_kernelIiEEvRNS_18TensorIteratorBaseENS0_12_GLOBAL__N_16OpTypeET_EUliE_EEvS5_RKS8_EUlibE0_EEviT1_,"axG",@progbits,_ZN2at6native32elementwise_kernel_manual_unrollILi128ELi4EZNS0_15gpu_kernel_implIZNS0_21compare_scalar_kernelIiEEvRNS_18TensorIteratorBaseENS0_12_GLOBAL__N_16OpTypeET_EUliE_EEvS5_RKS8_EUlibE0_EEviT1_,comdat
	.globl	_ZN2at6native32elementwise_kernel_manual_unrollILi128ELi4EZNS0_15gpu_kernel_implIZNS0_21compare_scalar_kernelIiEEvRNS_18TensorIteratorBaseENS0_12_GLOBAL__N_16OpTypeET_EUliE_EEvS5_RKS8_EUlibE0_EEviT1_ ; -- Begin function _ZN2at6native32elementwise_kernel_manual_unrollILi128ELi4EZNS0_15gpu_kernel_implIZNS0_21compare_scalar_kernelIiEEvRNS_18TensorIteratorBaseENS0_12_GLOBAL__N_16OpTypeET_EUliE_EEvS5_RKS8_EUlibE0_EEviT1_
	.p2align	8
	.type	_ZN2at6native32elementwise_kernel_manual_unrollILi128ELi4EZNS0_15gpu_kernel_implIZNS0_21compare_scalar_kernelIiEEvRNS_18TensorIteratorBaseENS0_12_GLOBAL__N_16OpTypeET_EUliE_EEvS5_RKS8_EUlibE0_EEviT1_,@function
_ZN2at6native32elementwise_kernel_manual_unrollILi128ELi4EZNS0_15gpu_kernel_implIZNS0_21compare_scalar_kernelIiEEvRNS_18TensorIteratorBaseENS0_12_GLOBAL__N_16OpTypeET_EUliE_EEvS5_RKS8_EUlibE0_EEviT1_: ; @_ZN2at6native32elementwise_kernel_manual_unrollILi128ELi4EZNS0_15gpu_kernel_implIZNS0_21compare_scalar_kernelIiEEvRNS_18TensorIteratorBaseENS0_12_GLOBAL__N_16OpTypeET_EUliE_EEvS5_RKS8_EUlibE0_EEviT1_
; %bb.0:
	s_load_dword s72, s[4:5], 0x0
	s_load_dword s33, s[4:5], 0x8
	s_add_u32 s34, s4, 8
	s_addc_u32 s35, s5, 0
	v_lshl_or_b32 v8, s6, 9, v0
	v_or_b32_e32 v15, 0x180, v8
	s_waitcnt lgkmcnt(0)
	s_add_i32 s74, s33, -1
	s_cmp_gt_u32 s74, 1
	v_cmp_le_i32_e32 vcc, s72, v15
	s_cselect_b64 s[40:41], -1, 0
	s_mov_b64 s[6:7], 0
	s_mov_b64 s[28:29], 0
	s_and_saveexec_b64 s[0:1], vcc
	s_xor_b64 s[42:43], exec, s[0:1]
	s_cbranch_execz .LBB39_1135
; %bb.1:
	s_load_dwordx4 s[28:31], s[34:35], 0x4
	s_load_dwordx2 s[46:47], s[34:35], 0x14
	s_load_dwordx2 s[44:45], s[34:35], 0x158
	s_load_dword s75, s[34:35], 0x160
	s_cmp_lg_u32 s33, 0
	s_load_dwordx4 s[36:39], s[34:35], 0xc4
	s_load_dwordx4 s[24:27], s[34:35], 0x148
	s_cselect_b64 s[52:53], -1, 0
	s_add_u32 s50, s34, 0xc4
	s_addc_u32 s51, s35, 0
	s_min_u32 s77, s74, 15
	s_cmp_gt_u32 s33, 1
	s_cselect_b64 s[48:49], -1, 0
	s_waitcnt lgkmcnt(0)
	s_bfe_u32 s76, s75, 0x80008
	v_cmp_gt_i32_e32 vcc, s72, v8
	s_mov_b64 s[2:3], -1
	s_mov_b64 s[62:63], 0
	s_mov_b64 s[56:57], 0
	;; [unrolled: 1-line block ×3, first 2 shown]
	s_and_saveexec_b64 s[58:59], vcc
	s_cbranch_execz .LBB39_278
; %bb.2:
	s_andn2_b64 vcc, exec, s[40:41]
	s_cbranch_vccnz .LBB39_7
; %bb.3:
	s_andn2_b64 vcc, exec, s[52:53]
	s_cbranch_vccnz .LBB39_8
; %bb.4:
	s_add_i32 s61, s77, 1
	s_cmp_eq_u32 s74, 2
	s_cbranch_scc1 .LBB39_9
; %bb.5:
	s_and_b32 s60, s61, 28
	v_mov_b32_e32 v2, 0
	s_mov_b32 s64, 0
	s_mov_b64 s[54:55], s[34:35]
	s_mov_b64 s[56:57], s[50:51]
	v_mov_b32_e32 v0, 0
	v_mov_b32_e32 v1, v8
.LBB39_6:                               ; =>This Inner Loop Header: Depth=1
	s_load_dwordx8 s[16:23], s[54:55], 0x4
	s_load_dwordx4 s[0:3], s[54:55], 0x24
	s_load_dwordx8 s[8:15], s[56:57], 0x0
	s_add_u32 s54, s54, 48
	s_addc_u32 s55, s55, 0
	s_waitcnt lgkmcnt(0)
	v_mul_hi_u32 v3, s17, v1
	s_add_i32 s64, s64, 4
	s_add_u32 s56, s56, 32
	s_addc_u32 s57, s57, 0
	v_add_u32_e32 v3, v1, v3
	v_lshrrev_b32_e32 v3, s18, v3
	v_mul_lo_u32 v4, v3, s16
	v_mul_hi_u32 v5, s20, v3
	s_cmp_lg_u32 s60, s64
	v_sub_u32_e32 v1, v1, v4
	v_add_u32_e32 v4, v3, v5
	v_mul_lo_u32 v5, v1, s8
	v_mul_lo_u32 v6, v1, s9
	v_lshrrev_b32_e32 v1, s21, v4
	v_mul_lo_u32 v4, v1, s19
	v_mul_hi_u32 v7, s23, v1
	v_sub_u32_e32 v3, v3, v4
	v_add_u32_e32 v4, v1, v7
	v_lshrrev_b32_e32 v4, s0, v4
	v_mul_hi_u32 v9, s2, v4
	v_mul_lo_u32 v10, v4, s22
	v_mul_lo_u32 v7, v3, s10
	;; [unrolled: 1-line block ×3, first 2 shown]
	v_sub_u32_e32 v10, v1, v10
	v_add_u32_e32 v1, v4, v9
	v_lshrrev_b32_e32 v1, s3, v1
	v_mul_lo_u32 v9, v1, s1
	v_mul_lo_u32 v11, v10, s12
	;; [unrolled: 1-line block ×3, first 2 shown]
	v_add3_u32 v0, v5, v0, v7
	v_sub_u32_e32 v4, v4, v9
	v_mul_lo_u32 v9, v4, s14
	v_mul_lo_u32 v4, v4, s15
	v_add3_u32 v2, v6, v2, v3
	v_add3_u32 v0, v11, v0, v9
	;; [unrolled: 1-line block ×3, first 2 shown]
	s_cbranch_scc1 .LBB39_6
	s_branch .LBB39_10
.LBB39_7:
                                        ; implicit-def: $vgpr0
                                        ; implicit-def: $vgpr2
	s_branch .LBB39_14
.LBB39_8:
	v_mov_b32_e32 v0, 0
	v_mov_b32_e32 v2, 0
	s_branch .LBB39_13
.LBB39_9:
	s_mov_b32 s60, 0
	v_mov_b32_e32 v0, 0
	v_mov_b32_e32 v2, 0
	;; [unrolled: 1-line block ×3, first 2 shown]
.LBB39_10:
	s_and_b32 s8, s61, 3
	s_cmp_eq_u32 s8, 0
	s_cbranch_scc1 .LBB39_13
; %bb.11:
	s_lshl_b32 s0, s60, 3
	s_add_u32 s0, s34, s0
	s_addc_u32 s1, s35, 0
	s_add_u32 s0, s0, 0xc4
	s_addc_u32 s1, s1, 0
	s_mul_i32 s2, s60, 12
	s_add_u32 s2, s34, s2
	s_addc_u32 s3, s35, 0
.LBB39_12:                              ; =>This Inner Loop Header: Depth=1
	s_load_dwordx2 s[10:11], s[2:3], 0x4
	s_load_dword s9, s[2:3], 0xc
	s_load_dwordx2 s[12:13], s[0:1], 0x0
	s_add_u32 s2, s2, 12
	s_addc_u32 s3, s3, 0
	s_waitcnt lgkmcnt(0)
	v_mul_hi_u32 v3, s11, v1
	s_add_u32 s0, s0, 8
	s_addc_u32 s1, s1, 0
	s_add_i32 s8, s8, -1
	v_add_u32_e32 v3, v1, v3
	v_lshrrev_b32_e32 v4, s9, v3
	v_mul_lo_u32 v3, v4, s10
	s_cmp_lg_u32 s8, 0
	v_sub_u32_e32 v3, v1, v3
	v_mad_u64_u32 v[0:1], s[10:11], v3, s12, v[0:1]
	v_mad_u64_u32 v[2:3], s[10:11], v3, s13, v[2:3]
	v_mov_b32_e32 v1, v4
	s_cbranch_scc1 .LBB39_12
.LBB39_13:
	s_cbranch_execnz .LBB39_16
.LBB39_14:
	v_mul_hi_u32 v0, s29, v8
	s_andn2_b64 vcc, exec, s[48:49]
	v_add_u32_e32 v0, v8, v0
	v_lshrrev_b32_e32 v1, s30, v0
	v_mul_lo_u32 v0, v1, s28
	v_sub_u32_e32 v2, v8, v0
	v_mul_lo_u32 v0, v2, s36
	v_mul_lo_u32 v2, v2, s37
	s_cbranch_vccnz .LBB39_16
; %bb.15:
	v_mul_hi_u32 v3, s46, v1
	v_add_u32_e32 v3, v1, v3
	v_lshrrev_b32_e32 v3, s47, v3
	v_mul_lo_u32 v3, v3, s31
	v_sub_u32_e32 v3, v1, v3
	v_mad_u64_u32 v[0:1], s[0:1], v3, s38, v[0:1]
	v_mad_u64_u32 v[2:3], s[0:1], v3, s39, v[2:3]
.LBB39_16:
	v_mov_b32_e32 v3, s27
	s_and_b32 s10, 0xffff, s76
	v_add_co_u32_e32 v1, vcc, s26, v2
	s_cmp_lt_i32 s10, 11
	v_addc_co_u32_e32 v2, vcc, 0, v3, vcc
	s_cbranch_scc1 .LBB39_23
; %bb.17:
	s_cmp_gt_i32 s10, 25
	s_cbranch_scc0 .LBB39_29
; %bb.18:
	s_cmp_gt_i32 s10, 28
	s_cbranch_scc0 .LBB39_31
	;; [unrolled: 3-line block ×4, first 2 shown]
; %bb.21:
	s_cmp_eq_u32 s10, 46
	s_mov_b64 s[8:9], 0
	s_cbranch_scc0 .LBB39_57
; %bb.22:
	global_load_dword v3, v[1:2], off
	s_mov_b64 s[0:1], -1
	s_mov_b64 s[2:3], 0
	s_waitcnt vmcnt(0)
	v_lshlrev_b32_e32 v3, 16, v3
	v_cvt_i32_f32_e32 v3, v3
	s_branch .LBB39_59
.LBB39_23:
	s_mov_b64 s[2:3], 0
                                        ; implicit-def: $vgpr3
	s_mov_b64 s[0:1], 0
	s_cbranch_execnz .LBB39_228
.LBB39_24:
	s_andn2_b64 vcc, exec, s[0:1]
	s_cbranch_vccnz .LBB39_275
.LBB39_25:
	s_cmp_lt_i32 s44, 1
	s_mov_b64 s[0:1], 0
	s_cbranch_scc1 .LBB39_30
; %bb.26:
	s_cmp_gt_i32 s44, 1
	s_cbranch_scc0 .LBB39_32
; %bb.27:
	s_cmp_eq_u32 s44, 2
	s_cbranch_scc0 .LBB39_34
; %bb.28:
	s_waitcnt vmcnt(0)
	v_cmp_ge_i32_e64 s[8:9], s45, v3
	s_mov_b64 s[10:11], 0
	s_branch .LBB39_35
.LBB39_29:
	s_mov_b64 s[2:3], 0
	s_mov_b64 s[0:1], 0
                                        ; implicit-def: $vgpr3
	s_cbranch_execnz .LBB39_195
	s_branch .LBB39_227
.LBB39_30:
                                        ; implicit-def: $sgpr8_sgpr9
	s_mov_b64 s[10:11], 0
	s_cbranch_execnz .LBB39_39
	s_branch .LBB39_40
.LBB39_31:
	s_mov_b64 s[8:9], -1
	s_mov_b64 s[2:3], 0
	s_mov_b64 s[0:1], 0
                                        ; implicit-def: $vgpr3
	s_branch .LBB39_178
.LBB39_32:
	s_mov_b64 s[12:13], -1
	s_mov_b64 s[10:11], 0
                                        ; implicit-def: $sgpr8_sgpr9
	s_branch .LBB39_36
.LBB39_33:
	s_mov_b64 s[8:9], -1
	s_mov_b64 s[2:3], 0
	s_mov_b64 s[0:1], 0
                                        ; implicit-def: $vgpr3
	s_branch .LBB39_173
.LBB39_34:
	s_mov_b64 s[10:11], -1
                                        ; implicit-def: $sgpr8_sgpr9
.LBB39_35:
	s_mov_b64 s[12:13], 0
.LBB39_36:
	s_and_b64 vcc, exec, s[12:13]
	s_cbranch_vccz .LBB39_38
; %bb.37:
	s_waitcnt vmcnt(0)
	v_cmp_lt_i32_e32 vcc, s45, v3
	s_andn2_b64 s[8:9], s[8:9], exec
	s_and_b64 s[12:13], vcc, exec
	s_or_b64 s[8:9], s[8:9], s[12:13]
.LBB39_38:
	s_branch .LBB39_40
.LBB39_39:
	s_cmp_lg_u32 s44, 0
	s_mov_b64 s[0:1], -1
	s_cselect_b64 s[10:11], -1, 0
.LBB39_40:
	s_andn2_b64 vcc, exec, s[10:11]
	s_cbranch_vccnz .LBB39_42
; %bb.41:
	s_waitcnt vmcnt(0)
	v_cmp_gt_i32_e32 vcc, s45, v3
	s_andn2_b64 s[8:9], s[8:9], exec
	s_and_b64 s[10:11], vcc, exec
	s_or_b64 s[8:9], s[8:9], s[10:11]
	s_cbranch_execz .LBB39_43
	s_branch .LBB39_44
.LBB39_42:
	s_andn2_b64 vcc, exec, s[0:1]
	s_cbranch_vccnz .LBB39_44
.LBB39_43:
	s_waitcnt vmcnt(0)
	v_cmp_le_i32_e32 vcc, s45, v3
	s_andn2_b64 s[0:1], s[8:9], exec
	s_and_b64 s[8:9], vcc, exec
	s_or_b64 s[8:9], s[0:1], s[8:9]
.LBB39_44:
	v_mov_b32_e32 v1, s25
	s_and_b32 s16, s75, 0xff
	v_add_co_u32_e32 v0, vcc, s24, v0
	s_cmp_lt_i32 s16, 11
	v_addc_co_u32_e32 v1, vcc, 0, v1, vcc
	s_cbranch_scc1 .LBB39_51
; %bb.45:
	s_and_b32 s17, 0xffff, s16
	s_cmp_gt_i32 s17, 25
	s_cbranch_scc0 .LBB39_53
; %bb.46:
	s_cmp_gt_i32 s17, 28
	s_cbranch_scc0 .LBB39_54
; %bb.47:
	;; [unrolled: 3-line block ×4, first 2 shown]
	s_mov_b64 s[12:13], 0
	s_mov_b64 s[0:1], -1
	s_cmp_eq_u32 s17, 46
	s_mov_b64 s[10:11], 0
	s_cbranch_scc0 .LBB39_63
; %bb.50:
	v_cndmask_b32_e64 v2, 0, 1.0, s[8:9]
	s_waitcnt vmcnt(0)
	v_bfe_u32 v3, v2, 16, 1
	s_movk_i32 s0, 0x7fff
	v_add3_u32 v2, v2, v3, s0
	v_lshrrev_b32_e32 v2, 16, v2
	global_store_dword v[0:1], v2, off
	s_mov_b64 s[10:11], -1
	s_mov_b64 s[0:1], 0
	s_branch .LBB39_63
.LBB39_51:
	s_mov_b64 s[0:1], 0
	s_mov_b64 s[10:11], 0
	s_cbranch_execnz .LBB39_132
.LBB39_52:
	s_andn2_b64 vcc, exec, s[10:11]
	s_cbranch_vccnz .LBB39_276
	s_branch .LBB39_170
.LBB39_53:
	s_mov_b64 s[12:13], -1
	s_mov_b64 s[0:1], 0
	s_mov_b64 s[10:11], 0
	s_branch .LBB39_90
.LBB39_54:
	s_mov_b64 s[12:13], -1
	s_mov_b64 s[0:1], 0
	s_mov_b64 s[10:11], 0
	s_branch .LBB39_73
.LBB39_55:
	s_mov_b64 s[8:9], -1
	s_mov_b64 s[2:3], 0
	s_branch .LBB39_58
.LBB39_56:
	s_mov_b64 s[12:13], -1
	s_mov_b64 s[0:1], 0
	s_mov_b64 s[10:11], 0
	s_branch .LBB39_69
.LBB39_57:
	s_mov_b64 s[2:3], -1
.LBB39_58:
	s_mov_b64 s[0:1], 0
                                        ; implicit-def: $vgpr3
.LBB39_59:
	s_and_b64 vcc, exec, s[8:9]
	s_cbranch_vccz .LBB39_172
; %bb.60:
	s_cmp_eq_u32 s10, 44
	s_cbranch_scc0 .LBB39_171
; %bb.61:
	global_load_ubyte v3, v[1:2], off
	s_mov_b64 s[0:1], -1
	s_mov_b64 s[2:3], 0
	s_waitcnt vmcnt(0)
	v_lshlrev_b32_e32 v4, 23, v3
	v_cvt_i32_f32_e32 v4, v4
	v_cmp_ne_u32_e32 vcc, 0, v3
	v_cndmask_b32_e32 v3, 0, v4, vcc
	s_branch .LBB39_172
.LBB39_62:
	s_mov_b64 s[12:13], -1
	s_mov_b64 s[0:1], 0
	s_mov_b64 s[10:11], 0
.LBB39_63:
	s_and_b64 vcc, exec, s[12:13]
	s_cbranch_vccz .LBB39_68
; %bb.64:
	s_cmp_eq_u32 s17, 44
	s_mov_b64 s[0:1], -1
	s_cbranch_scc0 .LBB39_68
; %bb.65:
	s_waitcnt vmcnt(0)
	v_cndmask_b32_e64 v3, 0, 1.0, s[8:9]
	v_lshrrev_b32_e32 v2, 23, v3
	s_movk_i32 s0, 0xff
	v_cmp_ne_u32_e32 vcc, s0, v2
	v_mov_b32_e32 v4, 0xff
	s_and_saveexec_b64 s[10:11], vcc
; %bb.66:
	s_mov_b32 s0, 0x3fffff
	v_and_b32_e32 v4, 0x400000, v3
	v_and_or_b32 v3, v3, s0, v2
	v_cmp_ne_u32_e32 vcc, 0, v4
	v_cmp_ne_u32_e64 s[0:1], 0, v3
	s_and_b64 s[0:1], vcc, s[0:1]
	v_cndmask_b32_e64 v3, 0, 1, s[0:1]
	v_add_u32_e32 v4, v2, v3
; %bb.67:
	s_or_b64 exec, exec, s[10:11]
	s_mov_b64 s[10:11], -1
	s_mov_b64 s[0:1], 0
	global_store_byte v[0:1], v4, off
.LBB39_68:
	s_mov_b64 s[12:13], 0
.LBB39_69:
	s_and_b64 vcc, exec, s[12:13]
	s_cbranch_vccz .LBB39_72
; %bb.70:
	s_cmp_eq_u32 s17, 29
	s_mov_b64 s[0:1], -1
	s_cbranch_scc0 .LBB39_72
; %bb.71:
	s_mov_b32 s0, 0
	v_cndmask_b32_e64 v2, 0, 1, s[8:9]
	s_waitcnt vmcnt(0)
	v_mov_b32_e32 v3, s0
	global_store_dwordx2 v[0:1], v[2:3], off
	s_mov_b64 s[10:11], -1
	s_mov_b64 s[0:1], 0
.LBB39_72:
	s_mov_b64 s[12:13], 0
.LBB39_73:
	s_and_b64 vcc, exec, s[12:13]
	s_cbranch_vccz .LBB39_89
; %bb.74:
	s_cmp_lt_i32 s17, 27
	s_mov_b64 s[10:11], -1
	s_cbranch_scc1 .LBB39_80
; %bb.75:
	s_cmp_gt_i32 s17, 27
	s_cbranch_scc0 .LBB39_77
; %bb.76:
	v_cndmask_b32_e64 v2, 0, 1, s[8:9]
	s_mov_b64 s[10:11], 0
	global_store_dword v[0:1], v2, off
.LBB39_77:
	s_andn2_b64 vcc, exec, s[10:11]
	s_cbranch_vccnz .LBB39_79
; %bb.78:
	v_cndmask_b32_e64 v2, 0, 1, s[8:9]
	global_store_short v[0:1], v2, off
.LBB39_79:
	s_mov_b64 s[10:11], 0
.LBB39_80:
	s_andn2_b64 vcc, exec, s[10:11]
	s_cbranch_vccnz .LBB39_88
; %bb.81:
	s_waitcnt vmcnt(0)
	v_cndmask_b32_e64 v3, 0, 1.0, s[8:9]
	s_mov_b32 s10, 0x43800000
	v_cmp_gt_u32_e32 vcc, s10, v3
	v_mov_b32_e32 v4, 0x80
	s_and_saveexec_b64 s[10:11], vcc
	s_cbranch_execz .LBB39_87
; %bb.82:
	s_mov_b32 s12, 0x3bffffff
	v_cmp_lt_u32_e32 vcc, s12, v3
	s_mov_b64 s[12:13], 0
                                        ; implicit-def: $vgpr2
	s_and_saveexec_b64 s[14:15], vcc
	s_xor_b64 s[14:15], exec, s[14:15]
	s_cbranch_execz .LBB39_335
; %bb.83:
	v_bfe_u32 v2, v3, 20, 1
	s_mov_b32 s18, 0x487ffff
	v_add3_u32 v2, v3, v2, s18
	s_mov_b64 s[12:13], exec
	v_lshrrev_b32_e32 v2, 20, v2
                                        ; implicit-def: $vgpr3
	s_andn2_saveexec_b64 s[14:15], s[14:15]
	s_cbranch_execnz .LBB39_336
.LBB39_84:
	s_or_b64 exec, exec, s[14:15]
	v_mov_b32_e32 v4, 0
	s_and_saveexec_b64 s[14:15], s[12:13]
.LBB39_85:
	v_mov_b32_e32 v4, v2
.LBB39_86:
	s_or_b64 exec, exec, s[14:15]
.LBB39_87:
	s_or_b64 exec, exec, s[10:11]
	global_store_byte v[0:1], v4, off
.LBB39_88:
	s_mov_b64 s[10:11], -1
.LBB39_89:
	s_mov_b64 s[12:13], 0
.LBB39_90:
	s_and_b64 vcc, exec, s[12:13]
	s_cbranch_vccz .LBB39_131
; %bb.91:
	s_cmp_gt_i32 s17, 22
	s_mov_b64 s[12:13], -1
	s_cbranch_scc0 .LBB39_123
; %bb.92:
	s_cmp_lt_i32 s17, 24
	s_mov_b64 s[10:11], -1
	s_cbranch_scc1 .LBB39_112
; %bb.93:
	s_cmp_gt_i32 s17, 24
	s_cbranch_scc0 .LBB39_101
; %bb.94:
	s_waitcnt vmcnt(0)
	v_cndmask_b32_e64 v3, 0, 1.0, s[8:9]
	s_mov_b32 s10, 0x47800000
	v_cmp_gt_u32_e32 vcc, s10, v3
	v_mov_b32_e32 v4, 0x80
	s_and_saveexec_b64 s[10:11], vcc
	s_cbranch_execz .LBB39_100
; %bb.95:
	s_mov_b32 s12, 0x37ffffff
	v_cmp_lt_u32_e32 vcc, s12, v3
	s_mov_b64 s[12:13], 0
                                        ; implicit-def: $vgpr2
	s_and_saveexec_b64 s[14:15], vcc
	s_xor_b64 s[14:15], exec, s[14:15]
	s_cbranch_execz .LBB39_339
; %bb.96:
	v_bfe_u32 v2, v3, 21, 1
	s_mov_b32 s18, 0x88fffff
	v_add3_u32 v2, v3, v2, s18
	s_mov_b64 s[12:13], exec
	v_lshrrev_b32_e32 v2, 21, v2
                                        ; implicit-def: $vgpr3
	s_andn2_saveexec_b64 s[14:15], s[14:15]
	s_cbranch_execnz .LBB39_340
.LBB39_97:
	s_or_b64 exec, exec, s[14:15]
	v_mov_b32_e32 v4, 0
	s_and_saveexec_b64 s[14:15], s[12:13]
.LBB39_98:
	v_mov_b32_e32 v4, v2
.LBB39_99:
	s_or_b64 exec, exec, s[14:15]
.LBB39_100:
	s_or_b64 exec, exec, s[10:11]
	s_mov_b64 s[10:11], 0
	global_store_byte v[0:1], v4, off
.LBB39_101:
	s_and_b64 vcc, exec, s[10:11]
	s_cbranch_vccz .LBB39_111
; %bb.102:
	v_cndmask_b32_e64 v2, 0, 1.0, s[8:9]
	s_mov_b32 s10, 0x43f00000
	v_cmp_gt_u32_e32 vcc, s10, v2
                                        ; implicit-def: $vgpr3
	s_and_saveexec_b64 s[10:11], vcc
	s_xor_b64 s[10:11], exec, s[10:11]
	s_cbranch_execz .LBB39_108
; %bb.103:
	s_mov_b32 s12, 0x3c7fffff
	v_cmp_lt_u32_e32 vcc, s12, v2
                                        ; implicit-def: $vgpr3
	s_and_saveexec_b64 s[12:13], vcc
	s_xor_b64 s[12:13], exec, s[12:13]
	s_cbranch_execz .LBB39_105
; %bb.104:
	s_waitcnt vmcnt(0)
	v_bfe_u32 v3, v2, 20, 1
	s_mov_b32 s14, 0x407ffff
	v_add3_u32 v2, v2, v3, s14
	v_lshrrev_b32_e32 v3, 20, v2
	v_and_b32_e32 v2, 0xff00000, v2
	s_mov_b32 s14, 0x7f00000
	v_mov_b32_e32 v4, 0x7e
	v_cmp_ne_u32_e32 vcc, s14, v2
	v_cndmask_b32_e32 v3, v4, v3, vcc
                                        ; implicit-def: $vgpr2
.LBB39_105:
	s_andn2_saveexec_b64 s[12:13], s[12:13]
	s_cbranch_execz .LBB39_107
; %bb.106:
	s_waitcnt vmcnt(0)
	v_add_f32_e32 v3, 0x46800000, v2
.LBB39_107:
	s_or_b64 exec, exec, s[12:13]
                                        ; implicit-def: $vgpr2
.LBB39_108:
	s_andn2_saveexec_b64 s[10:11], s[10:11]
	s_cbranch_execz .LBB39_110
; %bb.109:
	s_mov_b32 s12, 0x7f800000
	s_waitcnt vmcnt(0)
	v_mov_b32_e32 v3, 0x7e
	v_mov_b32_e32 v4, 0x7f
	v_cmp_lt_u32_e32 vcc, s12, v2
	v_cndmask_b32_e32 v3, v3, v4, vcc
.LBB39_110:
	s_or_b64 exec, exec, s[10:11]
	s_waitcnt vmcnt(0)
	global_store_byte v[0:1], v3, off
.LBB39_111:
	s_mov_b64 s[10:11], 0
.LBB39_112:
	s_andn2_b64 vcc, exec, s[10:11]
	s_cbranch_vccnz .LBB39_122
; %bb.113:
	v_cndmask_b32_e64 v2, 0, 1.0, s[8:9]
	s_mov_b32 s10, 0x47800000
	v_cmp_gt_u32_e32 vcc, s10, v2
                                        ; implicit-def: $vgpr3
	s_and_saveexec_b64 s[10:11], vcc
	s_xor_b64 s[10:11], exec, s[10:11]
	s_cbranch_execz .LBB39_119
; %bb.114:
	s_mov_b32 s12, 0x387fffff
	v_cmp_lt_u32_e32 vcc, s12, v2
                                        ; implicit-def: $vgpr3
	s_and_saveexec_b64 s[12:13], vcc
	s_xor_b64 s[12:13], exec, s[12:13]
	s_cbranch_execz .LBB39_116
; %bb.115:
	s_waitcnt vmcnt(0)
	v_bfe_u32 v3, v2, 21, 1
	s_mov_b32 s14, 0x80fffff
	v_add3_u32 v2, v2, v3, s14
	v_lshrrev_b32_e32 v3, 21, v2
                                        ; implicit-def: $vgpr2
.LBB39_116:
	s_andn2_saveexec_b64 s[12:13], s[12:13]
	s_cbranch_execz .LBB39_118
; %bb.117:
	s_waitcnt vmcnt(0)
	v_add_f32_e32 v3, 0x43000000, v2
.LBB39_118:
	s_or_b64 exec, exec, s[12:13]
                                        ; implicit-def: $vgpr2
.LBB39_119:
	s_andn2_saveexec_b64 s[10:11], s[10:11]
	s_cbranch_execz .LBB39_121
; %bb.120:
	s_mov_b32 s12, 0x7f800000
	s_waitcnt vmcnt(0)
	v_mov_b32_e32 v3, 0x7c
	v_mov_b32_e32 v4, 0x7f
	v_cmp_lt_u32_e32 vcc, s12, v2
	v_cndmask_b32_e32 v3, v3, v4, vcc
.LBB39_121:
	s_or_b64 exec, exec, s[10:11]
	s_waitcnt vmcnt(0)
	global_store_byte v[0:1], v3, off
.LBB39_122:
	s_mov_b64 s[12:13], 0
	s_mov_b64 s[10:11], -1
.LBB39_123:
	s_andn2_b64 vcc, exec, s[12:13]
	s_cbranch_vccnz .LBB39_131
; %bb.124:
	s_cmp_gt_i32 s17, 14
	s_mov_b64 s[12:13], -1
	s_cbranch_scc0 .LBB39_128
; %bb.125:
	s_cmp_eq_u32 s17, 15
	s_mov_b64 s[0:1], -1
	s_cbranch_scc0 .LBB39_127
; %bb.126:
	v_cndmask_b32_e64 v2, 0, 1.0, s[8:9]
	s_waitcnt vmcnt(0)
	v_bfe_u32 v3, v2, 16, 1
	s_movk_i32 s0, 0x7fff
	v_add3_u32 v2, v2, v3, s0
	global_store_short_d16_hi v[0:1], v2, off
	s_mov_b64 s[10:11], -1
	s_mov_b64 s[0:1], 0
.LBB39_127:
	s_mov_b64 s[12:13], 0
.LBB39_128:
	s_and_b64 vcc, exec, s[12:13]
	s_cbranch_vccz .LBB39_131
; %bb.129:
	s_cmp_eq_u32 s17, 11
	s_mov_b64 s[0:1], -1
	s_cbranch_scc0 .LBB39_131
; %bb.130:
	v_cndmask_b32_e64 v2, 0, 1, s[8:9]
	s_mov_b64 s[10:11], -1
	s_mov_b64 s[0:1], 0
	global_store_byte v[0:1], v2, off
.LBB39_131:
	s_branch .LBB39_52
.LBB39_132:
	s_and_b32 s12, 0xffff, s16
	s_cmp_lt_i32 s12, 5
	s_mov_b64 s[10:11], -1
	s_cbranch_scc1 .LBB39_153
; %bb.133:
	s_cmp_lt_i32 s12, 8
	s_cbranch_scc1 .LBB39_143
; %bb.134:
	s_cmp_lt_i32 s12, 9
	s_cbranch_scc1 .LBB39_140
; %bb.135:
	s_cmp_gt_i32 s12, 9
	s_cbranch_scc0 .LBB39_137
; %bb.136:
	v_cndmask_b32_e64 v2, 0, 1, s[8:9]
	s_waitcnt vmcnt(0)
	v_cvt_f64_u32_e32 v[2:3], v2
	v_mov_b32_e32 v4, 0
	v_mov_b32_e32 v5, v4
	s_mov_b64 s[10:11], 0
	global_store_dwordx4 v[0:1], v[2:5], off
.LBB39_137:
	s_andn2_b64 vcc, exec, s[10:11]
	s_cbranch_vccnz .LBB39_139
; %bb.138:
	v_cndmask_b32_e64 v2, 0, 1.0, s[8:9]
	s_waitcnt vmcnt(0)
	v_mov_b32_e32 v3, 0
	global_store_dwordx2 v[0:1], v[2:3], off
.LBB39_139:
	s_mov_b64 s[10:11], 0
.LBB39_140:
	s_andn2_b64 vcc, exec, s[10:11]
	s_cbranch_vccnz .LBB39_142
; %bb.141:
	v_cndmask_b32_e64 v2, 0, 1.0, s[8:9]
	v_cvt_f16_f32_e32 v2, v2
	global_store_dword v[0:1], v2, off
.LBB39_142:
	s_mov_b64 s[10:11], 0
.LBB39_143:
	s_andn2_b64 vcc, exec, s[10:11]
	s_cbranch_vccnz .LBB39_152
; %bb.144:
	s_cmp_lt_i32 s12, 6
	s_mov_b64 s[10:11], -1
	s_cbranch_scc1 .LBB39_150
; %bb.145:
	s_cmp_gt_i32 s12, 6
	s_cbranch_scc0 .LBB39_147
; %bb.146:
	v_cndmask_b32_e64 v2, 0, 1, s[8:9]
	s_waitcnt vmcnt(0)
	v_cvt_f64_u32_e32 v[2:3], v2
	s_mov_b64 s[10:11], 0
	global_store_dwordx2 v[0:1], v[2:3], off
.LBB39_147:
	s_andn2_b64 vcc, exec, s[10:11]
	s_cbranch_vccnz .LBB39_149
; %bb.148:
	v_cndmask_b32_e64 v2, 0, 1.0, s[8:9]
	global_store_dword v[0:1], v2, off
.LBB39_149:
	s_mov_b64 s[10:11], 0
.LBB39_150:
	s_andn2_b64 vcc, exec, s[10:11]
	s_cbranch_vccnz .LBB39_152
; %bb.151:
	v_cndmask_b32_e64 v2, 0, 1.0, s[8:9]
	v_cvt_f16_f32_e32 v2, v2
	global_store_short v[0:1], v2, off
.LBB39_152:
	s_mov_b64 s[10:11], 0
.LBB39_153:
	s_andn2_b64 vcc, exec, s[10:11]
	s_cbranch_vccnz .LBB39_169
; %bb.154:
	s_cmp_lt_i32 s12, 2
	s_mov_b64 s[10:11], -1
	s_cbranch_scc1 .LBB39_164
; %bb.155:
	s_cmp_lt_i32 s12, 3
	s_cbranch_scc1 .LBB39_161
; %bb.156:
	s_cmp_gt_i32 s12, 3
	s_cbranch_scc0 .LBB39_158
; %bb.157:
	s_mov_b32 s10, 0
	v_cndmask_b32_e64 v2, 0, 1, s[8:9]
	s_waitcnt vmcnt(0)
	v_mov_b32_e32 v3, s10
	global_store_dwordx2 v[0:1], v[2:3], off
	s_mov_b64 s[10:11], 0
.LBB39_158:
	s_andn2_b64 vcc, exec, s[10:11]
	s_cbranch_vccnz .LBB39_160
; %bb.159:
	v_cndmask_b32_e64 v2, 0, 1, s[8:9]
	global_store_dword v[0:1], v2, off
.LBB39_160:
	s_mov_b64 s[10:11], 0
.LBB39_161:
	s_andn2_b64 vcc, exec, s[10:11]
	s_cbranch_vccnz .LBB39_163
; %bb.162:
	v_cndmask_b32_e64 v2, 0, 1, s[8:9]
	global_store_short v[0:1], v2, off
.LBB39_163:
	s_mov_b64 s[10:11], 0
.LBB39_164:
	s_andn2_b64 vcc, exec, s[10:11]
	s_cbranch_vccnz .LBB39_169
; %bb.165:
	s_cmp_gt_i32 s12, 0
	s_mov_b64 s[10:11], -1
	s_cbranch_scc0 .LBB39_167
; %bb.166:
	v_cndmask_b32_e64 v2, 0, 1, s[8:9]
	global_store_byte v[0:1], v2, off
	s_mov_b64 s[10:11], 0
.LBB39_167:
	s_andn2_b64 vcc, exec, s[10:11]
	s_cbranch_vccnz .LBB39_169
; %bb.168:
	v_cndmask_b32_e64 v2, 0, 1, s[8:9]
	global_store_byte v[0:1], v2, off
.LBB39_169:
.LBB39_170:
	v_add_u32_e32 v8, 0x80, v8
	s_mov_b64 s[8:9], -1
	s_branch .LBB39_277
.LBB39_171:
	s_mov_b64 s[2:3], -1
                                        ; implicit-def: $vgpr3
.LBB39_172:
	s_mov_b64 s[8:9], 0
.LBB39_173:
	s_and_b64 vcc, exec, s[8:9]
	s_cbranch_vccz .LBB39_177
; %bb.174:
	s_cmp_eq_u32 s10, 29
	s_cbranch_scc0 .LBB39_176
; %bb.175:
	global_load_dword v3, v[1:2], off
	s_mov_b64 s[0:1], -1
	s_mov_b64 s[2:3], 0
	s_branch .LBB39_177
.LBB39_176:
	s_mov_b64 s[2:3], -1
                                        ; implicit-def: $vgpr3
.LBB39_177:
	s_mov_b64 s[8:9], 0
.LBB39_178:
	s_and_b64 vcc, exec, s[8:9]
	s_cbranch_vccz .LBB39_194
; %bb.179:
	s_cmp_lt_i32 s10, 27
	s_cbranch_scc1 .LBB39_182
; %bb.180:
	s_cmp_gt_i32 s10, 27
	s_cbranch_scc0 .LBB39_183
; %bb.181:
	global_load_dword v3, v[1:2], off
	s_mov_b64 s[0:1], 0
	s_branch .LBB39_184
.LBB39_182:
	s_mov_b64 s[0:1], -1
                                        ; implicit-def: $vgpr3
	s_branch .LBB39_187
.LBB39_183:
	s_mov_b64 s[0:1], -1
                                        ; implicit-def: $vgpr3
.LBB39_184:
	s_andn2_b64 vcc, exec, s[0:1]
	s_cbranch_vccnz .LBB39_186
; %bb.185:
	global_load_ushort v3, v[1:2], off
.LBB39_186:
	s_mov_b64 s[0:1], 0
.LBB39_187:
	s_andn2_b64 vcc, exec, s[0:1]
	s_cbranch_vccnz .LBB39_193
; %bb.188:
	global_load_ubyte v4, v[1:2], off
	s_movk_i32 s0, 0x7f
	s_mov_b64 s[8:9], 0
	s_waitcnt vmcnt(0)
	v_cmp_lt_i16_e32 vcc, s0, v4
	s_and_saveexec_b64 s[0:1], vcc
	s_xor_b64 s[0:1], exec, s[0:1]
	s_cbranch_execz .LBB39_204
; %bb.189:
	s_movk_i32 s8, 0x80
	v_cmp_ne_u16_e32 vcc, s8, v4
	s_and_b64 s[8:9], vcc, exec
	s_andn2_saveexec_b64 s[0:1], s[0:1]
	s_cbranch_execnz .LBB39_205
.LBB39_190:
	s_or_b64 exec, exec, s[0:1]
	v_mov_b32_e32 v3, 0
	s_and_saveexec_b64 s[0:1], s[8:9]
	s_cbranch_execz .LBB39_192
.LBB39_191:
	v_lshlrev_b32_e32 v3, 24, v4
	v_and_b32_e32 v4, 0xffff, v4
	v_and_b32_e32 v5, 7, v4
	v_ffbh_u32_e32 v7, v5
	v_min_u32_e32 v7, 32, v7
	v_subrev_u32_e32 v9, 28, v7
	v_bfe_u32 v6, v4, 3, 4
	v_lshlrev_b32_e32 v4, v9, v4
	v_sub_u32_e32 v7, 29, v7
	v_and_b32_e32 v4, 7, v4
	v_cmp_eq_u32_e32 vcc, 0, v6
	v_cndmask_b32_e32 v6, v6, v7, vcc
	v_cndmask_b32_e32 v4, v5, v4, vcc
	v_mov_b32_e32 v5, 0x3b800000
	v_lshlrev_b32_e32 v4, 20, v4
	v_and_b32_e32 v3, 0x80000000, v3
	v_lshl_add_u32 v5, v6, 23, v5
	v_or3_b32 v3, v3, v5, v4
	v_cvt_i32_f32_e32 v3, v3
.LBB39_192:
	s_or_b64 exec, exec, s[0:1]
.LBB39_193:
	s_mov_b64 s[0:1], -1
.LBB39_194:
	s_branch .LBB39_227
.LBB39_195:
	s_cmp_gt_i32 s10, 22
	s_cbranch_scc0 .LBB39_203
; %bb.196:
	s_cmp_lt_i32 s10, 24
	s_cbranch_scc1 .LBB39_206
; %bb.197:
	s_cmp_gt_i32 s10, 24
	s_cbranch_scc0 .LBB39_207
; %bb.198:
	global_load_ubyte v4, v[1:2], off
	s_movk_i32 s0, 0x7f
	s_mov_b64 s[8:9], 0
	s_waitcnt vmcnt(0)
	v_cmp_lt_i16_e32 vcc, s0, v4
	s_and_saveexec_b64 s[0:1], vcc
	s_xor_b64 s[0:1], exec, s[0:1]
	s_cbranch_execz .LBB39_219
; %bb.199:
	s_movk_i32 s8, 0x80
	v_cmp_ne_u16_e32 vcc, s8, v4
	s_and_b64 s[8:9], vcc, exec
	s_andn2_saveexec_b64 s[0:1], s[0:1]
	s_cbranch_execnz .LBB39_220
.LBB39_200:
	s_or_b64 exec, exec, s[0:1]
	v_mov_b32_e32 v3, 0
	s_and_saveexec_b64 s[0:1], s[8:9]
	s_cbranch_execz .LBB39_202
.LBB39_201:
	v_lshlrev_b32_e32 v3, 24, v4
	v_and_b32_e32 v4, 0xffff, v4
	v_and_b32_e32 v5, 3, v4
	v_ffbh_u32_e32 v7, v5
	v_min_u32_e32 v7, 32, v7
	v_subrev_u32_e32 v9, 29, v7
	v_bfe_u32 v6, v4, 2, 5
	v_lshlrev_b32_e32 v4, v9, v4
	v_sub_u32_e32 v7, 30, v7
	v_and_b32_e32 v4, 3, v4
	v_cmp_eq_u32_e32 vcc, 0, v6
	v_cndmask_b32_e32 v6, v6, v7, vcc
	v_cndmask_b32_e32 v4, v5, v4, vcc
	v_mov_b32_e32 v5, 0x37800000
	v_lshlrev_b32_e32 v4, 21, v4
	v_and_b32_e32 v3, 0x80000000, v3
	v_lshl_add_u32 v5, v6, 23, v5
	v_or3_b32 v3, v3, v5, v4
	v_cvt_i32_f32_e32 v3, v3
.LBB39_202:
	s_or_b64 exec, exec, s[0:1]
	s_mov_b64 s[0:1], 0
	s_branch .LBB39_208
.LBB39_203:
	s_mov_b64 s[8:9], -1
                                        ; implicit-def: $vgpr3
	s_branch .LBB39_214
.LBB39_204:
	s_andn2_saveexec_b64 s[0:1], s[0:1]
	s_cbranch_execz .LBB39_190
.LBB39_205:
	v_cmp_ne_u16_e32 vcc, 0, v4
	s_andn2_b64 s[8:9], s[8:9], exec
	s_and_b64 s[12:13], vcc, exec
	s_or_b64 s[8:9], s[8:9], s[12:13]
	s_or_b64 exec, exec, s[0:1]
	v_mov_b32_e32 v3, 0
	s_and_saveexec_b64 s[0:1], s[8:9]
	s_cbranch_execnz .LBB39_191
	s_branch .LBB39_192
.LBB39_206:
	s_mov_b64 s[0:1], -1
                                        ; implicit-def: $vgpr3
	s_branch .LBB39_211
.LBB39_207:
	s_mov_b64 s[0:1], -1
                                        ; implicit-def: $vgpr3
.LBB39_208:
	s_and_b64 vcc, exec, s[0:1]
	s_cbranch_vccz .LBB39_210
; %bb.209:
	global_load_ubyte v3, v[1:2], off
	s_mov_b32 s0, 0x7f800000
	s_waitcnt vmcnt(0)
	v_lshlrev_b32_e32 v3, 24, v3
	v_and_b32_e32 v4, 0x7f000000, v3
	v_ffbh_u32_e32 v5, v4
	v_min_u32_e32 v5, 32, v5
	v_sub_u32_e64 v5, v5, 4 clamp
	v_lshlrev_b32_e32 v7, v5, v4
	v_lshlrev_b32_e32 v5, 23, v5
	v_lshrrev_b32_e32 v7, 4, v7
	v_add_u32_e32 v6, 0x1000000, v4
	v_sub_u32_e32 v5, v7, v5
	v_ashrrev_i32_e32 v6, 8, v6
	v_add_u32_e32 v5, 0x3c000000, v5
	v_and_or_b32 v5, v6, s0, v5
	v_cmp_ne_u32_e32 vcc, 0, v4
	v_cndmask_b32_e32 v4, 0, v5, vcc
	s_brev_b32 s0, 1
	v_and_or_b32 v3, v3, s0, v4
	v_cvt_i32_f32_e32 v3, v3
.LBB39_210:
	s_mov_b64 s[0:1], 0
.LBB39_211:
	s_andn2_b64 vcc, exec, s[0:1]
	s_cbranch_vccnz .LBB39_213
; %bb.212:
	global_load_ubyte v3, v[1:2], off
	s_movk_i32 s0, 0x7f00
	s_brev_b32 s1, 16
	s_waitcnt vmcnt(0)
	v_lshlrev_b16_e32 v4, 8, v3
	v_lshlrev_b32_e32 v3, 25, v3
	v_lshrrev_b32_e32 v5, 4, v3
	v_and_or_b32 v6, v4, s0, 0.5
	v_or_b32_e32 v5, 0x70000000, v5
	v_add_f32_e32 v6, -0.5, v6
	v_mul_f32_e32 v5, 0x7800000, v5
	v_cmp_gt_u32_e32 vcc, s1, v3
	v_bfe_i32 v4, v4, 0, 16
	v_cndmask_b32_e32 v3, v5, v6, vcc
	s_brev_b32 s0, 1
	v_and_or_b32 v3, v4, s0, v3
	v_cvt_i32_f32_e32 v3, v3
.LBB39_213:
	s_mov_b64 s[8:9], 0
	s_mov_b64 s[0:1], -1
.LBB39_214:
	s_andn2_b64 vcc, exec, s[8:9]
	s_cbranch_vccnz .LBB39_227
; %bb.215:
	s_cmp_gt_i32 s10, 14
	s_cbranch_scc0 .LBB39_218
; %bb.216:
	s_cmp_eq_u32 s10, 15
	s_cbranch_scc0 .LBB39_221
; %bb.217:
	global_load_ushort v3, v[1:2], off
	s_mov_b64 s[0:1], -1
	s_mov_b64 s[2:3], 0
	s_waitcnt vmcnt(0)
	v_lshlrev_b32_e32 v3, 16, v3
	v_cvt_i32_f32_e32 v3, v3
	s_branch .LBB39_222
.LBB39_218:
	s_mov_b64 s[8:9], -1
                                        ; implicit-def: $vgpr3
	s_branch .LBB39_223
.LBB39_219:
	s_andn2_saveexec_b64 s[0:1], s[0:1]
	s_cbranch_execz .LBB39_200
.LBB39_220:
	v_cmp_ne_u16_e32 vcc, 0, v4
	s_andn2_b64 s[8:9], s[8:9], exec
	s_and_b64 s[12:13], vcc, exec
	s_or_b64 s[8:9], s[8:9], s[12:13]
	s_or_b64 exec, exec, s[0:1]
	v_mov_b32_e32 v3, 0
	s_and_saveexec_b64 s[0:1], s[8:9]
	s_cbranch_execnz .LBB39_201
	s_branch .LBB39_202
.LBB39_221:
	s_mov_b64 s[2:3], -1
                                        ; implicit-def: $vgpr3
.LBB39_222:
	s_mov_b64 s[8:9], 0
.LBB39_223:
	s_and_b64 vcc, exec, s[8:9]
	s_cbranch_vccz .LBB39_227
; %bb.224:
	s_cmp_eq_u32 s10, 11
	s_cbranch_scc0 .LBB39_226
; %bb.225:
	global_load_ubyte v3, v[1:2], off
	s_mov_b64 s[0:1], -1
	s_mov_b64 s[2:3], 0
	s_waitcnt vmcnt(0)
	v_cmp_ne_u16_e32 vcc, 0, v3
	v_cndmask_b32_e64 v3, 0, 1, vcc
	s_branch .LBB39_227
.LBB39_226:
	s_mov_b64 s[2:3], -1
                                        ; implicit-def: $vgpr3
.LBB39_227:
	s_branch .LBB39_24
.LBB39_228:
	s_cmp_lt_i32 s10, 5
	s_cbranch_scc1 .LBB39_233
; %bb.229:
	s_cmp_lt_i32 s10, 8
	s_cbranch_scc1 .LBB39_234
; %bb.230:
	;; [unrolled: 3-line block ×3, first 2 shown]
	s_cmp_gt_i32 s10, 9
	s_cbranch_scc0 .LBB39_236
; %bb.232:
	global_load_dwordx2 v[3:4], v[1:2], off
	s_mov_b64 s[0:1], 0
	s_waitcnt vmcnt(0)
	v_cvt_i32_f64_e32 v3, v[3:4]
	s_branch .LBB39_237
.LBB39_233:
                                        ; implicit-def: $vgpr3
	s_branch .LBB39_255
.LBB39_234:
	s_mov_b64 s[0:1], -1
                                        ; implicit-def: $vgpr3
	s_branch .LBB39_243
.LBB39_235:
	s_mov_b64 s[0:1], -1
                                        ; implicit-def: $vgpr3
	s_branch .LBB39_240
.LBB39_236:
	s_mov_b64 s[0:1], -1
                                        ; implicit-def: $vgpr3
.LBB39_237:
	s_andn2_b64 vcc, exec, s[0:1]
	s_cbranch_vccnz .LBB39_239
; %bb.238:
	global_load_dword v3, v[1:2], off
	s_waitcnt vmcnt(0)
	v_cvt_i32_f32_e32 v3, v3
.LBB39_239:
	s_mov_b64 s[0:1], 0
.LBB39_240:
	s_andn2_b64 vcc, exec, s[0:1]
	s_cbranch_vccnz .LBB39_242
; %bb.241:
	global_load_dword v3, v[1:2], off
	s_waitcnt vmcnt(0)
	v_cvt_f32_f16_e32 v3, v3
	v_cvt_i32_f32_e32 v3, v3
.LBB39_242:
	s_mov_b64 s[0:1], 0
.LBB39_243:
	s_andn2_b64 vcc, exec, s[0:1]
	s_cbranch_vccnz .LBB39_254
; %bb.244:
	s_cmp_lt_i32 s10, 6
	s_cbranch_scc1 .LBB39_247
; %bb.245:
	s_cmp_gt_i32 s10, 6
	s_cbranch_scc0 .LBB39_248
; %bb.246:
	global_load_dwordx2 v[3:4], v[1:2], off
	s_mov_b64 s[0:1], 0
	s_waitcnt vmcnt(0)
	v_cvt_i32_f64_e32 v3, v[3:4]
	s_branch .LBB39_249
.LBB39_247:
	s_mov_b64 s[0:1], -1
                                        ; implicit-def: $vgpr3
	s_branch .LBB39_252
.LBB39_248:
	s_mov_b64 s[0:1], -1
                                        ; implicit-def: $vgpr3
.LBB39_249:
	s_andn2_b64 vcc, exec, s[0:1]
	s_cbranch_vccnz .LBB39_251
; %bb.250:
	global_load_dword v3, v[1:2], off
	s_waitcnt vmcnt(0)
	v_cvt_i32_f32_e32 v3, v3
.LBB39_251:
	s_mov_b64 s[0:1], 0
.LBB39_252:
	s_andn2_b64 vcc, exec, s[0:1]
	s_cbranch_vccnz .LBB39_254
; %bb.253:
	global_load_ushort v3, v[1:2], off
	s_waitcnt vmcnt(0)
	v_cvt_f32_f16_e32 v3, v3
	v_cvt_i32_f32_e32 v3, v3
.LBB39_254:
	s_cbranch_execnz .LBB39_274
.LBB39_255:
	s_cmp_lt_i32 s10, 2
	s_cbranch_scc1 .LBB39_259
; %bb.256:
	s_cmp_lt_i32 s10, 3
	s_cbranch_scc1 .LBB39_260
; %bb.257:
	s_cmp_gt_i32 s10, 3
	s_cbranch_scc0 .LBB39_261
; %bb.258:
	global_load_dword v3, v[1:2], off
	s_mov_b64 s[0:1], 0
	s_branch .LBB39_262
.LBB39_259:
	s_mov_b64 s[0:1], -1
                                        ; implicit-def: $vgpr3
	s_branch .LBB39_268
.LBB39_260:
	s_mov_b64 s[0:1], -1
                                        ; implicit-def: $vgpr3
	s_branch .LBB39_265
.LBB39_261:
	s_mov_b64 s[0:1], -1
                                        ; implicit-def: $vgpr3
.LBB39_262:
	s_andn2_b64 vcc, exec, s[0:1]
	s_cbranch_vccnz .LBB39_264
; %bb.263:
	global_load_dword v3, v[1:2], off
.LBB39_264:
	s_mov_b64 s[0:1], 0
.LBB39_265:
	s_andn2_b64 vcc, exec, s[0:1]
	s_cbranch_vccnz .LBB39_267
; %bb.266:
	global_load_sshort v3, v[1:2], off
.LBB39_267:
	s_mov_b64 s[0:1], 0
.LBB39_268:
	s_andn2_b64 vcc, exec, s[0:1]
	s_cbranch_vccnz .LBB39_274
; %bb.269:
	s_cmp_gt_i32 s10, 0
	s_cbranch_scc0 .LBB39_271
; %bb.270:
	global_load_sbyte v3, v[1:2], off
	s_mov_b64 s[0:1], 0
	s_branch .LBB39_272
.LBB39_271:
	s_mov_b64 s[0:1], -1
                                        ; implicit-def: $vgpr3
.LBB39_272:
	s_andn2_b64 vcc, exec, s[0:1]
	s_cbranch_vccnz .LBB39_274
; %bb.273:
	global_load_ubyte v3, v[1:2], off
.LBB39_274:
	s_branch .LBB39_25
.LBB39_275:
	s_mov_b64 s[0:1], 0
.LBB39_276:
	s_mov_b64 s[8:9], 0
                                        ; implicit-def: $vgpr8
.LBB39_277:
	s_and_b64 s[54:55], s[0:1], exec
	s_and_b64 s[56:57], s[2:3], exec
	s_orn2_b64 s[2:3], s[8:9], exec
.LBB39_278:
	s_or_b64 exec, exec, s[58:59]
	s_mov_b64 s[10:11], 0
	s_mov_b64 s[0:1], 0
                                        ; implicit-def: $vgpr1_vgpr2
                                        ; implicit-def: $vgpr0
                                        ; implicit-def: $vgpr3
	s_and_saveexec_b64 s[58:59], s[2:3]
	s_cbranch_execz .LBB39_285
; %bb.279:
	v_cmp_gt_i32_e32 vcc, s72, v8
	s_mov_b64 s[0:1], -1
	s_mov_b64 s[60:61], s[56:57]
	s_mov_b64 s[62:63], s[54:55]
	s_and_saveexec_b64 s[64:65], vcc
	s_cbranch_execz .LBB39_566
; %bb.280:
	s_andn2_b64 vcc, exec, s[40:41]
	s_cbranch_vccnz .LBB39_288
; %bb.281:
	s_andn2_b64 vcc, exec, s[52:53]
	s_cbranch_vccnz .LBB39_289
; %bb.282:
	s_add_i32 s67, s77, 1
	s_cmp_eq_u32 s74, 2
	s_cbranch_scc1 .LBB39_290
; %bb.283:
	s_and_b32 s66, s67, 28
	v_mov_b32_e32 v2, 0
	s_mov_b32 s68, 0
	s_mov_b64 s[60:61], s[34:35]
	s_mov_b64 s[62:63], s[50:51]
	v_mov_b32_e32 v0, 0
	v_mov_b32_e32 v1, v8
.LBB39_284:                             ; =>This Inner Loop Header: Depth=1
	s_load_dwordx8 s[16:23], s[60:61], 0x4
	s_load_dwordx4 s[0:3], s[60:61], 0x24
	s_load_dwordx8 s[8:15], s[62:63], 0x0
	s_add_u32 s60, s60, 48
	s_addc_u32 s61, s61, 0
	s_waitcnt vmcnt(0) lgkmcnt(0)
	v_mul_hi_u32 v3, s17, v1
	s_add_i32 s68, s68, 4
	s_add_u32 s62, s62, 32
	s_addc_u32 s63, s63, 0
	v_add_u32_e32 v3, v1, v3
	v_lshrrev_b32_e32 v3, s18, v3
	v_mul_lo_u32 v4, v3, s16
	v_mul_hi_u32 v5, s20, v3
	s_cmp_eq_u32 s66, s68
	v_sub_u32_e32 v1, v1, v4
	v_add_u32_e32 v4, v3, v5
	v_mul_lo_u32 v5, v1, s8
	v_mul_lo_u32 v6, v1, s9
	v_lshrrev_b32_e32 v1, s21, v4
	v_mul_lo_u32 v4, v1, s19
	v_mul_hi_u32 v7, s23, v1
	v_sub_u32_e32 v3, v3, v4
	v_add_u32_e32 v4, v1, v7
	v_lshrrev_b32_e32 v4, s0, v4
	v_mul_hi_u32 v9, s2, v4
	v_mul_lo_u32 v10, v4, s22
	v_mul_lo_u32 v7, v3, s10
	;; [unrolled: 1-line block ×3, first 2 shown]
	v_sub_u32_e32 v10, v1, v10
	v_add_u32_e32 v1, v4, v9
	v_lshrrev_b32_e32 v1, s3, v1
	v_mul_lo_u32 v9, v1, s1
	v_mul_lo_u32 v11, v10, s12
	v_mul_lo_u32 v10, v10, s13
	v_add3_u32 v0, v5, v0, v7
	v_sub_u32_e32 v4, v4, v9
	v_mul_lo_u32 v9, v4, s14
	v_mul_lo_u32 v4, v4, s15
	v_add3_u32 v2, v6, v2, v3
	v_add3_u32 v0, v11, v0, v9
	;; [unrolled: 1-line block ×3, first 2 shown]
	s_cbranch_scc0 .LBB39_284
	s_branch .LBB39_291
.LBB39_285:
	s_or_b64 exec, exec, s[58:59]
	s_mov_b64 s[2:3], 0
	s_and_saveexec_b64 s[8:9], s[56:57]
	s_cbranch_execnz .LBB39_951
.LBB39_286:
	s_or_b64 exec, exec, s[8:9]
	s_and_saveexec_b64 s[8:9], s[62:63]
	s_xor_b64 s[8:9], exec, s[8:9]
	s_cbranch_execz .LBB39_952
.LBB39_287:
	global_load_ubyte v3, v[1:2], off
	s_or_b64 s[0:1], s[0:1], exec
	s_waitcnt vmcnt(0)
	v_cmp_ne_u16_e32 vcc, 0, v3
	v_cndmask_b32_e64 v3, 0, 1, vcc
	s_or_b64 exec, exec, s[8:9]
	s_and_saveexec_b64 s[8:9], s[10:11]
	s_cbranch_execz .LBB39_998
	s_branch .LBB39_953
.LBB39_288:
                                        ; implicit-def: $vgpr0
                                        ; implicit-def: $vgpr2
	s_andn2_b64 vcc, exec, s[0:1]
	s_cbranch_vccz .LBB39_295
	s_branch .LBB39_297
.LBB39_289:
	v_mov_b32_e32 v0, 0
	v_mov_b32_e32 v2, 0
	s_branch .LBB39_294
.LBB39_290:
	s_mov_b32 s66, 0
	v_mov_b32_e32 v0, 0
	v_mov_b32_e32 v2, 0
	;; [unrolled: 1-line block ×3, first 2 shown]
.LBB39_291:
	s_and_b32 s8, s67, 3
	s_cmp_eq_u32 s8, 0
	s_cbranch_scc1 .LBB39_294
; %bb.292:
	s_lshl_b32 s0, s66, 3
	s_add_u32 s0, s34, s0
	s_addc_u32 s1, s35, 0
	s_add_u32 s0, s0, 0xc4
	s_addc_u32 s1, s1, 0
	s_mul_i32 s2, s66, 12
	s_add_u32 s2, s34, s2
	s_addc_u32 s3, s35, 0
.LBB39_293:                             ; =>This Inner Loop Header: Depth=1
	s_load_dwordx2 s[10:11], s[2:3], 0x4
	s_load_dword s9, s[2:3], 0xc
	s_load_dwordx2 s[12:13], s[0:1], 0x0
	s_add_u32 s2, s2, 12
	s_addc_u32 s3, s3, 0
	s_waitcnt vmcnt(0) lgkmcnt(0)
	v_mul_hi_u32 v3, s11, v1
	s_add_u32 s0, s0, 8
	s_addc_u32 s1, s1, 0
	s_add_i32 s8, s8, -1
	v_add_u32_e32 v3, v1, v3
	v_lshrrev_b32_e32 v4, s9, v3
	v_mul_lo_u32 v3, v4, s10
	s_cmp_lg_u32 s8, 0
	v_sub_u32_e32 v3, v1, v3
	v_mad_u64_u32 v[0:1], s[10:11], v3, s12, v[0:1]
	v_mad_u64_u32 v[2:3], s[10:11], v3, s13, v[2:3]
	v_mov_b32_e32 v1, v4
	s_cbranch_scc1 .LBB39_293
.LBB39_294:
	s_cbranch_execnz .LBB39_297
.LBB39_295:
	v_mul_hi_u32 v0, s29, v8
	s_andn2_b64 vcc, exec, s[48:49]
	v_add_u32_e32 v0, v8, v0
	v_lshrrev_b32_e32 v1, s30, v0
	v_mul_lo_u32 v0, v1, s28
	v_sub_u32_e32 v2, v8, v0
	v_mul_lo_u32 v0, v2, s36
	v_mul_lo_u32 v2, v2, s37
	s_cbranch_vccnz .LBB39_297
; %bb.296:
	s_waitcnt vmcnt(0)
	v_mul_hi_u32 v3, s46, v1
	v_add_u32_e32 v3, v1, v3
	v_lshrrev_b32_e32 v3, s47, v3
	v_mul_lo_u32 v3, v3, s31
	v_sub_u32_e32 v3, v1, v3
	v_mad_u64_u32 v[0:1], s[0:1], v3, s38, v[0:1]
	v_mad_u64_u32 v[2:3], s[0:1], v3, s39, v[2:3]
.LBB39_297:
	s_waitcnt vmcnt(0)
	v_mov_b32_e32 v3, s27
	s_and_b32 s10, 0xffff, s76
	v_add_co_u32_e32 v1, vcc, s26, v2
	s_cmp_lt_i32 s10, 11
	v_addc_co_u32_e32 v2, vcc, 0, v3, vcc
	s_cbranch_scc1 .LBB39_304
; %bb.298:
	s_cmp_gt_i32 s10, 25
	s_cbranch_scc0 .LBB39_310
; %bb.299:
	s_cmp_gt_i32 s10, 28
	s_cbranch_scc0 .LBB39_314
	;; [unrolled: 3-line block ×4, first 2 shown]
; %bb.302:
	s_cmp_eq_u32 s10, 46
	s_mov_b64 s[8:9], 0
	s_cbranch_scc0 .LBB39_341
; %bb.303:
	global_load_dword v3, v[1:2], off
	s_mov_b64 s[0:1], -1
	s_mov_b64 s[2:3], 0
	s_waitcnt vmcnt(0)
	v_lshlrev_b32_e32 v3, 16, v3
	v_cvt_i32_f32_e32 v3, v3
	s_branch .LBB39_342
.LBB39_304:
	s_mov_b64 s[0:1], 0
                                        ; implicit-def: $vgpr3
	s_mov_b64 s[2:3], s[56:57]
	s_cbranch_execnz .LBB39_515
.LBB39_305:
	s_andn2_b64 vcc, exec, s[0:1]
	s_cbranch_vccnz .LBB39_563
.LBB39_306:
	s_cmp_lt_i32 s44, 1
	s_mov_b64 s[0:1], 0
	s_cbranch_scc1 .LBB39_311
; %bb.307:
	s_cmp_gt_i32 s44, 1
	s_cbranch_scc0 .LBB39_315
; %bb.308:
	s_cmp_eq_u32 s44, 2
	s_cbranch_scc0 .LBB39_317
; %bb.309:
	s_waitcnt vmcnt(0)
	v_cmp_ge_i32_e64 s[8:9], s45, v3
	s_mov_b64 s[10:11], 0
	s_branch .LBB39_318
.LBB39_310:
	s_mov_b64 s[8:9], -1
	s_mov_b64 s[0:1], 0
	s_mov_b64 s[2:3], s[56:57]
                                        ; implicit-def: $vgpr3
	s_branch .LBB39_481
.LBB39_311:
                                        ; implicit-def: $sgpr8_sgpr9
	s_mov_b64 s[10:11], 0
	s_cbranch_execnz .LBB39_322
.LBB39_312:
	s_andn2_b64 vcc, exec, s[10:11]
	s_cbranch_vccnz .LBB39_323
.LBB39_313:
	s_waitcnt vmcnt(0)
	v_cmp_gt_i32_e32 vcc, s45, v3
	s_andn2_b64 s[8:9], s[8:9], exec
	s_and_b64 s[10:11], vcc, exec
	s_or_b64 s[8:9], s[8:9], s[10:11]
	s_cbranch_execz .LBB39_324
	s_branch .LBB39_325
.LBB39_314:
	s_mov_b64 s[8:9], -1
	s_mov_b64 s[0:1], 0
	s_mov_b64 s[2:3], s[56:57]
                                        ; implicit-def: $vgpr3
	s_branch .LBB39_464
.LBB39_315:
	s_mov_b64 s[12:13], -1
	s_mov_b64 s[10:11], 0
                                        ; implicit-def: $sgpr8_sgpr9
	s_branch .LBB39_319
.LBB39_316:
	s_mov_b64 s[8:9], -1
	s_mov_b64 s[0:1], 0
	s_mov_b64 s[2:3], s[56:57]
                                        ; implicit-def: $vgpr3
	s_branch .LBB39_459
.LBB39_317:
	s_mov_b64 s[10:11], -1
                                        ; implicit-def: $sgpr8_sgpr9
.LBB39_318:
	s_mov_b64 s[12:13], 0
.LBB39_319:
	s_and_b64 vcc, exec, s[12:13]
	s_cbranch_vccz .LBB39_321
; %bb.320:
	s_waitcnt vmcnt(0)
	v_cmp_lt_i32_e32 vcc, s45, v3
	s_andn2_b64 s[8:9], s[8:9], exec
	s_and_b64 s[12:13], vcc, exec
	s_or_b64 s[8:9], s[8:9], s[12:13]
.LBB39_321:
	s_branch .LBB39_312
.LBB39_322:
	s_cmp_lg_u32 s44, 0
	s_mov_b64 s[0:1], -1
	s_cselect_b64 s[10:11], -1, 0
	s_andn2_b64 vcc, exec, s[10:11]
	s_cbranch_vccz .LBB39_313
.LBB39_323:
	s_andn2_b64 vcc, exec, s[0:1]
	s_cbranch_vccnz .LBB39_325
.LBB39_324:
	s_waitcnt vmcnt(0)
	v_cmp_le_i32_e32 vcc, s45, v3
	s_andn2_b64 s[0:1], s[8:9], exec
	s_and_b64 s[8:9], vcc, exec
	s_or_b64 s[8:9], s[0:1], s[8:9]
.LBB39_325:
	v_mov_b32_e32 v1, s25
	s_and_b32 s16, s75, 0xff
	v_add_co_u32_e32 v0, vcc, s24, v0
	s_cmp_lt_i32 s16, 11
	v_addc_co_u32_e32 v1, vcc, 0, v1, vcc
	s_cbranch_scc1 .LBB39_332
; %bb.326:
	s_and_b32 s17, 0xffff, s16
	s_cmp_gt_i32 s17, 25
	s_cbranch_scc0 .LBB39_333
; %bb.327:
	s_cmp_gt_i32 s17, 28
	s_cbranch_scc0 .LBB39_334
; %bb.328:
	;; [unrolled: 3-line block ×4, first 2 shown]
	s_mov_b64 s[12:13], 0
	s_mov_b64 s[0:1], -1
	s_cmp_eq_u32 s17, 46
	s_mov_b64 s[10:11], 0
	s_cbranch_scc0 .LBB39_346
; %bb.331:
	v_cndmask_b32_e64 v2, 0, 1.0, s[8:9]
	s_waitcnt vmcnt(0)
	v_bfe_u32 v3, v2, 16, 1
	s_movk_i32 s0, 0x7fff
	v_add3_u32 v2, v2, v3, s0
	v_lshrrev_b32_e32 v2, 16, v2
	global_store_dword v[0:1], v2, off
	s_mov_b64 s[10:11], -1
	s_mov_b64 s[0:1], 0
	s_branch .LBB39_346
.LBB39_332:
	s_mov_b64 s[12:13], -1
	s_mov_b64 s[10:11], 0
	s_mov_b64 s[0:1], s[54:55]
	s_branch .LBB39_415
.LBB39_333:
	s_mov_b64 s[12:13], -1
	s_mov_b64 s[10:11], 0
	s_mov_b64 s[0:1], s[54:55]
	s_branch .LBB39_373
.LBB39_334:
	s_mov_b64 s[12:13], -1
	s_mov_b64 s[10:11], 0
	s_mov_b64 s[0:1], s[54:55]
	s_branch .LBB39_356
.LBB39_335:
	s_andn2_saveexec_b64 s[14:15], s[14:15]
	s_cbranch_execz .LBB39_84
.LBB39_336:
	v_add_f32_e32 v2, 0x46000000, v3
	v_and_b32_e32 v2, 0xff, v2
	v_cmp_ne_u32_e32 vcc, 0, v2
	s_andn2_b64 s[12:13], s[12:13], exec
	s_and_b64 s[18:19], vcc, exec
	s_or_b64 s[12:13], s[12:13], s[18:19]
	s_or_b64 exec, exec, s[14:15]
	v_mov_b32_e32 v4, 0
	s_and_saveexec_b64 s[14:15], s[12:13]
	s_cbranch_execnz .LBB39_85
	s_branch .LBB39_86
.LBB39_337:
	s_mov_b64 s[8:9], -1
	s_mov_b64 s[0:1], 0
	s_mov_b64 s[2:3], s[56:57]
                                        ; implicit-def: $vgpr3
	s_branch .LBB39_342
.LBB39_338:
	s_mov_b64 s[12:13], -1
	s_mov_b64 s[10:11], 0
	s_mov_b64 s[0:1], s[54:55]
	s_branch .LBB39_352
.LBB39_339:
	s_andn2_saveexec_b64 s[14:15], s[14:15]
	s_cbranch_execz .LBB39_97
.LBB39_340:
	v_add_f32_e32 v2, 0x42800000, v3
	v_and_b32_e32 v2, 0xff, v2
	v_cmp_ne_u32_e32 vcc, 0, v2
	s_andn2_b64 s[12:13], s[12:13], exec
	s_and_b64 s[18:19], vcc, exec
	s_or_b64 s[12:13], s[12:13], s[18:19]
	s_or_b64 exec, exec, s[14:15]
	v_mov_b32_e32 v4, 0
	s_and_saveexec_b64 s[14:15], s[12:13]
	s_cbranch_execnz .LBB39_98
	s_branch .LBB39_99
.LBB39_341:
	s_mov_b64 s[2:3], -1
                                        ; implicit-def: $vgpr3
	s_mov_b64 s[0:1], 0
.LBB39_342:
	s_and_b64 vcc, exec, s[8:9]
	s_cbranch_vccz .LBB39_458
; %bb.343:
	s_cmp_eq_u32 s10, 44
	s_cbranch_scc0 .LBB39_457
; %bb.344:
	global_load_ubyte v3, v[1:2], off
	s_mov_b64 s[0:1], -1
	s_mov_b64 s[2:3], 0
	s_waitcnt vmcnt(0)
	v_lshlrev_b32_e32 v4, 23, v3
	v_cvt_i32_f32_e32 v4, v4
	v_cmp_ne_u32_e32 vcc, 0, v3
	v_cndmask_b32_e32 v3, 0, v4, vcc
	s_branch .LBB39_458
.LBB39_345:
	s_mov_b64 s[12:13], -1
	s_mov_b64 s[10:11], 0
	s_mov_b64 s[0:1], s[54:55]
.LBB39_346:
	s_and_b64 vcc, exec, s[12:13]
	s_cbranch_vccz .LBB39_351
; %bb.347:
	s_cmp_eq_u32 s17, 44
	s_mov_b64 s[0:1], -1
	s_cbranch_scc0 .LBB39_351
; %bb.348:
	s_waitcnt vmcnt(0)
	v_cndmask_b32_e64 v3, 0, 1.0, s[8:9]
	v_lshrrev_b32_e32 v2, 23, v3
	s_movk_i32 s0, 0xff
	v_cmp_ne_u32_e32 vcc, s0, v2
	v_mov_b32_e32 v4, 0xff
	s_and_saveexec_b64 s[10:11], vcc
; %bb.349:
	s_mov_b32 s0, 0x3fffff
	v_and_b32_e32 v4, 0x400000, v3
	v_and_or_b32 v3, v3, s0, v2
	v_cmp_ne_u32_e32 vcc, 0, v4
	v_cmp_ne_u32_e64 s[0:1], 0, v3
	s_and_b64 s[0:1], vcc, s[0:1]
	v_cndmask_b32_e64 v3, 0, 1, s[0:1]
	v_add_u32_e32 v4, v2, v3
; %bb.350:
	s_or_b64 exec, exec, s[10:11]
	s_mov_b64 s[10:11], -1
	s_mov_b64 s[0:1], 0
	global_store_byte v[0:1], v4, off
.LBB39_351:
	s_mov_b64 s[12:13], 0
.LBB39_352:
	s_and_b64 vcc, exec, s[12:13]
	s_cbranch_vccz .LBB39_355
; %bb.353:
	s_cmp_eq_u32 s17, 29
	s_mov_b64 s[0:1], -1
	s_cbranch_scc0 .LBB39_355
; %bb.354:
	s_mov_b32 s0, 0
	v_cndmask_b32_e64 v2, 0, 1, s[8:9]
	s_waitcnt vmcnt(0)
	v_mov_b32_e32 v3, s0
	global_store_dwordx2 v[0:1], v[2:3], off
	s_mov_b64 s[10:11], -1
	s_mov_b64 s[0:1], 0
.LBB39_355:
	s_mov_b64 s[12:13], 0
.LBB39_356:
	s_and_b64 vcc, exec, s[12:13]
	s_cbranch_vccz .LBB39_372
; %bb.357:
	s_cmp_lt_i32 s17, 27
	s_mov_b64 s[10:11], -1
	s_cbranch_scc1 .LBB39_363
; %bb.358:
	s_cmp_gt_i32 s17, 27
	s_cbranch_scc0 .LBB39_360
; %bb.359:
	v_cndmask_b32_e64 v2, 0, 1, s[8:9]
	s_mov_b64 s[10:11], 0
	global_store_dword v[0:1], v2, off
.LBB39_360:
	s_andn2_b64 vcc, exec, s[10:11]
	s_cbranch_vccnz .LBB39_362
; %bb.361:
	v_cndmask_b32_e64 v2, 0, 1, s[8:9]
	global_store_short v[0:1], v2, off
.LBB39_362:
	s_mov_b64 s[10:11], 0
.LBB39_363:
	s_andn2_b64 vcc, exec, s[10:11]
	s_cbranch_vccnz .LBB39_371
; %bb.364:
	s_waitcnt vmcnt(0)
	v_cndmask_b32_e64 v3, 0, 1.0, s[8:9]
	s_mov_b32 s10, 0x43800000
	v_cmp_gt_u32_e32 vcc, s10, v3
	v_mov_b32_e32 v4, 0x80
	s_and_saveexec_b64 s[10:11], vcc
	s_cbranch_execz .LBB39_370
; %bb.365:
	s_mov_b32 s12, 0x3bffffff
	v_cmp_lt_u32_e32 vcc, s12, v3
	s_mov_b64 s[12:13], 0
                                        ; implicit-def: $vgpr2
	s_and_saveexec_b64 s[14:15], vcc
	s_xor_b64 s[14:15], exec, s[14:15]
	s_cbranch_execz .LBB39_594
; %bb.366:
	v_bfe_u32 v2, v3, 20, 1
	s_mov_b32 s18, 0x487ffff
	v_add3_u32 v2, v3, v2, s18
	s_mov_b64 s[12:13], exec
	v_lshrrev_b32_e32 v2, 20, v2
                                        ; implicit-def: $vgpr3
	s_andn2_saveexec_b64 s[14:15], s[14:15]
	s_cbranch_execnz .LBB39_595
.LBB39_367:
	s_or_b64 exec, exec, s[14:15]
	v_mov_b32_e32 v4, 0
	s_and_saveexec_b64 s[14:15], s[12:13]
.LBB39_368:
	v_mov_b32_e32 v4, v2
.LBB39_369:
	s_or_b64 exec, exec, s[14:15]
.LBB39_370:
	s_or_b64 exec, exec, s[10:11]
	global_store_byte v[0:1], v4, off
.LBB39_371:
	s_mov_b64 s[10:11], -1
.LBB39_372:
	s_mov_b64 s[12:13], 0
.LBB39_373:
	s_and_b64 vcc, exec, s[12:13]
	s_cbranch_vccz .LBB39_414
; %bb.374:
	s_cmp_gt_i32 s17, 22
	s_mov_b64 s[12:13], -1
	s_cbranch_scc0 .LBB39_406
; %bb.375:
	s_cmp_lt_i32 s17, 24
	s_mov_b64 s[10:11], -1
	s_cbranch_scc1 .LBB39_395
; %bb.376:
	s_cmp_gt_i32 s17, 24
	s_cbranch_scc0 .LBB39_384
; %bb.377:
	s_waitcnt vmcnt(0)
	v_cndmask_b32_e64 v3, 0, 1.0, s[8:9]
	s_mov_b32 s10, 0x47800000
	v_cmp_gt_u32_e32 vcc, s10, v3
	v_mov_b32_e32 v4, 0x80
	s_and_saveexec_b64 s[10:11], vcc
	s_cbranch_execz .LBB39_383
; %bb.378:
	s_mov_b32 s12, 0x37ffffff
	v_cmp_lt_u32_e32 vcc, s12, v3
	s_mov_b64 s[12:13], 0
                                        ; implicit-def: $vgpr2
	s_and_saveexec_b64 s[14:15], vcc
	s_xor_b64 s[14:15], exec, s[14:15]
	s_cbranch_execz .LBB39_597
; %bb.379:
	v_bfe_u32 v2, v3, 21, 1
	s_mov_b32 s18, 0x88fffff
	v_add3_u32 v2, v3, v2, s18
	s_mov_b64 s[12:13], exec
	v_lshrrev_b32_e32 v2, 21, v2
                                        ; implicit-def: $vgpr3
	s_andn2_saveexec_b64 s[14:15], s[14:15]
	s_cbranch_execnz .LBB39_598
.LBB39_380:
	s_or_b64 exec, exec, s[14:15]
	v_mov_b32_e32 v4, 0
	s_and_saveexec_b64 s[14:15], s[12:13]
.LBB39_381:
	v_mov_b32_e32 v4, v2
.LBB39_382:
	s_or_b64 exec, exec, s[14:15]
.LBB39_383:
	s_or_b64 exec, exec, s[10:11]
	s_mov_b64 s[10:11], 0
	global_store_byte v[0:1], v4, off
.LBB39_384:
	s_and_b64 vcc, exec, s[10:11]
	s_cbranch_vccz .LBB39_394
; %bb.385:
	v_cndmask_b32_e64 v2, 0, 1.0, s[8:9]
	s_mov_b32 s10, 0x43f00000
	v_cmp_gt_u32_e32 vcc, s10, v2
                                        ; implicit-def: $vgpr3
	s_and_saveexec_b64 s[10:11], vcc
	s_xor_b64 s[10:11], exec, s[10:11]
	s_cbranch_execz .LBB39_391
; %bb.386:
	s_mov_b32 s12, 0x3c7fffff
	v_cmp_lt_u32_e32 vcc, s12, v2
                                        ; implicit-def: $vgpr3
	s_and_saveexec_b64 s[12:13], vcc
	s_xor_b64 s[12:13], exec, s[12:13]
	s_cbranch_execz .LBB39_388
; %bb.387:
	s_waitcnt vmcnt(0)
	v_bfe_u32 v3, v2, 20, 1
	s_mov_b32 s14, 0x407ffff
	v_add3_u32 v2, v2, v3, s14
	v_lshrrev_b32_e32 v3, 20, v2
	v_and_b32_e32 v2, 0xff00000, v2
	s_mov_b32 s14, 0x7f00000
	v_mov_b32_e32 v4, 0x7e
	v_cmp_ne_u32_e32 vcc, s14, v2
	v_cndmask_b32_e32 v3, v4, v3, vcc
                                        ; implicit-def: $vgpr2
.LBB39_388:
	s_andn2_saveexec_b64 s[12:13], s[12:13]
	s_cbranch_execz .LBB39_390
; %bb.389:
	s_waitcnt vmcnt(0)
	v_add_f32_e32 v3, 0x46800000, v2
.LBB39_390:
	s_or_b64 exec, exec, s[12:13]
                                        ; implicit-def: $vgpr2
.LBB39_391:
	s_andn2_saveexec_b64 s[10:11], s[10:11]
	s_cbranch_execz .LBB39_393
; %bb.392:
	s_mov_b32 s12, 0x7f800000
	s_waitcnt vmcnt(0)
	v_mov_b32_e32 v3, 0x7e
	v_mov_b32_e32 v4, 0x7f
	v_cmp_lt_u32_e32 vcc, s12, v2
	v_cndmask_b32_e32 v3, v3, v4, vcc
.LBB39_393:
	s_or_b64 exec, exec, s[10:11]
	s_waitcnt vmcnt(0)
	global_store_byte v[0:1], v3, off
.LBB39_394:
	s_mov_b64 s[10:11], 0
.LBB39_395:
	s_andn2_b64 vcc, exec, s[10:11]
	s_cbranch_vccnz .LBB39_405
; %bb.396:
	v_cndmask_b32_e64 v2, 0, 1.0, s[8:9]
	s_mov_b32 s10, 0x47800000
	v_cmp_gt_u32_e32 vcc, s10, v2
                                        ; implicit-def: $vgpr3
	s_and_saveexec_b64 s[10:11], vcc
	s_xor_b64 s[10:11], exec, s[10:11]
	s_cbranch_execz .LBB39_402
; %bb.397:
	s_mov_b32 s12, 0x387fffff
	v_cmp_lt_u32_e32 vcc, s12, v2
                                        ; implicit-def: $vgpr3
	s_and_saveexec_b64 s[12:13], vcc
	s_xor_b64 s[12:13], exec, s[12:13]
	s_cbranch_execz .LBB39_399
; %bb.398:
	s_waitcnt vmcnt(0)
	v_bfe_u32 v3, v2, 21, 1
	s_mov_b32 s14, 0x80fffff
	v_add3_u32 v2, v2, v3, s14
	v_lshrrev_b32_e32 v3, 21, v2
                                        ; implicit-def: $vgpr2
.LBB39_399:
	s_andn2_saveexec_b64 s[12:13], s[12:13]
	s_cbranch_execz .LBB39_401
; %bb.400:
	s_waitcnt vmcnt(0)
	v_add_f32_e32 v3, 0x43000000, v2
.LBB39_401:
	s_or_b64 exec, exec, s[12:13]
                                        ; implicit-def: $vgpr2
.LBB39_402:
	s_andn2_saveexec_b64 s[10:11], s[10:11]
	s_cbranch_execz .LBB39_404
; %bb.403:
	s_mov_b32 s12, 0x7f800000
	s_waitcnt vmcnt(0)
	v_mov_b32_e32 v3, 0x7c
	v_mov_b32_e32 v4, 0x7f
	v_cmp_lt_u32_e32 vcc, s12, v2
	v_cndmask_b32_e32 v3, v3, v4, vcc
.LBB39_404:
	s_or_b64 exec, exec, s[10:11]
	s_waitcnt vmcnt(0)
	global_store_byte v[0:1], v3, off
.LBB39_405:
	s_mov_b64 s[12:13], 0
	s_mov_b64 s[10:11], -1
.LBB39_406:
	s_andn2_b64 vcc, exec, s[12:13]
	s_cbranch_vccnz .LBB39_414
; %bb.407:
	s_cmp_gt_i32 s17, 14
	s_mov_b64 s[12:13], -1
	s_cbranch_scc0 .LBB39_411
; %bb.408:
	s_cmp_eq_u32 s17, 15
	s_mov_b64 s[0:1], -1
	s_cbranch_scc0 .LBB39_410
; %bb.409:
	v_cndmask_b32_e64 v2, 0, 1.0, s[8:9]
	s_waitcnt vmcnt(0)
	v_bfe_u32 v3, v2, 16, 1
	s_movk_i32 s0, 0x7fff
	v_add3_u32 v2, v2, v3, s0
	global_store_short_d16_hi v[0:1], v2, off
	s_mov_b64 s[10:11], -1
	s_mov_b64 s[0:1], 0
.LBB39_410:
	s_mov_b64 s[12:13], 0
.LBB39_411:
	s_and_b64 vcc, exec, s[12:13]
	s_cbranch_vccz .LBB39_414
; %bb.412:
	s_cmp_eq_u32 s17, 11
	s_mov_b64 s[0:1], -1
	s_cbranch_scc0 .LBB39_414
; %bb.413:
	v_cndmask_b32_e64 v2, 0, 1, s[8:9]
	s_mov_b64 s[10:11], -1
	s_mov_b64 s[0:1], 0
	global_store_byte v[0:1], v2, off
.LBB39_414:
	s_mov_b64 s[12:13], 0
.LBB39_415:
	s_and_b64 vcc, exec, s[12:13]
	s_cbranch_vccz .LBB39_454
; %bb.416:
	s_and_b32 s12, 0xffff, s16
	s_cmp_lt_i32 s12, 5
	s_mov_b64 s[10:11], -1
	s_cbranch_scc1 .LBB39_437
; %bb.417:
	s_cmp_lt_i32 s12, 8
	s_cbranch_scc1 .LBB39_427
; %bb.418:
	s_cmp_lt_i32 s12, 9
	s_cbranch_scc1 .LBB39_424
; %bb.419:
	s_cmp_gt_i32 s12, 9
	s_cbranch_scc0 .LBB39_421
; %bb.420:
	v_cndmask_b32_e64 v2, 0, 1, s[8:9]
	s_waitcnt vmcnt(0)
	v_cvt_f64_u32_e32 v[2:3], v2
	v_mov_b32_e32 v4, 0
	v_mov_b32_e32 v5, v4
	s_mov_b64 s[10:11], 0
	global_store_dwordx4 v[0:1], v[2:5], off
.LBB39_421:
	s_andn2_b64 vcc, exec, s[10:11]
	s_cbranch_vccnz .LBB39_423
; %bb.422:
	v_cndmask_b32_e64 v2, 0, 1.0, s[8:9]
	s_waitcnt vmcnt(0)
	v_mov_b32_e32 v3, 0
	global_store_dwordx2 v[0:1], v[2:3], off
.LBB39_423:
	s_mov_b64 s[10:11], 0
.LBB39_424:
	s_andn2_b64 vcc, exec, s[10:11]
	s_cbranch_vccnz .LBB39_426
; %bb.425:
	v_cndmask_b32_e64 v2, 0, 1.0, s[8:9]
	v_cvt_f16_f32_e32 v2, v2
	global_store_dword v[0:1], v2, off
.LBB39_426:
	s_mov_b64 s[10:11], 0
.LBB39_427:
	s_andn2_b64 vcc, exec, s[10:11]
	s_cbranch_vccnz .LBB39_436
; %bb.428:
	s_cmp_lt_i32 s12, 6
	s_mov_b64 s[10:11], -1
	s_cbranch_scc1 .LBB39_434
; %bb.429:
	s_cmp_gt_i32 s12, 6
	s_cbranch_scc0 .LBB39_431
; %bb.430:
	v_cndmask_b32_e64 v2, 0, 1, s[8:9]
	s_waitcnt vmcnt(0)
	v_cvt_f64_u32_e32 v[2:3], v2
	s_mov_b64 s[10:11], 0
	global_store_dwordx2 v[0:1], v[2:3], off
.LBB39_431:
	s_andn2_b64 vcc, exec, s[10:11]
	s_cbranch_vccnz .LBB39_433
; %bb.432:
	v_cndmask_b32_e64 v2, 0, 1.0, s[8:9]
	global_store_dword v[0:1], v2, off
.LBB39_433:
	s_mov_b64 s[10:11], 0
.LBB39_434:
	s_andn2_b64 vcc, exec, s[10:11]
	s_cbranch_vccnz .LBB39_436
; %bb.435:
	v_cndmask_b32_e64 v2, 0, 1.0, s[8:9]
	v_cvt_f16_f32_e32 v2, v2
	global_store_short v[0:1], v2, off
.LBB39_436:
	s_mov_b64 s[10:11], 0
.LBB39_437:
	s_andn2_b64 vcc, exec, s[10:11]
	s_cbranch_vccnz .LBB39_453
; %bb.438:
	s_cmp_lt_i32 s12, 2
	s_mov_b64 s[10:11], -1
	s_cbranch_scc1 .LBB39_448
; %bb.439:
	s_cmp_lt_i32 s12, 3
	s_cbranch_scc1 .LBB39_445
; %bb.440:
	s_cmp_gt_i32 s12, 3
	s_cbranch_scc0 .LBB39_442
; %bb.441:
	s_mov_b32 s10, 0
	v_cndmask_b32_e64 v2, 0, 1, s[8:9]
	s_waitcnt vmcnt(0)
	v_mov_b32_e32 v3, s10
	s_mov_b64 s[10:11], 0
	global_store_dwordx2 v[0:1], v[2:3], off
.LBB39_442:
	s_andn2_b64 vcc, exec, s[10:11]
	s_cbranch_vccnz .LBB39_444
; %bb.443:
	v_cndmask_b32_e64 v2, 0, 1, s[8:9]
	global_store_dword v[0:1], v2, off
.LBB39_444:
	s_mov_b64 s[10:11], 0
.LBB39_445:
	s_andn2_b64 vcc, exec, s[10:11]
	s_cbranch_vccnz .LBB39_447
; %bb.446:
	v_cndmask_b32_e64 v2, 0, 1, s[8:9]
	global_store_short v[0:1], v2, off
.LBB39_447:
	s_mov_b64 s[10:11], 0
.LBB39_448:
	s_andn2_b64 vcc, exec, s[10:11]
	s_cbranch_vccnz .LBB39_453
; %bb.449:
	s_mov_b64 s[10:11], -1
	s_cmp_gt_i32 s12, 0
	v_cndmask_b32_e64 v2, 0, 1, s[8:9]
	s_cbranch_scc0 .LBB39_451
; %bb.450:
	s_mov_b64 s[10:11], 0
	global_store_byte v[0:1], v2, off
.LBB39_451:
	s_andn2_b64 vcc, exec, s[10:11]
	s_cbranch_vccnz .LBB39_453
; %bb.452:
	global_store_byte v[0:1], v2, off
.LBB39_453:
	s_mov_b64 s[10:11], -1
.LBB39_454:
	s_andn2_b64 vcc, exec, s[10:11]
	s_cbranch_vccnz .LBB39_456
; %bb.455:
	v_add_u32_e32 v8, 0x80, v8
	s_mov_b64 s[8:9], -1
	s_branch .LBB39_565
.LBB39_456:
	s_mov_b64 s[8:9], 0
	s_branch .LBB39_564
.LBB39_457:
	s_mov_b64 s[2:3], -1
                                        ; implicit-def: $vgpr3
.LBB39_458:
	s_mov_b64 s[8:9], 0
.LBB39_459:
	s_and_b64 vcc, exec, s[8:9]
	s_cbranch_vccz .LBB39_463
; %bb.460:
	s_cmp_eq_u32 s10, 29
	s_cbranch_scc0 .LBB39_462
; %bb.461:
	global_load_dword v3, v[1:2], off
	s_mov_b64 s[0:1], -1
	s_mov_b64 s[2:3], 0
	s_branch .LBB39_463
.LBB39_462:
	s_mov_b64 s[2:3], -1
                                        ; implicit-def: $vgpr3
.LBB39_463:
	s_mov_b64 s[8:9], 0
.LBB39_464:
	s_and_b64 vcc, exec, s[8:9]
	s_cbranch_vccz .LBB39_480
; %bb.465:
	s_cmp_lt_i32 s10, 27
	s_cbranch_scc1 .LBB39_468
; %bb.466:
	s_cmp_gt_i32 s10, 27
	s_cbranch_scc0 .LBB39_469
; %bb.467:
	global_load_dword v3, v[1:2], off
	s_mov_b64 s[0:1], 0
	s_branch .LBB39_470
.LBB39_468:
	s_mov_b64 s[0:1], -1
                                        ; implicit-def: $vgpr3
	s_branch .LBB39_473
.LBB39_469:
	s_mov_b64 s[0:1], -1
                                        ; implicit-def: $vgpr3
.LBB39_470:
	s_andn2_b64 vcc, exec, s[0:1]
	s_cbranch_vccnz .LBB39_472
; %bb.471:
	global_load_ushort v3, v[1:2], off
.LBB39_472:
	s_mov_b64 s[0:1], 0
.LBB39_473:
	s_andn2_b64 vcc, exec, s[0:1]
	s_cbranch_vccnz .LBB39_479
; %bb.474:
	global_load_ubyte v4, v[1:2], off
	s_movk_i32 s0, 0x7f
	s_mov_b64 s[8:9], 0
	s_waitcnt vmcnt(0)
	v_cmp_lt_i16_e32 vcc, s0, v4
	s_and_saveexec_b64 s[0:1], vcc
	s_xor_b64 s[0:1], exec, s[0:1]
	s_cbranch_execz .LBB39_491
; %bb.475:
	s_movk_i32 s8, 0x80
	v_cmp_ne_u16_e32 vcc, s8, v4
	s_and_b64 s[8:9], vcc, exec
	s_andn2_saveexec_b64 s[0:1], s[0:1]
	s_cbranch_execnz .LBB39_492
.LBB39_476:
	s_or_b64 exec, exec, s[0:1]
	v_mov_b32_e32 v3, 0
	s_and_saveexec_b64 s[0:1], s[8:9]
	s_cbranch_execz .LBB39_478
.LBB39_477:
	v_lshlrev_b32_e32 v3, 24, v4
	v_and_b32_e32 v4, 0xffff, v4
	v_and_b32_e32 v5, 7, v4
	v_ffbh_u32_e32 v7, v5
	v_min_u32_e32 v7, 32, v7
	v_subrev_u32_e32 v9, 28, v7
	v_bfe_u32 v6, v4, 3, 4
	v_lshlrev_b32_e32 v4, v9, v4
	v_sub_u32_e32 v7, 29, v7
	v_and_b32_e32 v4, 7, v4
	v_cmp_eq_u32_e32 vcc, 0, v6
	v_cndmask_b32_e32 v6, v6, v7, vcc
	v_cndmask_b32_e32 v4, v5, v4, vcc
	v_mov_b32_e32 v5, 0x3b800000
	v_lshlrev_b32_e32 v4, 20, v4
	v_and_b32_e32 v3, 0x80000000, v3
	v_lshl_add_u32 v5, v6, 23, v5
	v_or3_b32 v3, v3, v5, v4
	v_cvt_i32_f32_e32 v3, v3
.LBB39_478:
	s_or_b64 exec, exec, s[0:1]
.LBB39_479:
	s_mov_b64 s[0:1], -1
.LBB39_480:
	s_mov_b64 s[8:9], 0
.LBB39_481:
	s_and_b64 vcc, exec, s[8:9]
	s_cbranch_vccz .LBB39_514
; %bb.482:
	s_cmp_gt_i32 s10, 22
	s_cbranch_scc0 .LBB39_490
; %bb.483:
	s_cmp_lt_i32 s10, 24
	s_cbranch_scc1 .LBB39_493
; %bb.484:
	s_cmp_gt_i32 s10, 24
	s_cbranch_scc0 .LBB39_494
; %bb.485:
	global_load_ubyte v4, v[1:2], off
	s_movk_i32 s0, 0x7f
	s_mov_b64 s[8:9], 0
	s_waitcnt vmcnt(0)
	v_cmp_lt_i16_e32 vcc, s0, v4
	s_and_saveexec_b64 s[0:1], vcc
	s_xor_b64 s[0:1], exec, s[0:1]
	s_cbranch_execz .LBB39_506
; %bb.486:
	s_movk_i32 s8, 0x80
	v_cmp_ne_u16_e32 vcc, s8, v4
	s_and_b64 s[8:9], vcc, exec
	s_andn2_saveexec_b64 s[0:1], s[0:1]
	s_cbranch_execnz .LBB39_507
.LBB39_487:
	s_or_b64 exec, exec, s[0:1]
	v_mov_b32_e32 v3, 0
	s_and_saveexec_b64 s[0:1], s[8:9]
	s_cbranch_execz .LBB39_489
.LBB39_488:
	v_lshlrev_b32_e32 v3, 24, v4
	v_and_b32_e32 v4, 0xffff, v4
	v_and_b32_e32 v5, 3, v4
	v_ffbh_u32_e32 v7, v5
	v_min_u32_e32 v7, 32, v7
	v_subrev_u32_e32 v9, 29, v7
	v_bfe_u32 v6, v4, 2, 5
	v_lshlrev_b32_e32 v4, v9, v4
	v_sub_u32_e32 v7, 30, v7
	v_and_b32_e32 v4, 3, v4
	v_cmp_eq_u32_e32 vcc, 0, v6
	v_cndmask_b32_e32 v6, v6, v7, vcc
	v_cndmask_b32_e32 v4, v5, v4, vcc
	v_mov_b32_e32 v5, 0x37800000
	v_lshlrev_b32_e32 v4, 21, v4
	v_and_b32_e32 v3, 0x80000000, v3
	v_lshl_add_u32 v5, v6, 23, v5
	v_or3_b32 v3, v3, v5, v4
	v_cvt_i32_f32_e32 v3, v3
.LBB39_489:
	s_or_b64 exec, exec, s[0:1]
	s_mov_b64 s[0:1], 0
	s_branch .LBB39_495
.LBB39_490:
	s_mov_b64 s[8:9], -1
                                        ; implicit-def: $vgpr3
	s_branch .LBB39_501
.LBB39_491:
	s_andn2_saveexec_b64 s[0:1], s[0:1]
	s_cbranch_execz .LBB39_476
.LBB39_492:
	v_cmp_ne_u16_e32 vcc, 0, v4
	s_andn2_b64 s[8:9], s[8:9], exec
	s_and_b64 s[12:13], vcc, exec
	s_or_b64 s[8:9], s[8:9], s[12:13]
	s_or_b64 exec, exec, s[0:1]
	v_mov_b32_e32 v3, 0
	s_and_saveexec_b64 s[0:1], s[8:9]
	s_cbranch_execnz .LBB39_477
	s_branch .LBB39_478
.LBB39_493:
	s_mov_b64 s[0:1], -1
                                        ; implicit-def: $vgpr3
	s_branch .LBB39_498
.LBB39_494:
	s_mov_b64 s[0:1], -1
                                        ; implicit-def: $vgpr3
.LBB39_495:
	s_and_b64 vcc, exec, s[0:1]
	s_cbranch_vccz .LBB39_497
; %bb.496:
	global_load_ubyte v3, v[1:2], off
	s_mov_b32 s0, 0x7f800000
	s_waitcnt vmcnt(0)
	v_lshlrev_b32_e32 v3, 24, v3
	v_and_b32_e32 v4, 0x7f000000, v3
	v_ffbh_u32_e32 v5, v4
	v_min_u32_e32 v5, 32, v5
	v_sub_u32_e64 v5, v5, 4 clamp
	v_lshlrev_b32_e32 v7, v5, v4
	v_lshlrev_b32_e32 v5, 23, v5
	v_lshrrev_b32_e32 v7, 4, v7
	v_add_u32_e32 v6, 0x1000000, v4
	v_sub_u32_e32 v5, v7, v5
	v_ashrrev_i32_e32 v6, 8, v6
	v_add_u32_e32 v5, 0x3c000000, v5
	v_and_or_b32 v5, v6, s0, v5
	v_cmp_ne_u32_e32 vcc, 0, v4
	v_cndmask_b32_e32 v4, 0, v5, vcc
	s_brev_b32 s0, 1
	v_and_or_b32 v3, v3, s0, v4
	v_cvt_i32_f32_e32 v3, v3
.LBB39_497:
	s_mov_b64 s[0:1], 0
.LBB39_498:
	s_andn2_b64 vcc, exec, s[0:1]
	s_cbranch_vccnz .LBB39_500
; %bb.499:
	global_load_ubyte v3, v[1:2], off
	s_movk_i32 s0, 0x7f00
	s_brev_b32 s1, 16
	s_waitcnt vmcnt(0)
	v_lshlrev_b16_e32 v4, 8, v3
	v_lshlrev_b32_e32 v3, 25, v3
	v_lshrrev_b32_e32 v5, 4, v3
	v_and_or_b32 v6, v4, s0, 0.5
	v_or_b32_e32 v5, 0x70000000, v5
	v_add_f32_e32 v6, -0.5, v6
	v_mul_f32_e32 v5, 0x7800000, v5
	v_cmp_gt_u32_e32 vcc, s1, v3
	v_bfe_i32 v4, v4, 0, 16
	v_cndmask_b32_e32 v3, v5, v6, vcc
	s_brev_b32 s0, 1
	v_and_or_b32 v3, v4, s0, v3
	v_cvt_i32_f32_e32 v3, v3
.LBB39_500:
	s_mov_b64 s[8:9], 0
	s_mov_b64 s[0:1], -1
.LBB39_501:
	s_andn2_b64 vcc, exec, s[8:9]
	s_cbranch_vccnz .LBB39_514
; %bb.502:
	s_cmp_gt_i32 s10, 14
	s_cbranch_scc0 .LBB39_505
; %bb.503:
	s_cmp_eq_u32 s10, 15
	s_cbranch_scc0 .LBB39_508
; %bb.504:
	global_load_ushort v3, v[1:2], off
	s_mov_b64 s[0:1], -1
	s_mov_b64 s[2:3], 0
	s_waitcnt vmcnt(0)
	v_lshlrev_b32_e32 v3, 16, v3
	v_cvt_i32_f32_e32 v3, v3
	s_branch .LBB39_509
.LBB39_505:
	s_mov_b64 s[8:9], -1
                                        ; implicit-def: $vgpr3
	s_branch .LBB39_510
.LBB39_506:
	s_andn2_saveexec_b64 s[0:1], s[0:1]
	s_cbranch_execz .LBB39_487
.LBB39_507:
	v_cmp_ne_u16_e32 vcc, 0, v4
	s_andn2_b64 s[8:9], s[8:9], exec
	s_and_b64 s[12:13], vcc, exec
	s_or_b64 s[8:9], s[8:9], s[12:13]
	s_or_b64 exec, exec, s[0:1]
	v_mov_b32_e32 v3, 0
	s_and_saveexec_b64 s[0:1], s[8:9]
	s_cbranch_execnz .LBB39_488
	s_branch .LBB39_489
.LBB39_508:
	s_mov_b64 s[2:3], -1
                                        ; implicit-def: $vgpr3
.LBB39_509:
	s_mov_b64 s[8:9], 0
.LBB39_510:
	s_and_b64 vcc, exec, s[8:9]
	s_cbranch_vccz .LBB39_514
; %bb.511:
	s_cmp_eq_u32 s10, 11
	s_cbranch_scc0 .LBB39_513
; %bb.512:
	global_load_ubyte v3, v[1:2], off
	s_mov_b64 s[0:1], -1
	s_mov_b64 s[2:3], 0
	s_waitcnt vmcnt(0)
	v_cmp_ne_u16_e32 vcc, 0, v3
	v_cndmask_b32_e64 v3, 0, 1, vcc
	s_branch .LBB39_514
.LBB39_513:
	s_mov_b64 s[2:3], -1
                                        ; implicit-def: $vgpr3
.LBB39_514:
	s_branch .LBB39_305
.LBB39_515:
	s_cmp_lt_i32 s10, 5
	s_cbranch_scc1 .LBB39_520
; %bb.516:
	s_cmp_lt_i32 s10, 8
	s_cbranch_scc1 .LBB39_521
; %bb.517:
	;; [unrolled: 3-line block ×3, first 2 shown]
	s_cmp_gt_i32 s10, 9
	s_cbranch_scc0 .LBB39_523
; %bb.519:
	global_load_dwordx2 v[3:4], v[1:2], off
	s_mov_b64 s[0:1], 0
	s_waitcnt vmcnt(0)
	v_cvt_i32_f64_e32 v3, v[3:4]
	s_branch .LBB39_524
.LBB39_520:
	s_mov_b64 s[0:1], -1
                                        ; implicit-def: $vgpr3
	s_branch .LBB39_542
.LBB39_521:
	s_mov_b64 s[0:1], -1
                                        ; implicit-def: $vgpr3
	s_branch .LBB39_530
.LBB39_522:
	s_mov_b64 s[0:1], -1
                                        ; implicit-def: $vgpr3
	s_branch .LBB39_527
.LBB39_523:
	s_mov_b64 s[0:1], -1
                                        ; implicit-def: $vgpr3
.LBB39_524:
	s_andn2_b64 vcc, exec, s[0:1]
	s_cbranch_vccnz .LBB39_526
; %bb.525:
	global_load_dword v3, v[1:2], off
	s_waitcnt vmcnt(0)
	v_cvt_i32_f32_e32 v3, v3
.LBB39_526:
	s_mov_b64 s[0:1], 0
.LBB39_527:
	s_andn2_b64 vcc, exec, s[0:1]
	s_cbranch_vccnz .LBB39_529
; %bb.528:
	global_load_dword v3, v[1:2], off
	s_waitcnt vmcnt(0)
	v_cvt_f32_f16_e32 v3, v3
	v_cvt_i32_f32_e32 v3, v3
.LBB39_529:
	s_mov_b64 s[0:1], 0
.LBB39_530:
	s_andn2_b64 vcc, exec, s[0:1]
	s_cbranch_vccnz .LBB39_541
; %bb.531:
	s_cmp_lt_i32 s10, 6
	s_cbranch_scc1 .LBB39_534
; %bb.532:
	s_cmp_gt_i32 s10, 6
	s_cbranch_scc0 .LBB39_535
; %bb.533:
	global_load_dwordx2 v[3:4], v[1:2], off
	s_mov_b64 s[0:1], 0
	s_waitcnt vmcnt(0)
	v_cvt_i32_f64_e32 v3, v[3:4]
	s_branch .LBB39_536
.LBB39_534:
	s_mov_b64 s[0:1], -1
                                        ; implicit-def: $vgpr3
	s_branch .LBB39_539
.LBB39_535:
	s_mov_b64 s[0:1], -1
                                        ; implicit-def: $vgpr3
.LBB39_536:
	s_andn2_b64 vcc, exec, s[0:1]
	s_cbranch_vccnz .LBB39_538
; %bb.537:
	global_load_dword v3, v[1:2], off
	s_waitcnt vmcnt(0)
	v_cvt_i32_f32_e32 v3, v3
.LBB39_538:
	s_mov_b64 s[0:1], 0
.LBB39_539:
	s_andn2_b64 vcc, exec, s[0:1]
	s_cbranch_vccnz .LBB39_541
; %bb.540:
	global_load_ushort v3, v[1:2], off
	s_waitcnt vmcnt(0)
	v_cvt_f32_f16_e32 v3, v3
	v_cvt_i32_f32_e32 v3, v3
.LBB39_541:
	s_mov_b64 s[0:1], 0
.LBB39_542:
	s_andn2_b64 vcc, exec, s[0:1]
	s_cbranch_vccnz .LBB39_562
; %bb.543:
	s_cmp_lt_i32 s10, 2
	s_cbranch_scc1 .LBB39_547
; %bb.544:
	s_cmp_lt_i32 s10, 3
	s_cbranch_scc1 .LBB39_548
; %bb.545:
	s_cmp_gt_i32 s10, 3
	s_cbranch_scc0 .LBB39_549
; %bb.546:
	global_load_dword v3, v[1:2], off
	s_mov_b64 s[0:1], 0
	s_branch .LBB39_550
.LBB39_547:
	s_mov_b64 s[0:1], -1
                                        ; implicit-def: $vgpr3
	s_branch .LBB39_556
.LBB39_548:
	s_mov_b64 s[0:1], -1
                                        ; implicit-def: $vgpr3
	s_branch .LBB39_553
.LBB39_549:
	s_mov_b64 s[0:1], -1
                                        ; implicit-def: $vgpr3
.LBB39_550:
	s_andn2_b64 vcc, exec, s[0:1]
	s_cbranch_vccnz .LBB39_552
; %bb.551:
	global_load_dword v3, v[1:2], off
.LBB39_552:
	s_mov_b64 s[0:1], 0
.LBB39_553:
	s_andn2_b64 vcc, exec, s[0:1]
	s_cbranch_vccnz .LBB39_555
; %bb.554:
	global_load_sshort v3, v[1:2], off
.LBB39_555:
	s_mov_b64 s[0:1], 0
.LBB39_556:
	s_andn2_b64 vcc, exec, s[0:1]
	s_cbranch_vccnz .LBB39_562
; %bb.557:
	s_cmp_gt_i32 s10, 0
	s_cbranch_scc0 .LBB39_559
; %bb.558:
	global_load_sbyte v3, v[1:2], off
	s_mov_b64 s[0:1], 0
	s_branch .LBB39_560
.LBB39_559:
	s_mov_b64 s[0:1], -1
                                        ; implicit-def: $vgpr3
.LBB39_560:
	s_andn2_b64 vcc, exec, s[0:1]
	s_cbranch_vccnz .LBB39_562
; %bb.561:
	global_load_ubyte v3, v[1:2], off
.LBB39_562:
	s_branch .LBB39_306
.LBB39_563:
	s_mov_b64 s[8:9], 0
	s_mov_b64 s[0:1], s[54:55]
.LBB39_564:
                                        ; implicit-def: $vgpr8
.LBB39_565:
	s_andn2_b64 s[10:11], s[54:55], exec
	s_and_b64 s[0:1], s[0:1], exec
	s_or_b64 s[62:63], s[10:11], s[0:1]
	s_andn2_b64 s[0:1], s[56:57], exec
	s_and_b64 s[2:3], s[2:3], exec
	s_or_b64 s[60:61], s[0:1], s[2:3]
	s_orn2_b64 s[0:1], s[8:9], exec
.LBB39_566:
	s_or_b64 exec, exec, s[64:65]
	s_mov_b64 s[2:3], 0
	s_mov_b64 s[8:9], 0
	;; [unrolled: 1-line block ×3, first 2 shown]
                                        ; implicit-def: $vgpr1_vgpr2
                                        ; implicit-def: $vgpr0
                                        ; implicit-def: $vgpr3
	s_and_saveexec_b64 s[64:65], s[0:1]
	s_cbranch_execz .LBB39_950
; %bb.567:
	v_cmp_gt_i32_e32 vcc, s72, v8
	s_mov_b64 s[2:3], -1
	s_mov_b64 s[68:69], s[60:61]
	s_mov_b64 s[70:71], s[62:63]
	s_and_saveexec_b64 s[66:67], vcc
	s_cbranch_execz .LBB39_854
; %bb.568:
	s_andn2_b64 vcc, exec, s[40:41]
	s_cbranch_vccnz .LBB39_573
; %bb.569:
	s_andn2_b64 vcc, exec, s[52:53]
	s_cbranch_vccnz .LBB39_574
; %bb.570:
	s_add_i32 s78, s77, 1
	s_cmp_eq_u32 s74, 2
	s_cbranch_scc1 .LBB39_575
; %bb.571:
	s_and_b32 s73, s78, 28
	v_mov_b32_e32 v2, 0
	s_mov_b32 s79, 0
	s_mov_b64 s[68:69], s[34:35]
	s_mov_b64 s[70:71], s[50:51]
	v_mov_b32_e32 v0, 0
	v_mov_b32_e32 v1, v8
.LBB39_572:                             ; =>This Inner Loop Header: Depth=1
	s_load_dwordx8 s[16:23], s[68:69], 0x4
	s_load_dwordx4 s[0:3], s[68:69], 0x24
	s_load_dwordx8 s[8:15], s[70:71], 0x0
	s_add_u32 s68, s68, 48
	s_addc_u32 s69, s69, 0
	s_waitcnt vmcnt(0) lgkmcnt(0)
	v_mul_hi_u32 v3, s17, v1
	s_add_i32 s79, s79, 4
	s_add_u32 s70, s70, 32
	s_addc_u32 s71, s71, 0
	v_add_u32_e32 v3, v1, v3
	v_lshrrev_b32_e32 v3, s18, v3
	v_mul_lo_u32 v4, v3, s16
	v_mul_hi_u32 v5, s20, v3
	s_cmp_eq_u32 s73, s79
	v_sub_u32_e32 v1, v1, v4
	v_add_u32_e32 v4, v3, v5
	v_mul_lo_u32 v5, v1, s8
	v_mul_lo_u32 v6, v1, s9
	v_lshrrev_b32_e32 v1, s21, v4
	v_mul_lo_u32 v4, v1, s19
	v_mul_hi_u32 v7, s23, v1
	v_sub_u32_e32 v3, v3, v4
	v_add_u32_e32 v4, v1, v7
	v_lshrrev_b32_e32 v4, s0, v4
	v_mul_hi_u32 v9, s2, v4
	v_mul_lo_u32 v10, v4, s22
	v_mul_lo_u32 v7, v3, s10
	;; [unrolled: 1-line block ×3, first 2 shown]
	v_sub_u32_e32 v10, v1, v10
	v_add_u32_e32 v1, v4, v9
	v_lshrrev_b32_e32 v1, s3, v1
	v_mul_lo_u32 v9, v1, s1
	v_mul_lo_u32 v11, v10, s12
	;; [unrolled: 1-line block ×3, first 2 shown]
	v_add3_u32 v0, v5, v0, v7
	v_sub_u32_e32 v4, v4, v9
	v_mul_lo_u32 v9, v4, s14
	v_mul_lo_u32 v4, v4, s15
	v_add3_u32 v2, v6, v2, v3
	v_add3_u32 v0, v11, v0, v9
	;; [unrolled: 1-line block ×3, first 2 shown]
	s_cbranch_scc0 .LBB39_572
	s_branch .LBB39_576
.LBB39_573:
	s_mov_b64 s[0:1], -1
                                        ; implicit-def: $vgpr0
                                        ; implicit-def: $vgpr2
	s_branch .LBB39_580
.LBB39_574:
	v_mov_b32_e32 v0, 0
	v_mov_b32_e32 v2, 0
	s_branch .LBB39_579
.LBB39_575:
	s_mov_b32 s73, 0
	v_mov_b32_e32 v0, 0
	v_mov_b32_e32 v2, 0
	;; [unrolled: 1-line block ×3, first 2 shown]
.LBB39_576:
	s_and_b32 s8, s78, 3
	s_cmp_eq_u32 s8, 0
	s_cbranch_scc1 .LBB39_579
; %bb.577:
	s_lshl_b32 s0, s73, 3
	s_add_u32 s0, s34, s0
	s_addc_u32 s1, s35, 0
	s_add_u32 s0, s0, 0xc4
	s_addc_u32 s1, s1, 0
	s_mul_i32 s2, s73, 12
	s_add_u32 s2, s34, s2
	s_addc_u32 s3, s35, 0
.LBB39_578:                             ; =>This Inner Loop Header: Depth=1
	s_load_dwordx2 s[10:11], s[2:3], 0x4
	s_load_dword s9, s[2:3], 0xc
	s_load_dwordx2 s[12:13], s[0:1], 0x0
	s_add_u32 s2, s2, 12
	s_addc_u32 s3, s3, 0
	s_waitcnt vmcnt(0) lgkmcnt(0)
	v_mul_hi_u32 v3, s11, v1
	s_add_u32 s0, s0, 8
	s_addc_u32 s1, s1, 0
	s_add_i32 s8, s8, -1
	v_add_u32_e32 v3, v1, v3
	v_lshrrev_b32_e32 v4, s9, v3
	v_mul_lo_u32 v3, v4, s10
	s_cmp_lg_u32 s8, 0
	v_sub_u32_e32 v3, v1, v3
	v_mad_u64_u32 v[0:1], s[10:11], v3, s12, v[0:1]
	v_mad_u64_u32 v[2:3], s[10:11], v3, s13, v[2:3]
	v_mov_b32_e32 v1, v4
	s_cbranch_scc1 .LBB39_578
.LBB39_579:
	s_mov_b64 s[0:1], 0
.LBB39_580:
	s_andn2_b64 vcc, exec, s[0:1]
	s_cbranch_vccnz .LBB39_583
; %bb.581:
	v_mul_hi_u32 v0, s29, v8
	s_andn2_b64 vcc, exec, s[48:49]
	v_add_u32_e32 v0, v8, v0
	v_lshrrev_b32_e32 v1, s30, v0
	v_mul_lo_u32 v0, v1, s28
	v_sub_u32_e32 v2, v8, v0
	v_mul_lo_u32 v0, v2, s36
	v_mul_lo_u32 v2, v2, s37
	s_cbranch_vccnz .LBB39_583
; %bb.582:
	s_waitcnt vmcnt(0)
	v_mul_hi_u32 v3, s46, v1
	v_add_u32_e32 v3, v1, v3
	v_lshrrev_b32_e32 v3, s47, v3
	v_mul_lo_u32 v3, v3, s31
	v_sub_u32_e32 v3, v1, v3
	v_mad_u64_u32 v[0:1], s[0:1], v3, s38, v[0:1]
	v_mad_u64_u32 v[2:3], s[0:1], v3, s39, v[2:3]
.LBB39_583:
	s_waitcnt vmcnt(0)
	v_mov_b32_e32 v3, s27
	s_and_b32 s10, 0xffff, s76
	v_add_co_u32_e32 v1, vcc, s26, v2
	s_cmp_lt_i32 s10, 11
	v_addc_co_u32_e32 v2, vcc, 0, v3, vcc
	s_cbranch_scc1 .LBB39_590
; %bb.584:
	s_cmp_gt_i32 s10, 25
	s_cbranch_scc0 .LBB39_591
; %bb.585:
	s_cmp_gt_i32 s10, 28
	s_cbranch_scc0 .LBB39_592
	;; [unrolled: 3-line block ×4, first 2 shown]
; %bb.588:
	s_cmp_eq_u32 s10, 46
	s_mov_b64 s[8:9], 0
	s_cbranch_scc0 .LBB39_599
; %bb.589:
	global_load_dword v3, v[1:2], off
	s_mov_b64 s[0:1], -1
	s_mov_b64 s[2:3], 0
	s_waitcnt vmcnt(0)
	v_lshlrev_b32_e32 v3, 16, v3
	v_cvt_i32_f32_e32 v3, v3
	s_branch .LBB39_600
.LBB39_590:
	s_mov_b64 s[8:9], -1
	s_mov_b64 s[0:1], 0
                                        ; implicit-def: $vgpr3
	s_mov_b64 s[2:3], s[60:61]
	s_branch .LBB39_661
.LBB39_591:
	s_mov_b64 s[8:9], -1
	s_mov_b64 s[0:1], 0
	s_mov_b64 s[2:3], s[60:61]
                                        ; implicit-def: $vgpr3
	s_branch .LBB39_627
.LBB39_592:
	s_mov_b64 s[8:9], -1
	s_mov_b64 s[0:1], 0
	s_mov_b64 s[2:3], s[60:61]
                                        ; implicit-def: $vgpr3
	s_branch .LBB39_610
.LBB39_593:
	s_mov_b64 s[8:9], -1
	s_mov_b64 s[0:1], 0
	s_mov_b64 s[2:3], s[60:61]
                                        ; implicit-def: $vgpr3
	s_branch .LBB39_605
.LBB39_594:
	s_andn2_saveexec_b64 s[14:15], s[14:15]
	s_cbranch_execz .LBB39_367
.LBB39_595:
	v_add_f32_e32 v2, 0x46000000, v3
	v_and_b32_e32 v2, 0xff, v2
	v_cmp_ne_u32_e32 vcc, 0, v2
	s_andn2_b64 s[12:13], s[12:13], exec
	s_and_b64 s[18:19], vcc, exec
	s_or_b64 s[12:13], s[12:13], s[18:19]
	s_or_b64 exec, exec, s[14:15]
	v_mov_b32_e32 v4, 0
	s_and_saveexec_b64 s[14:15], s[12:13]
	s_cbranch_execnz .LBB39_368
	s_branch .LBB39_369
.LBB39_596:
	s_mov_b64 s[8:9], -1
	s_mov_b64 s[0:1], 0
	s_mov_b64 s[2:3], s[60:61]
                                        ; implicit-def: $vgpr3
	s_branch .LBB39_600
.LBB39_597:
	s_andn2_saveexec_b64 s[14:15], s[14:15]
	s_cbranch_execz .LBB39_380
.LBB39_598:
	v_add_f32_e32 v2, 0x42800000, v3
	v_and_b32_e32 v2, 0xff, v2
	v_cmp_ne_u32_e32 vcc, 0, v2
	s_andn2_b64 s[12:13], s[12:13], exec
	s_and_b64 s[18:19], vcc, exec
	s_or_b64 s[12:13], s[12:13], s[18:19]
	s_or_b64 exec, exec, s[14:15]
	v_mov_b32_e32 v4, 0
	s_and_saveexec_b64 s[14:15], s[12:13]
	s_cbranch_execnz .LBB39_381
	s_branch .LBB39_382
.LBB39_599:
	s_mov_b64 s[2:3], -1
                                        ; implicit-def: $vgpr3
	s_mov_b64 s[0:1], 0
.LBB39_600:
	s_and_b64 vcc, exec, s[8:9]
	s_cbranch_vccz .LBB39_604
; %bb.601:
	s_cmp_eq_u32 s10, 44
	s_cbranch_scc0 .LBB39_603
; %bb.602:
	global_load_ubyte v3, v[1:2], off
	s_mov_b64 s[0:1], -1
	s_mov_b64 s[2:3], 0
	s_waitcnt vmcnt(0)
	v_lshlrev_b32_e32 v4, 23, v3
	v_cvt_i32_f32_e32 v4, v4
	v_cmp_ne_u32_e32 vcc, 0, v3
	v_cndmask_b32_e32 v3, 0, v4, vcc
	s_branch .LBB39_604
.LBB39_603:
	s_mov_b64 s[2:3], -1
                                        ; implicit-def: $vgpr3
.LBB39_604:
	s_mov_b64 s[8:9], 0
.LBB39_605:
	s_and_b64 vcc, exec, s[8:9]
	s_cbranch_vccz .LBB39_609
; %bb.606:
	s_cmp_eq_u32 s10, 29
	s_cbranch_scc0 .LBB39_608
; %bb.607:
	global_load_dword v3, v[1:2], off
	s_mov_b64 s[0:1], -1
	s_mov_b64 s[2:3], 0
	s_branch .LBB39_609
.LBB39_608:
	s_mov_b64 s[2:3], -1
                                        ; implicit-def: $vgpr3
.LBB39_609:
	s_mov_b64 s[8:9], 0
.LBB39_610:
	s_and_b64 vcc, exec, s[8:9]
	s_cbranch_vccz .LBB39_626
; %bb.611:
	s_cmp_lt_i32 s10, 27
	s_cbranch_scc1 .LBB39_614
; %bb.612:
	s_cmp_gt_i32 s10, 27
	s_cbranch_scc0 .LBB39_615
; %bb.613:
	global_load_dword v3, v[1:2], off
	s_mov_b64 s[0:1], 0
	s_branch .LBB39_616
.LBB39_614:
	s_mov_b64 s[0:1], -1
                                        ; implicit-def: $vgpr3
	s_branch .LBB39_619
.LBB39_615:
	s_mov_b64 s[0:1], -1
                                        ; implicit-def: $vgpr3
.LBB39_616:
	s_andn2_b64 vcc, exec, s[0:1]
	s_cbranch_vccnz .LBB39_618
; %bb.617:
	global_load_ushort v3, v[1:2], off
.LBB39_618:
	s_mov_b64 s[0:1], 0
.LBB39_619:
	s_andn2_b64 vcc, exec, s[0:1]
	s_cbranch_vccnz .LBB39_625
; %bb.620:
	global_load_ubyte v4, v[1:2], off
	s_movk_i32 s0, 0x7f
	s_mov_b64 s[8:9], 0
	s_waitcnt vmcnt(0)
	v_cmp_lt_i16_e32 vcc, s0, v4
	s_and_saveexec_b64 s[0:1], vcc
	s_xor_b64 s[0:1], exec, s[0:1]
	s_cbranch_execz .LBB39_637
; %bb.621:
	s_movk_i32 s8, 0x80
	v_cmp_ne_u16_e32 vcc, s8, v4
	s_and_b64 s[8:9], vcc, exec
	s_andn2_saveexec_b64 s[0:1], s[0:1]
	s_cbranch_execnz .LBB39_638
.LBB39_622:
	s_or_b64 exec, exec, s[0:1]
	v_mov_b32_e32 v3, 0
	s_and_saveexec_b64 s[0:1], s[8:9]
	s_cbranch_execz .LBB39_624
.LBB39_623:
	v_lshlrev_b32_e32 v3, 24, v4
	v_and_b32_e32 v4, 0xffff, v4
	v_and_b32_e32 v5, 7, v4
	v_ffbh_u32_e32 v7, v5
	v_min_u32_e32 v7, 32, v7
	v_subrev_u32_e32 v9, 28, v7
	v_bfe_u32 v6, v4, 3, 4
	v_lshlrev_b32_e32 v4, v9, v4
	v_sub_u32_e32 v7, 29, v7
	v_and_b32_e32 v4, 7, v4
	v_cmp_eq_u32_e32 vcc, 0, v6
	v_cndmask_b32_e32 v6, v6, v7, vcc
	v_cndmask_b32_e32 v4, v5, v4, vcc
	v_mov_b32_e32 v5, 0x3b800000
	v_lshlrev_b32_e32 v4, 20, v4
	v_and_b32_e32 v3, 0x80000000, v3
	v_lshl_add_u32 v5, v6, 23, v5
	v_or3_b32 v3, v3, v5, v4
	v_cvt_i32_f32_e32 v3, v3
.LBB39_624:
	s_or_b64 exec, exec, s[0:1]
.LBB39_625:
	s_mov_b64 s[0:1], -1
.LBB39_626:
	s_mov_b64 s[8:9], 0
.LBB39_627:
	s_and_b64 vcc, exec, s[8:9]
	s_cbranch_vccz .LBB39_660
; %bb.628:
	s_cmp_gt_i32 s10, 22
	s_cbranch_scc0 .LBB39_636
; %bb.629:
	s_cmp_lt_i32 s10, 24
	s_cbranch_scc1 .LBB39_639
; %bb.630:
	s_cmp_gt_i32 s10, 24
	s_cbranch_scc0 .LBB39_640
; %bb.631:
	global_load_ubyte v4, v[1:2], off
	s_movk_i32 s0, 0x7f
	s_mov_b64 s[8:9], 0
	s_waitcnt vmcnt(0)
	v_cmp_lt_i16_e32 vcc, s0, v4
	s_and_saveexec_b64 s[0:1], vcc
	s_xor_b64 s[0:1], exec, s[0:1]
	s_cbranch_execz .LBB39_652
; %bb.632:
	s_movk_i32 s8, 0x80
	v_cmp_ne_u16_e32 vcc, s8, v4
	s_and_b64 s[8:9], vcc, exec
	s_andn2_saveexec_b64 s[0:1], s[0:1]
	s_cbranch_execnz .LBB39_653
.LBB39_633:
	s_or_b64 exec, exec, s[0:1]
	v_mov_b32_e32 v3, 0
	s_and_saveexec_b64 s[0:1], s[8:9]
	s_cbranch_execz .LBB39_635
.LBB39_634:
	v_lshlrev_b32_e32 v3, 24, v4
	v_and_b32_e32 v4, 0xffff, v4
	v_and_b32_e32 v5, 3, v4
	v_ffbh_u32_e32 v7, v5
	v_min_u32_e32 v7, 32, v7
	v_subrev_u32_e32 v9, 29, v7
	v_bfe_u32 v6, v4, 2, 5
	v_lshlrev_b32_e32 v4, v9, v4
	v_sub_u32_e32 v7, 30, v7
	v_and_b32_e32 v4, 3, v4
	v_cmp_eq_u32_e32 vcc, 0, v6
	v_cndmask_b32_e32 v6, v6, v7, vcc
	v_cndmask_b32_e32 v4, v5, v4, vcc
	v_mov_b32_e32 v5, 0x37800000
	v_lshlrev_b32_e32 v4, 21, v4
	v_and_b32_e32 v3, 0x80000000, v3
	v_lshl_add_u32 v5, v6, 23, v5
	v_or3_b32 v3, v3, v5, v4
	v_cvt_i32_f32_e32 v3, v3
.LBB39_635:
	s_or_b64 exec, exec, s[0:1]
	s_mov_b64 s[0:1], 0
	s_branch .LBB39_641
.LBB39_636:
	s_mov_b64 s[8:9], -1
                                        ; implicit-def: $vgpr3
	s_branch .LBB39_647
.LBB39_637:
	s_andn2_saveexec_b64 s[0:1], s[0:1]
	s_cbranch_execz .LBB39_622
.LBB39_638:
	v_cmp_ne_u16_e32 vcc, 0, v4
	s_andn2_b64 s[8:9], s[8:9], exec
	s_and_b64 s[12:13], vcc, exec
	s_or_b64 s[8:9], s[8:9], s[12:13]
	s_or_b64 exec, exec, s[0:1]
	v_mov_b32_e32 v3, 0
	s_and_saveexec_b64 s[0:1], s[8:9]
	s_cbranch_execnz .LBB39_623
	s_branch .LBB39_624
.LBB39_639:
	s_mov_b64 s[0:1], -1
                                        ; implicit-def: $vgpr3
	s_branch .LBB39_644
.LBB39_640:
	s_mov_b64 s[0:1], -1
                                        ; implicit-def: $vgpr3
.LBB39_641:
	s_and_b64 vcc, exec, s[0:1]
	s_cbranch_vccz .LBB39_643
; %bb.642:
	global_load_ubyte v3, v[1:2], off
	s_mov_b32 s0, 0x7f800000
	s_waitcnt vmcnt(0)
	v_lshlrev_b32_e32 v3, 24, v3
	v_and_b32_e32 v4, 0x7f000000, v3
	v_ffbh_u32_e32 v5, v4
	v_min_u32_e32 v5, 32, v5
	v_sub_u32_e64 v5, v5, 4 clamp
	v_lshlrev_b32_e32 v7, v5, v4
	v_lshlrev_b32_e32 v5, 23, v5
	v_lshrrev_b32_e32 v7, 4, v7
	v_add_u32_e32 v6, 0x1000000, v4
	v_sub_u32_e32 v5, v7, v5
	v_ashrrev_i32_e32 v6, 8, v6
	v_add_u32_e32 v5, 0x3c000000, v5
	v_and_or_b32 v5, v6, s0, v5
	v_cmp_ne_u32_e32 vcc, 0, v4
	v_cndmask_b32_e32 v4, 0, v5, vcc
	s_brev_b32 s0, 1
	v_and_or_b32 v3, v3, s0, v4
	v_cvt_i32_f32_e32 v3, v3
.LBB39_643:
	s_mov_b64 s[0:1], 0
.LBB39_644:
	s_andn2_b64 vcc, exec, s[0:1]
	s_cbranch_vccnz .LBB39_646
; %bb.645:
	global_load_ubyte v3, v[1:2], off
	s_movk_i32 s0, 0x7f00
	s_brev_b32 s1, 16
	s_waitcnt vmcnt(0)
	v_lshlrev_b16_e32 v4, 8, v3
	v_lshlrev_b32_e32 v3, 25, v3
	v_lshrrev_b32_e32 v5, 4, v3
	v_and_or_b32 v6, v4, s0, 0.5
	v_or_b32_e32 v5, 0x70000000, v5
	v_add_f32_e32 v6, -0.5, v6
	v_mul_f32_e32 v5, 0x7800000, v5
	v_cmp_gt_u32_e32 vcc, s1, v3
	v_bfe_i32 v4, v4, 0, 16
	v_cndmask_b32_e32 v3, v5, v6, vcc
	s_brev_b32 s0, 1
	v_and_or_b32 v3, v4, s0, v3
	v_cvt_i32_f32_e32 v3, v3
.LBB39_646:
	s_mov_b64 s[8:9], 0
	s_mov_b64 s[0:1], -1
.LBB39_647:
	s_andn2_b64 vcc, exec, s[8:9]
	s_cbranch_vccnz .LBB39_660
; %bb.648:
	s_cmp_gt_i32 s10, 14
	s_cbranch_scc0 .LBB39_651
; %bb.649:
	s_cmp_eq_u32 s10, 15
	s_cbranch_scc0 .LBB39_654
; %bb.650:
	global_load_ushort v3, v[1:2], off
	s_mov_b64 s[0:1], -1
	s_mov_b64 s[2:3], 0
	s_waitcnt vmcnt(0)
	v_lshlrev_b32_e32 v3, 16, v3
	v_cvt_i32_f32_e32 v3, v3
	s_branch .LBB39_655
.LBB39_651:
	s_mov_b64 s[8:9], -1
                                        ; implicit-def: $vgpr3
	s_branch .LBB39_656
.LBB39_652:
	s_andn2_saveexec_b64 s[0:1], s[0:1]
	s_cbranch_execz .LBB39_633
.LBB39_653:
	v_cmp_ne_u16_e32 vcc, 0, v4
	s_andn2_b64 s[8:9], s[8:9], exec
	s_and_b64 s[12:13], vcc, exec
	s_or_b64 s[8:9], s[8:9], s[12:13]
	s_or_b64 exec, exec, s[0:1]
	v_mov_b32_e32 v3, 0
	s_and_saveexec_b64 s[0:1], s[8:9]
	s_cbranch_execnz .LBB39_634
	s_branch .LBB39_635
.LBB39_654:
	s_mov_b64 s[2:3], -1
                                        ; implicit-def: $vgpr3
.LBB39_655:
	s_mov_b64 s[8:9], 0
.LBB39_656:
	s_and_b64 vcc, exec, s[8:9]
	s_cbranch_vccz .LBB39_660
; %bb.657:
	s_cmp_eq_u32 s10, 11
	s_cbranch_scc0 .LBB39_659
; %bb.658:
	global_load_ubyte v3, v[1:2], off
	s_mov_b64 s[0:1], -1
	s_mov_b64 s[2:3], 0
	s_waitcnt vmcnt(0)
	v_cmp_ne_u16_e32 vcc, 0, v3
	v_cndmask_b32_e64 v3, 0, 1, vcc
	s_branch .LBB39_660
.LBB39_659:
	s_mov_b64 s[2:3], -1
                                        ; implicit-def: $vgpr3
.LBB39_660:
	s_mov_b64 s[8:9], 0
.LBB39_661:
	s_and_b64 vcc, exec, s[8:9]
	s_cbranch_vccz .LBB39_710
; %bb.662:
	s_cmp_lt_i32 s10, 5
	s_cbranch_scc1 .LBB39_667
; %bb.663:
	s_cmp_lt_i32 s10, 8
	s_cbranch_scc1 .LBB39_668
	;; [unrolled: 3-line block ×3, first 2 shown]
; %bb.665:
	s_cmp_gt_i32 s10, 9
	s_cbranch_scc0 .LBB39_670
; %bb.666:
	global_load_dwordx2 v[3:4], v[1:2], off
	s_mov_b64 s[0:1], 0
	s_waitcnt vmcnt(0)
	v_cvt_i32_f64_e32 v3, v[3:4]
	s_branch .LBB39_671
.LBB39_667:
	s_mov_b64 s[0:1], -1
                                        ; implicit-def: $vgpr3
	s_branch .LBB39_689
.LBB39_668:
	s_mov_b64 s[0:1], -1
                                        ; implicit-def: $vgpr3
	s_branch .LBB39_677
.LBB39_669:
	s_mov_b64 s[0:1], -1
                                        ; implicit-def: $vgpr3
	s_branch .LBB39_674
.LBB39_670:
	s_mov_b64 s[0:1], -1
                                        ; implicit-def: $vgpr3
.LBB39_671:
	s_andn2_b64 vcc, exec, s[0:1]
	s_cbranch_vccnz .LBB39_673
; %bb.672:
	global_load_dword v3, v[1:2], off
	s_waitcnt vmcnt(0)
	v_cvt_i32_f32_e32 v3, v3
.LBB39_673:
	s_mov_b64 s[0:1], 0
.LBB39_674:
	s_andn2_b64 vcc, exec, s[0:1]
	s_cbranch_vccnz .LBB39_676
; %bb.675:
	global_load_dword v3, v[1:2], off
	s_waitcnt vmcnt(0)
	v_cvt_f32_f16_e32 v3, v3
	v_cvt_i32_f32_e32 v3, v3
.LBB39_676:
	s_mov_b64 s[0:1], 0
.LBB39_677:
	s_andn2_b64 vcc, exec, s[0:1]
	s_cbranch_vccnz .LBB39_688
; %bb.678:
	s_cmp_lt_i32 s10, 6
	s_cbranch_scc1 .LBB39_681
; %bb.679:
	s_cmp_gt_i32 s10, 6
	s_cbranch_scc0 .LBB39_682
; %bb.680:
	global_load_dwordx2 v[3:4], v[1:2], off
	s_mov_b64 s[0:1], 0
	s_waitcnt vmcnt(0)
	v_cvt_i32_f64_e32 v3, v[3:4]
	s_branch .LBB39_683
.LBB39_681:
	s_mov_b64 s[0:1], -1
                                        ; implicit-def: $vgpr3
	s_branch .LBB39_686
.LBB39_682:
	s_mov_b64 s[0:1], -1
                                        ; implicit-def: $vgpr3
.LBB39_683:
	s_andn2_b64 vcc, exec, s[0:1]
	s_cbranch_vccnz .LBB39_685
; %bb.684:
	global_load_dword v3, v[1:2], off
	s_waitcnt vmcnt(0)
	v_cvt_i32_f32_e32 v3, v3
.LBB39_685:
	s_mov_b64 s[0:1], 0
.LBB39_686:
	s_andn2_b64 vcc, exec, s[0:1]
	s_cbranch_vccnz .LBB39_688
; %bb.687:
	global_load_ushort v3, v[1:2], off
	s_waitcnt vmcnt(0)
	v_cvt_f32_f16_e32 v3, v3
	v_cvt_i32_f32_e32 v3, v3
.LBB39_688:
	s_mov_b64 s[0:1], 0
.LBB39_689:
	s_andn2_b64 vcc, exec, s[0:1]
	s_cbranch_vccnz .LBB39_709
; %bb.690:
	s_cmp_lt_i32 s10, 2
	s_cbranch_scc1 .LBB39_694
; %bb.691:
	s_cmp_lt_i32 s10, 3
	s_cbranch_scc1 .LBB39_695
; %bb.692:
	s_cmp_gt_i32 s10, 3
	s_cbranch_scc0 .LBB39_696
; %bb.693:
	global_load_dword v3, v[1:2], off
	s_mov_b64 s[0:1], 0
	s_branch .LBB39_697
.LBB39_694:
	s_mov_b64 s[0:1], -1
                                        ; implicit-def: $vgpr3
	s_branch .LBB39_703
.LBB39_695:
	s_mov_b64 s[0:1], -1
                                        ; implicit-def: $vgpr3
	s_branch .LBB39_700
.LBB39_696:
	s_mov_b64 s[0:1], -1
                                        ; implicit-def: $vgpr3
.LBB39_697:
	s_andn2_b64 vcc, exec, s[0:1]
	s_cbranch_vccnz .LBB39_699
; %bb.698:
	global_load_dword v3, v[1:2], off
.LBB39_699:
	s_mov_b64 s[0:1], 0
.LBB39_700:
	s_andn2_b64 vcc, exec, s[0:1]
	s_cbranch_vccnz .LBB39_702
; %bb.701:
	global_load_sshort v3, v[1:2], off
.LBB39_702:
	s_mov_b64 s[0:1], 0
.LBB39_703:
	s_andn2_b64 vcc, exec, s[0:1]
	s_cbranch_vccnz .LBB39_709
; %bb.704:
	s_cmp_gt_i32 s10, 0
	s_cbranch_scc0 .LBB39_706
; %bb.705:
	global_load_sbyte v3, v[1:2], off
	s_mov_b64 s[0:1], 0
	s_branch .LBB39_707
.LBB39_706:
	s_mov_b64 s[0:1], -1
                                        ; implicit-def: $vgpr3
.LBB39_707:
	s_andn2_b64 vcc, exec, s[0:1]
	s_cbranch_vccnz .LBB39_709
; %bb.708:
	global_load_ubyte v3, v[1:2], off
.LBB39_709:
	s_mov_b64 s[0:1], -1
.LBB39_710:
	s_andn2_b64 vcc, exec, s[0:1]
	s_cbranch_vccnz .LBB39_715
; %bb.711:
	s_cmp_lt_i32 s44, 1
	s_mov_b64 s[0:1], 0
	s_cbranch_scc1 .LBB39_716
; %bb.712:
	s_cmp_gt_i32 s44, 1
	s_cbranch_scc0 .LBB39_717
; %bb.713:
	s_cmp_eq_u32 s44, 2
	s_cbranch_scc0 .LBB39_718
; %bb.714:
	s_waitcnt vmcnt(0)
	v_cmp_ge_i32_e64 s[8:9], s45, v3
	s_mov_b64 s[10:11], 0
	s_branch .LBB39_719
.LBB39_715:
	s_mov_b64 s[8:9], 0
	s_mov_b64 s[0:1], s[62:63]
	s_branch .LBB39_852
.LBB39_716:
	s_mov_b64 s[12:13], -1
                                        ; implicit-def: $sgpr8_sgpr9
	s_mov_b64 s[10:11], 0
	s_branch .LBB39_723
.LBB39_717:
	s_mov_b64 s[12:13], -1
	s_mov_b64 s[10:11], 0
                                        ; implicit-def: $sgpr8_sgpr9
	s_branch .LBB39_720
.LBB39_718:
	s_mov_b64 s[10:11], -1
                                        ; implicit-def: $sgpr8_sgpr9
.LBB39_719:
	s_mov_b64 s[12:13], 0
.LBB39_720:
	s_and_b64 vcc, exec, s[12:13]
	s_cbranch_vccz .LBB39_722
; %bb.721:
	s_waitcnt vmcnt(0)
	v_cmp_lt_i32_e32 vcc, s45, v3
	s_andn2_b64 s[8:9], s[8:9], exec
	s_and_b64 s[12:13], vcc, exec
	s_or_b64 s[8:9], s[8:9], s[12:13]
.LBB39_722:
	s_mov_b64 s[12:13], 0
.LBB39_723:
	s_and_b64 vcc, exec, s[12:13]
	s_cbranch_vccz .LBB39_734
; %bb.724:
	s_cmp_lg_u32 s44, 0
	s_mov_b64 s[0:1], -1
	s_cselect_b64 s[10:11], -1, 0
	s_andn2_b64 vcc, exec, s[10:11]
	s_cbranch_vccz .LBB39_735
.LBB39_725:
	s_andn2_b64 vcc, exec, s[0:1]
	s_cbranch_vccnz .LBB39_727
.LBB39_726:
	s_waitcnt vmcnt(0)
	v_cmp_le_i32_e32 vcc, s45, v3
	s_andn2_b64 s[0:1], s[8:9], exec
	s_and_b64 s[8:9], vcc, exec
	s_or_b64 s[8:9], s[0:1], s[8:9]
.LBB39_727:
	v_mov_b32_e32 v1, s25
	s_and_b32 s16, s75, 0xff
	v_add_co_u32_e32 v0, vcc, s24, v0
	s_cmp_lt_i32 s16, 11
	v_addc_co_u32_e32 v1, vcc, 0, v1, vcc
	s_cbranch_scc1 .LBB39_736
; %bb.728:
	s_and_b32 s17, 0xffff, s16
	s_cmp_gt_i32 s17, 25
	s_cbranch_scc0 .LBB39_737
; %bb.729:
	s_cmp_gt_i32 s17, 28
	s_cbranch_scc0 .LBB39_738
; %bb.730:
	;; [unrolled: 3-line block ×4, first 2 shown]
	s_mov_b64 s[12:13], 0
	s_mov_b64 s[0:1], -1
	s_cmp_eq_u32 s17, 46
	s_mov_b64 s[10:11], 0
	s_cbranch_scc0 .LBB39_741
; %bb.733:
	v_cndmask_b32_e64 v2, 0, 1.0, s[8:9]
	s_waitcnt vmcnt(0)
	v_bfe_u32 v3, v2, 16, 1
	s_movk_i32 s0, 0x7fff
	v_add3_u32 v2, v2, v3, s0
	v_lshrrev_b32_e32 v2, 16, v2
	global_store_dword v[0:1], v2, off
	s_mov_b64 s[10:11], -1
	s_mov_b64 s[0:1], 0
	s_branch .LBB39_741
.LBB39_734:
	s_andn2_b64 vcc, exec, s[10:11]
	s_cbranch_vccnz .LBB39_725
.LBB39_735:
	s_waitcnt vmcnt(0)
	v_cmp_gt_i32_e32 vcc, s45, v3
	s_andn2_b64 s[8:9], s[8:9], exec
	s_and_b64 s[10:11], vcc, exec
	s_or_b64 s[8:9], s[8:9], s[10:11]
	s_cbranch_execz .LBB39_726
	s_branch .LBB39_727
.LBB39_736:
	s_mov_b64 s[12:13], -1
	s_mov_b64 s[10:11], 0
	s_mov_b64 s[0:1], s[62:63]
	s_branch .LBB39_810
.LBB39_737:
	s_mov_b64 s[12:13], -1
	s_mov_b64 s[10:11], 0
	s_mov_b64 s[0:1], s[62:63]
	s_branch .LBB39_768
.LBB39_738:
	s_mov_b64 s[12:13], -1
	s_mov_b64 s[10:11], 0
	s_mov_b64 s[0:1], s[62:63]
	s_branch .LBB39_751
.LBB39_739:
	s_mov_b64 s[12:13], -1
	s_mov_b64 s[10:11], 0
	s_mov_b64 s[0:1], s[62:63]
	s_branch .LBB39_747
.LBB39_740:
	s_mov_b64 s[12:13], -1
	s_mov_b64 s[10:11], 0
	s_mov_b64 s[0:1], s[62:63]
.LBB39_741:
	s_and_b64 vcc, exec, s[12:13]
	s_cbranch_vccz .LBB39_746
; %bb.742:
	s_cmp_eq_u32 s17, 44
	s_mov_b64 s[0:1], -1
	s_cbranch_scc0 .LBB39_746
; %bb.743:
	s_waitcnt vmcnt(0)
	v_cndmask_b32_e64 v3, 0, 1.0, s[8:9]
	v_lshrrev_b32_e32 v2, 23, v3
	s_movk_i32 s0, 0xff
	v_cmp_ne_u32_e32 vcc, s0, v2
	v_mov_b32_e32 v4, 0xff
	s_and_saveexec_b64 s[10:11], vcc
; %bb.744:
	s_mov_b32 s0, 0x3fffff
	v_and_b32_e32 v4, 0x400000, v3
	v_and_or_b32 v3, v3, s0, v2
	v_cmp_ne_u32_e32 vcc, 0, v4
	v_cmp_ne_u32_e64 s[0:1], 0, v3
	s_and_b64 s[0:1], vcc, s[0:1]
	v_cndmask_b32_e64 v3, 0, 1, s[0:1]
	v_add_u32_e32 v4, v2, v3
; %bb.745:
	s_or_b64 exec, exec, s[10:11]
	s_mov_b64 s[10:11], -1
	s_mov_b64 s[0:1], 0
	global_store_byte v[0:1], v4, off
.LBB39_746:
	s_mov_b64 s[12:13], 0
.LBB39_747:
	s_and_b64 vcc, exec, s[12:13]
	s_cbranch_vccz .LBB39_750
; %bb.748:
	s_cmp_eq_u32 s17, 29
	s_mov_b64 s[0:1], -1
	s_cbranch_scc0 .LBB39_750
; %bb.749:
	s_mov_b32 s0, 0
	v_cndmask_b32_e64 v2, 0, 1, s[8:9]
	s_waitcnt vmcnt(0)
	v_mov_b32_e32 v3, s0
	global_store_dwordx2 v[0:1], v[2:3], off
	s_mov_b64 s[10:11], -1
	s_mov_b64 s[0:1], 0
.LBB39_750:
	s_mov_b64 s[12:13], 0
.LBB39_751:
	s_and_b64 vcc, exec, s[12:13]
	s_cbranch_vccz .LBB39_767
; %bb.752:
	s_cmp_lt_i32 s17, 27
	s_mov_b64 s[10:11], -1
	s_cbranch_scc1 .LBB39_758
; %bb.753:
	s_cmp_gt_i32 s17, 27
	s_cbranch_scc0 .LBB39_755
; %bb.754:
	v_cndmask_b32_e64 v2, 0, 1, s[8:9]
	s_mov_b64 s[10:11], 0
	global_store_dword v[0:1], v2, off
.LBB39_755:
	s_andn2_b64 vcc, exec, s[10:11]
	s_cbranch_vccnz .LBB39_757
; %bb.756:
	v_cndmask_b32_e64 v2, 0, 1, s[8:9]
	global_store_short v[0:1], v2, off
.LBB39_757:
	s_mov_b64 s[10:11], 0
.LBB39_758:
	s_andn2_b64 vcc, exec, s[10:11]
	s_cbranch_vccnz .LBB39_766
; %bb.759:
	s_waitcnt vmcnt(0)
	v_cndmask_b32_e64 v3, 0, 1.0, s[8:9]
	s_mov_b32 s10, 0x43800000
	v_cmp_gt_u32_e32 vcc, s10, v3
	v_mov_b32_e32 v4, 0x80
	s_and_saveexec_b64 s[10:11], vcc
	s_cbranch_execz .LBB39_765
; %bb.760:
	s_mov_b32 s12, 0x3bffffff
	v_cmp_lt_u32_e32 vcc, s12, v3
	s_mov_b64 s[12:13], 0
                                        ; implicit-def: $vgpr2
	s_and_saveexec_b64 s[14:15], vcc
	s_xor_b64 s[14:15], exec, s[14:15]
	s_cbranch_execz .LBB39_882
; %bb.761:
	v_bfe_u32 v2, v3, 20, 1
	s_mov_b32 s18, 0x487ffff
	v_add3_u32 v2, v3, v2, s18
	s_mov_b64 s[12:13], exec
	v_lshrrev_b32_e32 v2, 20, v2
                                        ; implicit-def: $vgpr3
	s_andn2_saveexec_b64 s[14:15], s[14:15]
	s_cbranch_execnz .LBB39_883
.LBB39_762:
	s_or_b64 exec, exec, s[14:15]
	v_mov_b32_e32 v4, 0
	s_and_saveexec_b64 s[14:15], s[12:13]
.LBB39_763:
	v_mov_b32_e32 v4, v2
.LBB39_764:
	s_or_b64 exec, exec, s[14:15]
.LBB39_765:
	s_or_b64 exec, exec, s[10:11]
	global_store_byte v[0:1], v4, off
.LBB39_766:
	s_mov_b64 s[10:11], -1
.LBB39_767:
	s_mov_b64 s[12:13], 0
.LBB39_768:
	s_and_b64 vcc, exec, s[12:13]
	s_cbranch_vccz .LBB39_809
; %bb.769:
	s_cmp_gt_i32 s17, 22
	s_mov_b64 s[12:13], -1
	s_cbranch_scc0 .LBB39_801
; %bb.770:
	s_cmp_lt_i32 s17, 24
	s_mov_b64 s[10:11], -1
	s_cbranch_scc1 .LBB39_790
; %bb.771:
	s_cmp_gt_i32 s17, 24
	s_cbranch_scc0 .LBB39_779
; %bb.772:
	s_waitcnt vmcnt(0)
	v_cndmask_b32_e64 v3, 0, 1.0, s[8:9]
	s_mov_b32 s10, 0x47800000
	v_cmp_gt_u32_e32 vcc, s10, v3
	v_mov_b32_e32 v4, 0x80
	s_and_saveexec_b64 s[10:11], vcc
	s_cbranch_execz .LBB39_778
; %bb.773:
	s_mov_b32 s12, 0x37ffffff
	v_cmp_lt_u32_e32 vcc, s12, v3
	s_mov_b64 s[12:13], 0
                                        ; implicit-def: $vgpr2
	s_and_saveexec_b64 s[14:15], vcc
	s_xor_b64 s[14:15], exec, s[14:15]
	s_cbranch_execz .LBB39_885
; %bb.774:
	v_bfe_u32 v2, v3, 21, 1
	s_mov_b32 s18, 0x88fffff
	v_add3_u32 v2, v3, v2, s18
	s_mov_b64 s[12:13], exec
	v_lshrrev_b32_e32 v2, 21, v2
                                        ; implicit-def: $vgpr3
	s_andn2_saveexec_b64 s[14:15], s[14:15]
	s_cbranch_execnz .LBB39_886
.LBB39_775:
	s_or_b64 exec, exec, s[14:15]
	v_mov_b32_e32 v4, 0
	s_and_saveexec_b64 s[14:15], s[12:13]
.LBB39_776:
	v_mov_b32_e32 v4, v2
.LBB39_777:
	s_or_b64 exec, exec, s[14:15]
.LBB39_778:
	s_or_b64 exec, exec, s[10:11]
	s_mov_b64 s[10:11], 0
	global_store_byte v[0:1], v4, off
.LBB39_779:
	s_and_b64 vcc, exec, s[10:11]
	s_cbranch_vccz .LBB39_789
; %bb.780:
	v_cndmask_b32_e64 v2, 0, 1.0, s[8:9]
	s_mov_b32 s10, 0x43f00000
	v_cmp_gt_u32_e32 vcc, s10, v2
                                        ; implicit-def: $vgpr3
	s_and_saveexec_b64 s[10:11], vcc
	s_xor_b64 s[10:11], exec, s[10:11]
	s_cbranch_execz .LBB39_786
; %bb.781:
	s_mov_b32 s12, 0x3c7fffff
	v_cmp_lt_u32_e32 vcc, s12, v2
                                        ; implicit-def: $vgpr3
	s_and_saveexec_b64 s[12:13], vcc
	s_xor_b64 s[12:13], exec, s[12:13]
	s_cbranch_execz .LBB39_783
; %bb.782:
	s_waitcnt vmcnt(0)
	v_bfe_u32 v3, v2, 20, 1
	s_mov_b32 s14, 0x407ffff
	v_add3_u32 v2, v2, v3, s14
	v_lshrrev_b32_e32 v3, 20, v2
	v_and_b32_e32 v2, 0xff00000, v2
	s_mov_b32 s14, 0x7f00000
	v_mov_b32_e32 v4, 0x7e
	v_cmp_ne_u32_e32 vcc, s14, v2
	v_cndmask_b32_e32 v3, v4, v3, vcc
                                        ; implicit-def: $vgpr2
.LBB39_783:
	s_andn2_saveexec_b64 s[12:13], s[12:13]
	s_cbranch_execz .LBB39_785
; %bb.784:
	s_waitcnt vmcnt(0)
	v_add_f32_e32 v3, 0x46800000, v2
.LBB39_785:
	s_or_b64 exec, exec, s[12:13]
                                        ; implicit-def: $vgpr2
.LBB39_786:
	s_andn2_saveexec_b64 s[10:11], s[10:11]
	s_cbranch_execz .LBB39_788
; %bb.787:
	s_mov_b32 s12, 0x7f800000
	s_waitcnt vmcnt(0)
	v_mov_b32_e32 v3, 0x7e
	v_mov_b32_e32 v4, 0x7f
	v_cmp_lt_u32_e32 vcc, s12, v2
	v_cndmask_b32_e32 v3, v3, v4, vcc
.LBB39_788:
	s_or_b64 exec, exec, s[10:11]
	s_waitcnt vmcnt(0)
	global_store_byte v[0:1], v3, off
.LBB39_789:
	s_mov_b64 s[10:11], 0
.LBB39_790:
	s_andn2_b64 vcc, exec, s[10:11]
	s_cbranch_vccnz .LBB39_800
; %bb.791:
	v_cndmask_b32_e64 v2, 0, 1.0, s[8:9]
	s_mov_b32 s10, 0x47800000
	v_cmp_gt_u32_e32 vcc, s10, v2
                                        ; implicit-def: $vgpr3
	s_and_saveexec_b64 s[10:11], vcc
	s_xor_b64 s[10:11], exec, s[10:11]
	s_cbranch_execz .LBB39_797
; %bb.792:
	s_mov_b32 s12, 0x387fffff
	v_cmp_lt_u32_e32 vcc, s12, v2
                                        ; implicit-def: $vgpr3
	s_and_saveexec_b64 s[12:13], vcc
	s_xor_b64 s[12:13], exec, s[12:13]
	s_cbranch_execz .LBB39_794
; %bb.793:
	s_waitcnt vmcnt(0)
	v_bfe_u32 v3, v2, 21, 1
	s_mov_b32 s14, 0x80fffff
	v_add3_u32 v2, v2, v3, s14
	v_lshrrev_b32_e32 v3, 21, v2
                                        ; implicit-def: $vgpr2
.LBB39_794:
	s_andn2_saveexec_b64 s[12:13], s[12:13]
	s_cbranch_execz .LBB39_796
; %bb.795:
	s_waitcnt vmcnt(0)
	v_add_f32_e32 v3, 0x43000000, v2
.LBB39_796:
	s_or_b64 exec, exec, s[12:13]
                                        ; implicit-def: $vgpr2
.LBB39_797:
	s_andn2_saveexec_b64 s[10:11], s[10:11]
	s_cbranch_execz .LBB39_799
; %bb.798:
	s_mov_b32 s12, 0x7f800000
	s_waitcnt vmcnt(0)
	v_mov_b32_e32 v3, 0x7c
	v_mov_b32_e32 v4, 0x7f
	v_cmp_lt_u32_e32 vcc, s12, v2
	v_cndmask_b32_e32 v3, v3, v4, vcc
.LBB39_799:
	s_or_b64 exec, exec, s[10:11]
	s_waitcnt vmcnt(0)
	global_store_byte v[0:1], v3, off
.LBB39_800:
	s_mov_b64 s[12:13], 0
	s_mov_b64 s[10:11], -1
.LBB39_801:
	s_andn2_b64 vcc, exec, s[12:13]
	s_cbranch_vccnz .LBB39_809
; %bb.802:
	s_cmp_gt_i32 s17, 14
	s_mov_b64 s[12:13], -1
	s_cbranch_scc0 .LBB39_806
; %bb.803:
	s_cmp_eq_u32 s17, 15
	s_mov_b64 s[0:1], -1
	s_cbranch_scc0 .LBB39_805
; %bb.804:
	v_cndmask_b32_e64 v2, 0, 1.0, s[8:9]
	s_waitcnt vmcnt(0)
	v_bfe_u32 v3, v2, 16, 1
	s_movk_i32 s0, 0x7fff
	v_add3_u32 v2, v2, v3, s0
	global_store_short_d16_hi v[0:1], v2, off
	s_mov_b64 s[10:11], -1
	s_mov_b64 s[0:1], 0
.LBB39_805:
	s_mov_b64 s[12:13], 0
.LBB39_806:
	s_and_b64 vcc, exec, s[12:13]
	s_cbranch_vccz .LBB39_809
; %bb.807:
	s_cmp_eq_u32 s17, 11
	s_mov_b64 s[0:1], -1
	s_cbranch_scc0 .LBB39_809
; %bb.808:
	v_cndmask_b32_e64 v2, 0, 1, s[8:9]
	s_mov_b64 s[10:11], -1
	s_mov_b64 s[0:1], 0
	global_store_byte v[0:1], v2, off
.LBB39_809:
	s_mov_b64 s[12:13], 0
.LBB39_810:
	s_and_b64 vcc, exec, s[12:13]
	s_cbranch_vccz .LBB39_849
; %bb.811:
	s_and_b32 s12, 0xffff, s16
	s_cmp_lt_i32 s12, 5
	s_mov_b64 s[10:11], -1
	s_cbranch_scc1 .LBB39_832
; %bb.812:
	s_cmp_lt_i32 s12, 8
	s_cbranch_scc1 .LBB39_822
; %bb.813:
	s_cmp_lt_i32 s12, 9
	s_cbranch_scc1 .LBB39_819
; %bb.814:
	s_cmp_gt_i32 s12, 9
	s_cbranch_scc0 .LBB39_816
; %bb.815:
	v_cndmask_b32_e64 v2, 0, 1, s[8:9]
	s_waitcnt vmcnt(0)
	v_cvt_f64_u32_e32 v[2:3], v2
	v_mov_b32_e32 v4, 0
	v_mov_b32_e32 v5, v4
	s_mov_b64 s[10:11], 0
	global_store_dwordx4 v[0:1], v[2:5], off
.LBB39_816:
	s_andn2_b64 vcc, exec, s[10:11]
	s_cbranch_vccnz .LBB39_818
; %bb.817:
	v_cndmask_b32_e64 v2, 0, 1.0, s[8:9]
	s_waitcnt vmcnt(0)
	v_mov_b32_e32 v3, 0
	global_store_dwordx2 v[0:1], v[2:3], off
.LBB39_818:
	s_mov_b64 s[10:11], 0
.LBB39_819:
	s_andn2_b64 vcc, exec, s[10:11]
	s_cbranch_vccnz .LBB39_821
; %bb.820:
	v_cndmask_b32_e64 v2, 0, 1.0, s[8:9]
	v_cvt_f16_f32_e32 v2, v2
	global_store_dword v[0:1], v2, off
.LBB39_821:
	s_mov_b64 s[10:11], 0
.LBB39_822:
	s_andn2_b64 vcc, exec, s[10:11]
	s_cbranch_vccnz .LBB39_831
; %bb.823:
	s_cmp_lt_i32 s12, 6
	s_mov_b64 s[10:11], -1
	s_cbranch_scc1 .LBB39_829
; %bb.824:
	s_cmp_gt_i32 s12, 6
	s_cbranch_scc0 .LBB39_826
; %bb.825:
	v_cndmask_b32_e64 v2, 0, 1, s[8:9]
	s_waitcnt vmcnt(0)
	v_cvt_f64_u32_e32 v[2:3], v2
	s_mov_b64 s[10:11], 0
	global_store_dwordx2 v[0:1], v[2:3], off
.LBB39_826:
	s_andn2_b64 vcc, exec, s[10:11]
	s_cbranch_vccnz .LBB39_828
; %bb.827:
	v_cndmask_b32_e64 v2, 0, 1.0, s[8:9]
	global_store_dword v[0:1], v2, off
.LBB39_828:
	s_mov_b64 s[10:11], 0
.LBB39_829:
	s_andn2_b64 vcc, exec, s[10:11]
	s_cbranch_vccnz .LBB39_831
; %bb.830:
	v_cndmask_b32_e64 v2, 0, 1.0, s[8:9]
	v_cvt_f16_f32_e32 v2, v2
	global_store_short v[0:1], v2, off
.LBB39_831:
	s_mov_b64 s[10:11], 0
.LBB39_832:
	s_andn2_b64 vcc, exec, s[10:11]
	s_cbranch_vccnz .LBB39_848
; %bb.833:
	s_cmp_lt_i32 s12, 2
	s_mov_b64 s[10:11], -1
	s_cbranch_scc1 .LBB39_843
; %bb.834:
	s_cmp_lt_i32 s12, 3
	s_cbranch_scc1 .LBB39_840
; %bb.835:
	s_cmp_gt_i32 s12, 3
	s_cbranch_scc0 .LBB39_837
; %bb.836:
	s_mov_b32 s10, 0
	v_cndmask_b32_e64 v2, 0, 1, s[8:9]
	s_waitcnt vmcnt(0)
	v_mov_b32_e32 v3, s10
	s_mov_b64 s[10:11], 0
	global_store_dwordx2 v[0:1], v[2:3], off
.LBB39_837:
	s_andn2_b64 vcc, exec, s[10:11]
	s_cbranch_vccnz .LBB39_839
; %bb.838:
	v_cndmask_b32_e64 v2, 0, 1, s[8:9]
	global_store_dword v[0:1], v2, off
.LBB39_839:
	s_mov_b64 s[10:11], 0
.LBB39_840:
	s_andn2_b64 vcc, exec, s[10:11]
	s_cbranch_vccnz .LBB39_842
; %bb.841:
	v_cndmask_b32_e64 v2, 0, 1, s[8:9]
	global_store_short v[0:1], v2, off
.LBB39_842:
	s_mov_b64 s[10:11], 0
.LBB39_843:
	s_andn2_b64 vcc, exec, s[10:11]
	s_cbranch_vccnz .LBB39_848
; %bb.844:
	s_mov_b64 s[10:11], -1
	s_cmp_gt_i32 s12, 0
	v_cndmask_b32_e64 v2, 0, 1, s[8:9]
	s_cbranch_scc0 .LBB39_846
; %bb.845:
	s_mov_b64 s[10:11], 0
	global_store_byte v[0:1], v2, off
.LBB39_846:
	s_andn2_b64 vcc, exec, s[10:11]
	s_cbranch_vccnz .LBB39_848
; %bb.847:
	global_store_byte v[0:1], v2, off
.LBB39_848:
	s_mov_b64 s[10:11], -1
.LBB39_849:
	s_andn2_b64 vcc, exec, s[10:11]
	s_cbranch_vccnz .LBB39_851
; %bb.850:
	v_add_u32_e32 v8, 0x80, v8
	s_mov_b64 s[8:9], -1
	s_branch .LBB39_853
.LBB39_851:
	s_mov_b64 s[8:9], 0
.LBB39_852:
                                        ; implicit-def: $vgpr8
.LBB39_853:
	s_andn2_b64 s[10:11], s[62:63], exec
	s_and_b64 s[0:1], s[0:1], exec
	s_or_b64 s[70:71], s[10:11], s[0:1]
	s_andn2_b64 s[0:1], s[60:61], exec
	s_and_b64 s[2:3], s[2:3], exec
	s_or_b64 s[68:69], s[0:1], s[2:3]
	s_orn2_b64 s[2:3], s[8:9], exec
.LBB39_854:
	s_or_b64 exec, exec, s[66:67]
	s_mov_b64 s[0:1], 0
	s_mov_b64 s[8:9], 0
	;; [unrolled: 1-line block ×3, first 2 shown]
                                        ; implicit-def: $vgpr1_vgpr2
                                        ; implicit-def: $vgpr0
                                        ; implicit-def: $vgpr3
	s_and_saveexec_b64 s[66:67], s[2:3]
	s_cbranch_execz .LBB39_949
; %bb.855:
	v_cmp_gt_i32_e32 vcc, s72, v8
	s_mov_b64 s[2:3], 0
	s_mov_b64 s[12:13], s[68:69]
                                        ; implicit-def: $vgpr1_vgpr2
                                        ; implicit-def: $vgpr0
                                        ; implicit-def: $vgpr3
	s_and_saveexec_b64 s[72:73], vcc
	s_cbranch_execz .LBB39_948
; %bb.856:
	s_andn2_b64 vcc, exec, s[40:41]
	s_cbranch_vccnz .LBB39_861
; %bb.857:
	s_andn2_b64 vcc, exec, s[52:53]
	s_cbranch_vccnz .LBB39_862
; %bb.858:
	s_add_i32 s78, s77, 1
	s_cmp_eq_u32 s74, 2
	s_cbranch_scc1 .LBB39_863
; %bb.859:
	s_and_b32 s77, s78, 28
	v_mov_b32_e32 v2, 0
	s_mov_b32 s79, 0
	s_mov_b64 s[52:53], s[34:35]
	v_mov_b32_e32 v0, 0
	v_mov_b32_e32 v1, v8
.LBB39_860:                             ; =>This Inner Loop Header: Depth=1
	s_load_dwordx8 s[16:23], s[52:53], 0x4
	s_load_dwordx4 s[0:3], s[52:53], 0x24
	s_load_dwordx8 s[8:15], s[50:51], 0x0
	s_add_u32 s52, s52, 48
	s_addc_u32 s53, s53, 0
	s_waitcnt vmcnt(0) lgkmcnt(0)
	v_mul_hi_u32 v3, s17, v1
	s_add_i32 s79, s79, 4
	s_add_u32 s50, s50, 32
	s_addc_u32 s51, s51, 0
	v_add_u32_e32 v3, v1, v3
	v_lshrrev_b32_e32 v3, s18, v3
	v_mul_lo_u32 v4, v3, s16
	v_mul_hi_u32 v5, s20, v3
	s_cmp_eq_u32 s77, s79
	v_sub_u32_e32 v1, v1, v4
	v_add_u32_e32 v4, v3, v5
	v_mul_lo_u32 v5, v1, s8
	v_mul_lo_u32 v6, v1, s9
	v_lshrrev_b32_e32 v1, s21, v4
	v_mul_lo_u32 v4, v1, s19
	v_mul_hi_u32 v7, s23, v1
	v_sub_u32_e32 v3, v3, v4
	v_add_u32_e32 v4, v1, v7
	v_lshrrev_b32_e32 v4, s0, v4
	v_mul_hi_u32 v9, s2, v4
	v_mul_lo_u32 v10, v4, s22
	v_mul_lo_u32 v7, v3, s10
	;; [unrolled: 1-line block ×3, first 2 shown]
	v_sub_u32_e32 v10, v1, v10
	v_add_u32_e32 v1, v4, v9
	v_lshrrev_b32_e32 v1, s3, v1
	v_mul_lo_u32 v9, v1, s1
	v_mul_lo_u32 v11, v10, s12
	;; [unrolled: 1-line block ×3, first 2 shown]
	v_add3_u32 v0, v5, v0, v7
	v_sub_u32_e32 v4, v4, v9
	v_mul_lo_u32 v9, v4, s14
	v_mul_lo_u32 v4, v4, s15
	v_add3_u32 v2, v6, v2, v3
	v_add3_u32 v0, v11, v0, v9
	;; [unrolled: 1-line block ×3, first 2 shown]
	s_cbranch_scc0 .LBB39_860
	s_branch .LBB39_864
.LBB39_861:
	s_mov_b64 s[0:1], -1
                                        ; implicit-def: $vgpr0
                                        ; implicit-def: $vgpr2
	s_branch .LBB39_868
.LBB39_862:
	v_mov_b32_e32 v0, 0
	v_mov_b32_e32 v2, 0
	s_branch .LBB39_867
.LBB39_863:
	s_mov_b32 s77, 0
	v_mov_b32_e32 v0, 0
	v_mov_b32_e32 v2, 0
	;; [unrolled: 1-line block ×3, first 2 shown]
.LBB39_864:
	s_and_b32 s8, s78, 3
	s_cmp_eq_u32 s8, 0
	s_cbranch_scc1 .LBB39_867
; %bb.865:
	s_lshl_b32 s0, s77, 3
	s_add_u32 s0, s34, s0
	s_addc_u32 s1, s35, 0
	s_add_u32 s0, s0, 0xc4
	s_addc_u32 s1, s1, 0
	s_mul_i32 s2, s77, 12
	s_add_u32 s2, s34, s2
	s_addc_u32 s3, s35, 0
.LBB39_866:                             ; =>This Inner Loop Header: Depth=1
	s_load_dwordx2 s[10:11], s[2:3], 0x4
	s_load_dword s9, s[2:3], 0xc
	s_load_dwordx2 s[12:13], s[0:1], 0x0
	s_add_u32 s2, s2, 12
	s_addc_u32 s3, s3, 0
	s_waitcnt vmcnt(0) lgkmcnt(0)
	v_mul_hi_u32 v3, s11, v1
	s_add_u32 s0, s0, 8
	s_addc_u32 s1, s1, 0
	s_add_i32 s8, s8, -1
	v_add_u32_e32 v3, v1, v3
	v_lshrrev_b32_e32 v4, s9, v3
	v_mul_lo_u32 v3, v4, s10
	s_cmp_lg_u32 s8, 0
	v_sub_u32_e32 v3, v1, v3
	v_mad_u64_u32 v[0:1], s[10:11], v3, s12, v[0:1]
	v_mad_u64_u32 v[2:3], s[10:11], v3, s13, v[2:3]
	v_mov_b32_e32 v1, v4
	s_cbranch_scc1 .LBB39_866
.LBB39_867:
	s_mov_b64 s[0:1], 0
.LBB39_868:
	s_andn2_b64 vcc, exec, s[0:1]
	s_cbranch_vccnz .LBB39_871
; %bb.869:
	v_mul_hi_u32 v0, s29, v8
	s_andn2_b64 vcc, exec, s[48:49]
	v_add_u32_e32 v0, v8, v0
	v_lshrrev_b32_e32 v1, s30, v0
	v_mul_lo_u32 v0, v1, s28
	v_sub_u32_e32 v2, v8, v0
	v_mul_lo_u32 v0, v2, s36
	v_mul_lo_u32 v2, v2, s37
	s_cbranch_vccnz .LBB39_871
; %bb.870:
	s_waitcnt vmcnt(0)
	v_mul_hi_u32 v3, s46, v1
	v_add_u32_e32 v3, v1, v3
	v_lshrrev_b32_e32 v3, s47, v3
	v_mul_lo_u32 v3, v3, s31
	v_sub_u32_e32 v3, v1, v3
	v_mad_u64_u32 v[0:1], s[0:1], v3, s38, v[0:1]
	v_mad_u64_u32 v[2:3], s[0:1], v3, s39, v[2:3]
.LBB39_871:
	s_waitcnt vmcnt(0)
	v_mov_b32_e32 v3, s27
	s_and_b32 s12, 0xffff, s76
	v_add_co_u32_e32 v1, vcc, s26, v2
	s_cmp_lt_i32 s12, 11
	v_addc_co_u32_e32 v2, vcc, 0, v3, vcc
	s_cbranch_scc1 .LBB39_878
; %bb.872:
	s_cmp_gt_i32 s12, 25
	s_mov_b64 s[2:3], 0
	s_cbranch_scc0 .LBB39_879
; %bb.873:
	s_cmp_gt_i32 s12, 28
	s_cbranch_scc0 .LBB39_880
; %bb.874:
	s_cmp_gt_i32 s12, 43
	;; [unrolled: 3-line block ×3, first 2 shown]
	s_cbranch_scc0 .LBB39_884
; %bb.876:
	s_cmp_eq_u32 s12, 46
	s_mov_b64 s[10:11], 0
	s_cbranch_scc0 .LBB39_887
; %bb.877:
	global_load_dword v3, v[1:2], off
	s_mov_b64 s[0:1], 0
	s_mov_b64 s[8:9], -1
	s_waitcnt vmcnt(0)
	v_lshlrev_b32_e32 v3, 16, v3
	v_cvt_i32_f32_e32 v3, v3
	s_branch .LBB39_888
.LBB39_878:
	s_mov_b64 s[12:13], -1
	s_mov_b64 s[8:9], 0
	s_mov_b64 s[2:3], 0
	;; [unrolled: 1-line block ×3, first 2 shown]
                                        ; implicit-def: $vgpr3
	s_branch .LBB39_947
.LBB39_879:
	s_mov_b64 s[10:11], -1
	s_mov_b64 s[8:9], 0
	s_mov_b64 s[0:1], s[68:69]
                                        ; implicit-def: $vgpr3
	s_branch .LBB39_915
.LBB39_880:
	s_mov_b64 s[10:11], -1
	s_mov_b64 s[8:9], 0
	s_mov_b64 s[0:1], s[68:69]
                                        ; implicit-def: $vgpr3
	s_branch .LBB39_898
.LBB39_881:
	s_mov_b64 s[10:11], -1
	s_mov_b64 s[8:9], 0
	s_mov_b64 s[0:1], s[68:69]
                                        ; implicit-def: $vgpr3
	s_branch .LBB39_893
.LBB39_882:
	s_andn2_saveexec_b64 s[14:15], s[14:15]
	s_cbranch_execz .LBB39_762
.LBB39_883:
	v_add_f32_e32 v2, 0x46000000, v3
	v_and_b32_e32 v2, 0xff, v2
	v_cmp_ne_u32_e32 vcc, 0, v2
	s_andn2_b64 s[12:13], s[12:13], exec
	s_and_b64 s[18:19], vcc, exec
	s_or_b64 s[12:13], s[12:13], s[18:19]
	s_or_b64 exec, exec, s[14:15]
	v_mov_b32_e32 v4, 0
	s_and_saveexec_b64 s[14:15], s[12:13]
	s_cbranch_execnz .LBB39_763
	s_branch .LBB39_764
.LBB39_884:
	s_mov_b64 s[10:11], -1
	s_mov_b64 s[8:9], 0
	s_mov_b64 s[0:1], s[68:69]
                                        ; implicit-def: $vgpr3
	s_branch .LBB39_888
.LBB39_885:
	s_andn2_saveexec_b64 s[14:15], s[14:15]
	s_cbranch_execz .LBB39_775
.LBB39_886:
	v_add_f32_e32 v2, 0x42800000, v3
	v_and_b32_e32 v2, 0xff, v2
	v_cmp_ne_u32_e32 vcc, 0, v2
	s_andn2_b64 s[12:13], s[12:13], exec
	s_and_b64 s[18:19], vcc, exec
	s_or_b64 s[12:13], s[12:13], s[18:19]
	s_or_b64 exec, exec, s[14:15]
	v_mov_b32_e32 v4, 0
	s_and_saveexec_b64 s[14:15], s[12:13]
	s_cbranch_execnz .LBB39_776
	s_branch .LBB39_777
.LBB39_887:
	s_mov_b64 s[0:1], -1
                                        ; implicit-def: $vgpr3
	s_mov_b64 s[8:9], 0
.LBB39_888:
	s_and_b64 vcc, exec, s[10:11]
	s_cbranch_vccz .LBB39_892
; %bb.889:
	s_cmp_eq_u32 s12, 44
	s_cbranch_scc0 .LBB39_891
; %bb.890:
	global_load_ubyte v3, v[1:2], off
	s_mov_b64 s[0:1], 0
	s_mov_b64 s[8:9], -1
	s_waitcnt vmcnt(0)
	v_lshlrev_b32_e32 v4, 23, v3
	v_cvt_i32_f32_e32 v4, v4
	v_cmp_ne_u32_e32 vcc, 0, v3
	v_cndmask_b32_e32 v3, 0, v4, vcc
	s_branch .LBB39_892
.LBB39_891:
	s_mov_b64 s[0:1], -1
                                        ; implicit-def: $vgpr3
.LBB39_892:
	s_mov_b64 s[10:11], 0
.LBB39_893:
	s_and_b64 vcc, exec, s[10:11]
	s_cbranch_vccz .LBB39_897
; %bb.894:
	s_cmp_eq_u32 s12, 29
	s_cbranch_scc0 .LBB39_896
; %bb.895:
	global_load_dword v3, v[1:2], off
	s_mov_b64 s[0:1], 0
	s_mov_b64 s[8:9], -1
	s_branch .LBB39_897
.LBB39_896:
	s_mov_b64 s[0:1], -1
                                        ; implicit-def: $vgpr3
.LBB39_897:
	s_mov_b64 s[10:11], 0
.LBB39_898:
	s_and_b64 vcc, exec, s[10:11]
	s_cbranch_vccz .LBB39_914
; %bb.899:
	s_cmp_lt_i32 s12, 27
	s_cbranch_scc1 .LBB39_902
; %bb.900:
	s_cmp_gt_i32 s12, 27
	s_cbranch_scc0 .LBB39_903
; %bb.901:
	global_load_dword v3, v[1:2], off
	s_mov_b64 s[8:9], 0
	s_branch .LBB39_904
.LBB39_902:
	s_mov_b64 s[8:9], -1
                                        ; implicit-def: $vgpr3
	s_branch .LBB39_907
.LBB39_903:
	s_mov_b64 s[8:9], -1
                                        ; implicit-def: $vgpr3
.LBB39_904:
	s_andn2_b64 vcc, exec, s[8:9]
	s_cbranch_vccnz .LBB39_906
; %bb.905:
	global_load_ushort v3, v[1:2], off
.LBB39_906:
	s_mov_b64 s[8:9], 0
.LBB39_907:
	s_andn2_b64 vcc, exec, s[8:9]
	s_cbranch_vccnz .LBB39_913
; %bb.908:
	global_load_ubyte v4, v[1:2], off
	s_movk_i32 s8, 0x7f
	s_mov_b64 s[10:11], 0
	s_waitcnt vmcnt(0)
	v_cmp_lt_i16_e32 vcc, s8, v4
	s_and_saveexec_b64 s[8:9], vcc
	s_xor_b64 s[8:9], exec, s[8:9]
	s_cbranch_execz .LBB39_925
; %bb.909:
	s_movk_i32 s10, 0x80
	v_cmp_ne_u16_e32 vcc, s10, v4
	s_and_b64 s[10:11], vcc, exec
	s_andn2_saveexec_b64 s[8:9], s[8:9]
	s_cbranch_execnz .LBB39_926
.LBB39_910:
	s_or_b64 exec, exec, s[8:9]
	v_mov_b32_e32 v3, 0
	s_and_saveexec_b64 s[8:9], s[10:11]
	s_cbranch_execz .LBB39_912
.LBB39_911:
	v_lshlrev_b32_e32 v3, 24, v4
	v_and_b32_e32 v4, 0xffff, v4
	v_and_b32_e32 v5, 7, v4
	v_ffbh_u32_e32 v7, v5
	v_min_u32_e32 v7, 32, v7
	v_subrev_u32_e32 v8, 28, v7
	v_bfe_u32 v6, v4, 3, 4
	v_lshlrev_b32_e32 v4, v8, v4
	v_sub_u32_e32 v7, 29, v7
	v_and_b32_e32 v4, 7, v4
	v_cmp_eq_u32_e32 vcc, 0, v6
	v_cndmask_b32_e32 v6, v6, v7, vcc
	v_cndmask_b32_e32 v4, v5, v4, vcc
	v_mov_b32_e32 v5, 0x3b800000
	v_lshlrev_b32_e32 v4, 20, v4
	v_and_b32_e32 v3, 0x80000000, v3
	v_lshl_add_u32 v5, v6, 23, v5
	v_or3_b32 v3, v3, v5, v4
	v_cvt_i32_f32_e32 v3, v3
.LBB39_912:
	s_or_b64 exec, exec, s[8:9]
.LBB39_913:
	s_mov_b64 s[8:9], -1
.LBB39_914:
	s_mov_b64 s[10:11], 0
.LBB39_915:
	s_and_b64 vcc, exec, s[10:11]
	s_cbranch_vccz .LBB39_946
; %bb.916:
	s_cmp_gt_i32 s12, 22
	s_cbranch_scc0 .LBB39_924
; %bb.917:
	s_cmp_lt_i32 s12, 24
	s_cbranch_scc1 .LBB39_927
; %bb.918:
	s_cmp_gt_i32 s12, 24
	s_cbranch_scc0 .LBB39_928
; %bb.919:
	global_load_ubyte v4, v[1:2], off
	s_movk_i32 s2, 0x7f
	s_mov_b64 s[8:9], 0
	s_waitcnt vmcnt(0)
	v_cmp_lt_i16_e32 vcc, s2, v4
	s_and_saveexec_b64 s[2:3], vcc
	s_xor_b64 s[2:3], exec, s[2:3]
	s_cbranch_execz .LBB39_940
; %bb.920:
	s_movk_i32 s8, 0x80
	v_cmp_ne_u16_e32 vcc, s8, v4
	s_and_b64 s[8:9], vcc, exec
	s_andn2_saveexec_b64 s[2:3], s[2:3]
	s_cbranch_execnz .LBB39_941
.LBB39_921:
	s_or_b64 exec, exec, s[2:3]
	v_mov_b32_e32 v3, 0
	s_and_saveexec_b64 s[2:3], s[8:9]
	s_cbranch_execz .LBB39_923
.LBB39_922:
	v_lshlrev_b32_e32 v3, 24, v4
	v_and_b32_e32 v4, 0xffff, v4
	v_and_b32_e32 v5, 3, v4
	v_ffbh_u32_e32 v7, v5
	v_min_u32_e32 v7, 32, v7
	v_subrev_u32_e32 v8, 29, v7
	v_bfe_u32 v6, v4, 2, 5
	v_lshlrev_b32_e32 v4, v8, v4
	v_sub_u32_e32 v7, 30, v7
	v_and_b32_e32 v4, 3, v4
	v_cmp_eq_u32_e32 vcc, 0, v6
	v_cndmask_b32_e32 v6, v6, v7, vcc
	v_cndmask_b32_e32 v4, v5, v4, vcc
	v_mov_b32_e32 v5, 0x37800000
	v_lshlrev_b32_e32 v4, 21, v4
	v_and_b32_e32 v3, 0x80000000, v3
	v_lshl_add_u32 v5, v6, 23, v5
	v_or3_b32 v3, v3, v5, v4
	v_cvt_i32_f32_e32 v3, v3
.LBB39_923:
	s_or_b64 exec, exec, s[2:3]
	s_mov_b64 s[2:3], 0
	s_branch .LBB39_929
.LBB39_924:
	s_mov_b64 s[2:3], -1
                                        ; implicit-def: $vgpr3
	s_branch .LBB39_935
.LBB39_925:
	s_andn2_saveexec_b64 s[8:9], s[8:9]
	s_cbranch_execz .LBB39_910
.LBB39_926:
	v_cmp_ne_u16_e32 vcc, 0, v4
	s_andn2_b64 s[10:11], s[10:11], exec
	s_and_b64 s[14:15], vcc, exec
	s_or_b64 s[10:11], s[10:11], s[14:15]
	s_or_b64 exec, exec, s[8:9]
	v_mov_b32_e32 v3, 0
	s_and_saveexec_b64 s[8:9], s[10:11]
	s_cbranch_execnz .LBB39_911
	s_branch .LBB39_912
.LBB39_927:
	s_mov_b64 s[2:3], -1
                                        ; implicit-def: $vgpr3
	s_branch .LBB39_932
.LBB39_928:
	s_mov_b64 s[2:3], -1
                                        ; implicit-def: $vgpr3
.LBB39_929:
	s_and_b64 vcc, exec, s[2:3]
	s_cbranch_vccz .LBB39_931
; %bb.930:
	global_load_ubyte v3, v[1:2], off
	s_mov_b32 s2, 0x7f800000
	s_waitcnt vmcnt(0)
	v_lshlrev_b32_e32 v3, 24, v3
	v_and_b32_e32 v4, 0x7f000000, v3
	v_ffbh_u32_e32 v5, v4
	v_min_u32_e32 v5, 32, v5
	v_sub_u32_e64 v5, v5, 4 clamp
	v_lshlrev_b32_e32 v7, v5, v4
	v_lshlrev_b32_e32 v5, 23, v5
	v_lshrrev_b32_e32 v7, 4, v7
	v_add_u32_e32 v6, 0x1000000, v4
	v_sub_u32_e32 v5, v7, v5
	v_ashrrev_i32_e32 v6, 8, v6
	v_add_u32_e32 v5, 0x3c000000, v5
	v_and_or_b32 v5, v6, s2, v5
	v_cmp_ne_u32_e32 vcc, 0, v4
	v_cndmask_b32_e32 v4, 0, v5, vcc
	s_brev_b32 s2, 1
	v_and_or_b32 v3, v3, s2, v4
	v_cvt_i32_f32_e32 v3, v3
.LBB39_931:
	s_mov_b64 s[2:3], 0
.LBB39_932:
	s_andn2_b64 vcc, exec, s[2:3]
	s_cbranch_vccnz .LBB39_934
; %bb.933:
	global_load_ubyte v3, v[1:2], off
	s_movk_i32 s2, 0x7f00
	s_brev_b32 s3, 16
	s_waitcnt vmcnt(0)
	v_lshlrev_b16_e32 v4, 8, v3
	v_lshlrev_b32_e32 v3, 25, v3
	v_lshrrev_b32_e32 v5, 4, v3
	v_and_or_b32 v6, v4, s2, 0.5
	v_or_b32_e32 v5, 0x70000000, v5
	v_add_f32_e32 v6, -0.5, v6
	v_mul_f32_e32 v5, 0x7800000, v5
	v_cmp_gt_u32_e32 vcc, s3, v3
	v_bfe_i32 v4, v4, 0, 16
	v_cndmask_b32_e32 v3, v5, v6, vcc
	s_brev_b32 s2, 1
	v_and_or_b32 v3, v4, s2, v3
	v_cvt_i32_f32_e32 v3, v3
.LBB39_934:
	s_mov_b64 s[2:3], 0
	s_mov_b64 s[8:9], -1
.LBB39_935:
	s_andn2_b64 vcc, exec, s[2:3]
	s_mov_b64 s[2:3], 0
	s_cbranch_vccnz .LBB39_946
; %bb.936:
	s_cmp_gt_i32 s12, 14
	s_cbranch_scc0 .LBB39_939
; %bb.937:
	s_cmp_eq_u32 s12, 15
	s_cbranch_scc0 .LBB39_942
; %bb.938:
	global_load_ushort v3, v[1:2], off
	s_mov_b64 s[0:1], 0
	s_mov_b64 s[8:9], -1
	s_waitcnt vmcnt(0)
	v_lshlrev_b32_e32 v3, 16, v3
	v_cvt_i32_f32_e32 v3, v3
	s_branch .LBB39_943
.LBB39_939:
	s_mov_b64 s[10:11], -1
                                        ; implicit-def: $vgpr3
	s_branch .LBB39_944
.LBB39_940:
	s_andn2_saveexec_b64 s[2:3], s[2:3]
	s_cbranch_execz .LBB39_921
.LBB39_941:
	v_cmp_ne_u16_e32 vcc, 0, v4
	s_andn2_b64 s[8:9], s[8:9], exec
	s_and_b64 s[10:11], vcc, exec
	s_or_b64 s[8:9], s[8:9], s[10:11]
	s_or_b64 exec, exec, s[2:3]
	v_mov_b32_e32 v3, 0
	s_and_saveexec_b64 s[2:3], s[8:9]
	s_cbranch_execnz .LBB39_922
	s_branch .LBB39_923
.LBB39_942:
	s_mov_b64 s[0:1], -1
                                        ; implicit-def: $vgpr3
.LBB39_943:
	s_mov_b64 s[10:11], 0
.LBB39_944:
	s_and_b64 vcc, exec, s[10:11]
	s_cbranch_vccz .LBB39_946
; %bb.945:
	s_cmp_lg_u32 s12, 11
	s_cselect_b64 s[10:11], -1, 0
	s_andn2_b64 s[0:1], s[0:1], exec
	s_and_b64 s[10:11], s[10:11], exec
	s_mov_b64 s[2:3], -1
	s_or_b64 s[0:1], s[0:1], s[10:11]
.LBB39_946:
	s_mov_b64 s[12:13], 0
.LBB39_947:
	s_and_b64 s[10:11], s[8:9], exec
	s_and_b64 s[8:9], s[12:13], exec
	s_andn2_b64 s[12:13], s[68:69], exec
	s_and_b64 s[0:1], s[0:1], exec
	s_and_b64 s[2:3], s[2:3], exec
	s_or_b64 s[12:13], s[12:13], s[0:1]
.LBB39_948:
	s_or_b64 exec, exec, s[72:73]
	s_and_b64 s[0:1], s[2:3], exec
	s_andn2_b64 s[2:3], s[68:69], exec
	s_and_b64 s[12:13], s[12:13], exec
	s_and_b64 s[10:11], s[10:11], exec
	;; [unrolled: 1-line block ×3, first 2 shown]
	s_or_b64 s[68:69], s[2:3], s[12:13]
.LBB39_949:
	s_or_b64 exec, exec, s[66:67]
	s_andn2_b64 s[2:3], s[62:63], exec
	s_and_b64 s[12:13], s[70:71], exec
	s_or_b64 s[62:63], s[2:3], s[12:13]
	s_and_b64 s[2:3], s[0:1], exec
	s_andn2_b64 s[0:1], s[60:61], exec
	s_and_b64 s[12:13], s[68:69], exec
	s_and_b64 s[10:11], s[10:11], exec
	;; [unrolled: 1-line block ×3, first 2 shown]
	s_or_b64 s[60:61], s[0:1], s[12:13]
.LBB39_950:
	s_or_b64 exec, exec, s[64:65]
	s_andn2_b64 s[0:1], s[54:55], exec
	s_and_b64 s[12:13], s[62:63], exec
	s_or_b64 s[54:55], s[0:1], s[12:13]
	s_and_b64 s[0:1], s[10:11], exec
	s_and_b64 s[10:11], s[8:9], exec
	;; [unrolled: 1-line block ×3, first 2 shown]
	s_andn2_b64 s[2:3], s[56:57], exec
	s_and_b64 s[8:9], s[60:61], exec
	s_or_b64 s[56:57], s[2:3], s[8:9]
	s_or_b64 exec, exec, s[58:59]
	s_mov_b64 s[2:3], 0
	s_and_saveexec_b64 s[8:9], s[56:57]
	s_cbranch_execz .LBB39_286
.LBB39_951:
	s_mov_b64 s[2:3], exec
	s_andn2_b64 s[62:63], s[62:63], exec
	s_trap 2
	s_or_b64 exec, exec, s[8:9]
	s_and_saveexec_b64 s[8:9], s[62:63]
	s_xor_b64 s[8:9], exec, s[8:9]
	s_cbranch_execnz .LBB39_287
.LBB39_952:
	s_or_b64 exec, exec, s[8:9]
	s_and_saveexec_b64 s[8:9], s[10:11]
	s_cbranch_execz .LBB39_998
.LBB39_953:
	s_sext_i32_i16 s10, s76
	s_cmp_lt_i32 s10, 5
	s_cbranch_scc1 .LBB39_958
; %bb.954:
	s_cmp_lt_i32 s10, 8
	s_cbranch_scc1 .LBB39_959
; %bb.955:
	;; [unrolled: 3-line block ×3, first 2 shown]
	s_cmp_gt_i32 s10, 9
	s_cbranch_scc0 .LBB39_961
; %bb.957:
	global_load_dwordx2 v[3:4], v[1:2], off
	s_mov_b64 s[10:11], 0
	s_waitcnt vmcnt(0)
	v_cvt_i32_f64_e32 v3, v[3:4]
	s_branch .LBB39_962
.LBB39_958:
                                        ; implicit-def: $vgpr3
	s_branch .LBB39_979
.LBB39_959:
                                        ; implicit-def: $vgpr3
	s_branch .LBB39_968
.LBB39_960:
	s_mov_b64 s[10:11], -1
                                        ; implicit-def: $vgpr3
	s_branch .LBB39_965
.LBB39_961:
	s_mov_b64 s[10:11], -1
                                        ; implicit-def: $vgpr3
.LBB39_962:
	s_andn2_b64 vcc, exec, s[10:11]
	s_cbranch_vccnz .LBB39_964
; %bb.963:
	global_load_dword v3, v[1:2], off
	s_waitcnt vmcnt(0)
	v_cvt_i32_f32_e32 v3, v3
.LBB39_964:
	s_mov_b64 s[10:11], 0
.LBB39_965:
	s_andn2_b64 vcc, exec, s[10:11]
	s_cbranch_vccnz .LBB39_967
; %bb.966:
	global_load_dword v3, v[1:2], off
	s_waitcnt vmcnt(0)
	v_cvt_f32_f16_e32 v3, v3
	v_cvt_i32_f32_e32 v3, v3
.LBB39_967:
	s_cbranch_execnz .LBB39_978
.LBB39_968:
	s_sext_i32_i16 s10, s76
	s_cmp_lt_i32 s10, 6
	s_cbranch_scc1 .LBB39_971
; %bb.969:
	s_cmp_gt_i32 s10, 6
	s_cbranch_scc0 .LBB39_972
; %bb.970:
	global_load_dwordx2 v[3:4], v[1:2], off
	s_mov_b64 s[10:11], 0
	s_waitcnt vmcnt(0)
	v_cvt_i32_f64_e32 v3, v[3:4]
	s_branch .LBB39_973
.LBB39_971:
	s_mov_b64 s[10:11], -1
                                        ; implicit-def: $vgpr3
	s_branch .LBB39_976
.LBB39_972:
	s_mov_b64 s[10:11], -1
                                        ; implicit-def: $vgpr3
.LBB39_973:
	s_andn2_b64 vcc, exec, s[10:11]
	s_cbranch_vccnz .LBB39_975
; %bb.974:
	global_load_dword v3, v[1:2], off
	s_waitcnt vmcnt(0)
	v_cvt_i32_f32_e32 v3, v3
.LBB39_975:
	s_mov_b64 s[10:11], 0
.LBB39_976:
	s_andn2_b64 vcc, exec, s[10:11]
	s_cbranch_vccnz .LBB39_978
; %bb.977:
	global_load_ushort v3, v[1:2], off
	s_waitcnt vmcnt(0)
	v_cvt_f32_f16_e32 v3, v3
	v_cvt_i32_f32_e32 v3, v3
.LBB39_978:
	s_cbranch_execnz .LBB39_997
.LBB39_979:
	s_sext_i32_i16 s10, s76
	s_cmp_lt_i32 s10, 2
	s_cbranch_scc1 .LBB39_983
; %bb.980:
	s_cmp_lt_i32 s10, 3
	s_cbranch_scc1 .LBB39_984
; %bb.981:
	s_cmp_gt_i32 s10, 3
	s_cbranch_scc0 .LBB39_985
; %bb.982:
	global_load_dword v3, v[1:2], off
	s_mov_b64 s[10:11], 0
	s_branch .LBB39_986
.LBB39_983:
                                        ; implicit-def: $vgpr3
	s_branch .LBB39_992
.LBB39_984:
	s_mov_b64 s[10:11], -1
                                        ; implicit-def: $vgpr3
	s_branch .LBB39_989
.LBB39_985:
	s_mov_b64 s[10:11], -1
                                        ; implicit-def: $vgpr3
.LBB39_986:
	s_andn2_b64 vcc, exec, s[10:11]
	s_cbranch_vccnz .LBB39_988
; %bb.987:
	global_load_dword v3, v[1:2], off
.LBB39_988:
	s_mov_b64 s[10:11], 0
.LBB39_989:
	s_andn2_b64 vcc, exec, s[10:11]
	s_cbranch_vccnz .LBB39_991
; %bb.990:
	global_load_sshort v3, v[1:2], off
.LBB39_991:
	s_cbranch_execnz .LBB39_997
.LBB39_992:
	s_sext_i32_i16 s10, s76
	s_cmp_gt_i32 s10, 0
	s_cbranch_scc0 .LBB39_994
; %bb.993:
	global_load_sbyte v3, v[1:2], off
	s_mov_b64 s[10:11], 0
	s_branch .LBB39_995
.LBB39_994:
	s_mov_b64 s[10:11], -1
                                        ; implicit-def: $vgpr3
.LBB39_995:
	s_andn2_b64 vcc, exec, s[10:11]
	s_cbranch_vccnz .LBB39_997
; %bb.996:
	global_load_ubyte v3, v[1:2], off
.LBB39_997:
	s_or_b64 s[0:1], s[0:1], exec
.LBB39_998:
	s_or_b64 exec, exec, s[8:9]
	s_mov_b64 s[14:15], 0
	s_mov_b64 s[12:13], 0
                                        ; implicit-def: $sgpr8_sgpr9
                                        ; implicit-def: $sgpr20
                                        ; implicit-def: $vgpr1_vgpr2
	s_and_saveexec_b64 s[10:11], s[0:1]
	s_cbranch_execz .LBB39_1003
; %bb.999:
	s_cmp_lt_i32 s44, 1
	s_mov_b64 s[0:1], 0
	s_cbranch_scc1 .LBB39_1006
; %bb.1000:
	s_cmp_gt_i32 s44, 1
	s_cbranch_scc0 .LBB39_1007
; %bb.1001:
	s_cmp_eq_u32 s44, 2
	s_cbranch_scc0 .LBB39_1008
; %bb.1002:
	s_waitcnt vmcnt(0)
	v_cmp_ge_i32_e64 s[8:9], s45, v3
	s_branch .LBB39_1010
.LBB39_1003:
	s_or_b64 exec, exec, s[10:11]
	s_and_saveexec_b64 s[0:1], s[54:55]
	s_cbranch_execnz .LBB39_1095
.LBB39_1004:
	s_or_b64 exec, exec, s[0:1]
	s_and_saveexec_b64 s[0:1], s[14:15]
	s_xor_b64 s[0:1], exec, s[0:1]
	s_cbranch_execz .LBB39_1096
.LBB39_1005:
	v_cndmask_b32_e64 v0, 0, 1, s[8:9]
	global_store_byte v[1:2], v0, off
	s_or_b64 exec, exec, s[0:1]
	s_and_saveexec_b64 s[0:1], s[12:13]
	s_xor_b64 s[0:1], exec, s[0:1]
	s_cbranch_execz .LBB39_1134
	s_branch .LBB39_1097
.LBB39_1006:
                                        ; implicit-def: $sgpr8_sgpr9
	s_cbranch_execnz .LBB39_1013
	s_branch .LBB39_1014
.LBB39_1007:
	s_mov_b64 s[14:15], -1
	s_branch .LBB39_1009
.LBB39_1008:
	s_mov_b64 s[12:13], -1
.LBB39_1009:
                                        ; implicit-def: $sgpr8_sgpr9
.LBB39_1010:
	s_and_b64 vcc, exec, s[14:15]
	s_cbranch_vccz .LBB39_1012
; %bb.1011:
	s_waitcnt vmcnt(0)
	v_cmp_lt_i32_e32 vcc, s45, v3
	s_andn2_b64 s[8:9], s[8:9], exec
	s_and_b64 s[14:15], vcc, exec
	s_or_b64 s[8:9], s[8:9], s[14:15]
.LBB39_1012:
	s_branch .LBB39_1014
.LBB39_1013:
	s_cmp_lg_u32 s44, 0
	s_mov_b64 s[0:1], -1
	s_cselect_b64 s[12:13], -1, 0
.LBB39_1014:
	s_andn2_b64 vcc, exec, s[12:13]
	s_cbranch_vccnz .LBB39_1016
; %bb.1015:
	s_waitcnt vmcnt(0)
	v_cmp_gt_i32_e32 vcc, s45, v3
	s_andn2_b64 s[8:9], s[8:9], exec
	s_and_b64 s[12:13], vcc, exec
	s_or_b64 s[8:9], s[8:9], s[12:13]
	s_cbranch_execz .LBB39_1017
	s_branch .LBB39_1018
.LBB39_1016:
	s_andn2_b64 vcc, exec, s[0:1]
	s_cbranch_vccnz .LBB39_1018
.LBB39_1017:
	s_waitcnt vmcnt(0)
	v_cmp_le_i32_e32 vcc, s45, v3
	s_andn2_b64 s[0:1], s[8:9], exec
	s_and_b64 s[8:9], vcc, exec
	s_or_b64 s[8:9], s[0:1], s[8:9]
.LBB39_1018:
	v_mov_b32_e32 v2, s25
	s_and_b32 s20, s75, 0xff
	v_add_co_u32_e32 v1, vcc, s24, v0
	s_cmp_lt_i32 s20, 11
	v_addc_co_u32_e32 v2, vcc, 0, v2, vcc
	s_cbranch_scc1 .LBB39_1092
; %bb.1019:
	s_and_b32 s21, 0xffff, s20
	s_mov_b64 s[14:15], -1
	s_cmp_gt_i32 s21, 25
	s_mov_b64 s[0:1], s[54:55]
	s_cbranch_scc0 .LBB39_1052
; %bb.1020:
	s_mov_b64 s[12:13], -1
	s_cmp_gt_i32 s21, 28
	s_mov_b64 s[0:1], s[54:55]
	s_cbranch_scc0 .LBB39_1036
; %bb.1021:
	s_cmp_gt_i32 s21, 43
	s_mov_b64 s[0:1], s[54:55]
	s_cbranch_scc0 .LBB39_1032
; %bb.1022:
	;; [unrolled: 4-line block ×3, first 2 shown]
	s_cmp_eq_u32 s21, 46
	s_mov_b64 s[0:1], -1
	s_cbranch_scc0 .LBB39_1025
; %bb.1024:
	v_cndmask_b32_e64 v0, 0, 1.0, s[8:9]
	s_waitcnt vmcnt(0)
	v_bfe_u32 v3, v0, 16, 1
	s_movk_i32 s0, 0x7fff
	v_add3_u32 v0, v0, v3, s0
	v_lshrrev_b32_e32 v0, 16, v0
	global_store_dword v[1:2], v0, off
	s_mov_b64 s[0:1], 0
.LBB39_1025:
	s_mov_b64 s[12:13], 0
.LBB39_1026:
	s_and_b64 vcc, exec, s[12:13]
	s_cbranch_vccz .LBB39_1031
; %bb.1027:
	s_cmp_eq_u32 s21, 44
	s_mov_b64 s[0:1], -1
	s_cbranch_scc0 .LBB39_1031
; %bb.1028:
	s_waitcnt vmcnt(0)
	v_cndmask_b32_e64 v3, 0, 1.0, s[8:9]
	v_lshrrev_b32_e32 v0, 23, v3
	s_movk_i32 s0, 0xff
	v_cmp_ne_u32_e32 vcc, s0, v0
	v_mov_b32_e32 v4, 0xff
	s_and_saveexec_b64 s[12:13], vcc
; %bb.1029:
	s_mov_b32 s0, 0x3fffff
	v_and_b32_e32 v4, 0x400000, v3
	v_and_or_b32 v3, v3, s0, v0
	v_cmp_ne_u32_e32 vcc, 0, v4
	v_cmp_ne_u32_e64 s[0:1], 0, v3
	s_and_b64 s[0:1], vcc, s[0:1]
	v_cndmask_b32_e64 v3, 0, 1, s[0:1]
	v_add_u32_e32 v4, v0, v3
; %bb.1030:
	s_or_b64 exec, exec, s[12:13]
	s_mov_b64 s[0:1], 0
	global_store_byte v[1:2], v4, off
.LBB39_1031:
	s_mov_b64 s[12:13], 0
.LBB39_1032:
	s_and_b64 vcc, exec, s[12:13]
	s_cbranch_vccz .LBB39_1035
; %bb.1033:
	s_cmp_eq_u32 s21, 29
	s_mov_b64 s[0:1], -1
	s_cbranch_scc0 .LBB39_1035
; %bb.1034:
	s_mov_b32 s0, 0
	s_waitcnt vmcnt(0)
	v_cndmask_b32_e64 v3, 0, 1, s[8:9]
	v_mov_b32_e32 v4, s0
	global_store_dwordx2 v[1:2], v[3:4], off
	s_mov_b64 s[0:1], 0
.LBB39_1035:
	s_mov_b64 s[12:13], 0
.LBB39_1036:
	s_and_b64 vcc, exec, s[12:13]
	s_cbranch_vccz .LBB39_1051
; %bb.1037:
	s_cmp_lt_i32 s21, 27
	s_mov_b64 s[12:13], -1
	s_cbranch_scc1 .LBB39_1043
; %bb.1038:
	s_cmp_gt_i32 s21, 27
	s_cbranch_scc0 .LBB39_1040
; %bb.1039:
	v_cndmask_b32_e64 v0, 0, 1, s[8:9]
	s_mov_b64 s[12:13], 0
	global_store_dword v[1:2], v0, off
.LBB39_1040:
	s_andn2_b64 vcc, exec, s[12:13]
	s_cbranch_vccnz .LBB39_1042
; %bb.1041:
	v_cndmask_b32_e64 v0, 0, 1, s[8:9]
	global_store_short v[1:2], v0, off
.LBB39_1042:
	s_mov_b64 s[12:13], 0
.LBB39_1043:
	s_andn2_b64 vcc, exec, s[12:13]
	s_cbranch_vccnz .LBB39_1051
; %bb.1044:
	s_waitcnt vmcnt(0)
	v_cndmask_b32_e64 v3, 0, 1.0, s[8:9]
	s_mov_b32 s12, 0x43800000
	v_cmp_gt_u32_e32 vcc, s12, v3
	v_mov_b32_e32 v4, 0x80
	s_and_saveexec_b64 s[12:13], vcc
	s_cbranch_execz .LBB39_1050
; %bb.1045:
	s_mov_b32 s14, 0x3bffffff
	v_cmp_lt_u32_e32 vcc, s14, v3
	s_mov_b64 s[14:15], 0
                                        ; implicit-def: $vgpr0
	s_and_saveexec_b64 s[16:17], vcc
	s_xor_b64 s[16:17], exec, s[16:17]
	s_cbranch_execz .LBB39_1205
; %bb.1046:
	v_bfe_u32 v0, v3, 20, 1
	s_mov_b32 s18, 0x487ffff
	v_add3_u32 v0, v3, v0, s18
	s_mov_b64 s[14:15], exec
	v_lshrrev_b32_e32 v0, 20, v0
                                        ; implicit-def: $vgpr3
	s_andn2_saveexec_b64 s[16:17], s[16:17]
	s_cbranch_execnz .LBB39_1206
.LBB39_1047:
	s_or_b64 exec, exec, s[16:17]
	v_mov_b32_e32 v4, 0
	s_and_saveexec_b64 s[16:17], s[14:15]
.LBB39_1048:
	v_mov_b32_e32 v4, v0
.LBB39_1049:
	s_or_b64 exec, exec, s[16:17]
.LBB39_1050:
	s_or_b64 exec, exec, s[12:13]
	global_store_byte v[1:2], v4, off
.LBB39_1051:
	s_mov_b64 s[14:15], 0
.LBB39_1052:
	s_mov_b64 s[12:13], 0
	s_and_b64 vcc, exec, s[14:15]
	s_cbranch_vccz .LBB39_1093
; %bb.1053:
	s_cmp_gt_i32 s21, 22
	s_mov_b64 s[14:15], -1
	s_cbranch_scc0 .LBB39_1085
; %bb.1054:
	s_cmp_lt_i32 s21, 24
	s_cbranch_scc1 .LBB39_1074
; %bb.1055:
	s_cmp_gt_i32 s21, 24
	s_cbranch_scc0 .LBB39_1063
; %bb.1056:
	s_waitcnt vmcnt(0)
	v_cndmask_b32_e64 v3, 0, 1.0, s[8:9]
	s_mov_b32 s14, 0x47800000
	v_cmp_gt_u32_e32 vcc, s14, v3
	v_mov_b32_e32 v4, 0x80
	s_and_saveexec_b64 s[14:15], vcc
	s_cbranch_execz .LBB39_1062
; %bb.1057:
	s_mov_b32 s16, 0x37ffffff
	v_cmp_lt_u32_e32 vcc, s16, v3
	s_mov_b64 s[16:17], 0
                                        ; implicit-def: $vgpr0
	s_and_saveexec_b64 s[18:19], vcc
	s_xor_b64 s[18:19], exec, s[18:19]
	s_cbranch_execz .LBB39_1340
; %bb.1058:
	v_bfe_u32 v0, v3, 21, 1
	s_mov_b32 s22, 0x88fffff
	v_add3_u32 v0, v3, v0, s22
	s_mov_b64 s[16:17], exec
	v_lshrrev_b32_e32 v0, 21, v0
                                        ; implicit-def: $vgpr3
	s_andn2_saveexec_b64 s[18:19], s[18:19]
	s_cbranch_execnz .LBB39_1341
.LBB39_1059:
	s_or_b64 exec, exec, s[18:19]
	v_mov_b32_e32 v4, 0
	s_and_saveexec_b64 s[18:19], s[16:17]
.LBB39_1060:
	v_mov_b32_e32 v4, v0
.LBB39_1061:
	s_or_b64 exec, exec, s[18:19]
.LBB39_1062:
	s_or_b64 exec, exec, s[14:15]
	s_mov_b64 s[14:15], 0
	global_store_byte v[1:2], v4, off
.LBB39_1063:
	s_and_b64 vcc, exec, s[14:15]
	s_cbranch_vccz .LBB39_1073
; %bb.1064:
	v_cndmask_b32_e64 v0, 0, 1.0, s[8:9]
	s_mov_b32 s14, 0x43f00000
	v_cmp_gt_u32_e32 vcc, s14, v0
                                        ; implicit-def: $vgpr3
	s_and_saveexec_b64 s[14:15], vcc
	s_xor_b64 s[14:15], exec, s[14:15]
	s_cbranch_execz .LBB39_1070
; %bb.1065:
	s_mov_b32 s16, 0x3c7fffff
	v_cmp_lt_u32_e32 vcc, s16, v0
                                        ; implicit-def: $vgpr3
	s_and_saveexec_b64 s[16:17], vcc
	s_xor_b64 s[16:17], exec, s[16:17]
	s_cbranch_execz .LBB39_1067
; %bb.1066:
	s_waitcnt vmcnt(0)
	v_bfe_u32 v3, v0, 20, 1
	s_mov_b32 s18, 0x407ffff
	v_add3_u32 v0, v0, v3, s18
	v_lshrrev_b32_e32 v3, 20, v0
	v_and_b32_e32 v0, 0xff00000, v0
	s_mov_b32 s18, 0x7f00000
	v_mov_b32_e32 v4, 0x7e
	v_cmp_ne_u32_e32 vcc, s18, v0
	v_cndmask_b32_e32 v3, v4, v3, vcc
                                        ; implicit-def: $vgpr0
.LBB39_1067:
	s_andn2_saveexec_b64 s[16:17], s[16:17]
	s_cbranch_execz .LBB39_1069
; %bb.1068:
	s_waitcnt vmcnt(0)
	v_add_f32_e32 v3, 0x46800000, v0
.LBB39_1069:
	s_or_b64 exec, exec, s[16:17]
                                        ; implicit-def: $vgpr0
.LBB39_1070:
	s_andn2_saveexec_b64 s[14:15], s[14:15]
	s_cbranch_execz .LBB39_1072
; %bb.1071:
	s_mov_b32 s16, 0x7f800000
	s_waitcnt vmcnt(0)
	v_mov_b32_e32 v3, 0x7e
	v_mov_b32_e32 v4, 0x7f
	v_cmp_lt_u32_e32 vcc, s16, v0
	v_cndmask_b32_e32 v3, v3, v4, vcc
.LBB39_1072:
	s_or_b64 exec, exec, s[14:15]
	s_waitcnt vmcnt(0)
	global_store_byte v[1:2], v3, off
.LBB39_1073:
	s_mov_b64 s[14:15], 0
.LBB39_1074:
	s_andn2_b64 vcc, exec, s[14:15]
	s_cbranch_vccnz .LBB39_1084
; %bb.1075:
	v_cndmask_b32_e64 v0, 0, 1.0, s[8:9]
	s_mov_b32 s14, 0x47800000
	v_cmp_gt_u32_e32 vcc, s14, v0
                                        ; implicit-def: $vgpr3
	s_and_saveexec_b64 s[14:15], vcc
	s_xor_b64 s[14:15], exec, s[14:15]
	s_cbranch_execz .LBB39_1081
; %bb.1076:
	s_mov_b32 s16, 0x387fffff
	v_cmp_lt_u32_e32 vcc, s16, v0
                                        ; implicit-def: $vgpr3
	s_and_saveexec_b64 s[16:17], vcc
	s_xor_b64 s[16:17], exec, s[16:17]
	s_cbranch_execz .LBB39_1078
; %bb.1077:
	s_waitcnt vmcnt(0)
	v_bfe_u32 v3, v0, 21, 1
	s_mov_b32 s18, 0x80fffff
	v_add3_u32 v0, v0, v3, s18
	v_lshrrev_b32_e32 v3, 21, v0
                                        ; implicit-def: $vgpr0
.LBB39_1078:
	s_andn2_saveexec_b64 s[16:17], s[16:17]
	s_cbranch_execz .LBB39_1080
; %bb.1079:
	s_waitcnt vmcnt(0)
	v_add_f32_e32 v3, 0x43000000, v0
.LBB39_1080:
	s_or_b64 exec, exec, s[16:17]
                                        ; implicit-def: $vgpr0
.LBB39_1081:
	s_andn2_saveexec_b64 s[14:15], s[14:15]
	s_cbranch_execz .LBB39_1083
; %bb.1082:
	s_mov_b32 s16, 0x7f800000
	s_waitcnt vmcnt(0)
	v_mov_b32_e32 v3, 0x7c
	v_mov_b32_e32 v4, 0x7f
	v_cmp_lt_u32_e32 vcc, s16, v0
	v_cndmask_b32_e32 v3, v3, v4, vcc
.LBB39_1083:
	s_or_b64 exec, exec, s[14:15]
	s_waitcnt vmcnt(0)
	global_store_byte v[1:2], v3, off
.LBB39_1084:
	s_mov_b64 s[14:15], 0
.LBB39_1085:
	s_andn2_b64 vcc, exec, s[14:15]
	s_mov_b64 s[14:15], 0
	s_cbranch_vccnz .LBB39_1094
; %bb.1086:
	s_cmp_gt_i32 s21, 14
	s_mov_b64 s[16:17], -1
	s_cbranch_scc0 .LBB39_1090
; %bb.1087:
	s_cmp_eq_u32 s21, 15
	s_mov_b64 s[0:1], -1
	s_cbranch_scc0 .LBB39_1089
; %bb.1088:
	v_cndmask_b32_e64 v0, 0, 1.0, s[8:9]
	s_waitcnt vmcnt(0)
	v_bfe_u32 v3, v0, 16, 1
	s_movk_i32 s0, 0x7fff
	v_add3_u32 v0, v0, v3, s0
	global_store_short_d16_hi v[1:2], v0, off
	s_mov_b64 s[0:1], 0
.LBB39_1089:
	s_mov_b64 s[16:17], 0
.LBB39_1090:
	s_and_b64 vcc, exec, s[16:17]
	s_cbranch_vccz .LBB39_1094
; %bb.1091:
	s_cmp_lg_u32 s21, 11
	s_cselect_b64 s[16:17], -1, 0
	s_andn2_b64 s[0:1], s[0:1], exec
	s_and_b64 s[16:17], s[16:17], exec
	s_mov_b64 s[14:15], -1
	s_or_b64 s[0:1], s[0:1], s[16:17]
	s_branch .LBB39_1094
.LBB39_1092:
	s_mov_b64 s[14:15], 0
	s_mov_b64 s[12:13], -1
	s_mov_b64 s[0:1], s[54:55]
	s_branch .LBB39_1094
.LBB39_1093:
	s_mov_b64 s[14:15], 0
.LBB39_1094:
	s_andn2_b64 s[16:17], s[54:55], exec
	s_and_b64 s[0:1], s[0:1], exec
	s_and_b64 s[12:13], s[12:13], exec
	;; [unrolled: 1-line block ×3, first 2 shown]
	s_or_b64 s[54:55], s[16:17], s[0:1]
	s_or_b64 exec, exec, s[10:11]
	s_and_saveexec_b64 s[0:1], s[54:55]
	s_cbranch_execz .LBB39_1004
.LBB39_1095:
	s_or_b64 s[2:3], s[2:3], exec
	s_andn2_b64 s[14:15], s[14:15], exec
	s_trap 2
	s_or_b64 exec, exec, s[0:1]
	s_and_saveexec_b64 s[0:1], s[14:15]
	s_xor_b64 s[0:1], exec, s[0:1]
	s_cbranch_execnz .LBB39_1005
.LBB39_1096:
	s_or_b64 exec, exec, s[0:1]
	s_and_saveexec_b64 s[0:1], s[12:13]
	s_xor_b64 s[0:1], exec, s[0:1]
	s_cbranch_execz .LBB39_1134
.LBB39_1097:
	s_sext_i32_i16 s12, s20
	s_cmp_lt_i32 s12, 5
	s_mov_b64 s[10:11], -1
	s_cbranch_scc1 .LBB39_1118
; %bb.1098:
	s_cmp_lt_i32 s12, 8
	s_cbranch_scc1 .LBB39_1108
; %bb.1099:
	s_cmp_lt_i32 s12, 9
	s_cbranch_scc1 .LBB39_1105
; %bb.1100:
	s_cmp_gt_i32 s12, 9
	s_cbranch_scc0 .LBB39_1102
; %bb.1101:
	v_cndmask_b32_e64 v0, 0, 1, s[8:9]
	s_waitcnt vmcnt(0)
	v_cvt_f64_u32_e32 v[3:4], v0
	v_mov_b32_e32 v5, 0
	v_mov_b32_e32 v6, v5
	s_mov_b64 s[10:11], 0
	global_store_dwordx4 v[1:2], v[3:6], off
.LBB39_1102:
	s_andn2_b64 vcc, exec, s[10:11]
	s_cbranch_vccnz .LBB39_1104
; %bb.1103:
	s_waitcnt vmcnt(0)
	v_cndmask_b32_e64 v3, 0, 1.0, s[8:9]
	v_mov_b32_e32 v4, 0
	global_store_dwordx2 v[1:2], v[3:4], off
.LBB39_1104:
	s_mov_b64 s[10:11], 0
.LBB39_1105:
	s_andn2_b64 vcc, exec, s[10:11]
	s_cbranch_vccnz .LBB39_1107
; %bb.1106:
	v_cndmask_b32_e64 v0, 0, 1.0, s[8:9]
	v_cvt_f16_f32_e32 v0, v0
	global_store_dword v[1:2], v0, off
.LBB39_1107:
	s_mov_b64 s[10:11], 0
.LBB39_1108:
	s_andn2_b64 vcc, exec, s[10:11]
	s_cbranch_vccnz .LBB39_1117
; %bb.1109:
	s_sext_i32_i16 s12, s20
	s_cmp_lt_i32 s12, 6
	s_mov_b64 s[10:11], -1
	s_cbranch_scc1 .LBB39_1115
; %bb.1110:
	s_cmp_gt_i32 s12, 6
	s_cbranch_scc0 .LBB39_1112
; %bb.1111:
	v_cndmask_b32_e64 v0, 0, 1, s[8:9]
	s_waitcnt vmcnt(0)
	v_cvt_f64_u32_e32 v[3:4], v0
	s_mov_b64 s[10:11], 0
	global_store_dwordx2 v[1:2], v[3:4], off
.LBB39_1112:
	s_andn2_b64 vcc, exec, s[10:11]
	s_cbranch_vccnz .LBB39_1114
; %bb.1113:
	v_cndmask_b32_e64 v0, 0, 1.0, s[8:9]
	global_store_dword v[1:2], v0, off
.LBB39_1114:
	s_mov_b64 s[10:11], 0
.LBB39_1115:
	s_andn2_b64 vcc, exec, s[10:11]
	s_cbranch_vccnz .LBB39_1117
; %bb.1116:
	v_cndmask_b32_e64 v0, 0, 1.0, s[8:9]
	v_cvt_f16_f32_e32 v0, v0
	global_store_short v[1:2], v0, off
.LBB39_1117:
	s_mov_b64 s[10:11], 0
.LBB39_1118:
	s_andn2_b64 vcc, exec, s[10:11]
	s_cbranch_vccnz .LBB39_1134
; %bb.1119:
	s_sext_i32_i16 s12, s20
	s_cmp_lt_i32 s12, 2
	s_mov_b64 s[10:11], -1
	s_cbranch_scc1 .LBB39_1129
; %bb.1120:
	s_cmp_lt_i32 s12, 3
	s_cbranch_scc1 .LBB39_1126
; %bb.1121:
	s_cmp_gt_i32 s12, 3
	s_cbranch_scc0 .LBB39_1123
; %bb.1122:
	s_mov_b32 s10, 0
	s_waitcnt vmcnt(0)
	v_cndmask_b32_e64 v3, 0, 1, s[8:9]
	v_mov_b32_e32 v4, s10
	s_mov_b64 s[10:11], 0
	global_store_dwordx2 v[1:2], v[3:4], off
.LBB39_1123:
	s_andn2_b64 vcc, exec, s[10:11]
	s_cbranch_vccnz .LBB39_1125
; %bb.1124:
	v_cndmask_b32_e64 v0, 0, 1, s[8:9]
	global_store_dword v[1:2], v0, off
.LBB39_1125:
	s_mov_b64 s[10:11], 0
.LBB39_1126:
	s_andn2_b64 vcc, exec, s[10:11]
	s_cbranch_vccnz .LBB39_1128
; %bb.1127:
	v_cndmask_b32_e64 v0, 0, 1, s[8:9]
	global_store_short v[1:2], v0, off
.LBB39_1128:
	s_mov_b64 s[10:11], 0
.LBB39_1129:
	s_andn2_b64 vcc, exec, s[10:11]
	s_cbranch_vccnz .LBB39_1134
; %bb.1130:
	s_sext_i32_i16 s10, s20
	s_cmp_gt_i32 s10, 0
	s_mov_b64 s[10:11], -1
	s_cbranch_scc0 .LBB39_1132
; %bb.1131:
	v_cndmask_b32_e64 v0, 0, 1, s[8:9]
	s_mov_b64 s[10:11], 0
	global_store_byte v[1:2], v0, off
.LBB39_1132:
	s_andn2_b64 vcc, exec, s[10:11]
	s_cbranch_vccnz .LBB39_1134
; %bb.1133:
	v_cndmask_b32_e64 v0, 0, 1, s[8:9]
	global_store_byte v[1:2], v0, off
.LBB39_1134:
	s_or_b64 exec, exec, s[0:1]
	s_and_b64 s[28:29], s[2:3], exec
                                        ; implicit-def: $vgpr15
                                        ; implicit-def: $vgpr8
.LBB39_1135:
	s_or_saveexec_b64 s[30:31], s[42:43]
	s_mov_b64 s[0:1], 0
                                        ; implicit-def: $sgpr10_sgpr11
                                        ; implicit-def: $vgpr0_vgpr1
                                        ; implicit-def: $sgpr22
	s_xor_b64 exec, exec, s[30:31]
	s_cbranch_execz .LBB39_1741
; %bb.1136:
	v_cndmask_b32_e64 v0, 0, 1, s[40:41]
	v_cmp_ne_u32_e64 s[0:1], 1, v0
	s_andn2_b64 vcc, exec, s[40:41]
	s_cbranch_vccnz .LBB39_1142
; %bb.1137:
	s_cmp_lg_u32 s33, 0
	s_mov_b32 s36, 0
	s_cbranch_scc0 .LBB39_1143
; %bb.1138:
	s_min_u32 s37, s74, 15
	s_add_i32 s37, s37, 1
	s_cmp_eq_u32 s74, 2
	s_cbranch_scc1 .LBB39_1144
; %bb.1139:
	s_and_b32 s36, s37, 28
	s_add_u32 s2, s34, 0xc4
	s_addc_u32 s3, s35, 0
	v_mov_b32_e32 v13, 0
	s_mov_b32 s38, 0
	s_mov_b64 s[6:7], s[34:35]
	v_mov_b32_e32 v6, 0
	v_mov_b32_e32 v0, v8
.LBB39_1140:                            ; =>This Inner Loop Header: Depth=1
	s_load_dwordx8 s[16:23], s[6:7], 0x4
	s_load_dwordx4 s[24:27], s[6:7], 0x24
	s_load_dwordx8 s[8:15], s[2:3], 0x0
	s_add_u32 s6, s6, 48
	s_addc_u32 s7, s7, 0
	s_waitcnt lgkmcnt(0)
	v_mul_hi_u32 v1, s17, v0
	s_add_i32 s38, s38, 4
	s_add_u32 s2, s2, 32
	s_addc_u32 s3, s3, 0
	v_add_u32_e32 v1, v0, v1
	v_lshrrev_b32_e32 v1, s18, v1
	v_mul_lo_u32 v2, v1, s16
	s_waitcnt vmcnt(0)
	v_mul_hi_u32 v3, s20, v1
	s_cmp_lg_u32 s36, s38
	v_sub_u32_e32 v0, v0, v2
	v_add_u32_e32 v2, v1, v3
	v_mul_lo_u32 v3, v0, s8
	v_mul_lo_u32 v4, v0, s9
	v_lshrrev_b32_e32 v0, s21, v2
	v_mul_lo_u32 v2, v0, s19
	v_mul_hi_u32 v5, s23, v0
	v_sub_u32_e32 v1, v1, v2
	v_add_u32_e32 v2, v0, v5
	v_lshrrev_b32_e32 v2, s24, v2
	v_mul_hi_u32 v7, s26, v2
	v_mul_lo_u32 v9, v2, s22
	v_mul_lo_u32 v5, v1, s10
	;; [unrolled: 1-line block ×3, first 2 shown]
	v_sub_u32_e32 v9, v0, v9
	v_add_u32_e32 v0, v2, v7
	v_lshrrev_b32_e32 v0, s27, v0
	v_mul_lo_u32 v7, v0, s25
	v_mul_lo_u32 v10, v9, s12
	;; [unrolled: 1-line block ×3, first 2 shown]
	v_add3_u32 v3, v3, v6, v5
	v_sub_u32_e32 v2, v2, v7
	v_mul_lo_u32 v7, v2, s14
	v_mul_lo_u32 v2, v2, s15
	v_add3_u32 v1, v4, v13, v1
	v_add3_u32 v6, v10, v3, v7
	;; [unrolled: 1-line block ×3, first 2 shown]
	s_cbranch_scc1 .LBB39_1140
; %bb.1141:
	s_and_b32 s8, s37, 3
	s_cmp_eq_u32 s8, 0
	s_cbranch_scc0 .LBB39_1145
	s_branch .LBB39_1147
.LBB39_1142:
                                        ; implicit-def: $vgpr6
                                        ; implicit-def: $vgpr13
	s_branch .LBB39_1148
.LBB39_1143:
	v_mov_b32_e32 v6, 0
	v_mov_b32_e32 v13, 0
	s_branch .LBB39_1147
.LBB39_1144:
	v_mov_b32_e32 v6, 0
	v_mov_b32_e32 v13, 0
	;; [unrolled: 1-line block ×3, first 2 shown]
	s_and_b32 s8, s37, 3
	s_cmp_eq_u32 s8, 0
	s_cbranch_scc1 .LBB39_1147
.LBB39_1145:
	s_lshl_b32 s2, s36, 3
	s_add_u32 s2, s34, s2
	s_addc_u32 s3, s35, 0
	s_add_u32 s2, s2, 0xc4
	s_addc_u32 s3, s3, 0
	s_mul_i32 s6, s36, 12
	s_add_u32 s6, s34, s6
	s_addc_u32 s7, s35, 0
.LBB39_1146:                            ; =>This Inner Loop Header: Depth=1
	s_load_dwordx2 s[10:11], s[6:7], 0x4
	s_load_dword s9, s[6:7], 0xc
	s_load_dwordx2 s[12:13], s[2:3], 0x0
	s_add_u32 s6, s6, 12
	s_addc_u32 s7, s7, 0
	s_waitcnt lgkmcnt(0)
	v_mul_hi_u32 v1, s11, v0
	s_add_u32 s2, s2, 8
	s_addc_u32 s3, s3, 0
	s_add_i32 s8, s8, -1
	v_add_u32_e32 v1, v0, v1
	v_lshrrev_b32_e32 v1, s9, v1
	v_mul_lo_u32 v2, v1, s10
	s_cmp_lg_u32 s8, 0
	v_sub_u32_e32 v0, v0, v2
	v_mad_u64_u32 v[6:7], s[10:11], v0, s12, v[6:7]
	v_mad_u64_u32 v[13:14], s[10:11], v0, s13, v[13:14]
	v_mov_b32_e32 v0, v1
	s_cbranch_scc1 .LBB39_1146
.LBB39_1147:
	s_cbranch_execnz .LBB39_1150
.LBB39_1148:
	s_load_dwordx4 s[8:11], s[34:35], 0x4
	s_load_dwordx2 s[2:3], s[34:35], 0xc4
	s_cmp_lt_u32 s33, 2
	s_waitcnt lgkmcnt(0)
	v_mul_hi_u32 v0, s9, v8
	v_add_u32_e32 v0, v8, v0
	v_lshrrev_b32_e32 v0, s10, v0
	v_mul_lo_u32 v1, v0, s8
	v_sub_u32_e32 v1, v8, v1
	v_mul_lo_u32 v6, v1, s2
	v_mul_lo_u32 v13, v1, s3
	s_cbranch_scc1 .LBB39_1150
; %bb.1149:
	s_load_dwordx4 s[8:11], s[34:35], 0x10
	s_load_dwordx2 s[2:3], s[34:35], 0xcc
	s_waitcnt lgkmcnt(0)
	v_mul_hi_u32 v1, s9, v0
	v_add_u32_e32 v1, v0, v1
	v_lshrrev_b32_e32 v1, s10, v1
	v_mul_lo_u32 v1, v1, s8
	v_sub_u32_e32 v0, v0, v1
	v_mad_u64_u32 v[6:7], s[6:7], v0, s2, v[6:7]
	v_mad_u64_u32 v[13:14], s[2:3], v0, s3, v[13:14]
.LBB39_1150:
	s_and_b64 vcc, exec, s[0:1]
	v_add_u32_e32 v0, 0x80, v8
	s_cbranch_vccnz .LBB39_1156
; %bb.1151:
	s_cmp_lg_u32 s33, 0
	s_mov_b32 s36, 0
	s_cbranch_scc0 .LBB39_1157
; %bb.1152:
	s_min_u32 s37, s74, 15
	s_add_i32 s37, s37, 1
	s_cmp_eq_u32 s74, 2
	s_cbranch_scc1 .LBB39_1158
; %bb.1153:
	s_and_b32 s36, s37, 28
	s_add_u32 s2, s34, 0xc4
	s_addc_u32 s3, s35, 0
	v_mov_b32_e32 v11, 0
	s_mov_b32 s38, 0
	s_mov_b64 s[6:7], s[34:35]
	v_mov_b32_e32 v4, 0
	v_mov_b32_e32 v1, v0
.LBB39_1154:                            ; =>This Inner Loop Header: Depth=1
	s_load_dwordx8 s[16:23], s[6:7], 0x4
	s_load_dwordx4 s[24:27], s[6:7], 0x24
	s_load_dwordx8 s[8:15], s[2:3], 0x0
	s_add_u32 s6, s6, 48
	s_addc_u32 s7, s7, 0
	s_waitcnt lgkmcnt(0)
	v_mul_hi_u32 v2, s17, v1
	s_add_i32 s38, s38, 4
	s_add_u32 s2, s2, 32
	s_addc_u32 s3, s3, 0
	v_add_u32_e32 v2, v1, v2
	v_lshrrev_b32_e32 v2, s18, v2
	s_waitcnt vmcnt(0)
	v_mul_lo_u32 v3, v2, s16
	v_mul_hi_u32 v5, s20, v2
	s_cmp_lg_u32 s36, s38
	v_sub_u32_e32 v1, v1, v3
	v_add_u32_e32 v3, v2, v5
	v_mul_lo_u32 v5, v1, s8
	v_mul_lo_u32 v7, v1, s9
	v_lshrrev_b32_e32 v1, s21, v3
	v_mul_lo_u32 v3, v1, s19
	v_mul_hi_u32 v9, s23, v1
	v_sub_u32_e32 v2, v2, v3
	v_add_u32_e32 v3, v1, v9
	v_lshrrev_b32_e32 v3, s24, v3
	v_mul_hi_u32 v10, s26, v3
	v_mul_lo_u32 v12, v3, s22
	v_mul_lo_u32 v9, v2, s10
	;; [unrolled: 1-line block ×3, first 2 shown]
	v_sub_u32_e32 v12, v1, v12
	v_add_u32_e32 v1, v3, v10
	v_lshrrev_b32_e32 v1, s27, v1
	v_mul_lo_u32 v10, v1, s25
	v_mul_lo_u32 v14, v12, s12
	;; [unrolled: 1-line block ×3, first 2 shown]
	v_add3_u32 v4, v5, v4, v9
	v_sub_u32_e32 v3, v3, v10
	v_mul_lo_u32 v10, v3, s14
	v_mul_lo_u32 v3, v3, s15
	v_add3_u32 v2, v7, v11, v2
	v_add3_u32 v4, v14, v4, v10
	;; [unrolled: 1-line block ×3, first 2 shown]
	s_cbranch_scc1 .LBB39_1154
; %bb.1155:
	s_and_b32 s8, s37, 3
	s_cmp_eq_u32 s8, 0
	s_cbranch_scc0 .LBB39_1159
	s_branch .LBB39_1161
.LBB39_1156:
                                        ; implicit-def: $vgpr4
                                        ; implicit-def: $vgpr11
	s_branch .LBB39_1162
.LBB39_1157:
	v_mov_b32_e32 v4, 0
	v_mov_b32_e32 v11, 0
	s_branch .LBB39_1161
.LBB39_1158:
	v_mov_b32_e32 v4, 0
	v_mov_b32_e32 v11, 0
	;; [unrolled: 1-line block ×3, first 2 shown]
	s_and_b32 s8, s37, 3
	s_cmp_eq_u32 s8, 0
	s_cbranch_scc1 .LBB39_1161
.LBB39_1159:
	s_lshl_b32 s2, s36, 3
	s_add_u32 s2, s34, s2
	s_addc_u32 s3, s35, 0
	s_add_u32 s2, s2, 0xc4
	s_addc_u32 s3, s3, 0
	s_mul_i32 s6, s36, 12
	s_add_u32 s6, s34, s6
	s_addc_u32 s7, s35, 0
.LBB39_1160:                            ; =>This Inner Loop Header: Depth=1
	s_load_dwordx2 s[10:11], s[6:7], 0x4
	s_load_dword s9, s[6:7], 0xc
	s_load_dwordx2 s[12:13], s[2:3], 0x0
	s_add_u32 s6, s6, 12
	s_addc_u32 s7, s7, 0
	s_waitcnt lgkmcnt(0)
	v_mul_hi_u32 v2, s11, v1
	s_add_u32 s2, s2, 8
	s_addc_u32 s3, s3, 0
	s_add_i32 s8, s8, -1
	v_add_u32_e32 v2, v1, v2
	v_lshrrev_b32_e32 v2, s9, v2
	s_waitcnt vmcnt(0)
	v_mul_lo_u32 v3, v2, s10
	s_cmp_lg_u32 s8, 0
	v_sub_u32_e32 v1, v1, v3
	v_mad_u64_u32 v[4:5], s[10:11], v1, s12, v[4:5]
	v_mad_u64_u32 v[11:12], s[10:11], v1, s13, v[11:12]
	v_mov_b32_e32 v1, v2
	s_cbranch_scc1 .LBB39_1160
.LBB39_1161:
	s_cbranch_execnz .LBB39_1164
.LBB39_1162:
	s_load_dwordx4 s[8:11], s[34:35], 0x4
	s_load_dwordx2 s[2:3], s[34:35], 0xc4
	s_cmp_lt_u32 s33, 2
	s_waitcnt lgkmcnt(0)
	v_mul_hi_u32 v1, s9, v0
	v_add_u32_e32 v1, v0, v1
	v_lshrrev_b32_e32 v1, s10, v1
	v_mul_lo_u32 v2, v1, s8
	v_sub_u32_e32 v0, v0, v2
	v_mul_lo_u32 v4, v0, s2
	v_mul_lo_u32 v11, v0, s3
	s_cbranch_scc1 .LBB39_1164
; %bb.1163:
	s_load_dwordx4 s[8:11], s[34:35], 0x10
	s_load_dwordx2 s[2:3], s[34:35], 0xcc
	s_waitcnt lgkmcnt(0)
	v_mul_hi_u32 v0, s9, v1
	v_add_u32_e32 v0, v1, v0
	v_lshrrev_b32_e32 v0, s10, v0
	v_mul_lo_u32 v0, v0, s8
	v_sub_u32_e32 v0, v1, v0
	v_mad_u64_u32 v[4:5], s[6:7], v0, s2, v[4:5]
	v_mad_u64_u32 v[11:12], s[2:3], v0, s3, v[11:12]
.LBB39_1164:
	s_and_b64 vcc, exec, s[0:1]
	v_add_u32_e32 v0, 0x100, v8
	s_cbranch_vccnz .LBB39_1170
; %bb.1165:
	s_cmp_lg_u32 s33, 0
	s_mov_b32 s36, 0
	s_cbranch_scc0 .LBB39_1171
; %bb.1166:
	s_min_u32 s37, s74, 15
	s_add_i32 s37, s37, 1
	s_cmp_eq_u32 s74, 2
	s_cbranch_scc1 .LBB39_1172
; %bb.1167:
	s_and_b32 s36, s37, 28
	s_add_u32 s2, s34, 0xc4
	s_addc_u32 s3, s35, 0
	v_mov_b32_e32 v9, 0
	s_mov_b32 s38, 0
	s_mov_b64 s[6:7], s[34:35]
	v_mov_b32_e32 v2, 0
	v_mov_b32_e32 v1, v0
.LBB39_1168:                            ; =>This Inner Loop Header: Depth=1
	s_load_dwordx8 s[16:23], s[6:7], 0x4
	s_load_dwordx4 s[24:27], s[6:7], 0x24
	s_load_dwordx8 s[8:15], s[2:3], 0x0
	s_add_u32 s6, s6, 48
	s_addc_u32 s7, s7, 0
	s_waitcnt vmcnt(0) lgkmcnt(0)
	v_mul_hi_u32 v3, s17, v1
	s_add_i32 s38, s38, 4
	s_add_u32 s2, s2, 32
	s_addc_u32 s3, s3, 0
	v_add_u32_e32 v3, v1, v3
	v_lshrrev_b32_e32 v3, s18, v3
	v_mul_lo_u32 v5, v3, s16
	v_mul_hi_u32 v7, s20, v3
	s_cmp_lg_u32 s36, s38
	v_sub_u32_e32 v1, v1, v5
	v_add_u32_e32 v5, v3, v7
	v_mul_lo_u32 v7, v1, s8
	v_mul_lo_u32 v8, v1, s9
	v_lshrrev_b32_e32 v1, s21, v5
	v_mul_lo_u32 v5, v1, s19
	v_mul_hi_u32 v10, s23, v1
	v_sub_u32_e32 v3, v3, v5
	v_add_u32_e32 v5, v1, v10
	v_lshrrev_b32_e32 v5, s24, v5
	v_mul_hi_u32 v12, s26, v5
	v_mul_lo_u32 v14, v5, s22
	v_mul_lo_u32 v10, v3, s10
	;; [unrolled: 1-line block ×3, first 2 shown]
	v_sub_u32_e32 v14, v1, v14
	v_add_u32_e32 v1, v5, v12
	v_lshrrev_b32_e32 v1, s27, v1
	v_mul_lo_u32 v12, v1, s25
	v_mul_lo_u32 v16, v14, s12
	v_mul_lo_u32 v14, v14, s13
	v_add3_u32 v2, v7, v2, v10
	v_sub_u32_e32 v5, v5, v12
	v_mul_lo_u32 v12, v5, s14
	v_mul_lo_u32 v5, v5, s15
	v_add3_u32 v3, v8, v9, v3
	v_add3_u32 v2, v16, v2, v12
	v_add3_u32 v9, v14, v3, v5
	s_cbranch_scc1 .LBB39_1168
; %bb.1169:
	s_and_b32 s8, s37, 3
	s_cmp_eq_u32 s8, 0
	s_cbranch_scc0 .LBB39_1173
	s_branch .LBB39_1175
.LBB39_1170:
                                        ; implicit-def: $vgpr2
                                        ; implicit-def: $vgpr9
	s_branch .LBB39_1176
.LBB39_1171:
	v_mov_b32_e32 v2, 0
	v_mov_b32_e32 v9, 0
	s_branch .LBB39_1175
.LBB39_1172:
	v_mov_b32_e32 v2, 0
	v_mov_b32_e32 v9, 0
	;; [unrolled: 1-line block ×3, first 2 shown]
	s_and_b32 s8, s37, 3
	s_cmp_eq_u32 s8, 0
	s_cbranch_scc1 .LBB39_1175
.LBB39_1173:
	s_lshl_b32 s2, s36, 3
	s_add_u32 s2, s34, s2
	s_addc_u32 s3, s35, 0
	s_add_u32 s2, s2, 0xc4
	s_addc_u32 s3, s3, 0
	s_mul_i32 s6, s36, 12
	s_add_u32 s6, s34, s6
	s_addc_u32 s7, s35, 0
.LBB39_1174:                            ; =>This Inner Loop Header: Depth=1
	s_load_dwordx2 s[10:11], s[6:7], 0x4
	s_load_dword s9, s[6:7], 0xc
	s_load_dwordx2 s[12:13], s[2:3], 0x0
	s_add_u32 s6, s6, 12
	s_addc_u32 s7, s7, 0
	s_waitcnt vmcnt(0) lgkmcnt(0)
	v_mul_hi_u32 v3, s11, v1
	s_add_u32 s2, s2, 8
	s_addc_u32 s3, s3, 0
	s_add_i32 s8, s8, -1
	v_add_u32_e32 v3, v1, v3
	v_lshrrev_b32_e32 v5, s9, v3
	v_mul_lo_u32 v3, v5, s10
	s_cmp_lg_u32 s8, 0
	v_sub_u32_e32 v1, v1, v3
	v_mad_u64_u32 v[2:3], s[10:11], v1, s12, v[2:3]
	v_mad_u64_u32 v[9:10], s[10:11], v1, s13, v[9:10]
	v_mov_b32_e32 v1, v5
	s_cbranch_scc1 .LBB39_1174
.LBB39_1175:
	s_cbranch_execnz .LBB39_1178
.LBB39_1176:
	s_load_dwordx4 s[8:11], s[34:35], 0x4
	s_load_dwordx2 s[2:3], s[34:35], 0xc4
	s_cmp_lt_u32 s33, 2
	s_waitcnt lgkmcnt(0)
	v_mul_hi_u32 v1, s9, v0
	v_add_u32_e32 v1, v0, v1
	v_lshrrev_b32_e32 v1, s10, v1
	v_mul_lo_u32 v2, v1, s8
	v_sub_u32_e32 v0, v0, v2
	v_mul_lo_u32 v2, v0, s2
	v_mul_lo_u32 v9, v0, s3
	s_cbranch_scc1 .LBB39_1178
; %bb.1177:
	s_load_dwordx4 s[8:11], s[34:35], 0x10
	s_load_dwordx2 s[2:3], s[34:35], 0xcc
	s_waitcnt lgkmcnt(0)
	v_mul_hi_u32 v0, s9, v1
	v_add_u32_e32 v0, v1, v0
	v_lshrrev_b32_e32 v0, s10, v0
	v_mul_lo_u32 v0, v0, s8
	v_sub_u32_e32 v0, v1, v0
	s_waitcnt vmcnt(0)
	v_mad_u64_u32 v[2:3], s[6:7], v0, s2, v[2:3]
	v_mad_u64_u32 v[9:10], s[2:3], v0, s3, v[9:10]
.LBB39_1178:
	s_and_b64 vcc, exec, s[0:1]
	s_cbranch_vccnz .LBB39_1184
; %bb.1179:
	s_cmp_lg_u32 s33, 0
	s_mov_b32 s26, 0
	s_cbranch_scc0 .LBB39_1185
; %bb.1180:
	s_min_u32 s27, s74, 15
	s_add_i32 s27, s27, 1
	s_cmp_eq_u32 s74, 2
	s_cbranch_scc1 .LBB39_1186
; %bb.1181:
	s_and_b32 s26, s27, 28
	s_add_u32 s6, s34, 0xc4
	s_addc_u32 s7, s35, 0
	v_mov_b32_e32 v7, 0
	s_mov_b32 s36, 0
	s_mov_b64 s[24:25], s[34:35]
	v_mov_b32_e32 v0, 0
	v_mov_b32_e32 v1, v15
.LBB39_1182:                            ; =>This Inner Loop Header: Depth=1
	s_load_dwordx8 s[16:23], s[24:25], 0x4
	s_load_dwordx4 s[0:3], s[24:25], 0x24
	s_load_dwordx8 s[8:15], s[6:7], 0x0
	s_add_u32 s24, s24, 48
	s_addc_u32 s25, s25, 0
	s_waitcnt vmcnt(0) lgkmcnt(0)
	v_mul_hi_u32 v3, s17, v1
	s_add_i32 s36, s36, 4
	s_add_u32 s6, s6, 32
	s_addc_u32 s7, s7, 0
	v_add_u32_e32 v3, v1, v3
	v_lshrrev_b32_e32 v3, s18, v3
	v_mul_lo_u32 v5, v3, s16
	v_mul_hi_u32 v8, s20, v3
	s_cmp_lg_u32 s26, s36
	v_sub_u32_e32 v1, v1, v5
	v_add_u32_e32 v5, v3, v8
	v_mul_lo_u32 v8, v1, s8
	v_mul_lo_u32 v10, v1, s9
	v_lshrrev_b32_e32 v1, s21, v5
	v_mul_lo_u32 v5, v1, s19
	v_mul_hi_u32 v12, s23, v1
	v_sub_u32_e32 v3, v3, v5
	v_add_u32_e32 v5, v1, v12
	v_lshrrev_b32_e32 v5, s0, v5
	v_mul_hi_u32 v14, s2, v5
	v_mul_lo_u32 v16, v5, s22
	v_mul_lo_u32 v12, v3, s10
	;; [unrolled: 1-line block ×3, first 2 shown]
	v_sub_u32_e32 v16, v1, v16
	v_add_u32_e32 v1, v5, v14
	v_lshrrev_b32_e32 v1, s3, v1
	v_mul_lo_u32 v14, v1, s1
	v_mul_lo_u32 v17, v16, s12
	;; [unrolled: 1-line block ×3, first 2 shown]
	v_add3_u32 v0, v8, v0, v12
	v_sub_u32_e32 v5, v5, v14
	v_mul_lo_u32 v14, v5, s14
	v_mul_lo_u32 v5, v5, s15
	v_add3_u32 v3, v10, v7, v3
	v_add3_u32 v0, v17, v0, v14
	;; [unrolled: 1-line block ×3, first 2 shown]
	s_cbranch_scc1 .LBB39_1182
; %bb.1183:
	s_and_b32 s6, s27, 3
	s_cmp_eq_u32 s6, 0
	s_cbranch_scc0 .LBB39_1187
	s_branch .LBB39_1189
.LBB39_1184:
                                        ; implicit-def: $vgpr0
                                        ; implicit-def: $vgpr7
	s_branch .LBB39_1190
.LBB39_1185:
	v_mov_b32_e32 v0, 0
	v_mov_b32_e32 v7, 0
	s_branch .LBB39_1189
.LBB39_1186:
	v_mov_b32_e32 v0, 0
	v_mov_b32_e32 v7, 0
	;; [unrolled: 1-line block ×3, first 2 shown]
	s_and_b32 s6, s27, 3
	s_cmp_eq_u32 s6, 0
	s_cbranch_scc1 .LBB39_1189
.LBB39_1187:
	s_lshl_b32 s0, s26, 3
	s_add_u32 s0, s34, s0
	s_addc_u32 s1, s35, 0
	s_add_u32 s0, s0, 0xc4
	s_addc_u32 s1, s1, 0
	s_mul_i32 s2, s26, 12
	s_add_u32 s2, s34, s2
	s_addc_u32 s3, s35, 0
.LBB39_1188:                            ; =>This Inner Loop Header: Depth=1
	s_load_dwordx2 s[8:9], s[2:3], 0x4
	s_load_dword s7, s[2:3], 0xc
	s_load_dwordx2 s[10:11], s[0:1], 0x0
	s_add_u32 s2, s2, 12
	s_addc_u32 s3, s3, 0
	s_waitcnt vmcnt(0) lgkmcnt(0)
	v_mul_hi_u32 v3, s9, v1
	s_add_u32 s0, s0, 8
	s_addc_u32 s1, s1, 0
	s_add_i32 s6, s6, -1
	v_add_u32_e32 v3, v1, v3
	v_lshrrev_b32_e32 v3, s7, v3
	v_mul_lo_u32 v5, v3, s8
	s_cmp_lg_u32 s6, 0
	v_sub_u32_e32 v5, v1, v5
	v_mad_u64_u32 v[0:1], s[8:9], v5, s10, v[0:1]
	v_mad_u64_u32 v[7:8], s[8:9], v5, s11, v[7:8]
	v_mov_b32_e32 v1, v3
	s_cbranch_scc1 .LBB39_1188
.LBB39_1189:
	s_cbranch_execnz .LBB39_1192
.LBB39_1190:
	s_load_dwordx4 s[0:3], s[34:35], 0x4
	s_load_dwordx2 s[6:7], s[34:35], 0xc4
	s_cmp_lt_u32 s33, 2
	s_waitcnt lgkmcnt(0)
	v_mul_hi_u32 v0, s1, v15
	v_add_u32_e32 v0, v15, v0
	v_lshrrev_b32_e32 v1, s2, v0
	v_mul_lo_u32 v0, v1, s0
	s_waitcnt vmcnt(0)
	v_sub_u32_e32 v3, v15, v0
	v_mul_lo_u32 v0, v3, s6
	v_mul_lo_u32 v7, v3, s7
	s_cbranch_scc1 .LBB39_1192
; %bb.1191:
	s_load_dwordx4 s[0:3], s[34:35], 0x10
	s_load_dwordx2 s[6:7], s[34:35], 0xcc
	s_waitcnt lgkmcnt(0)
	v_mul_hi_u32 v3, s1, v1
	v_add_u32_e32 v3, v1, v3
	v_lshrrev_b32_e32 v3, s2, v3
	v_mul_lo_u32 v3, v3, s0
	v_sub_u32_e32 v3, v1, v3
	v_mad_u64_u32 v[0:1], s[0:1], v3, s6, v[0:1]
	v_mad_u64_u32 v[7:8], s[0:1], v3, s7, v[7:8]
.LBB39_1192:
	s_load_dwordx4 s[8:11], s[34:35], 0x148
	s_load_dword s16, s[4:5], 0x168
	s_waitcnt lgkmcnt(0)
	v_mov_b32_e32 v1, s11
	s_bfe_u32 s12, s16, 0x80008
	v_add_co_u32_e32 v12, vcc, s10, v13
	s_cmp_lt_i32 s12, 11
	v_addc_co_u32_e32 v13, vcc, 0, v1, vcc
	s_cbranch_scc1 .LBB39_1199
; %bb.1193:
	s_and_b32 s13, 0xffff, s12
	s_cmp_gt_i32 s13, 25
	s_mov_b64 s[4:5], 0
	s_cbranch_scc0 .LBB39_1201
; %bb.1194:
	s_cmp_gt_i32 s13, 28
	s_cbranch_scc0 .LBB39_1202
; %bb.1195:
	s_cmp_gt_i32 s13, 43
	;; [unrolled: 3-line block ×3, first 2 shown]
	s_cbranch_scc0 .LBB39_1204
; %bb.1197:
	s_cmp_eq_u32 s13, 46
	s_mov_b64 s[2:3], 0
	s_cbranch_scc0 .LBB39_1207
; %bb.1198:
	global_load_dword v1, v[12:13], off
	s_mov_b64 s[0:1], 0
	s_mov_b64 s[6:7], -1
	s_waitcnt vmcnt(0)
	v_lshlrev_b32_e32 v1, 16, v1
	v_cvt_i32_f32_e32 v1, v1
	s_branch .LBB39_1208
.LBB39_1199:
	s_mov_b64 s[6:7], 0
                                        ; implicit-def: $vgpr1
	s_mov_b64 s[2:3], s[28:29]
	s_cbranch_execnz .LBB39_1266
.LBB39_1200:
	s_andn2_b64 vcc, exec, s[6:7]
	s_cbranch_vccz .LBB39_1311
	s_branch .LBB39_1738
.LBB39_1201:
	s_mov_b64 s[6:7], 0
	s_mov_b64 s[0:1], 0
                                        ; implicit-def: $vgpr1
	s_cbranch_execnz .LBB39_1233
	s_branch .LBB39_1262
.LBB39_1202:
	s_mov_b64 s[6:7], 0
	s_mov_b64 s[0:1], 0
                                        ; implicit-def: $vgpr1
	s_cbranch_execz .LBB39_1232
	s_branch .LBB39_1217
.LBB39_1203:
	s_mov_b64 s[6:7], 0
	s_mov_b64 s[0:1], 0
                                        ; implicit-def: $vgpr1
	s_cbranch_execnz .LBB39_1213
	s_branch .LBB39_1216
.LBB39_1204:
	s_mov_b64 s[2:3], -1
	s_mov_b64 s[6:7], 0
	s_mov_b64 s[0:1], 0
                                        ; implicit-def: $vgpr1
	s_branch .LBB39_1208
.LBB39_1205:
	s_andn2_saveexec_b64 s[16:17], s[16:17]
	s_cbranch_execz .LBB39_1047
.LBB39_1206:
	v_add_f32_e32 v0, 0x46000000, v3
	v_and_b32_e32 v0, 0xff, v0
	v_cmp_ne_u32_e32 vcc, 0, v0
	s_andn2_b64 s[14:15], s[14:15], exec
	s_and_b64 s[18:19], vcc, exec
	s_or_b64 s[14:15], s[14:15], s[18:19]
	s_or_b64 exec, exec, s[16:17]
	v_mov_b32_e32 v4, 0
	s_and_saveexec_b64 s[16:17], s[14:15]
	s_cbranch_execnz .LBB39_1048
	s_branch .LBB39_1049
.LBB39_1207:
	s_mov_b64 s[0:1], -1
                                        ; implicit-def: $vgpr1
	s_mov_b64 s[6:7], 0
.LBB39_1208:
	s_and_b64 vcc, exec, s[2:3]
	s_cbranch_vccz .LBB39_1211
; %bb.1209:
	s_cmp_eq_u32 s13, 44
	s_cbranch_scc0 .LBB39_1212
; %bb.1210:
	global_load_ubyte v1, v[12:13], off
	s_mov_b64 s[0:1], 0
	s_mov_b64 s[6:7], -1
	s_waitcnt vmcnt(0)
	v_lshlrev_b32_e32 v3, 23, v1
	v_cvt_i32_f32_e32 v3, v3
	v_cmp_ne_u32_e32 vcc, 0, v1
	v_cndmask_b32_e32 v1, 0, v3, vcc
.LBB39_1211:
	s_branch .LBB39_1216
.LBB39_1212:
	s_mov_b64 s[0:1], -1
                                        ; implicit-def: $vgpr1
	s_branch .LBB39_1216
.LBB39_1213:
	s_cmp_eq_u32 s13, 29
	s_cbranch_scc0 .LBB39_1215
; %bb.1214:
	global_load_dword v1, v[12:13], off
	s_mov_b64 s[0:1], 0
	s_mov_b64 s[6:7], -1
	s_branch .LBB39_1216
.LBB39_1215:
	s_mov_b64 s[0:1], -1
                                        ; implicit-def: $vgpr1
.LBB39_1216:
	s_branch .LBB39_1232
.LBB39_1217:
	s_cmp_lt_i32 s13, 27
	s_cbranch_scc1 .LBB39_1220
; %bb.1218:
	s_cmp_gt_i32 s13, 27
	s_cbranch_scc0 .LBB39_1221
; %bb.1219:
	global_load_dword v1, v[12:13], off
	s_mov_b64 s[2:3], 0
	s_branch .LBB39_1222
.LBB39_1220:
	s_mov_b64 s[2:3], -1
                                        ; implicit-def: $vgpr1
	s_branch .LBB39_1225
.LBB39_1221:
	s_mov_b64 s[2:3], -1
                                        ; implicit-def: $vgpr1
.LBB39_1222:
	s_andn2_b64 vcc, exec, s[2:3]
	s_cbranch_vccnz .LBB39_1224
; %bb.1223:
	global_load_ushort v1, v[12:13], off
.LBB39_1224:
	s_mov_b64 s[2:3], 0
.LBB39_1225:
	s_andn2_b64 vcc, exec, s[2:3]
	s_cbranch_vccnz .LBB39_1231
; %bb.1226:
	global_load_ubyte v3, v[12:13], off
	s_movk_i32 s2, 0x7f
	s_mov_b64 s[6:7], 0
	s_waitcnt vmcnt(0)
	v_cmp_lt_i16_e32 vcc, s2, v3
	s_and_saveexec_b64 s[2:3], vcc
	s_xor_b64 s[2:3], exec, s[2:3]
	s_cbranch_execz .LBB39_1242
; %bb.1227:
	s_movk_i32 s6, 0x80
	v_cmp_ne_u16_e32 vcc, s6, v3
	s_and_b64 s[6:7], vcc, exec
	s_andn2_saveexec_b64 s[2:3], s[2:3]
	s_cbranch_execnz .LBB39_1243
.LBB39_1228:
	s_or_b64 exec, exec, s[2:3]
	v_mov_b32_e32 v1, 0
	s_and_saveexec_b64 s[2:3], s[6:7]
	s_cbranch_execz .LBB39_1230
.LBB39_1229:
	v_lshlrev_b32_e32 v1, 24, v3
	v_and_b32_e32 v3, 0xffff, v3
	v_and_b32_e32 v5, 7, v3
	v_ffbh_u32_e32 v10, v5
	v_min_u32_e32 v10, 32, v10
	v_subrev_u32_e32 v14, 28, v10
	v_bfe_u32 v8, v3, 3, 4
	v_lshlrev_b32_e32 v3, v14, v3
	v_sub_u32_e32 v10, 29, v10
	v_and_b32_e32 v3, 7, v3
	v_cmp_eq_u32_e32 vcc, 0, v8
	v_cndmask_b32_e32 v8, v8, v10, vcc
	v_cndmask_b32_e32 v3, v5, v3, vcc
	v_mov_b32_e32 v5, 0x3b800000
	v_lshlrev_b32_e32 v3, 20, v3
	v_and_b32_e32 v1, 0x80000000, v1
	v_lshl_add_u32 v5, v8, 23, v5
	v_or3_b32 v1, v1, v5, v3
	v_cvt_i32_f32_e32 v1, v1
.LBB39_1230:
	s_or_b64 exec, exec, s[2:3]
.LBB39_1231:
	s_mov_b64 s[6:7], -1
.LBB39_1232:
	s_branch .LBB39_1262
.LBB39_1233:
	s_cmp_gt_i32 s13, 22
	s_cbranch_scc0 .LBB39_1241
; %bb.1234:
	s_cmp_lt_i32 s13, 24
	s_cbranch_scc1 .LBB39_1244
; %bb.1235:
	s_cmp_gt_i32 s13, 24
	s_cbranch_scc0 .LBB39_1245
; %bb.1236:
	global_load_ubyte v3, v[12:13], off
	s_movk_i32 s2, 0x7f
	s_waitcnt vmcnt(0)
	v_cmp_lt_i16_e32 vcc, s2, v3
	s_and_saveexec_b64 s[2:3], vcc
	s_xor_b64 s[2:3], exec, s[2:3]
	s_cbranch_execz .LBB39_1256
; %bb.1237:
	s_movk_i32 s4, 0x80
	v_cmp_ne_u16_e32 vcc, s4, v3
	s_and_b64 s[4:5], vcc, exec
	s_andn2_saveexec_b64 s[2:3], s[2:3]
	s_cbranch_execnz .LBB39_1257
.LBB39_1238:
	s_or_b64 exec, exec, s[2:3]
	v_mov_b32_e32 v1, 0
	s_and_saveexec_b64 s[2:3], s[4:5]
	s_cbranch_execz .LBB39_1240
.LBB39_1239:
	v_lshlrev_b32_e32 v1, 24, v3
	v_and_b32_e32 v3, 0xffff, v3
	v_and_b32_e32 v5, 3, v3
	v_ffbh_u32_e32 v10, v5
	v_min_u32_e32 v10, 32, v10
	v_subrev_u32_e32 v14, 29, v10
	v_bfe_u32 v8, v3, 2, 5
	v_lshlrev_b32_e32 v3, v14, v3
	v_sub_u32_e32 v10, 30, v10
	v_and_b32_e32 v3, 3, v3
	v_cmp_eq_u32_e32 vcc, 0, v8
	v_cndmask_b32_e32 v8, v8, v10, vcc
	v_cndmask_b32_e32 v3, v5, v3, vcc
	v_mov_b32_e32 v5, 0x37800000
	v_lshlrev_b32_e32 v3, 21, v3
	v_and_b32_e32 v1, 0x80000000, v1
	v_lshl_add_u32 v5, v8, 23, v5
	v_or3_b32 v1, v1, v5, v3
	v_cvt_i32_f32_e32 v1, v1
.LBB39_1240:
	s_or_b64 exec, exec, s[2:3]
	s_mov_b64 s[2:3], 0
	s_branch .LBB39_1246
.LBB39_1241:
                                        ; implicit-def: $vgpr1
	s_mov_b64 s[4:5], 0
	s_branch .LBB39_1252
.LBB39_1242:
	s_andn2_saveexec_b64 s[2:3], s[2:3]
	s_cbranch_execz .LBB39_1228
.LBB39_1243:
	v_cmp_ne_u16_e32 vcc, 0, v3
	s_andn2_b64 s[6:7], s[6:7], exec
	s_and_b64 s[14:15], vcc, exec
	s_or_b64 s[6:7], s[6:7], s[14:15]
	s_or_b64 exec, exec, s[2:3]
	v_mov_b32_e32 v1, 0
	s_and_saveexec_b64 s[2:3], s[6:7]
	s_cbranch_execnz .LBB39_1229
	s_branch .LBB39_1230
.LBB39_1244:
	s_mov_b64 s[2:3], -1
                                        ; implicit-def: $vgpr1
	s_branch .LBB39_1249
.LBB39_1245:
	s_mov_b64 s[2:3], -1
                                        ; implicit-def: $vgpr1
.LBB39_1246:
	s_and_b64 vcc, exec, s[2:3]
	s_cbranch_vccz .LBB39_1248
; %bb.1247:
	global_load_ubyte v1, v[12:13], off
	s_mov_b32 s2, 0x7f800000
	s_waitcnt vmcnt(0)
	v_lshlrev_b32_e32 v1, 24, v1
	v_and_b32_e32 v3, 0x7f000000, v1
	v_ffbh_u32_e32 v5, v3
	v_min_u32_e32 v5, 32, v5
	v_sub_u32_e64 v5, v5, 4 clamp
	v_lshlrev_b32_e32 v10, v5, v3
	v_lshlrev_b32_e32 v5, 23, v5
	v_lshrrev_b32_e32 v10, 4, v10
	v_add_u32_e32 v8, 0x1000000, v3
	v_sub_u32_e32 v5, v10, v5
	v_ashrrev_i32_e32 v8, 8, v8
	v_add_u32_e32 v5, 0x3c000000, v5
	v_and_or_b32 v5, v8, s2, v5
	v_cmp_ne_u32_e32 vcc, 0, v3
	v_cndmask_b32_e32 v3, 0, v5, vcc
	s_brev_b32 s2, 1
	v_and_or_b32 v1, v1, s2, v3
	v_cvt_i32_f32_e32 v1, v1
.LBB39_1248:
	s_mov_b64 s[2:3], 0
.LBB39_1249:
	s_andn2_b64 vcc, exec, s[2:3]
	s_cbranch_vccnz .LBB39_1251
; %bb.1250:
	global_load_ubyte v1, v[12:13], off
	s_movk_i32 s2, 0x7f00
	s_brev_b32 s3, 16
	s_waitcnt vmcnt(0)
	v_lshlrev_b16_e32 v3, 8, v1
	v_lshlrev_b32_e32 v1, 25, v1
	v_lshrrev_b32_e32 v5, 4, v1
	v_and_or_b32 v8, v3, s2, 0.5
	v_or_b32_e32 v5, 0x70000000, v5
	v_add_f32_e32 v8, -0.5, v8
	v_mul_f32_e32 v5, 0x7800000, v5
	v_cmp_gt_u32_e32 vcc, s3, v1
	v_bfe_i32 v3, v3, 0, 16
	v_cndmask_b32_e32 v1, v5, v8, vcc
	s_brev_b32 s2, 1
	v_and_or_b32 v1, v3, s2, v1
	v_cvt_i32_f32_e32 v1, v1
.LBB39_1251:
	s_mov_b64 s[6:7], -1
	s_mov_b64 s[4:5], 0
	s_cbranch_execnz .LBB39_1262
.LBB39_1252:
	s_cmp_gt_i32 s13, 14
	s_cbranch_scc0 .LBB39_1255
; %bb.1253:
	s_cmp_eq_u32 s13, 15
	s_cbranch_scc0 .LBB39_1258
; %bb.1254:
	global_load_ushort v1, v[12:13], off
	s_mov_b64 s[0:1], 0
	s_mov_b64 s[6:7], -1
	s_waitcnt vmcnt(0)
	v_lshlrev_b32_e32 v1, 16, v1
	v_cvt_i32_f32_e32 v1, v1
	s_branch .LBB39_1259
.LBB39_1255:
	s_mov_b64 s[2:3], -1
                                        ; implicit-def: $vgpr1
	s_branch .LBB39_1260
.LBB39_1256:
	s_andn2_saveexec_b64 s[2:3], s[2:3]
	s_cbranch_execz .LBB39_1238
.LBB39_1257:
	v_cmp_ne_u16_e32 vcc, 0, v3
	s_andn2_b64 s[4:5], s[4:5], exec
	s_and_b64 s[6:7], vcc, exec
	s_or_b64 s[4:5], s[4:5], s[6:7]
	s_or_b64 exec, exec, s[2:3]
	v_mov_b32_e32 v1, 0
	s_and_saveexec_b64 s[2:3], s[4:5]
	s_cbranch_execnz .LBB39_1239
	s_branch .LBB39_1240
.LBB39_1258:
	s_mov_b64 s[0:1], -1
                                        ; implicit-def: $vgpr1
.LBB39_1259:
	s_mov_b64 s[2:3], 0
.LBB39_1260:
	s_and_b64 vcc, exec, s[2:3]
	s_cbranch_vccz .LBB39_1262
; %bb.1261:
	s_cmp_lg_u32 s13, 11
	s_mov_b64 s[4:5], -1
	s_cselect_b64 s[0:1], -1, 0
.LBB39_1262:
	s_and_b64 vcc, exec, s[0:1]
	s_mov_b64 s[2:3], s[28:29]
	s_cbranch_vccnz .LBB39_1338
; %bb.1263:
	s_andn2_b64 vcc, exec, s[4:5]
	s_cbranch_vccnz .LBB39_1265
.LBB39_1264:
	global_load_ubyte v1, v[12:13], off
	s_mov_b64 s[6:7], -1
	s_waitcnt vmcnt(0)
	v_cmp_ne_u16_e32 vcc, 0, v1
	v_cndmask_b32_e64 v1, 0, 1, vcc
.LBB39_1265:
	s_branch .LBB39_1200
.LBB39_1266:
	s_and_b32 s4, 0xffff, s12
	s_cmp_lt_i32 s4, 5
	s_cbranch_scc1 .LBB39_1271
; %bb.1267:
	s_cmp_lt_i32 s4, 8
	s_cbranch_scc1 .LBB39_1272
; %bb.1268:
	;; [unrolled: 3-line block ×3, first 2 shown]
	s_cmp_gt_i32 s4, 9
	s_cbranch_scc0 .LBB39_1274
; %bb.1270:
	global_load_dwordx2 v[14:15], v[12:13], off
	s_mov_b64 s[0:1], 0
	s_waitcnt vmcnt(0)
	v_cvt_i32_f64_e32 v1, v[14:15]
	s_branch .LBB39_1275
.LBB39_1271:
                                        ; implicit-def: $vgpr1
	s_branch .LBB39_1292
.LBB39_1272:
                                        ; implicit-def: $vgpr1
	s_branch .LBB39_1281
.LBB39_1273:
	s_mov_b64 s[0:1], -1
                                        ; implicit-def: $vgpr1
	s_branch .LBB39_1278
.LBB39_1274:
	s_mov_b64 s[0:1], -1
                                        ; implicit-def: $vgpr1
.LBB39_1275:
	s_andn2_b64 vcc, exec, s[0:1]
	s_cbranch_vccnz .LBB39_1277
; %bb.1276:
	global_load_dword v1, v[12:13], off
	s_waitcnt vmcnt(0)
	v_cvt_i32_f32_e32 v1, v1
.LBB39_1277:
	s_mov_b64 s[0:1], 0
.LBB39_1278:
	s_andn2_b64 vcc, exec, s[0:1]
	s_cbranch_vccnz .LBB39_1280
; %bb.1279:
	global_load_dword v1, v[12:13], off
	s_waitcnt vmcnt(0)
	v_cvt_f32_f16_e32 v1, v1
	v_cvt_i32_f32_e32 v1, v1
.LBB39_1280:
	s_cbranch_execnz .LBB39_1291
.LBB39_1281:
	s_cmp_lt_i32 s4, 6
	s_cbranch_scc1 .LBB39_1284
; %bb.1282:
	s_cmp_gt_i32 s4, 6
	s_cbranch_scc0 .LBB39_1285
; %bb.1283:
	global_load_dwordx2 v[14:15], v[12:13], off
	s_mov_b64 s[0:1], 0
	s_waitcnt vmcnt(0)
	v_cvt_i32_f64_e32 v1, v[14:15]
	s_branch .LBB39_1286
.LBB39_1284:
	s_mov_b64 s[0:1], -1
                                        ; implicit-def: $vgpr1
	s_branch .LBB39_1289
.LBB39_1285:
	s_mov_b64 s[0:1], -1
                                        ; implicit-def: $vgpr1
.LBB39_1286:
	s_andn2_b64 vcc, exec, s[0:1]
	s_cbranch_vccnz .LBB39_1288
; %bb.1287:
	global_load_dword v1, v[12:13], off
	s_waitcnt vmcnt(0)
	v_cvt_i32_f32_e32 v1, v1
.LBB39_1288:
	s_mov_b64 s[0:1], 0
.LBB39_1289:
	s_andn2_b64 vcc, exec, s[0:1]
	s_cbranch_vccnz .LBB39_1291
; %bb.1290:
	global_load_ushort v1, v[12:13], off
	s_waitcnt vmcnt(0)
	v_cvt_f32_f16_e32 v1, v1
	v_cvt_i32_f32_e32 v1, v1
.LBB39_1291:
	s_cbranch_execnz .LBB39_1310
.LBB39_1292:
	s_cmp_lt_i32 s4, 2
	s_cbranch_scc1 .LBB39_1296
; %bb.1293:
	s_cmp_lt_i32 s4, 3
	s_cbranch_scc1 .LBB39_1297
; %bb.1294:
	s_cmp_gt_i32 s4, 3
	s_cbranch_scc0 .LBB39_1298
; %bb.1295:
	global_load_dword v1, v[12:13], off
	s_mov_b64 s[0:1], 0
	s_branch .LBB39_1299
.LBB39_1296:
                                        ; implicit-def: $vgpr1
	s_branch .LBB39_1305
.LBB39_1297:
	s_mov_b64 s[0:1], -1
                                        ; implicit-def: $vgpr1
	s_branch .LBB39_1302
.LBB39_1298:
	s_mov_b64 s[0:1], -1
                                        ; implicit-def: $vgpr1
.LBB39_1299:
	s_andn2_b64 vcc, exec, s[0:1]
	s_cbranch_vccnz .LBB39_1301
; %bb.1300:
	global_load_dword v1, v[12:13], off
.LBB39_1301:
	s_mov_b64 s[0:1], 0
.LBB39_1302:
	s_andn2_b64 vcc, exec, s[0:1]
	s_cbranch_vccnz .LBB39_1304
; %bb.1303:
	global_load_sshort v1, v[12:13], off
.LBB39_1304:
	s_cbranch_execnz .LBB39_1310
.LBB39_1305:
	s_cmp_gt_i32 s4, 0
	s_cbranch_scc0 .LBB39_1307
; %bb.1306:
	global_load_sbyte v1, v[12:13], off
	s_mov_b64 s[0:1], 0
	s_branch .LBB39_1308
.LBB39_1307:
	s_mov_b64 s[0:1], -1
                                        ; implicit-def: $vgpr1
.LBB39_1308:
	s_andn2_b64 vcc, exec, s[0:1]
	s_cbranch_vccnz .LBB39_1310
; %bb.1309:
	global_load_ubyte v1, v[12:13], off
.LBB39_1310:
.LBB39_1311:
	s_load_dwordx2 s[0:1], s[34:35], 0x158
	s_mov_b64 s[6:7], 0
	s_waitcnt lgkmcnt(0)
	s_cmp_lt_i32 s0, 1
	s_cbranch_scc1 .LBB39_1315
; %bb.1312:
	s_cmp_gt_i32 s0, 1
	s_cbranch_scc0 .LBB39_1316
; %bb.1313:
	s_cmp_eq_u32 s0, 2
	s_cbranch_scc0 .LBB39_1317
; %bb.1314:
	s_waitcnt vmcnt(0)
	v_cmp_ge_i32_e64 s[4:5], s1, v1
	s_mov_b64 s[12:13], 0
	s_branch .LBB39_1318
.LBB39_1315:
                                        ; implicit-def: $sgpr4_sgpr5
	s_mov_b64 s[12:13], 0
	s_cbranch_execnz .LBB39_1321
	s_branch .LBB39_1322
.LBB39_1316:
	s_mov_b64 s[12:13], 0
                                        ; implicit-def: $sgpr4_sgpr5
	s_cbranch_execnz .LBB39_1319
	s_branch .LBB39_1320
.LBB39_1317:
	s_mov_b64 s[12:13], -1
                                        ; implicit-def: $sgpr4_sgpr5
.LBB39_1318:
	s_branch .LBB39_1320
.LBB39_1319:
	s_waitcnt vmcnt(0)
	v_cmp_lt_i32_e32 vcc, s1, v1
	s_andn2_b64 s[4:5], s[4:5], exec
	s_and_b64 s[14:15], vcc, exec
	s_or_b64 s[4:5], s[4:5], s[14:15]
.LBB39_1320:
	s_branch .LBB39_1322
.LBB39_1321:
	s_cmp_lg_u32 s0, 0
	s_mov_b64 s[6:7], -1
	s_cselect_b64 s[12:13], -1, 0
.LBB39_1322:
	s_andn2_b64 vcc, exec, s[12:13]
	s_cbranch_vccnz .LBB39_1324
; %bb.1323:
	s_waitcnt vmcnt(0)
	v_cmp_gt_i32_e32 vcc, s1, v1
	s_andn2_b64 s[4:5], s[4:5], exec
	s_and_b64 s[12:13], vcc, exec
	s_or_b64 s[4:5], s[4:5], s[12:13]
	s_cbranch_execz .LBB39_1325
	s_branch .LBB39_1326
.LBB39_1324:
	s_andn2_b64 vcc, exec, s[6:7]
	s_cbranch_vccnz .LBB39_1326
.LBB39_1325:
	s_waitcnt vmcnt(0)
	v_cmp_le_i32_e32 vcc, s1, v1
	s_andn2_b64 s[4:5], s[4:5], exec
	s_and_b64 s[6:7], vcc, exec
	s_or_b64 s[4:5], s[4:5], s[6:7]
.LBB39_1326:
	s_lshr_b32 s6, s16, 8
	s_waitcnt vmcnt(0)
	v_mov_b32_e32 v1, s11
	s_and_b32 s20, s6, 0xff
	v_add_co_u32_e32 v10, vcc, s10, v11
	s_cmp_lt_i32 s20, 11
	v_addc_co_u32_e32 v11, vcc, 0, v1, vcc
	s_cbranch_scc1 .LBB39_1333
; %bb.1327:
	s_and_b32 s18, 0xffff, s20
	s_cmp_gt_i32 s18, 25
	s_mov_b64 s[12:13], 0
	s_cbranch_scc0 .LBB39_1335
; %bb.1328:
	s_cmp_gt_i32 s18, 28
	s_cbranch_scc0 .LBB39_1336
; %bb.1329:
	s_cmp_gt_i32 s18, 43
	;; [unrolled: 3-line block ×3, first 2 shown]
	s_cbranch_scc0 .LBB39_1339
; %bb.1331:
	s_cmp_eq_u32 s18, 46
	s_mov_b64 s[16:17], 0
	s_cbranch_scc0 .LBB39_1342
; %bb.1332:
	global_load_dword v1, v[10:11], off
	s_mov_b64 s[6:7], 0
	s_mov_b64 s[14:15], -1
	s_waitcnt vmcnt(0)
	v_lshlrev_b32_e32 v1, 16, v1
	v_cvt_i32_f32_e32 v1, v1
	s_branch .LBB39_1343
.LBB39_1333:
	s_mov_b64 s[14:15], 0
                                        ; implicit-def: $vgpr1
	s_cbranch_execnz .LBB39_1404
.LBB39_1334:
	s_andn2_b64 vcc, exec, s[14:15]
	s_cbranch_vccnz .LBB39_1738
	s_branch .LBB39_1451
.LBB39_1335:
	s_mov_b64 s[14:15], 0
	s_mov_b64 s[6:7], 0
                                        ; implicit-def: $vgpr1
	s_cbranch_execnz .LBB39_1370
	s_branch .LBB39_1400
.LBB39_1336:
	s_mov_b64 s[16:17], -1
	s_mov_b64 s[14:15], 0
	s_mov_b64 s[6:7], 0
                                        ; implicit-def: $vgpr1
	s_branch .LBB39_1353
.LBB39_1337:
	s_mov_b64 s[16:17], -1
	s_mov_b64 s[14:15], 0
	s_mov_b64 s[6:7], 0
                                        ; implicit-def: $vgpr1
	s_branch .LBB39_1348
.LBB39_1338:
	s_or_b64 s[2:3], s[28:29], exec
	s_trap 2
	s_cbranch_execz .LBB39_1264
	s_branch .LBB39_1265
.LBB39_1339:
	s_mov_b64 s[16:17], -1
	s_mov_b64 s[14:15], 0
	s_mov_b64 s[6:7], 0
                                        ; implicit-def: $vgpr1
	s_branch .LBB39_1343
.LBB39_1340:
	s_andn2_saveexec_b64 s[18:19], s[18:19]
	s_cbranch_execz .LBB39_1059
.LBB39_1341:
	v_add_f32_e32 v0, 0x42800000, v3
	v_and_b32_e32 v0, 0xff, v0
	v_cmp_ne_u32_e32 vcc, 0, v0
	s_andn2_b64 s[16:17], s[16:17], exec
	s_and_b64 s[22:23], vcc, exec
	s_or_b64 s[16:17], s[16:17], s[22:23]
	s_or_b64 exec, exec, s[18:19]
	v_mov_b32_e32 v4, 0
	s_and_saveexec_b64 s[18:19], s[16:17]
	s_cbranch_execnz .LBB39_1060
	s_branch .LBB39_1061
.LBB39_1342:
	s_mov_b64 s[6:7], -1
                                        ; implicit-def: $vgpr1
	s_mov_b64 s[14:15], 0
.LBB39_1343:
	s_and_b64 vcc, exec, s[16:17]
	s_cbranch_vccz .LBB39_1347
; %bb.1344:
	s_cmp_eq_u32 s18, 44
	s_cbranch_scc0 .LBB39_1346
; %bb.1345:
	global_load_ubyte v1, v[10:11], off
	s_mov_b64 s[6:7], 0
	s_mov_b64 s[14:15], -1
	s_waitcnt vmcnt(0)
	v_lshlrev_b32_e32 v3, 23, v1
	v_cvt_i32_f32_e32 v3, v3
	v_cmp_ne_u32_e32 vcc, 0, v1
	v_cndmask_b32_e32 v1, 0, v3, vcc
	s_branch .LBB39_1347
.LBB39_1346:
	s_mov_b64 s[6:7], -1
                                        ; implicit-def: $vgpr1
.LBB39_1347:
	s_mov_b64 s[16:17], 0
.LBB39_1348:
	s_and_b64 vcc, exec, s[16:17]
	s_cbranch_vccz .LBB39_1352
; %bb.1349:
	s_cmp_eq_u32 s18, 29
	s_cbranch_scc0 .LBB39_1351
; %bb.1350:
	global_load_dword v1, v[10:11], off
	s_mov_b64 s[6:7], 0
	s_mov_b64 s[14:15], -1
	s_branch .LBB39_1352
.LBB39_1351:
	s_mov_b64 s[6:7], -1
                                        ; implicit-def: $vgpr1
.LBB39_1352:
	s_mov_b64 s[16:17], 0
.LBB39_1353:
	s_and_b64 vcc, exec, s[16:17]
	s_cbranch_vccz .LBB39_1369
; %bb.1354:
	s_cmp_lt_i32 s18, 27
	s_cbranch_scc1 .LBB39_1357
; %bb.1355:
	s_cmp_gt_i32 s18, 27
	s_cbranch_scc0 .LBB39_1358
; %bb.1356:
	global_load_dword v1, v[10:11], off
	s_mov_b64 s[14:15], 0
	s_branch .LBB39_1359
.LBB39_1357:
	s_mov_b64 s[14:15], -1
                                        ; implicit-def: $vgpr1
	s_branch .LBB39_1362
.LBB39_1358:
	s_mov_b64 s[14:15], -1
                                        ; implicit-def: $vgpr1
.LBB39_1359:
	s_andn2_b64 vcc, exec, s[14:15]
	s_cbranch_vccnz .LBB39_1361
; %bb.1360:
	global_load_ushort v1, v[10:11], off
.LBB39_1361:
	s_mov_b64 s[14:15], 0
.LBB39_1362:
	s_andn2_b64 vcc, exec, s[14:15]
	s_cbranch_vccnz .LBB39_1368
; %bb.1363:
	global_load_ubyte v3, v[10:11], off
	s_movk_i32 s14, 0x7f
	s_mov_b64 s[16:17], 0
	s_waitcnt vmcnt(0)
	v_cmp_lt_i16_e32 vcc, s14, v3
	s_and_saveexec_b64 s[14:15], vcc
	s_xor_b64 s[14:15], exec, s[14:15]
	s_cbranch_execz .LBB39_1379
; %bb.1364:
	s_movk_i32 s16, 0x80
	v_cmp_ne_u16_e32 vcc, s16, v3
	s_and_b64 s[16:17], vcc, exec
	s_andn2_saveexec_b64 s[14:15], s[14:15]
	s_cbranch_execnz .LBB39_1380
.LBB39_1365:
	s_or_b64 exec, exec, s[14:15]
	v_mov_b32_e32 v1, 0
	s_and_saveexec_b64 s[14:15], s[16:17]
	s_cbranch_execz .LBB39_1367
.LBB39_1366:
	v_lshlrev_b32_e32 v1, 24, v3
	v_and_b32_e32 v3, 0xffff, v3
	v_and_b32_e32 v5, 7, v3
	v_ffbh_u32_e32 v12, v5
	v_min_u32_e32 v12, 32, v12
	v_subrev_u32_e32 v13, 28, v12
	v_bfe_u32 v8, v3, 3, 4
	v_lshlrev_b32_e32 v3, v13, v3
	v_sub_u32_e32 v12, 29, v12
	v_and_b32_e32 v3, 7, v3
	v_cmp_eq_u32_e32 vcc, 0, v8
	v_cndmask_b32_e32 v8, v8, v12, vcc
	v_cndmask_b32_e32 v3, v5, v3, vcc
	v_mov_b32_e32 v5, 0x3b800000
	v_lshlrev_b32_e32 v3, 20, v3
	v_and_b32_e32 v1, 0x80000000, v1
	v_lshl_add_u32 v5, v8, 23, v5
	v_or3_b32 v1, v1, v5, v3
	v_cvt_i32_f32_e32 v1, v1
.LBB39_1367:
	s_or_b64 exec, exec, s[14:15]
.LBB39_1368:
	s_mov_b64 s[14:15], -1
.LBB39_1369:
	s_branch .LBB39_1400
.LBB39_1370:
	s_cmp_gt_i32 s18, 22
	s_cbranch_scc0 .LBB39_1378
; %bb.1371:
	s_cmp_lt_i32 s18, 24
	s_cbranch_scc1 .LBB39_1381
; %bb.1372:
	s_cmp_gt_i32 s18, 24
	s_cbranch_scc0 .LBB39_1382
; %bb.1373:
	global_load_ubyte v3, v[10:11], off
	s_movk_i32 s12, 0x7f
	s_mov_b64 s[14:15], 0
	s_waitcnt vmcnt(0)
	v_cmp_lt_i16_e32 vcc, s12, v3
	s_and_saveexec_b64 s[12:13], vcc
	s_xor_b64 s[12:13], exec, s[12:13]
	s_cbranch_execz .LBB39_1394
; %bb.1374:
	s_movk_i32 s14, 0x80
	v_cmp_ne_u16_e32 vcc, s14, v3
	s_and_b64 s[14:15], vcc, exec
	s_andn2_saveexec_b64 s[12:13], s[12:13]
	s_cbranch_execnz .LBB39_1395
.LBB39_1375:
	s_or_b64 exec, exec, s[12:13]
	v_mov_b32_e32 v1, 0
	s_and_saveexec_b64 s[12:13], s[14:15]
	s_cbranch_execz .LBB39_1377
.LBB39_1376:
	v_lshlrev_b32_e32 v1, 24, v3
	v_and_b32_e32 v3, 0xffff, v3
	v_and_b32_e32 v5, 3, v3
	v_ffbh_u32_e32 v12, v5
	v_min_u32_e32 v12, 32, v12
	v_subrev_u32_e32 v13, 29, v12
	v_bfe_u32 v8, v3, 2, 5
	v_lshlrev_b32_e32 v3, v13, v3
	v_sub_u32_e32 v12, 30, v12
	v_and_b32_e32 v3, 3, v3
	v_cmp_eq_u32_e32 vcc, 0, v8
	v_cndmask_b32_e32 v8, v8, v12, vcc
	v_cndmask_b32_e32 v3, v5, v3, vcc
	v_mov_b32_e32 v5, 0x37800000
	v_lshlrev_b32_e32 v3, 21, v3
	v_and_b32_e32 v1, 0x80000000, v1
	v_lshl_add_u32 v5, v8, 23, v5
	v_or3_b32 v1, v1, v5, v3
	v_cvt_i32_f32_e32 v1, v1
.LBB39_1377:
	s_or_b64 exec, exec, s[12:13]
	s_mov_b64 s[12:13], 0
	s_branch .LBB39_1383
.LBB39_1378:
	s_mov_b64 s[12:13], -1
                                        ; implicit-def: $vgpr1
	s_branch .LBB39_1389
.LBB39_1379:
	s_andn2_saveexec_b64 s[14:15], s[14:15]
	s_cbranch_execz .LBB39_1365
.LBB39_1380:
	v_cmp_ne_u16_e32 vcc, 0, v3
	s_andn2_b64 s[16:17], s[16:17], exec
	s_and_b64 s[22:23], vcc, exec
	s_or_b64 s[16:17], s[16:17], s[22:23]
	s_or_b64 exec, exec, s[14:15]
	v_mov_b32_e32 v1, 0
	s_and_saveexec_b64 s[14:15], s[16:17]
	s_cbranch_execnz .LBB39_1366
	s_branch .LBB39_1367
.LBB39_1381:
	s_mov_b64 s[12:13], -1
                                        ; implicit-def: $vgpr1
	s_branch .LBB39_1386
.LBB39_1382:
	s_mov_b64 s[12:13], -1
                                        ; implicit-def: $vgpr1
.LBB39_1383:
	s_and_b64 vcc, exec, s[12:13]
	s_cbranch_vccz .LBB39_1385
; %bb.1384:
	global_load_ubyte v1, v[10:11], off
	s_mov_b32 s12, 0x7f800000
	s_waitcnt vmcnt(0)
	v_lshlrev_b32_e32 v1, 24, v1
	v_and_b32_e32 v3, 0x7f000000, v1
	v_ffbh_u32_e32 v5, v3
	v_min_u32_e32 v5, 32, v5
	v_sub_u32_e64 v5, v5, 4 clamp
	v_lshlrev_b32_e32 v12, v5, v3
	v_lshlrev_b32_e32 v5, 23, v5
	v_lshrrev_b32_e32 v12, 4, v12
	v_add_u32_e32 v8, 0x1000000, v3
	v_sub_u32_e32 v5, v12, v5
	v_ashrrev_i32_e32 v8, 8, v8
	v_add_u32_e32 v5, 0x3c000000, v5
	v_and_or_b32 v5, v8, s12, v5
	v_cmp_ne_u32_e32 vcc, 0, v3
	v_cndmask_b32_e32 v3, 0, v5, vcc
	s_brev_b32 s12, 1
	v_and_or_b32 v1, v1, s12, v3
	v_cvt_i32_f32_e32 v1, v1
.LBB39_1385:
	s_mov_b64 s[12:13], 0
.LBB39_1386:
	s_andn2_b64 vcc, exec, s[12:13]
	s_cbranch_vccnz .LBB39_1388
; %bb.1387:
	global_load_ubyte v1, v[10:11], off
	s_movk_i32 s12, 0x7f00
	s_brev_b32 s13, 16
	s_waitcnt vmcnt(0)
	v_lshlrev_b16_e32 v3, 8, v1
	v_lshlrev_b32_e32 v1, 25, v1
	v_lshrrev_b32_e32 v5, 4, v1
	v_and_or_b32 v8, v3, s12, 0.5
	v_or_b32_e32 v5, 0x70000000, v5
	v_add_f32_e32 v8, -0.5, v8
	v_mul_f32_e32 v5, 0x7800000, v5
	v_cmp_gt_u32_e32 vcc, s13, v1
	v_bfe_i32 v3, v3, 0, 16
	v_cndmask_b32_e32 v1, v5, v8, vcc
	s_brev_b32 s12, 1
	v_and_or_b32 v1, v3, s12, v1
	v_cvt_i32_f32_e32 v1, v1
.LBB39_1388:
	s_mov_b64 s[12:13], 0
	s_mov_b64 s[14:15], -1
.LBB39_1389:
	s_andn2_b64 vcc, exec, s[12:13]
	s_mov_b64 s[12:13], 0
	s_cbranch_vccnz .LBB39_1400
; %bb.1390:
	s_cmp_gt_i32 s18, 14
	s_cbranch_scc0 .LBB39_1393
; %bb.1391:
	s_cmp_eq_u32 s18, 15
	s_cbranch_scc0 .LBB39_1396
; %bb.1392:
	global_load_ushort v1, v[10:11], off
	s_mov_b64 s[6:7], 0
	s_mov_b64 s[14:15], -1
	s_waitcnt vmcnt(0)
	v_lshlrev_b32_e32 v1, 16, v1
	v_cvt_i32_f32_e32 v1, v1
	s_branch .LBB39_1397
.LBB39_1393:
	s_mov_b64 s[16:17], -1
                                        ; implicit-def: $vgpr1
	s_branch .LBB39_1398
.LBB39_1394:
	s_andn2_saveexec_b64 s[12:13], s[12:13]
	s_cbranch_execz .LBB39_1375
.LBB39_1395:
	v_cmp_ne_u16_e32 vcc, 0, v3
	s_andn2_b64 s[14:15], s[14:15], exec
	s_and_b64 s[16:17], vcc, exec
	s_or_b64 s[14:15], s[14:15], s[16:17]
	s_or_b64 exec, exec, s[12:13]
	v_mov_b32_e32 v1, 0
	s_and_saveexec_b64 s[12:13], s[14:15]
	s_cbranch_execnz .LBB39_1376
	s_branch .LBB39_1377
.LBB39_1396:
	s_mov_b64 s[6:7], -1
                                        ; implicit-def: $vgpr1
.LBB39_1397:
	s_mov_b64 s[16:17], 0
.LBB39_1398:
	s_and_b64 vcc, exec, s[16:17]
	s_cbranch_vccz .LBB39_1400
; %bb.1399:
	s_cmp_lg_u32 s18, 11
	s_mov_b64 s[12:13], -1
	s_cselect_b64 s[6:7], -1, 0
.LBB39_1400:
	s_and_b64 vcc, exec, s[6:7]
	s_cbranch_vccnz .LBB39_1479
; %bb.1401:
	s_andn2_b64 vcc, exec, s[12:13]
	s_cbranch_vccnz .LBB39_1403
.LBB39_1402:
	global_load_ubyte v1, v[10:11], off
	s_mov_b64 s[14:15], -1
	s_waitcnt vmcnt(0)
	v_cmp_ne_u16_e32 vcc, 0, v1
	v_cndmask_b32_e64 v1, 0, 1, vcc
.LBB39_1403:
	s_branch .LBB39_1334
.LBB39_1404:
	s_and_b32 s12, 0xffff, s20
	s_cmp_lt_i32 s12, 5
	s_cbranch_scc1 .LBB39_1409
; %bb.1405:
	s_cmp_lt_i32 s12, 8
	s_cbranch_scc1 .LBB39_1410
; %bb.1406:
	;; [unrolled: 3-line block ×3, first 2 shown]
	s_cmp_gt_i32 s12, 9
	s_cbranch_scc0 .LBB39_1412
; %bb.1408:
	global_load_dwordx2 v[12:13], v[10:11], off
	s_mov_b64 s[6:7], 0
	s_waitcnt vmcnt(0)
	v_cvt_i32_f64_e32 v1, v[12:13]
	s_branch .LBB39_1413
.LBB39_1409:
                                        ; implicit-def: $vgpr1
	s_branch .LBB39_1431
.LBB39_1410:
	s_mov_b64 s[6:7], -1
                                        ; implicit-def: $vgpr1
	s_branch .LBB39_1419
.LBB39_1411:
	s_mov_b64 s[6:7], -1
                                        ; implicit-def: $vgpr1
	s_branch .LBB39_1416
.LBB39_1412:
	s_mov_b64 s[6:7], -1
                                        ; implicit-def: $vgpr1
.LBB39_1413:
	s_andn2_b64 vcc, exec, s[6:7]
	s_cbranch_vccnz .LBB39_1415
; %bb.1414:
	global_load_dword v1, v[10:11], off
	s_waitcnt vmcnt(0)
	v_cvt_i32_f32_e32 v1, v1
.LBB39_1415:
	s_mov_b64 s[6:7], 0
.LBB39_1416:
	s_andn2_b64 vcc, exec, s[6:7]
	s_cbranch_vccnz .LBB39_1418
; %bb.1417:
	global_load_dword v1, v[10:11], off
	s_waitcnt vmcnt(0)
	v_cvt_f32_f16_e32 v1, v1
	v_cvt_i32_f32_e32 v1, v1
.LBB39_1418:
	s_mov_b64 s[6:7], 0
.LBB39_1419:
	s_andn2_b64 vcc, exec, s[6:7]
	s_cbranch_vccnz .LBB39_1430
; %bb.1420:
	s_cmp_lt_i32 s12, 6
	s_cbranch_scc1 .LBB39_1423
; %bb.1421:
	s_cmp_gt_i32 s12, 6
	s_cbranch_scc0 .LBB39_1424
; %bb.1422:
	global_load_dwordx2 v[12:13], v[10:11], off
	s_mov_b64 s[6:7], 0
	s_waitcnt vmcnt(0)
	v_cvt_i32_f64_e32 v1, v[12:13]
	s_branch .LBB39_1425
.LBB39_1423:
	s_mov_b64 s[6:7], -1
                                        ; implicit-def: $vgpr1
	s_branch .LBB39_1428
.LBB39_1424:
	s_mov_b64 s[6:7], -1
                                        ; implicit-def: $vgpr1
.LBB39_1425:
	s_andn2_b64 vcc, exec, s[6:7]
	s_cbranch_vccnz .LBB39_1427
; %bb.1426:
	global_load_dword v1, v[10:11], off
	s_waitcnt vmcnt(0)
	v_cvt_i32_f32_e32 v1, v1
.LBB39_1427:
	s_mov_b64 s[6:7], 0
.LBB39_1428:
	s_andn2_b64 vcc, exec, s[6:7]
	s_cbranch_vccnz .LBB39_1430
; %bb.1429:
	global_load_ushort v1, v[10:11], off
	s_waitcnt vmcnt(0)
	v_cvt_f32_f16_e32 v1, v1
	v_cvt_i32_f32_e32 v1, v1
.LBB39_1430:
	s_cbranch_execnz .LBB39_1450
.LBB39_1431:
	s_cmp_lt_i32 s12, 2
	s_cbranch_scc1 .LBB39_1435
; %bb.1432:
	s_cmp_lt_i32 s12, 3
	s_cbranch_scc1 .LBB39_1436
; %bb.1433:
	s_cmp_gt_i32 s12, 3
	s_cbranch_scc0 .LBB39_1437
; %bb.1434:
	global_load_dword v1, v[10:11], off
	s_mov_b64 s[6:7], 0
	s_branch .LBB39_1438
.LBB39_1435:
	s_mov_b64 s[6:7], -1
                                        ; implicit-def: $vgpr1
	s_branch .LBB39_1444
.LBB39_1436:
	s_mov_b64 s[6:7], -1
                                        ; implicit-def: $vgpr1
	s_branch .LBB39_1441
.LBB39_1437:
	s_mov_b64 s[6:7], -1
                                        ; implicit-def: $vgpr1
.LBB39_1438:
	s_andn2_b64 vcc, exec, s[6:7]
	s_cbranch_vccnz .LBB39_1440
; %bb.1439:
	global_load_dword v1, v[10:11], off
.LBB39_1440:
	s_mov_b64 s[6:7], 0
.LBB39_1441:
	s_andn2_b64 vcc, exec, s[6:7]
	s_cbranch_vccnz .LBB39_1443
; %bb.1442:
	global_load_sshort v1, v[10:11], off
.LBB39_1443:
	s_mov_b64 s[6:7], 0
.LBB39_1444:
	s_andn2_b64 vcc, exec, s[6:7]
	s_cbranch_vccnz .LBB39_1450
; %bb.1445:
	s_cmp_gt_i32 s12, 0
	s_cbranch_scc0 .LBB39_1447
; %bb.1446:
	global_load_sbyte v1, v[10:11], off
	s_mov_b64 s[6:7], 0
	s_branch .LBB39_1448
.LBB39_1447:
	s_mov_b64 s[6:7], -1
                                        ; implicit-def: $vgpr1
.LBB39_1448:
	s_andn2_b64 vcc, exec, s[6:7]
	s_cbranch_vccnz .LBB39_1450
; %bb.1449:
	global_load_ubyte v1, v[10:11], off
.LBB39_1450:
.LBB39_1451:
	s_cmp_lt_i32 s0, 1
	s_mov_b64 s[12:13], 0
	s_cbranch_scc1 .LBB39_1455
; %bb.1452:
	s_cmp_gt_i32 s0, 1
	s_cbranch_scc0 .LBB39_1456
; %bb.1453:
	s_cmp_eq_u32 s0, 2
	s_cbranch_scc0 .LBB39_1457
; %bb.1454:
	s_waitcnt vmcnt(0)
	v_cmp_ge_i32_e64 s[6:7], s1, v1
	s_mov_b64 s[14:15], 0
	s_branch .LBB39_1458
.LBB39_1455:
                                        ; implicit-def: $sgpr6_sgpr7
	s_mov_b64 s[14:15], 0
	s_cbranch_execnz .LBB39_1462
	s_branch .LBB39_1463
.LBB39_1456:
	s_mov_b64 s[16:17], -1
	s_mov_b64 s[14:15], 0
                                        ; implicit-def: $sgpr6_sgpr7
	s_branch .LBB39_1459
.LBB39_1457:
	s_mov_b64 s[14:15], -1
                                        ; implicit-def: $sgpr6_sgpr7
.LBB39_1458:
	s_mov_b64 s[16:17], 0
.LBB39_1459:
	s_and_b64 vcc, exec, s[16:17]
	s_cbranch_vccz .LBB39_1461
; %bb.1460:
	s_waitcnt vmcnt(0)
	v_cmp_lt_i32_e32 vcc, s1, v1
	s_andn2_b64 s[6:7], s[6:7], exec
	s_and_b64 s[16:17], vcc, exec
	s_or_b64 s[6:7], s[6:7], s[16:17]
.LBB39_1461:
	s_branch .LBB39_1463
.LBB39_1462:
	s_cmp_lg_u32 s0, 0
	s_mov_b64 s[12:13], -1
	s_cselect_b64 s[14:15], -1, 0
.LBB39_1463:
	s_andn2_b64 vcc, exec, s[14:15]
	s_cbranch_vccnz .LBB39_1465
; %bb.1464:
	s_waitcnt vmcnt(0)
	v_cmp_gt_i32_e32 vcc, s1, v1
	s_andn2_b64 s[6:7], s[6:7], exec
	s_and_b64 s[14:15], vcc, exec
	s_or_b64 s[6:7], s[6:7], s[14:15]
	s_cbranch_execz .LBB39_1466
	s_branch .LBB39_1467
.LBB39_1465:
	s_andn2_b64 vcc, exec, s[12:13]
	s_cbranch_vccnz .LBB39_1467
.LBB39_1466:
	s_waitcnt vmcnt(0)
	v_cmp_le_i32_e32 vcc, s1, v1
	s_andn2_b64 s[6:7], s[6:7], exec
	s_and_b64 s[12:13], vcc, exec
	s_or_b64 s[6:7], s[6:7], s[12:13]
.LBB39_1467:
	s_waitcnt vmcnt(0)
	v_mov_b32_e32 v1, s11
	v_add_co_u32_e32 v8, vcc, s10, v9
	s_cmp_lt_i32 s20, 11
	v_addc_co_u32_e32 v9, vcc, 0, v1, vcc
	s_cbranch_scc1 .LBB39_1474
; %bb.1468:
	s_and_b32 s21, 0xffff, s20
	s_cmp_gt_i32 s21, 25
	s_mov_b64 s[14:15], 0
	s_cbranch_scc0 .LBB39_1476
; %bb.1469:
	s_cmp_gt_i32 s21, 28
	s_cbranch_scc0 .LBB39_1477
; %bb.1470:
	s_cmp_gt_i32 s21, 43
	;; [unrolled: 3-line block ×3, first 2 shown]
	s_cbranch_scc0 .LBB39_1480
; %bb.1472:
	s_cmp_eq_u32 s21, 46
	s_mov_b64 s[18:19], 0
	s_cbranch_scc0 .LBB39_1481
; %bb.1473:
	global_load_dword v1, v[8:9], off
	s_mov_b64 s[12:13], 0
	s_mov_b64 s[16:17], -1
	s_waitcnt vmcnt(0)
	v_lshlrev_b32_e32 v1, 16, v1
	v_cvt_i32_f32_e32 v1, v1
	s_branch .LBB39_1482
.LBB39_1474:
	s_mov_b64 s[16:17], 0
                                        ; implicit-def: $vgpr1
	s_cbranch_execnz .LBB39_1544
.LBB39_1475:
	s_andn2_b64 vcc, exec, s[16:17]
	s_cbranch_vccnz .LBB39_1738
	s_branch .LBB39_1592
.LBB39_1476:
	s_mov_b64 s[18:19], -1
	s_mov_b64 s[16:17], 0
	s_mov_b64 s[12:13], 0
                                        ; implicit-def: $vgpr1
	s_branch .LBB39_1509
.LBB39_1477:
	s_mov_b64 s[18:19], -1
	s_mov_b64 s[16:17], 0
	s_mov_b64 s[12:13], 0
                                        ; implicit-def: $vgpr1
	s_branch .LBB39_1492
.LBB39_1478:
	s_mov_b64 s[18:19], -1
	s_mov_b64 s[16:17], 0
	s_mov_b64 s[12:13], 0
                                        ; implicit-def: $vgpr1
	s_branch .LBB39_1487
.LBB39_1479:
	s_trap 2
	s_or_b64 s[2:3], s[2:3], exec
	s_cbranch_execz .LBB39_1402
	s_branch .LBB39_1403
.LBB39_1480:
	s_mov_b64 s[18:19], -1
	s_mov_b64 s[16:17], 0
	s_mov_b64 s[12:13], 0
                                        ; implicit-def: $vgpr1
	s_branch .LBB39_1482
.LBB39_1481:
	s_mov_b64 s[12:13], -1
                                        ; implicit-def: $vgpr1
	s_mov_b64 s[16:17], 0
.LBB39_1482:
	s_and_b64 vcc, exec, s[18:19]
	s_cbranch_vccz .LBB39_1486
; %bb.1483:
	s_cmp_eq_u32 s21, 44
	s_cbranch_scc0 .LBB39_1485
; %bb.1484:
	global_load_ubyte v1, v[8:9], off
	s_mov_b64 s[12:13], 0
	s_mov_b64 s[16:17], -1
	s_waitcnt vmcnt(0)
	v_lshlrev_b32_e32 v3, 23, v1
	v_cvt_i32_f32_e32 v3, v3
	v_cmp_ne_u32_e32 vcc, 0, v1
	v_cndmask_b32_e32 v1, 0, v3, vcc
	s_branch .LBB39_1486
.LBB39_1485:
	s_mov_b64 s[12:13], -1
                                        ; implicit-def: $vgpr1
.LBB39_1486:
	s_mov_b64 s[18:19], 0
.LBB39_1487:
	s_and_b64 vcc, exec, s[18:19]
	s_cbranch_vccz .LBB39_1491
; %bb.1488:
	s_cmp_eq_u32 s21, 29
	s_cbranch_scc0 .LBB39_1490
; %bb.1489:
	global_load_dword v1, v[8:9], off
	s_mov_b64 s[12:13], 0
	s_mov_b64 s[16:17], -1
	s_branch .LBB39_1491
.LBB39_1490:
	s_mov_b64 s[12:13], -1
                                        ; implicit-def: $vgpr1
.LBB39_1491:
	s_mov_b64 s[18:19], 0
.LBB39_1492:
	s_and_b64 vcc, exec, s[18:19]
	s_cbranch_vccz .LBB39_1508
; %bb.1493:
	s_cmp_lt_i32 s21, 27
	s_cbranch_scc1 .LBB39_1496
; %bb.1494:
	s_cmp_gt_i32 s21, 27
	s_cbranch_scc0 .LBB39_1497
; %bb.1495:
	global_load_dword v1, v[8:9], off
	s_mov_b64 s[16:17], 0
	s_branch .LBB39_1498
.LBB39_1496:
	s_mov_b64 s[16:17], -1
                                        ; implicit-def: $vgpr1
	s_branch .LBB39_1501
.LBB39_1497:
	s_mov_b64 s[16:17], -1
                                        ; implicit-def: $vgpr1
.LBB39_1498:
	s_andn2_b64 vcc, exec, s[16:17]
	s_cbranch_vccnz .LBB39_1500
; %bb.1499:
	global_load_ushort v1, v[8:9], off
.LBB39_1500:
	s_mov_b64 s[16:17], 0
.LBB39_1501:
	s_andn2_b64 vcc, exec, s[16:17]
	s_cbranch_vccnz .LBB39_1507
; %bb.1502:
	global_load_ubyte v3, v[8:9], off
	s_movk_i32 s16, 0x7f
	s_mov_b64 s[18:19], 0
	s_waitcnt vmcnt(0)
	v_cmp_lt_i16_e32 vcc, s16, v3
	s_and_saveexec_b64 s[16:17], vcc
	s_xor_b64 s[16:17], exec, s[16:17]
	s_cbranch_execz .LBB39_1519
; %bb.1503:
	s_movk_i32 s18, 0x80
	v_cmp_ne_u16_e32 vcc, s18, v3
	s_and_b64 s[18:19], vcc, exec
	s_andn2_saveexec_b64 s[16:17], s[16:17]
	s_cbranch_execnz .LBB39_1520
.LBB39_1504:
	s_or_b64 exec, exec, s[16:17]
	v_mov_b32_e32 v1, 0
	s_and_saveexec_b64 s[16:17], s[18:19]
	s_cbranch_execz .LBB39_1506
.LBB39_1505:
	v_lshlrev_b32_e32 v1, 24, v3
	v_and_b32_e32 v3, 0xffff, v3
	v_and_b32_e32 v5, 7, v3
	v_ffbh_u32_e32 v11, v5
	v_min_u32_e32 v11, 32, v11
	v_subrev_u32_e32 v12, 28, v11
	v_bfe_u32 v10, v3, 3, 4
	v_lshlrev_b32_e32 v3, v12, v3
	v_sub_u32_e32 v11, 29, v11
	v_and_b32_e32 v3, 7, v3
	v_cmp_eq_u32_e32 vcc, 0, v10
	v_cndmask_b32_e32 v10, v10, v11, vcc
	v_cndmask_b32_e32 v3, v5, v3, vcc
	v_mov_b32_e32 v5, 0x3b800000
	v_lshlrev_b32_e32 v3, 20, v3
	v_and_b32_e32 v1, 0x80000000, v1
	v_lshl_add_u32 v5, v10, 23, v5
	v_or3_b32 v1, v1, v5, v3
	v_cvt_i32_f32_e32 v1, v1
.LBB39_1506:
	s_or_b64 exec, exec, s[16:17]
.LBB39_1507:
	s_mov_b64 s[16:17], -1
.LBB39_1508:
	s_mov_b64 s[18:19], 0
.LBB39_1509:
	s_and_b64 vcc, exec, s[18:19]
	s_cbranch_vccz .LBB39_1540
; %bb.1510:
	s_cmp_gt_i32 s21, 22
	s_cbranch_scc0 .LBB39_1518
; %bb.1511:
	s_cmp_lt_i32 s21, 24
	s_cbranch_scc1 .LBB39_1521
; %bb.1512:
	s_cmp_gt_i32 s21, 24
	s_cbranch_scc0 .LBB39_1522
; %bb.1513:
	global_load_ubyte v3, v[8:9], off
	s_movk_i32 s14, 0x7f
	s_mov_b64 s[16:17], 0
	s_waitcnt vmcnt(0)
	v_cmp_lt_i16_e32 vcc, s14, v3
	s_and_saveexec_b64 s[14:15], vcc
	s_xor_b64 s[14:15], exec, s[14:15]
	s_cbranch_execz .LBB39_1534
; %bb.1514:
	s_movk_i32 s16, 0x80
	v_cmp_ne_u16_e32 vcc, s16, v3
	s_and_b64 s[16:17], vcc, exec
	s_andn2_saveexec_b64 s[14:15], s[14:15]
	s_cbranch_execnz .LBB39_1535
.LBB39_1515:
	s_or_b64 exec, exec, s[14:15]
	v_mov_b32_e32 v1, 0
	s_and_saveexec_b64 s[14:15], s[16:17]
	s_cbranch_execz .LBB39_1517
.LBB39_1516:
	v_lshlrev_b32_e32 v1, 24, v3
	v_and_b32_e32 v3, 0xffff, v3
	v_and_b32_e32 v5, 3, v3
	v_ffbh_u32_e32 v11, v5
	v_min_u32_e32 v11, 32, v11
	v_subrev_u32_e32 v12, 29, v11
	v_bfe_u32 v10, v3, 2, 5
	v_lshlrev_b32_e32 v3, v12, v3
	v_sub_u32_e32 v11, 30, v11
	v_and_b32_e32 v3, 3, v3
	v_cmp_eq_u32_e32 vcc, 0, v10
	v_cndmask_b32_e32 v10, v10, v11, vcc
	v_cndmask_b32_e32 v3, v5, v3, vcc
	v_mov_b32_e32 v5, 0x37800000
	v_lshlrev_b32_e32 v3, 21, v3
	v_and_b32_e32 v1, 0x80000000, v1
	v_lshl_add_u32 v5, v10, 23, v5
	v_or3_b32 v1, v1, v5, v3
	v_cvt_i32_f32_e32 v1, v1
.LBB39_1517:
	s_or_b64 exec, exec, s[14:15]
	s_mov_b64 s[14:15], 0
	s_branch .LBB39_1523
.LBB39_1518:
	s_mov_b64 s[14:15], -1
                                        ; implicit-def: $vgpr1
	s_branch .LBB39_1529
.LBB39_1519:
	s_andn2_saveexec_b64 s[16:17], s[16:17]
	s_cbranch_execz .LBB39_1504
.LBB39_1520:
	v_cmp_ne_u16_e32 vcc, 0, v3
	s_andn2_b64 s[18:19], s[18:19], exec
	s_and_b64 s[22:23], vcc, exec
	s_or_b64 s[18:19], s[18:19], s[22:23]
	s_or_b64 exec, exec, s[16:17]
	v_mov_b32_e32 v1, 0
	s_and_saveexec_b64 s[16:17], s[18:19]
	s_cbranch_execnz .LBB39_1505
	s_branch .LBB39_1506
.LBB39_1521:
	s_mov_b64 s[14:15], -1
                                        ; implicit-def: $vgpr1
	s_branch .LBB39_1526
.LBB39_1522:
	s_mov_b64 s[14:15], -1
                                        ; implicit-def: $vgpr1
.LBB39_1523:
	s_and_b64 vcc, exec, s[14:15]
	s_cbranch_vccz .LBB39_1525
; %bb.1524:
	global_load_ubyte v1, v[8:9], off
	s_mov_b32 s14, 0x7f800000
	s_waitcnt vmcnt(0)
	v_lshlrev_b32_e32 v1, 24, v1
	v_and_b32_e32 v3, 0x7f000000, v1
	v_ffbh_u32_e32 v5, v3
	v_min_u32_e32 v5, 32, v5
	v_sub_u32_e64 v5, v5, 4 clamp
	v_lshlrev_b32_e32 v11, v5, v3
	v_lshlrev_b32_e32 v5, 23, v5
	v_lshrrev_b32_e32 v11, 4, v11
	v_add_u32_e32 v10, 0x1000000, v3
	v_sub_u32_e32 v5, v11, v5
	v_ashrrev_i32_e32 v10, 8, v10
	v_add_u32_e32 v5, 0x3c000000, v5
	v_and_or_b32 v5, v10, s14, v5
	v_cmp_ne_u32_e32 vcc, 0, v3
	v_cndmask_b32_e32 v3, 0, v5, vcc
	s_brev_b32 s14, 1
	v_and_or_b32 v1, v1, s14, v3
	v_cvt_i32_f32_e32 v1, v1
.LBB39_1525:
	s_mov_b64 s[14:15], 0
.LBB39_1526:
	s_andn2_b64 vcc, exec, s[14:15]
	s_cbranch_vccnz .LBB39_1528
; %bb.1527:
	global_load_ubyte v1, v[8:9], off
	s_movk_i32 s14, 0x7f00
	s_brev_b32 s15, 16
	s_waitcnt vmcnt(0)
	v_lshlrev_b16_e32 v3, 8, v1
	v_lshlrev_b32_e32 v1, 25, v1
	v_lshrrev_b32_e32 v5, 4, v1
	v_and_or_b32 v10, v3, s14, 0.5
	v_or_b32_e32 v5, 0x70000000, v5
	v_add_f32_e32 v10, -0.5, v10
	v_mul_f32_e32 v5, 0x7800000, v5
	v_cmp_gt_u32_e32 vcc, s15, v1
	v_bfe_i32 v3, v3, 0, 16
	v_cndmask_b32_e32 v1, v5, v10, vcc
	s_brev_b32 s14, 1
	v_and_or_b32 v1, v3, s14, v1
	v_cvt_i32_f32_e32 v1, v1
.LBB39_1528:
	s_mov_b64 s[14:15], 0
	s_mov_b64 s[16:17], -1
.LBB39_1529:
	s_andn2_b64 vcc, exec, s[14:15]
	s_mov_b64 s[14:15], 0
	s_cbranch_vccnz .LBB39_1540
; %bb.1530:
	s_cmp_gt_i32 s21, 14
	s_cbranch_scc0 .LBB39_1533
; %bb.1531:
	s_cmp_eq_u32 s21, 15
	s_cbranch_scc0 .LBB39_1536
; %bb.1532:
	global_load_ushort v1, v[8:9], off
	s_mov_b64 s[12:13], 0
	s_mov_b64 s[16:17], -1
	s_waitcnt vmcnt(0)
	v_lshlrev_b32_e32 v1, 16, v1
	v_cvt_i32_f32_e32 v1, v1
	s_branch .LBB39_1537
.LBB39_1533:
	s_mov_b64 s[18:19], -1
                                        ; implicit-def: $vgpr1
	s_branch .LBB39_1538
.LBB39_1534:
	s_andn2_saveexec_b64 s[14:15], s[14:15]
	s_cbranch_execz .LBB39_1515
.LBB39_1535:
	v_cmp_ne_u16_e32 vcc, 0, v3
	s_andn2_b64 s[16:17], s[16:17], exec
	s_and_b64 s[18:19], vcc, exec
	s_or_b64 s[16:17], s[16:17], s[18:19]
	s_or_b64 exec, exec, s[14:15]
	v_mov_b32_e32 v1, 0
	s_and_saveexec_b64 s[14:15], s[16:17]
	s_cbranch_execnz .LBB39_1516
	s_branch .LBB39_1517
.LBB39_1536:
	s_mov_b64 s[12:13], -1
                                        ; implicit-def: $vgpr1
.LBB39_1537:
	s_mov_b64 s[18:19], 0
.LBB39_1538:
	s_and_b64 vcc, exec, s[18:19]
	s_cbranch_vccz .LBB39_1540
; %bb.1539:
	s_cmp_lg_u32 s21, 11
	s_mov_b64 s[14:15], -1
	s_cselect_b64 s[12:13], -1, 0
.LBB39_1540:
	s_and_b64 vcc, exec, s[12:13]
	s_cbranch_vccnz .LBB39_1619
; %bb.1541:
	s_andn2_b64 vcc, exec, s[14:15]
	s_cbranch_vccnz .LBB39_1543
.LBB39_1542:
	global_load_ubyte v1, v[8:9], off
	s_mov_b64 s[16:17], -1
	s_waitcnt vmcnt(0)
	v_cmp_ne_u16_e32 vcc, 0, v1
	v_cndmask_b32_e64 v1, 0, 1, vcc
.LBB39_1543:
	s_branch .LBB39_1475
.LBB39_1544:
	s_and_b32 s14, 0xffff, s20
	s_cmp_lt_i32 s14, 5
	s_cbranch_scc1 .LBB39_1549
; %bb.1545:
	s_cmp_lt_i32 s14, 8
	s_cbranch_scc1 .LBB39_1550
; %bb.1546:
	;; [unrolled: 3-line block ×3, first 2 shown]
	s_cmp_gt_i32 s14, 9
	s_cbranch_scc0 .LBB39_1552
; %bb.1548:
	global_load_dwordx2 v[10:11], v[8:9], off
	s_mov_b64 s[12:13], 0
	s_waitcnt vmcnt(0)
	v_cvt_i32_f64_e32 v1, v[10:11]
	s_branch .LBB39_1553
.LBB39_1549:
	s_mov_b64 s[12:13], -1
                                        ; implicit-def: $vgpr1
	s_branch .LBB39_1571
.LBB39_1550:
	s_mov_b64 s[12:13], -1
                                        ; implicit-def: $vgpr1
	s_branch .LBB39_1559
.LBB39_1551:
	s_mov_b64 s[12:13], -1
                                        ; implicit-def: $vgpr1
	s_branch .LBB39_1556
.LBB39_1552:
	s_mov_b64 s[12:13], -1
                                        ; implicit-def: $vgpr1
.LBB39_1553:
	s_andn2_b64 vcc, exec, s[12:13]
	s_cbranch_vccnz .LBB39_1555
; %bb.1554:
	global_load_dword v1, v[8:9], off
	s_waitcnt vmcnt(0)
	v_cvt_i32_f32_e32 v1, v1
.LBB39_1555:
	s_mov_b64 s[12:13], 0
.LBB39_1556:
	s_andn2_b64 vcc, exec, s[12:13]
	s_cbranch_vccnz .LBB39_1558
; %bb.1557:
	global_load_dword v1, v[8:9], off
	s_waitcnt vmcnt(0)
	v_cvt_f32_f16_e32 v1, v1
	v_cvt_i32_f32_e32 v1, v1
.LBB39_1558:
	s_mov_b64 s[12:13], 0
.LBB39_1559:
	s_andn2_b64 vcc, exec, s[12:13]
	s_cbranch_vccnz .LBB39_1570
; %bb.1560:
	s_cmp_lt_i32 s14, 6
	s_cbranch_scc1 .LBB39_1563
; %bb.1561:
	s_cmp_gt_i32 s14, 6
	s_cbranch_scc0 .LBB39_1564
; %bb.1562:
	global_load_dwordx2 v[10:11], v[8:9], off
	s_mov_b64 s[12:13], 0
	s_waitcnt vmcnt(0)
	v_cvt_i32_f64_e32 v1, v[10:11]
	s_branch .LBB39_1565
.LBB39_1563:
	s_mov_b64 s[12:13], -1
                                        ; implicit-def: $vgpr1
	s_branch .LBB39_1568
.LBB39_1564:
	s_mov_b64 s[12:13], -1
                                        ; implicit-def: $vgpr1
.LBB39_1565:
	s_andn2_b64 vcc, exec, s[12:13]
	s_cbranch_vccnz .LBB39_1567
; %bb.1566:
	global_load_dword v1, v[8:9], off
	s_waitcnt vmcnt(0)
	v_cvt_i32_f32_e32 v1, v1
.LBB39_1567:
	s_mov_b64 s[12:13], 0
.LBB39_1568:
	s_andn2_b64 vcc, exec, s[12:13]
	s_cbranch_vccnz .LBB39_1570
; %bb.1569:
	global_load_ushort v1, v[8:9], off
	s_waitcnt vmcnt(0)
	v_cvt_f32_f16_e32 v1, v1
	v_cvt_i32_f32_e32 v1, v1
.LBB39_1570:
	s_mov_b64 s[12:13], 0
.LBB39_1571:
	s_andn2_b64 vcc, exec, s[12:13]
	s_cbranch_vccnz .LBB39_1591
; %bb.1572:
	s_cmp_lt_i32 s14, 2
	s_cbranch_scc1 .LBB39_1576
; %bb.1573:
	s_cmp_lt_i32 s14, 3
	s_cbranch_scc1 .LBB39_1577
; %bb.1574:
	s_cmp_gt_i32 s14, 3
	s_cbranch_scc0 .LBB39_1578
; %bb.1575:
	global_load_dword v1, v[8:9], off
	s_mov_b64 s[12:13], 0
	s_branch .LBB39_1579
.LBB39_1576:
	s_mov_b64 s[12:13], -1
                                        ; implicit-def: $vgpr1
	s_branch .LBB39_1585
.LBB39_1577:
	s_mov_b64 s[12:13], -1
                                        ; implicit-def: $vgpr1
	s_branch .LBB39_1582
.LBB39_1578:
	s_mov_b64 s[12:13], -1
                                        ; implicit-def: $vgpr1
.LBB39_1579:
	s_andn2_b64 vcc, exec, s[12:13]
	s_cbranch_vccnz .LBB39_1581
; %bb.1580:
	global_load_dword v1, v[8:9], off
.LBB39_1581:
	s_mov_b64 s[12:13], 0
.LBB39_1582:
	s_andn2_b64 vcc, exec, s[12:13]
	s_cbranch_vccnz .LBB39_1584
; %bb.1583:
	global_load_sshort v1, v[8:9], off
.LBB39_1584:
	s_mov_b64 s[12:13], 0
.LBB39_1585:
	s_andn2_b64 vcc, exec, s[12:13]
	s_cbranch_vccnz .LBB39_1591
; %bb.1586:
	s_cmp_gt_i32 s14, 0
	s_cbranch_scc0 .LBB39_1588
; %bb.1587:
	global_load_sbyte v1, v[8:9], off
	s_mov_b64 s[12:13], 0
	s_branch .LBB39_1589
.LBB39_1588:
	s_mov_b64 s[12:13], -1
                                        ; implicit-def: $vgpr1
.LBB39_1589:
	s_andn2_b64 vcc, exec, s[12:13]
	s_cbranch_vccnz .LBB39_1591
; %bb.1590:
	global_load_ubyte v1, v[8:9], off
.LBB39_1591:
.LBB39_1592:
	s_cmp_lt_i32 s0, 1
	s_mov_b64 s[14:15], 0
	s_cbranch_scc1 .LBB39_1596
; %bb.1593:
	s_cmp_gt_i32 s0, 1
	s_cbranch_scc0 .LBB39_1599
; %bb.1594:
	s_cmp_eq_u32 s0, 2
	s_cbranch_scc0 .LBB39_1600
; %bb.1595:
	s_waitcnt vmcnt(0)
	v_cmp_ge_i32_e64 s[12:13], s1, v1
	s_mov_b64 s[16:17], 0
	s_branch .LBB39_1601
.LBB39_1596:
                                        ; implicit-def: $sgpr12_sgpr13
	s_mov_b64 s[16:17], 0
	s_cbranch_execnz .LBB39_1605
.LBB39_1597:
	s_andn2_b64 vcc, exec, s[16:17]
	s_cbranch_vccnz .LBB39_1606
.LBB39_1598:
	s_waitcnt vmcnt(0)
	v_cmp_gt_i32_e32 vcc, s1, v1
	s_andn2_b64 s[12:13], s[12:13], exec
	s_and_b64 s[16:17], vcc, exec
	s_or_b64 s[12:13], s[12:13], s[16:17]
	s_cbranch_execz .LBB39_1607
	s_branch .LBB39_1608
.LBB39_1599:
	s_mov_b64 s[18:19], -1
	s_mov_b64 s[16:17], 0
                                        ; implicit-def: $sgpr12_sgpr13
	s_branch .LBB39_1602
.LBB39_1600:
	s_mov_b64 s[16:17], -1
                                        ; implicit-def: $sgpr12_sgpr13
.LBB39_1601:
	s_mov_b64 s[18:19], 0
.LBB39_1602:
	s_and_b64 vcc, exec, s[18:19]
	s_cbranch_vccz .LBB39_1604
; %bb.1603:
	s_waitcnt vmcnt(0)
	v_cmp_lt_i32_e32 vcc, s1, v1
	s_andn2_b64 s[12:13], s[12:13], exec
	s_and_b64 s[18:19], vcc, exec
	s_or_b64 s[12:13], s[12:13], s[18:19]
.LBB39_1604:
	s_branch .LBB39_1597
.LBB39_1605:
	s_cmp_lg_u32 s0, 0
	s_mov_b64 s[14:15], -1
	s_cselect_b64 s[16:17], -1, 0
	s_andn2_b64 vcc, exec, s[16:17]
	s_cbranch_vccz .LBB39_1598
.LBB39_1606:
	s_andn2_b64 vcc, exec, s[14:15]
	s_cbranch_vccnz .LBB39_1608
.LBB39_1607:
	s_waitcnt vmcnt(0)
	v_cmp_le_i32_e32 vcc, s1, v1
	s_andn2_b64 s[12:13], s[12:13], exec
	s_and_b64 s[14:15], vcc, exec
	s_or_b64 s[12:13], s[12:13], s[14:15]
.LBB39_1608:
	s_waitcnt vmcnt(0)
	v_mov_b32_e32 v1, s11
	v_add_co_u32_e32 v7, vcc, s10, v7
	s_cmp_lt_i32 s20, 11
	v_addc_co_u32_e32 v8, vcc, 0, v1, vcc
	s_cbranch_scc1 .LBB39_1615
; %bb.1609:
	s_and_b32 s21, 0xffff, s20
	s_cmp_gt_i32 s21, 25
	s_mov_b64 s[14:15], 0
	s_cbranch_scc0 .LBB39_1616
; %bb.1610:
	s_cmp_gt_i32 s21, 28
	s_cbranch_scc0 .LBB39_1617
; %bb.1611:
	s_cmp_gt_i32 s21, 43
	;; [unrolled: 3-line block ×3, first 2 shown]
	s_cbranch_scc0 .LBB39_1620
; %bb.1613:
	s_cmp_eq_u32 s21, 46
	s_mov_b64 s[18:19], 0
	s_cbranch_scc0 .LBB39_1621
; %bb.1614:
	global_load_dword v1, v[7:8], off
	s_mov_b64 s[10:11], 0
	s_mov_b64 s[16:17], -1
	s_waitcnt vmcnt(0)
	v_lshlrev_b32_e32 v1, 16, v1
	v_cvt_i32_f32_e32 v1, v1
	s_branch .LBB39_1622
.LBB39_1615:
	s_mov_b64 s[10:11], -1
	s_mov_b64 s[16:17], 0
                                        ; implicit-def: $vgpr1
	s_branch .LBB39_1684
.LBB39_1616:
	s_mov_b64 s[18:19], -1
	s_mov_b64 s[16:17], 0
	s_mov_b64 s[10:11], 0
                                        ; implicit-def: $vgpr1
	s_branch .LBB39_1649
.LBB39_1617:
	s_mov_b64 s[18:19], -1
	s_mov_b64 s[16:17], 0
	s_mov_b64 s[10:11], 0
                                        ; implicit-def: $vgpr1
	s_branch .LBB39_1632
.LBB39_1618:
	s_mov_b64 s[18:19], -1
	s_mov_b64 s[16:17], 0
	s_mov_b64 s[10:11], 0
                                        ; implicit-def: $vgpr1
	s_branch .LBB39_1627
.LBB39_1619:
	s_trap 2
	s_or_b64 s[2:3], s[2:3], exec
	s_cbranch_execz .LBB39_1542
	s_branch .LBB39_1543
.LBB39_1620:
	s_mov_b64 s[18:19], -1
	s_mov_b64 s[16:17], 0
	s_mov_b64 s[10:11], 0
                                        ; implicit-def: $vgpr1
	s_branch .LBB39_1622
.LBB39_1621:
	s_mov_b64 s[10:11], -1
                                        ; implicit-def: $vgpr1
	s_mov_b64 s[16:17], 0
.LBB39_1622:
	s_and_b64 vcc, exec, s[18:19]
	s_cbranch_vccz .LBB39_1626
; %bb.1623:
	s_cmp_eq_u32 s21, 44
	s_cbranch_scc0 .LBB39_1625
; %bb.1624:
	global_load_ubyte v1, v[7:8], off
	s_mov_b64 s[10:11], 0
	s_mov_b64 s[16:17], -1
	s_waitcnt vmcnt(0)
	v_lshlrev_b32_e32 v3, 23, v1
	v_cvt_i32_f32_e32 v3, v3
	v_cmp_ne_u32_e32 vcc, 0, v1
	v_cndmask_b32_e32 v1, 0, v3, vcc
	s_branch .LBB39_1626
.LBB39_1625:
	s_mov_b64 s[10:11], -1
                                        ; implicit-def: $vgpr1
.LBB39_1626:
	s_mov_b64 s[18:19], 0
.LBB39_1627:
	s_and_b64 vcc, exec, s[18:19]
	s_cbranch_vccz .LBB39_1631
; %bb.1628:
	s_cmp_eq_u32 s21, 29
	s_cbranch_scc0 .LBB39_1630
; %bb.1629:
	global_load_dword v1, v[7:8], off
	s_mov_b64 s[10:11], 0
	s_mov_b64 s[16:17], -1
	s_branch .LBB39_1631
.LBB39_1630:
	s_mov_b64 s[10:11], -1
                                        ; implicit-def: $vgpr1
.LBB39_1631:
	s_mov_b64 s[18:19], 0
.LBB39_1632:
	s_and_b64 vcc, exec, s[18:19]
	s_cbranch_vccz .LBB39_1648
; %bb.1633:
	s_cmp_lt_i32 s21, 27
	s_cbranch_scc1 .LBB39_1636
; %bb.1634:
	s_cmp_gt_i32 s21, 27
	s_cbranch_scc0 .LBB39_1637
; %bb.1635:
	global_load_dword v1, v[7:8], off
	s_mov_b64 s[16:17], 0
	s_branch .LBB39_1638
.LBB39_1636:
	s_mov_b64 s[16:17], -1
                                        ; implicit-def: $vgpr1
	s_branch .LBB39_1641
.LBB39_1637:
	s_mov_b64 s[16:17], -1
                                        ; implicit-def: $vgpr1
.LBB39_1638:
	s_andn2_b64 vcc, exec, s[16:17]
	s_cbranch_vccnz .LBB39_1640
; %bb.1639:
	global_load_ushort v1, v[7:8], off
.LBB39_1640:
	s_mov_b64 s[16:17], 0
.LBB39_1641:
	s_andn2_b64 vcc, exec, s[16:17]
	s_cbranch_vccnz .LBB39_1647
; %bb.1642:
	global_load_ubyte v3, v[7:8], off
	s_movk_i32 s16, 0x7f
	s_mov_b64 s[18:19], 0
	s_waitcnt vmcnt(0)
	v_cmp_lt_i16_e32 vcc, s16, v3
	s_and_saveexec_b64 s[16:17], vcc
	s_xor_b64 s[16:17], exec, s[16:17]
	s_cbranch_execz .LBB39_1659
; %bb.1643:
	s_movk_i32 s18, 0x80
	v_cmp_ne_u16_e32 vcc, s18, v3
	s_and_b64 s[18:19], vcc, exec
	s_andn2_saveexec_b64 s[16:17], s[16:17]
	s_cbranch_execnz .LBB39_1660
.LBB39_1644:
	s_or_b64 exec, exec, s[16:17]
	v_mov_b32_e32 v1, 0
	s_and_saveexec_b64 s[16:17], s[18:19]
	s_cbranch_execz .LBB39_1646
.LBB39_1645:
	v_lshlrev_b32_e32 v1, 24, v3
	v_and_b32_e32 v3, 0xffff, v3
	v_and_b32_e32 v5, 7, v3
	v_ffbh_u32_e32 v10, v5
	v_min_u32_e32 v10, 32, v10
	v_subrev_u32_e32 v11, 28, v10
	v_bfe_u32 v9, v3, 3, 4
	v_lshlrev_b32_e32 v3, v11, v3
	v_sub_u32_e32 v10, 29, v10
	v_and_b32_e32 v3, 7, v3
	v_cmp_eq_u32_e32 vcc, 0, v9
	v_cndmask_b32_e32 v9, v9, v10, vcc
	v_cndmask_b32_e32 v3, v5, v3, vcc
	v_mov_b32_e32 v5, 0x3b800000
	v_lshlrev_b32_e32 v3, 20, v3
	v_and_b32_e32 v1, 0x80000000, v1
	v_lshl_add_u32 v5, v9, 23, v5
	v_or3_b32 v1, v1, v5, v3
	v_cvt_i32_f32_e32 v1, v1
.LBB39_1646:
	s_or_b64 exec, exec, s[16:17]
.LBB39_1647:
	s_mov_b64 s[16:17], -1
.LBB39_1648:
	s_mov_b64 s[18:19], 0
.LBB39_1649:
	s_and_b64 vcc, exec, s[18:19]
	s_cbranch_vccz .LBB39_1680
; %bb.1650:
	s_cmp_gt_i32 s21, 22
	s_cbranch_scc0 .LBB39_1658
; %bb.1651:
	s_cmp_lt_i32 s21, 24
	s_cbranch_scc1 .LBB39_1661
; %bb.1652:
	s_cmp_gt_i32 s21, 24
	s_cbranch_scc0 .LBB39_1662
; %bb.1653:
	global_load_ubyte v3, v[7:8], off
	s_movk_i32 s14, 0x7f
	s_mov_b64 s[16:17], 0
	s_waitcnt vmcnt(0)
	v_cmp_lt_i16_e32 vcc, s14, v3
	s_and_saveexec_b64 s[14:15], vcc
	s_xor_b64 s[14:15], exec, s[14:15]
	s_cbranch_execz .LBB39_1674
; %bb.1654:
	s_movk_i32 s16, 0x80
	v_cmp_ne_u16_e32 vcc, s16, v3
	s_and_b64 s[16:17], vcc, exec
	s_andn2_saveexec_b64 s[14:15], s[14:15]
	s_cbranch_execnz .LBB39_1675
.LBB39_1655:
	s_or_b64 exec, exec, s[14:15]
	v_mov_b32_e32 v1, 0
	s_and_saveexec_b64 s[14:15], s[16:17]
	s_cbranch_execz .LBB39_1657
.LBB39_1656:
	v_lshlrev_b32_e32 v1, 24, v3
	v_and_b32_e32 v3, 0xffff, v3
	v_and_b32_e32 v5, 3, v3
	v_ffbh_u32_e32 v10, v5
	v_min_u32_e32 v10, 32, v10
	v_subrev_u32_e32 v11, 29, v10
	v_bfe_u32 v9, v3, 2, 5
	v_lshlrev_b32_e32 v3, v11, v3
	v_sub_u32_e32 v10, 30, v10
	v_and_b32_e32 v3, 3, v3
	v_cmp_eq_u32_e32 vcc, 0, v9
	v_cndmask_b32_e32 v9, v9, v10, vcc
	v_cndmask_b32_e32 v3, v5, v3, vcc
	v_mov_b32_e32 v5, 0x37800000
	v_lshlrev_b32_e32 v3, 21, v3
	v_and_b32_e32 v1, 0x80000000, v1
	v_lshl_add_u32 v5, v9, 23, v5
	v_or3_b32 v1, v1, v5, v3
	v_cvt_i32_f32_e32 v1, v1
.LBB39_1657:
	s_or_b64 exec, exec, s[14:15]
	s_mov_b64 s[14:15], 0
	s_branch .LBB39_1663
.LBB39_1658:
	s_mov_b64 s[14:15], -1
                                        ; implicit-def: $vgpr1
	s_branch .LBB39_1669
.LBB39_1659:
	s_andn2_saveexec_b64 s[16:17], s[16:17]
	s_cbranch_execz .LBB39_1644
.LBB39_1660:
	v_cmp_ne_u16_e32 vcc, 0, v3
	s_andn2_b64 s[18:19], s[18:19], exec
	s_and_b64 s[22:23], vcc, exec
	s_or_b64 s[18:19], s[18:19], s[22:23]
	s_or_b64 exec, exec, s[16:17]
	v_mov_b32_e32 v1, 0
	s_and_saveexec_b64 s[16:17], s[18:19]
	s_cbranch_execnz .LBB39_1645
	s_branch .LBB39_1646
.LBB39_1661:
	s_mov_b64 s[14:15], -1
                                        ; implicit-def: $vgpr1
	s_branch .LBB39_1666
.LBB39_1662:
	s_mov_b64 s[14:15], -1
                                        ; implicit-def: $vgpr1
.LBB39_1663:
	s_and_b64 vcc, exec, s[14:15]
	s_cbranch_vccz .LBB39_1665
; %bb.1664:
	global_load_ubyte v1, v[7:8], off
	s_mov_b32 s14, 0x7f800000
	s_waitcnt vmcnt(0)
	v_lshlrev_b32_e32 v1, 24, v1
	v_and_b32_e32 v3, 0x7f000000, v1
	v_ffbh_u32_e32 v5, v3
	v_min_u32_e32 v5, 32, v5
	v_sub_u32_e64 v5, v5, 4 clamp
	v_lshlrev_b32_e32 v10, v5, v3
	v_lshlrev_b32_e32 v5, 23, v5
	v_lshrrev_b32_e32 v10, 4, v10
	v_add_u32_e32 v9, 0x1000000, v3
	v_sub_u32_e32 v5, v10, v5
	v_ashrrev_i32_e32 v9, 8, v9
	v_add_u32_e32 v5, 0x3c000000, v5
	v_and_or_b32 v5, v9, s14, v5
	v_cmp_ne_u32_e32 vcc, 0, v3
	v_cndmask_b32_e32 v3, 0, v5, vcc
	s_brev_b32 s14, 1
	v_and_or_b32 v1, v1, s14, v3
	v_cvt_i32_f32_e32 v1, v1
.LBB39_1665:
	s_mov_b64 s[14:15], 0
.LBB39_1666:
	s_andn2_b64 vcc, exec, s[14:15]
	s_cbranch_vccnz .LBB39_1668
; %bb.1667:
	global_load_ubyte v1, v[7:8], off
	s_movk_i32 s14, 0x7f00
	s_brev_b32 s15, 16
	s_waitcnt vmcnt(0)
	v_lshlrev_b16_e32 v3, 8, v1
	v_lshlrev_b32_e32 v1, 25, v1
	v_lshrrev_b32_e32 v5, 4, v1
	v_and_or_b32 v9, v3, s14, 0.5
	v_or_b32_e32 v5, 0x70000000, v5
	v_add_f32_e32 v9, -0.5, v9
	v_mul_f32_e32 v5, 0x7800000, v5
	v_cmp_gt_u32_e32 vcc, s15, v1
	v_bfe_i32 v3, v3, 0, 16
	v_cndmask_b32_e32 v1, v5, v9, vcc
	s_brev_b32 s14, 1
	v_and_or_b32 v1, v3, s14, v1
	v_cvt_i32_f32_e32 v1, v1
.LBB39_1668:
	s_mov_b64 s[14:15], 0
	s_mov_b64 s[16:17], -1
.LBB39_1669:
	s_andn2_b64 vcc, exec, s[14:15]
	s_mov_b64 s[14:15], 0
	s_cbranch_vccnz .LBB39_1680
; %bb.1670:
	s_cmp_gt_i32 s21, 14
	s_cbranch_scc0 .LBB39_1673
; %bb.1671:
	s_cmp_eq_u32 s21, 15
	s_cbranch_scc0 .LBB39_1676
; %bb.1672:
	global_load_ushort v1, v[7:8], off
	s_mov_b64 s[10:11], 0
	s_mov_b64 s[16:17], -1
	s_waitcnt vmcnt(0)
	v_lshlrev_b32_e32 v1, 16, v1
	v_cvt_i32_f32_e32 v1, v1
	s_branch .LBB39_1677
.LBB39_1673:
	s_mov_b64 s[18:19], -1
                                        ; implicit-def: $vgpr1
	s_branch .LBB39_1678
.LBB39_1674:
	s_andn2_saveexec_b64 s[14:15], s[14:15]
	s_cbranch_execz .LBB39_1655
.LBB39_1675:
	v_cmp_ne_u16_e32 vcc, 0, v3
	s_andn2_b64 s[16:17], s[16:17], exec
	s_and_b64 s[18:19], vcc, exec
	s_or_b64 s[16:17], s[16:17], s[18:19]
	s_or_b64 exec, exec, s[14:15]
	v_mov_b32_e32 v1, 0
	s_and_saveexec_b64 s[14:15], s[16:17]
	s_cbranch_execnz .LBB39_1656
	s_branch .LBB39_1657
.LBB39_1676:
	s_mov_b64 s[10:11], -1
                                        ; implicit-def: $vgpr1
.LBB39_1677:
	s_mov_b64 s[18:19], 0
.LBB39_1678:
	s_and_b64 vcc, exec, s[18:19]
	s_cbranch_vccz .LBB39_1680
; %bb.1679:
	s_cmp_lg_u32 s21, 11
	s_mov_b64 s[14:15], -1
	s_cselect_b64 s[10:11], -1, 0
.LBB39_1680:
	s_and_b64 vcc, exec, s[10:11]
	s_cbranch_vccnz .LBB39_2232
; %bb.1681:
	s_andn2_b64 vcc, exec, s[14:15]
	s_cbranch_vccnz .LBB39_1683
.LBB39_1682:
	global_load_ubyte v1, v[7:8], off
	s_mov_b64 s[16:17], -1
	s_waitcnt vmcnt(0)
	v_cmp_ne_u16_e32 vcc, 0, v1
	v_cndmask_b32_e64 v1, 0, 1, vcc
.LBB39_1683:
	s_mov_b64 s[10:11], 0
.LBB39_1684:
	s_and_b64 vcc, exec, s[10:11]
	s_cbranch_vccz .LBB39_1733
; %bb.1685:
	s_and_b32 s14, 0xffff, s20
	s_cmp_lt_i32 s14, 5
	s_cbranch_scc1 .LBB39_1690
; %bb.1686:
	s_cmp_lt_i32 s14, 8
	s_cbranch_scc1 .LBB39_1691
; %bb.1687:
	;; [unrolled: 3-line block ×3, first 2 shown]
	s_cmp_gt_i32 s14, 9
	s_cbranch_scc0 .LBB39_1693
; %bb.1689:
	global_load_dwordx2 v[9:10], v[7:8], off
	s_mov_b64 s[10:11], 0
	s_waitcnt vmcnt(0)
	v_cvt_i32_f64_e32 v1, v[9:10]
	s_branch .LBB39_1694
.LBB39_1690:
	s_mov_b64 s[10:11], -1
                                        ; implicit-def: $vgpr1
	s_branch .LBB39_1712
.LBB39_1691:
	s_mov_b64 s[10:11], -1
                                        ; implicit-def: $vgpr1
	s_branch .LBB39_1700
.LBB39_1692:
	s_mov_b64 s[10:11], -1
                                        ; implicit-def: $vgpr1
	s_branch .LBB39_1697
.LBB39_1693:
	s_mov_b64 s[10:11], -1
                                        ; implicit-def: $vgpr1
.LBB39_1694:
	s_andn2_b64 vcc, exec, s[10:11]
	s_cbranch_vccnz .LBB39_1696
; %bb.1695:
	global_load_dword v1, v[7:8], off
	s_waitcnt vmcnt(0)
	v_cvt_i32_f32_e32 v1, v1
.LBB39_1696:
	s_mov_b64 s[10:11], 0
.LBB39_1697:
	s_andn2_b64 vcc, exec, s[10:11]
	s_cbranch_vccnz .LBB39_1699
; %bb.1698:
	global_load_dword v1, v[7:8], off
	s_waitcnt vmcnt(0)
	v_cvt_f32_f16_e32 v1, v1
	v_cvt_i32_f32_e32 v1, v1
.LBB39_1699:
	s_mov_b64 s[10:11], 0
.LBB39_1700:
	s_andn2_b64 vcc, exec, s[10:11]
	s_cbranch_vccnz .LBB39_1711
; %bb.1701:
	s_cmp_lt_i32 s14, 6
	s_cbranch_scc1 .LBB39_1704
; %bb.1702:
	s_cmp_gt_i32 s14, 6
	s_cbranch_scc0 .LBB39_1705
; %bb.1703:
	global_load_dwordx2 v[9:10], v[7:8], off
	s_mov_b64 s[10:11], 0
	s_waitcnt vmcnt(0)
	v_cvt_i32_f64_e32 v1, v[9:10]
	s_branch .LBB39_1706
.LBB39_1704:
	s_mov_b64 s[10:11], -1
                                        ; implicit-def: $vgpr1
	s_branch .LBB39_1709
.LBB39_1705:
	s_mov_b64 s[10:11], -1
                                        ; implicit-def: $vgpr1
.LBB39_1706:
	s_andn2_b64 vcc, exec, s[10:11]
	s_cbranch_vccnz .LBB39_1708
; %bb.1707:
	global_load_dword v1, v[7:8], off
	s_waitcnt vmcnt(0)
	v_cvt_i32_f32_e32 v1, v1
.LBB39_1708:
	s_mov_b64 s[10:11], 0
.LBB39_1709:
	s_andn2_b64 vcc, exec, s[10:11]
	s_cbranch_vccnz .LBB39_1711
; %bb.1710:
	global_load_ushort v1, v[7:8], off
	s_waitcnt vmcnt(0)
	v_cvt_f32_f16_e32 v1, v1
	v_cvt_i32_f32_e32 v1, v1
.LBB39_1711:
	s_mov_b64 s[10:11], 0
.LBB39_1712:
	s_andn2_b64 vcc, exec, s[10:11]
	s_cbranch_vccnz .LBB39_1732
; %bb.1713:
	s_cmp_lt_i32 s14, 2
	s_cbranch_scc1 .LBB39_1717
; %bb.1714:
	s_cmp_lt_i32 s14, 3
	s_cbranch_scc1 .LBB39_1718
; %bb.1715:
	s_cmp_gt_i32 s14, 3
	s_cbranch_scc0 .LBB39_1719
; %bb.1716:
	global_load_dword v1, v[7:8], off
	s_mov_b64 s[10:11], 0
	s_branch .LBB39_1720
.LBB39_1717:
	s_mov_b64 s[10:11], -1
                                        ; implicit-def: $vgpr1
	s_branch .LBB39_1726
.LBB39_1718:
	s_mov_b64 s[10:11], -1
                                        ; implicit-def: $vgpr1
	s_branch .LBB39_1723
.LBB39_1719:
	s_mov_b64 s[10:11], -1
                                        ; implicit-def: $vgpr1
.LBB39_1720:
	s_andn2_b64 vcc, exec, s[10:11]
	s_cbranch_vccnz .LBB39_1722
; %bb.1721:
	global_load_dword v1, v[7:8], off
.LBB39_1722:
	s_mov_b64 s[10:11], 0
.LBB39_1723:
	s_andn2_b64 vcc, exec, s[10:11]
	s_cbranch_vccnz .LBB39_1725
; %bb.1724:
	global_load_sshort v1, v[7:8], off
.LBB39_1725:
	s_mov_b64 s[10:11], 0
.LBB39_1726:
	s_andn2_b64 vcc, exec, s[10:11]
	s_cbranch_vccnz .LBB39_1732
; %bb.1727:
	s_cmp_gt_i32 s14, 0
	s_cbranch_scc0 .LBB39_1729
; %bb.1728:
	global_load_sbyte v1, v[7:8], off
	s_mov_b64 s[10:11], 0
	s_branch .LBB39_1730
.LBB39_1729:
	s_mov_b64 s[10:11], -1
                                        ; implicit-def: $vgpr1
.LBB39_1730:
	s_andn2_b64 vcc, exec, s[10:11]
	s_cbranch_vccnz .LBB39_1732
; %bb.1731:
	global_load_ubyte v1, v[7:8], off
.LBB39_1732:
	s_mov_b64 s[16:17], -1
.LBB39_1733:
	s_andn2_b64 vcc, exec, s[16:17]
	s_cbranch_vccnz .LBB39_1738
; %bb.1734:
	s_cmp_lt_i32 s0, 1
	s_mov_b64 s[14:15], 0
	s_cbranch_scc1 .LBB39_1784
; %bb.1735:
	s_cmp_gt_i32 s0, 1
	s_cbranch_scc0 .LBB39_1785
; %bb.1736:
	s_cmp_eq_u32 s0, 2
	s_cbranch_scc0 .LBB39_1786
; %bb.1737:
	s_waitcnt vmcnt(0)
	v_cmp_ge_i32_e64 s[10:11], s1, v1
	s_mov_b64 s[16:17], 0
	s_branch .LBB39_1787
.LBB39_1738:
	s_mov_b64 s[0:1], 0
                                        ; implicit-def: $sgpr10_sgpr11
.LBB39_1739:
	s_mov_b64 s[4:5], 0
                                        ; implicit-def: $vgpr0_vgpr1
                                        ; implicit-def: $sgpr22
.LBB39_1740:
	s_and_b64 s[6:7], s[4:5], exec
	s_andn2_b64 s[4:5], s[28:29], exec
	s_and_b64 s[2:3], s[2:3], exec
	s_and_b64 s[0:1], s[0:1], exec
	s_or_b64 s[28:29], s[4:5], s[2:3]
.LBB39_1741:
	s_or_b64 exec, exec, s[30:31]
	s_and_saveexec_b64 s[2:3], s[28:29]
	s_cbranch_execz .LBB39_1744
; %bb.1742:
	; divergent unreachable
	s_or_b64 exec, exec, s[2:3]
	s_and_saveexec_b64 s[2:3], s[6:7]
	s_xor_b64 s[2:3], exec, s[2:3]
	s_cbranch_execnz .LBB39_1745
.LBB39_1743:
	s_or_b64 exec, exec, s[2:3]
	s_and_saveexec_b64 s[2:3], s[0:1]
	s_cbranch_execnz .LBB39_1746
	s_branch .LBB39_1783
.LBB39_1744:
	s_or_b64 exec, exec, s[2:3]
	s_and_saveexec_b64 s[2:3], s[6:7]
	s_xor_b64 s[2:3], exec, s[2:3]
	s_cbranch_execz .LBB39_1743
.LBB39_1745:
	v_cndmask_b32_e64 v2, 0, 1, s[10:11]
	s_waitcnt vmcnt(0)
	global_store_byte v[0:1], v2, off
	s_or_b64 exec, exec, s[2:3]
	s_and_saveexec_b64 s[2:3], s[0:1]
	s_cbranch_execz .LBB39_1783
.LBB39_1746:
	s_sext_i32_i16 s2, s22
	s_cmp_lt_i32 s2, 5
	s_mov_b64 s[0:1], -1
	s_cbranch_scc1 .LBB39_1767
; %bb.1747:
	s_cmp_lt_i32 s2, 8
	s_cbranch_scc1 .LBB39_1757
; %bb.1748:
	s_cmp_lt_i32 s2, 9
	s_cbranch_scc1 .LBB39_1754
; %bb.1749:
	s_cmp_gt_i32 s2, 9
	s_cbranch_scc0 .LBB39_1751
; %bb.1750:
	v_cndmask_b32_e64 v2, 0, 1, s[10:11]
	s_waitcnt vmcnt(0)
	v_cvt_f64_u32_e32 v[2:3], v2
	v_mov_b32_e32 v4, 0
	v_mov_b32_e32 v5, v4
	s_mov_b64 s[0:1], 0
	global_store_dwordx4 v[0:1], v[2:5], off
.LBB39_1751:
	s_andn2_b64 vcc, exec, s[0:1]
	s_cbranch_vccnz .LBB39_1753
; %bb.1752:
	v_cndmask_b32_e64 v2, 0, 1.0, s[10:11]
	s_waitcnt vmcnt(0)
	v_mov_b32_e32 v3, 0
	global_store_dwordx2 v[0:1], v[2:3], off
.LBB39_1753:
	s_mov_b64 s[0:1], 0
.LBB39_1754:
	s_andn2_b64 vcc, exec, s[0:1]
	s_cbranch_vccnz .LBB39_1756
; %bb.1755:
	v_cndmask_b32_e64 v2, 0, 1.0, s[10:11]
	v_cvt_f16_f32_e32 v2, v2
	s_waitcnt vmcnt(0)
	global_store_dword v[0:1], v2, off
.LBB39_1756:
	s_mov_b64 s[0:1], 0
.LBB39_1757:
	s_andn2_b64 vcc, exec, s[0:1]
	s_cbranch_vccnz .LBB39_1766
; %bb.1758:
	s_sext_i32_i16 s2, s22
	s_cmp_lt_i32 s2, 6
	s_mov_b64 s[0:1], -1
	s_cbranch_scc1 .LBB39_1764
; %bb.1759:
	s_cmp_gt_i32 s2, 6
	s_cbranch_scc0 .LBB39_1761
; %bb.1760:
	v_cndmask_b32_e64 v2, 0, 1, s[10:11]
	s_waitcnt vmcnt(0)
	v_cvt_f64_u32_e32 v[2:3], v2
	s_mov_b64 s[0:1], 0
	global_store_dwordx2 v[0:1], v[2:3], off
.LBB39_1761:
	s_andn2_b64 vcc, exec, s[0:1]
	s_cbranch_vccnz .LBB39_1763
; %bb.1762:
	v_cndmask_b32_e64 v2, 0, 1.0, s[10:11]
	s_waitcnt vmcnt(0)
	global_store_dword v[0:1], v2, off
.LBB39_1763:
	s_mov_b64 s[0:1], 0
.LBB39_1764:
	s_andn2_b64 vcc, exec, s[0:1]
	s_cbranch_vccnz .LBB39_1766
; %bb.1765:
	v_cndmask_b32_e64 v2, 0, 1.0, s[10:11]
	v_cvt_f16_f32_e32 v2, v2
	s_waitcnt vmcnt(0)
	global_store_short v[0:1], v2, off
.LBB39_1766:
	s_mov_b64 s[0:1], 0
.LBB39_1767:
	s_andn2_b64 vcc, exec, s[0:1]
	s_cbranch_vccnz .LBB39_1783
; %bb.1768:
	s_sext_i32_i16 s2, s22
	s_cmp_lt_i32 s2, 2
	s_mov_b64 s[0:1], -1
	s_cbranch_scc1 .LBB39_1778
; %bb.1769:
	s_cmp_lt_i32 s2, 3
	s_cbranch_scc1 .LBB39_1775
; %bb.1770:
	s_cmp_gt_i32 s2, 3
	s_cbranch_scc0 .LBB39_1772
; %bb.1771:
	s_mov_b32 s0, 0
	v_cndmask_b32_e64 v2, 0, 1, s[10:11]
	s_waitcnt vmcnt(0)
	v_mov_b32_e32 v3, s0
	global_store_dwordx2 v[0:1], v[2:3], off
	s_mov_b64 s[0:1], 0
.LBB39_1772:
	s_andn2_b64 vcc, exec, s[0:1]
	s_cbranch_vccnz .LBB39_1774
; %bb.1773:
	v_cndmask_b32_e64 v2, 0, 1, s[10:11]
	s_waitcnt vmcnt(0)
	global_store_dword v[0:1], v2, off
.LBB39_1774:
	s_mov_b64 s[0:1], 0
.LBB39_1775:
	s_andn2_b64 vcc, exec, s[0:1]
	s_cbranch_vccnz .LBB39_1777
; %bb.1776:
	v_cndmask_b32_e64 v2, 0, 1, s[10:11]
	s_waitcnt vmcnt(0)
	global_store_short v[0:1], v2, off
.LBB39_1777:
	s_mov_b64 s[0:1], 0
.LBB39_1778:
	s_andn2_b64 vcc, exec, s[0:1]
	s_cbranch_vccnz .LBB39_1783
; %bb.1779:
	s_sext_i32_i16 s0, s22
	s_cmp_gt_i32 s0, 0
	s_mov_b64 s[0:1], -1
	s_cbranch_scc0 .LBB39_1781
; %bb.1780:
	v_cndmask_b32_e64 v2, 0, 1, s[10:11]
	s_waitcnt vmcnt(0)
	global_store_byte v[0:1], v2, off
	s_mov_b64 s[0:1], 0
.LBB39_1781:
	s_andn2_b64 vcc, exec, s[0:1]
	s_cbranch_vccnz .LBB39_1783
; %bb.1782:
	v_cndmask_b32_e64 v2, 0, 1, s[10:11]
	s_waitcnt vmcnt(0)
	global_store_byte v[0:1], v2, off
	s_endpgm
.LBB39_1783:
	s_endpgm
.LBB39_1784:
	s_mov_b64 s[18:19], -1
                                        ; implicit-def: $sgpr10_sgpr11
	s_mov_b64 s[16:17], 0
	s_branch .LBB39_1791
.LBB39_1785:
	s_mov_b64 s[18:19], -1
	s_mov_b64 s[16:17], 0
                                        ; implicit-def: $sgpr10_sgpr11
	s_branch .LBB39_1788
.LBB39_1786:
	s_mov_b64 s[16:17], -1
                                        ; implicit-def: $sgpr10_sgpr11
.LBB39_1787:
	s_mov_b64 s[18:19], 0
.LBB39_1788:
	s_and_b64 vcc, exec, s[18:19]
	s_cbranch_vccz .LBB39_1790
; %bb.1789:
	s_waitcnt vmcnt(0)
	v_cmp_lt_i32_e32 vcc, s1, v1
	s_andn2_b64 s[10:11], s[10:11], exec
	s_and_b64 s[18:19], vcc, exec
	s_or_b64 s[10:11], s[10:11], s[18:19]
.LBB39_1790:
	s_mov_b64 s[18:19], 0
.LBB39_1791:
	s_and_b64 vcc, exec, s[18:19]
	s_cbranch_vccz .LBB39_1873
; %bb.1792:
	s_cmp_lg_u32 s0, 0
	s_mov_b64 s[14:15], -1
	s_cselect_b64 s[16:17], -1, 0
	s_andn2_b64 vcc, exec, s[16:17]
	s_cbranch_vccz .LBB39_1874
.LBB39_1793:
	s_andn2_b64 vcc, exec, s[14:15]
	s_cbranch_vccnz .LBB39_1795
.LBB39_1794:
	s_waitcnt vmcnt(0)
	v_cmp_le_i32_e32 vcc, s1, v1
	s_andn2_b64 s[0:1], s[10:11], exec
	s_and_b64 s[10:11], vcc, exec
	s_or_b64 s[10:11], s[0:1], s[10:11]
.LBB39_1795:
	s_load_dword s0, s[34:35], 0x160
	s_waitcnt vmcnt(0)
	v_mov_b32_e32 v1, s9
	v_add_co_u32_e32 v5, vcc, s8, v6
	v_addc_co_u32_e32 v6, vcc, 0, v1, vcc
	s_waitcnt lgkmcnt(0)
	s_and_b32 s22, s0, 0xff
	s_cmp_lt_i32 s22, 11
	s_cbranch_scc1 .LBB39_1875
; %bb.1796:
	s_and_b32 s23, 0xffff, s22
	s_mov_b64 s[18:19], -1
	s_mov_b64 s[14:15], 0
	s_cmp_gt_i32 s23, 25
	s_mov_b64 s[16:17], 0
	s_mov_b64 s[0:1], 0
	s_cbranch_scc0 .LBB39_1829
; %bb.1797:
	s_cmp_gt_i32 s23, 28
	s_cbranch_scc0 .LBB39_1812
; %bb.1798:
	s_cmp_gt_i32 s23, 43
	;; [unrolled: 3-line block ×3, first 2 shown]
	s_cbranch_scc0 .LBB39_1802
; %bb.1800:
	s_mov_b64 s[0:1], -1
	s_mov_b64 s[18:19], 0
	s_cmp_eq_u32 s23, 46
	s_cbranch_scc0 .LBB39_1802
; %bb.1801:
	v_cndmask_b32_e64 v1, 0, 1.0, s[4:5]
	v_bfe_u32 v3, v1, 16, 1
	s_movk_i32 s0, 0x7fff
	v_add3_u32 v1, v1, v3, s0
	v_lshrrev_b32_e32 v1, 16, v1
	global_store_dword v[5:6], v1, off
	s_mov_b64 s[0:1], 0
	s_mov_b64 s[16:17], -1
.LBB39_1802:
	s_and_b64 vcc, exec, s[18:19]
	s_cbranch_vccz .LBB39_1807
; %bb.1803:
	s_cmp_eq_u32 s23, 44
	s_mov_b64 s[0:1], -1
	s_cbranch_scc0 .LBB39_1807
; %bb.1804:
	v_cndmask_b32_e64 v3, 0, 1.0, s[4:5]
	v_lshrrev_b32_e32 v1, 23, v3
	s_movk_i32 s0, 0xff
	v_cmp_ne_u32_e32 vcc, s0, v1
	v_mov_b32_e32 v7, 0xff
	s_and_saveexec_b64 s[16:17], vcc
; %bb.1805:
	s_mov_b32 s0, 0x3fffff
	v_and_b32_e32 v7, 0x400000, v3
	v_and_or_b32 v3, v3, s0, v1
	v_cmp_ne_u32_e32 vcc, 0, v7
	v_cmp_ne_u32_e64 s[0:1], 0, v3
	s_and_b64 s[0:1], vcc, s[0:1]
	v_cndmask_b32_e64 v3, 0, 1, s[0:1]
	v_add_u32_e32 v7, v1, v3
; %bb.1806:
	s_or_b64 exec, exec, s[16:17]
	s_mov_b64 s[0:1], 0
	s_mov_b64 s[16:17], -1
	global_store_byte v[5:6], v7, off
.LBB39_1807:
	s_mov_b64 s[18:19], 0
.LBB39_1808:
	s_and_b64 vcc, exec, s[18:19]
	s_cbranch_vccz .LBB39_1811
; %bb.1809:
	s_cmp_eq_u32 s23, 29
	s_mov_b64 s[0:1], -1
	s_cbranch_scc0 .LBB39_1811
; %bb.1810:
	s_mov_b32 s0, 0
	v_cndmask_b32_e64 v7, 0, 1, s[4:5]
	v_mov_b32_e32 v8, s0
	global_store_dwordx2 v[5:6], v[7:8], off
	s_mov_b64 s[0:1], 0
	s_mov_b64 s[16:17], -1
.LBB39_1811:
	s_mov_b64 s[18:19], 0
.LBB39_1812:
	s_and_b64 vcc, exec, s[18:19]
	s_cbranch_vccz .LBB39_1828
; %bb.1813:
	s_cmp_lt_i32 s23, 27
	s_mov_b64 s[16:17], -1
	s_cbranch_scc1 .LBB39_1819
; %bb.1814:
	s_cmp_gt_i32 s23, 27
	s_cbranch_scc0 .LBB39_1816
; %bb.1815:
	v_cndmask_b32_e64 v1, 0, 1, s[4:5]
	s_mov_b64 s[16:17], 0
	global_store_dword v[5:6], v1, off
.LBB39_1816:
	s_andn2_b64 vcc, exec, s[16:17]
	s_cbranch_vccnz .LBB39_1818
; %bb.1817:
	v_cndmask_b32_e64 v1, 0, 1, s[4:5]
	global_store_short v[5:6], v1, off
.LBB39_1818:
	s_mov_b64 s[16:17], 0
.LBB39_1819:
	s_andn2_b64 vcc, exec, s[16:17]
	s_cbranch_vccnz .LBB39_1827
; %bb.1820:
	v_cndmask_b32_e64 v3, 0, 1.0, s[4:5]
	s_mov_b32 s16, 0x43800000
	v_cmp_gt_u32_e32 vcc, s16, v3
	v_mov_b32_e32 v7, 0x80
	s_and_saveexec_b64 s[16:17], vcc
	s_cbranch_execz .LBB39_1826
; %bb.1821:
	s_mov_b32 s18, 0x3bffffff
	v_cmp_lt_u32_e32 vcc, s18, v3
	s_mov_b64 s[18:19], 0
                                        ; implicit-def: $vgpr1
	s_and_saveexec_b64 s[20:21], vcc
	s_xor_b64 s[20:21], exec, s[20:21]
	s_cbranch_execz .LBB39_2233
; %bb.1822:
	v_bfe_u32 v1, v3, 20, 1
	s_mov_b32 s24, 0x487ffff
	v_add3_u32 v1, v3, v1, s24
	s_mov_b64 s[18:19], exec
	v_lshrrev_b32_e32 v1, 20, v1
                                        ; implicit-def: $vgpr3
	s_andn2_saveexec_b64 s[20:21], s[20:21]
	s_cbranch_execnz .LBB39_2234
.LBB39_1823:
	s_or_b64 exec, exec, s[20:21]
	v_mov_b32_e32 v7, 0
	s_and_saveexec_b64 s[20:21], s[18:19]
.LBB39_1824:
	v_mov_b32_e32 v7, v1
.LBB39_1825:
	s_or_b64 exec, exec, s[20:21]
.LBB39_1826:
	s_or_b64 exec, exec, s[16:17]
	global_store_byte v[5:6], v7, off
.LBB39_1827:
	s_mov_b64 s[16:17], -1
.LBB39_1828:
	s_mov_b64 s[18:19], 0
.LBB39_1829:
	s_and_b64 vcc, exec, s[18:19]
	s_cbranch_vccz .LBB39_1869
; %bb.1830:
	s_cmp_gt_i32 s23, 22
	s_mov_b64 s[14:15], -1
	s_cbranch_scc0 .LBB39_1862
; %bb.1831:
	s_cmp_lt_i32 s23, 24
	s_cbranch_scc1 .LBB39_1851
; %bb.1832:
	s_cmp_gt_i32 s23, 24
	s_cbranch_scc0 .LBB39_1840
; %bb.1833:
	v_cndmask_b32_e64 v3, 0, 1.0, s[4:5]
	s_mov_b32 s14, 0x47800000
	v_cmp_gt_u32_e32 vcc, s14, v3
	v_mov_b32_e32 v7, 0x80
	s_and_saveexec_b64 s[14:15], vcc
	s_cbranch_execz .LBB39_1839
; %bb.1834:
	s_mov_b32 s16, 0x37ffffff
	v_cmp_lt_u32_e32 vcc, s16, v3
	s_mov_b64 s[16:17], 0
                                        ; implicit-def: $vgpr1
	s_and_saveexec_b64 s[18:19], vcc
	s_xor_b64 s[18:19], exec, s[18:19]
	s_cbranch_execz .LBB39_2236
; %bb.1835:
	v_bfe_u32 v1, v3, 21, 1
	s_mov_b32 s20, 0x88fffff
	v_add3_u32 v1, v3, v1, s20
	s_mov_b64 s[16:17], exec
	v_lshrrev_b32_e32 v1, 21, v1
                                        ; implicit-def: $vgpr3
	s_andn2_saveexec_b64 s[18:19], s[18:19]
	s_cbranch_execnz .LBB39_2237
.LBB39_1836:
	s_or_b64 exec, exec, s[18:19]
	v_mov_b32_e32 v7, 0
	s_and_saveexec_b64 s[18:19], s[16:17]
.LBB39_1837:
	v_mov_b32_e32 v7, v1
.LBB39_1838:
	s_or_b64 exec, exec, s[18:19]
.LBB39_1839:
	s_or_b64 exec, exec, s[14:15]
	s_mov_b64 s[14:15], 0
	global_store_byte v[5:6], v7, off
.LBB39_1840:
	s_and_b64 vcc, exec, s[14:15]
	s_cbranch_vccz .LBB39_1850
; %bb.1841:
	v_cndmask_b32_e64 v1, 0, 1.0, s[4:5]
	s_mov_b32 s14, 0x43f00000
	v_cmp_gt_u32_e32 vcc, s14, v1
                                        ; implicit-def: $vgpr3
	s_and_saveexec_b64 s[14:15], vcc
	s_xor_b64 s[14:15], exec, s[14:15]
	s_cbranch_execz .LBB39_1847
; %bb.1842:
	s_mov_b32 s16, 0x3c7fffff
	v_cmp_lt_u32_e32 vcc, s16, v1
                                        ; implicit-def: $vgpr3
	s_and_saveexec_b64 s[16:17], vcc
	s_xor_b64 s[16:17], exec, s[16:17]
; %bb.1843:
	v_bfe_u32 v3, v1, 20, 1
	s_mov_b32 s18, 0x407ffff
	v_add3_u32 v1, v1, v3, s18
	v_lshrrev_b32_e32 v3, 20, v1
	v_and_b32_e32 v1, 0xff00000, v1
	s_mov_b32 s18, 0x7f00000
	v_mov_b32_e32 v7, 0x7e
	v_cmp_ne_u32_e32 vcc, s18, v1
	v_cndmask_b32_e32 v3, v7, v3, vcc
                                        ; implicit-def: $vgpr1
; %bb.1844:
	s_andn2_saveexec_b64 s[16:17], s[16:17]
; %bb.1845:
	v_add_f32_e32 v3, 0x46800000, v1
; %bb.1846:
	s_or_b64 exec, exec, s[16:17]
                                        ; implicit-def: $vgpr1
.LBB39_1847:
	s_andn2_saveexec_b64 s[14:15], s[14:15]
; %bb.1848:
	s_mov_b32 s16, 0x7f800000
	v_mov_b32_e32 v3, 0x7e
	v_mov_b32_e32 v7, 0x7f
	v_cmp_lt_u32_e32 vcc, s16, v1
	v_cndmask_b32_e32 v3, v3, v7, vcc
; %bb.1849:
	s_or_b64 exec, exec, s[14:15]
	global_store_byte v[5:6], v3, off
.LBB39_1850:
	s_mov_b64 s[14:15], 0
.LBB39_1851:
	s_andn2_b64 vcc, exec, s[14:15]
	s_cbranch_vccnz .LBB39_1861
; %bb.1852:
	v_cndmask_b32_e64 v1, 0, 1.0, s[4:5]
	s_mov_b32 s14, 0x47800000
	v_cmp_gt_u32_e32 vcc, s14, v1
                                        ; implicit-def: $vgpr3
	s_and_saveexec_b64 s[14:15], vcc
	s_xor_b64 s[14:15], exec, s[14:15]
	s_cbranch_execz .LBB39_1858
; %bb.1853:
	s_mov_b32 s16, 0x387fffff
	v_cmp_lt_u32_e32 vcc, s16, v1
                                        ; implicit-def: $vgpr3
	s_and_saveexec_b64 s[16:17], vcc
	s_xor_b64 s[16:17], exec, s[16:17]
; %bb.1854:
	v_bfe_u32 v3, v1, 21, 1
	s_mov_b32 s18, 0x80fffff
	v_add3_u32 v1, v1, v3, s18
	v_lshrrev_b32_e32 v3, 21, v1
                                        ; implicit-def: $vgpr1
; %bb.1855:
	s_andn2_saveexec_b64 s[16:17], s[16:17]
; %bb.1856:
	v_add_f32_e32 v3, 0x43000000, v1
; %bb.1857:
	s_or_b64 exec, exec, s[16:17]
                                        ; implicit-def: $vgpr1
.LBB39_1858:
	s_andn2_saveexec_b64 s[14:15], s[14:15]
; %bb.1859:
	s_mov_b32 s16, 0x7f800000
	v_mov_b32_e32 v3, 0x7c
	v_mov_b32_e32 v7, 0x7f
	v_cmp_lt_u32_e32 vcc, s16, v1
	v_cndmask_b32_e32 v3, v3, v7, vcc
; %bb.1860:
	s_or_b64 exec, exec, s[14:15]
	global_store_byte v[5:6], v3, off
.LBB39_1861:
	s_mov_b64 s[14:15], 0
	s_mov_b64 s[16:17], -1
.LBB39_1862:
	s_andn2_b64 vcc, exec, s[14:15]
	s_mov_b64 s[14:15], 0
	s_cbranch_vccnz .LBB39_1869
; %bb.1863:
	s_cmp_gt_i32 s23, 14
	s_mov_b64 s[18:19], -1
	s_cbranch_scc0 .LBB39_1867
; %bb.1864:
	s_cmp_eq_u32 s23, 15
	s_mov_b64 s[0:1], -1
	s_cbranch_scc0 .LBB39_1866
; %bb.1865:
	v_cndmask_b32_e64 v1, 0, 1.0, s[4:5]
	v_bfe_u32 v3, v1, 16, 1
	s_movk_i32 s0, 0x7fff
	v_add3_u32 v1, v1, v3, s0
	global_store_short_d16_hi v[5:6], v1, off
	s_mov_b64 s[0:1], 0
	s_mov_b64 s[16:17], -1
.LBB39_1866:
	s_mov_b64 s[18:19], 0
.LBB39_1867:
	s_and_b64 vcc, exec, s[18:19]
	s_cbranch_vccz .LBB39_1869
; %bb.1868:
	s_cmp_lg_u32 s23, 11
	s_mov_b64 s[14:15], -1
	s_cselect_b64 s[0:1], -1, 0
.LBB39_1869:
	s_and_b64 vcc, exec, s[0:1]
	s_cbranch_vccnz .LBB39_2235
; %bb.1870:
	s_andn2_b64 vcc, exec, s[14:15]
	s_cbranch_vccnz .LBB39_1872
.LBB39_1871:
	v_cndmask_b32_e64 v1, 0, 1, s[4:5]
	s_mov_b64 s[16:17], -1
	global_store_byte v[5:6], v1, off
.LBB39_1872:
	s_mov_b64 s[0:1], 0
	s_branch .LBB39_1876
.LBB39_1873:
	s_andn2_b64 vcc, exec, s[16:17]
	s_cbranch_vccnz .LBB39_1793
.LBB39_1874:
	s_waitcnt vmcnt(0)
	v_cmp_gt_i32_e32 vcc, s1, v1
	s_andn2_b64 s[10:11], s[10:11], exec
	s_and_b64 s[16:17], vcc, exec
	s_or_b64 s[10:11], s[10:11], s[16:17]
	s_cbranch_execz .LBB39_1794
	s_branch .LBB39_1795
.LBB39_1875:
	s_mov_b64 s[0:1], -1
	s_mov_b64 s[16:17], 0
.LBB39_1876:
	s_and_b64 vcc, exec, s[0:1]
	s_cbranch_vccz .LBB39_1915
; %bb.1877:
	s_and_b32 s14, 0xffff, s22
	s_cmp_lt_i32 s14, 5
	s_mov_b64 s[0:1], -1
	s_cbranch_scc1 .LBB39_1898
; %bb.1878:
	s_cmp_lt_i32 s14, 8
	s_cbranch_scc1 .LBB39_1888
; %bb.1879:
	s_cmp_lt_i32 s14, 9
	s_cbranch_scc1 .LBB39_1885
; %bb.1880:
	s_cmp_gt_i32 s14, 9
	s_cbranch_scc0 .LBB39_1882
; %bb.1881:
	v_cndmask_b32_e64 v1, 0, 1, s[4:5]
	v_cvt_f64_u32_e32 v[7:8], v1
	v_mov_b32_e32 v9, 0
	v_mov_b32_e32 v10, v9
	s_mov_b64 s[0:1], 0
	global_store_dwordx4 v[5:6], v[7:10], off
.LBB39_1882:
	s_andn2_b64 vcc, exec, s[0:1]
	s_cbranch_vccnz .LBB39_1884
; %bb.1883:
	v_cndmask_b32_e64 v7, 0, 1.0, s[4:5]
	v_mov_b32_e32 v8, 0
	global_store_dwordx2 v[5:6], v[7:8], off
.LBB39_1884:
	s_mov_b64 s[0:1], 0
.LBB39_1885:
	s_andn2_b64 vcc, exec, s[0:1]
	s_cbranch_vccnz .LBB39_1887
; %bb.1886:
	v_cndmask_b32_e64 v1, 0, 1.0, s[4:5]
	v_cvt_f16_f32_e32 v1, v1
	global_store_dword v[5:6], v1, off
.LBB39_1887:
	s_mov_b64 s[0:1], 0
.LBB39_1888:
	s_andn2_b64 vcc, exec, s[0:1]
	s_cbranch_vccnz .LBB39_1897
; %bb.1889:
	s_cmp_lt_i32 s14, 6
	s_mov_b64 s[0:1], -1
	s_cbranch_scc1 .LBB39_1895
; %bb.1890:
	s_cmp_gt_i32 s14, 6
	s_cbranch_scc0 .LBB39_1892
; %bb.1891:
	v_cndmask_b32_e64 v1, 0, 1, s[4:5]
	v_cvt_f64_u32_e32 v[7:8], v1
	s_mov_b64 s[0:1], 0
	global_store_dwordx2 v[5:6], v[7:8], off
.LBB39_1892:
	s_andn2_b64 vcc, exec, s[0:1]
	s_cbranch_vccnz .LBB39_1894
; %bb.1893:
	v_cndmask_b32_e64 v1, 0, 1.0, s[4:5]
	global_store_dword v[5:6], v1, off
.LBB39_1894:
	s_mov_b64 s[0:1], 0
.LBB39_1895:
	s_andn2_b64 vcc, exec, s[0:1]
	s_cbranch_vccnz .LBB39_1897
; %bb.1896:
	v_cndmask_b32_e64 v1, 0, 1.0, s[4:5]
	v_cvt_f16_f32_e32 v1, v1
	global_store_short v[5:6], v1, off
.LBB39_1897:
	s_mov_b64 s[0:1], 0
.LBB39_1898:
	s_andn2_b64 vcc, exec, s[0:1]
	s_cbranch_vccnz .LBB39_1914
; %bb.1899:
	s_cmp_lt_i32 s14, 2
	s_mov_b64 s[0:1], -1
	s_cbranch_scc1 .LBB39_1909
; %bb.1900:
	s_cmp_lt_i32 s14, 3
	s_cbranch_scc1 .LBB39_1906
; %bb.1901:
	s_cmp_gt_i32 s14, 3
	s_cbranch_scc0 .LBB39_1903
; %bb.1902:
	s_mov_b32 s0, 0
	v_cndmask_b32_e64 v7, 0, 1, s[4:5]
	v_mov_b32_e32 v8, s0
	global_store_dwordx2 v[5:6], v[7:8], off
	s_mov_b64 s[0:1], 0
.LBB39_1903:
	s_andn2_b64 vcc, exec, s[0:1]
	s_cbranch_vccnz .LBB39_1905
; %bb.1904:
	v_cndmask_b32_e64 v1, 0, 1, s[4:5]
	global_store_dword v[5:6], v1, off
.LBB39_1905:
	s_mov_b64 s[0:1], 0
.LBB39_1906:
	s_andn2_b64 vcc, exec, s[0:1]
	s_cbranch_vccnz .LBB39_1908
; %bb.1907:
	v_cndmask_b32_e64 v1, 0, 1, s[4:5]
	global_store_short v[5:6], v1, off
.LBB39_1908:
	s_mov_b64 s[0:1], 0
.LBB39_1909:
	s_andn2_b64 vcc, exec, s[0:1]
	s_cbranch_vccnz .LBB39_1914
; %bb.1910:
	s_mov_b64 s[0:1], -1
	s_cmp_gt_i32 s14, 0
	v_cndmask_b32_e64 v1, 0, 1, s[4:5]
	s_cbranch_scc0 .LBB39_1912
; %bb.1911:
	global_store_byte v[5:6], v1, off
	s_mov_b64 s[0:1], 0
.LBB39_1912:
	s_andn2_b64 vcc, exec, s[0:1]
	s_cbranch_vccnz .LBB39_1914
; %bb.1913:
	global_store_byte v[5:6], v1, off
.LBB39_1914:
	s_mov_b64 s[16:17], -1
.LBB39_1915:
	s_andn2_b64 vcc, exec, s[16:17]
	s_cbranch_vccnz .LBB39_2230
; %bb.1916:
	v_mov_b32_e32 v1, s9
	s_and_b32 s20, 0xffff, s22
	v_add_co_u32_e32 v3, vcc, s8, v4
	s_cmp_lt_i32 s20, 11
	v_addc_co_u32_e32 v4, vcc, 0, v1, vcc
	s_cbranch_scc1 .LBB39_1994
; %bb.1917:
	s_mov_b64 s[16:17], -1
	s_mov_b64 s[4:5], 0
	s_cmp_gt_i32 s20, 25
	s_mov_b64 s[14:15], 0
	s_mov_b64 s[0:1], 0
	s_cbranch_scc0 .LBB39_1950
; %bb.1918:
	s_cmp_gt_i32 s20, 28
	s_cbranch_scc0 .LBB39_1933
; %bb.1919:
	s_cmp_gt_i32 s20, 43
	;; [unrolled: 3-line block ×3, first 2 shown]
	s_cbranch_scc0 .LBB39_1923
; %bb.1921:
	s_mov_b64 s[0:1], -1
	s_mov_b64 s[16:17], 0
	s_cmp_eq_u32 s20, 46
	s_cbranch_scc0 .LBB39_1923
; %bb.1922:
	v_cndmask_b32_e64 v1, 0, 1.0, s[6:7]
	v_bfe_u32 v5, v1, 16, 1
	s_movk_i32 s0, 0x7fff
	v_add3_u32 v1, v1, v5, s0
	v_lshrrev_b32_e32 v1, 16, v1
	global_store_dword v[3:4], v1, off
	s_mov_b64 s[0:1], 0
	s_mov_b64 s[14:15], -1
.LBB39_1923:
	s_and_b64 vcc, exec, s[16:17]
	s_cbranch_vccz .LBB39_1928
; %bb.1924:
	s_cmp_eq_u32 s20, 44
	s_mov_b64 s[0:1], -1
	s_cbranch_scc0 .LBB39_1928
; %bb.1925:
	v_cndmask_b32_e64 v5, 0, 1.0, s[6:7]
	v_lshrrev_b32_e32 v1, 23, v5
	s_movk_i32 s0, 0xff
	v_cmp_ne_u32_e32 vcc, s0, v1
	v_mov_b32_e32 v6, 0xff
	s_and_saveexec_b64 s[14:15], vcc
; %bb.1926:
	s_mov_b32 s0, 0x3fffff
	v_and_b32_e32 v6, 0x400000, v5
	v_and_or_b32 v5, v5, s0, v1
	v_cmp_ne_u32_e32 vcc, 0, v6
	v_cmp_ne_u32_e64 s[0:1], 0, v5
	s_and_b64 s[0:1], vcc, s[0:1]
	v_cndmask_b32_e64 v5, 0, 1, s[0:1]
	v_add_u32_e32 v6, v1, v5
; %bb.1927:
	s_or_b64 exec, exec, s[14:15]
	s_mov_b64 s[0:1], 0
	s_mov_b64 s[14:15], -1
	global_store_byte v[3:4], v6, off
.LBB39_1928:
	s_mov_b64 s[16:17], 0
.LBB39_1929:
	s_and_b64 vcc, exec, s[16:17]
	s_cbranch_vccz .LBB39_1932
; %bb.1930:
	s_cmp_eq_u32 s20, 29
	s_mov_b64 s[0:1], -1
	s_cbranch_scc0 .LBB39_1932
; %bb.1931:
	s_mov_b32 s0, 0
	v_cndmask_b32_e64 v5, 0, 1, s[6:7]
	v_mov_b32_e32 v6, s0
	global_store_dwordx2 v[3:4], v[5:6], off
	s_mov_b64 s[0:1], 0
	s_mov_b64 s[14:15], -1
.LBB39_1932:
	s_mov_b64 s[16:17], 0
.LBB39_1933:
	s_and_b64 vcc, exec, s[16:17]
	s_cbranch_vccz .LBB39_1949
; %bb.1934:
	s_cmp_lt_i32 s20, 27
	s_mov_b64 s[14:15], -1
	s_cbranch_scc1 .LBB39_1940
; %bb.1935:
	s_cmp_gt_i32 s20, 27
	s_cbranch_scc0 .LBB39_1937
; %bb.1936:
	v_cndmask_b32_e64 v1, 0, 1, s[6:7]
	s_mov_b64 s[14:15], 0
	global_store_dword v[3:4], v1, off
.LBB39_1937:
	s_andn2_b64 vcc, exec, s[14:15]
	s_cbranch_vccnz .LBB39_1939
; %bb.1938:
	v_cndmask_b32_e64 v1, 0, 1, s[6:7]
	global_store_short v[3:4], v1, off
.LBB39_1939:
	s_mov_b64 s[14:15], 0
.LBB39_1940:
	s_andn2_b64 vcc, exec, s[14:15]
	s_cbranch_vccnz .LBB39_1948
; %bb.1941:
	v_cndmask_b32_e64 v5, 0, 1.0, s[6:7]
	s_mov_b32 s14, 0x43800000
	v_cmp_gt_u32_e32 vcc, s14, v5
	v_mov_b32_e32 v6, 0x80
	s_and_saveexec_b64 s[14:15], vcc
	s_cbranch_execz .LBB39_1947
; %bb.1942:
	s_mov_b32 s16, 0x3bffffff
	v_cmp_lt_u32_e32 vcc, s16, v5
	s_mov_b64 s[16:17], 0
                                        ; implicit-def: $vgpr1
	s_and_saveexec_b64 s[18:19], vcc
	s_xor_b64 s[18:19], exec, s[18:19]
	s_cbranch_execz .LBB39_2238
; %bb.1943:
	v_bfe_u32 v1, v5, 20, 1
	s_mov_b32 s21, 0x487ffff
	v_add3_u32 v1, v5, v1, s21
	s_mov_b64 s[16:17], exec
	v_lshrrev_b32_e32 v1, 20, v1
                                        ; implicit-def: $vgpr5
	s_andn2_saveexec_b64 s[18:19], s[18:19]
	s_cbranch_execnz .LBB39_2239
.LBB39_1944:
	s_or_b64 exec, exec, s[18:19]
	v_mov_b32_e32 v6, 0
	s_and_saveexec_b64 s[18:19], s[16:17]
.LBB39_1945:
	v_mov_b32_e32 v6, v1
.LBB39_1946:
	s_or_b64 exec, exec, s[18:19]
.LBB39_1947:
	s_or_b64 exec, exec, s[14:15]
	global_store_byte v[3:4], v6, off
.LBB39_1948:
	s_mov_b64 s[14:15], -1
.LBB39_1949:
	s_mov_b64 s[16:17], 0
.LBB39_1950:
	s_and_b64 vcc, exec, s[16:17]
	s_cbranch_vccz .LBB39_1990
; %bb.1951:
	s_cmp_gt_i32 s20, 22
	s_mov_b64 s[4:5], -1
	s_cbranch_scc0 .LBB39_1983
; %bb.1952:
	s_cmp_lt_i32 s20, 24
	s_cbranch_scc1 .LBB39_1972
; %bb.1953:
	s_cmp_gt_i32 s20, 24
	s_cbranch_scc0 .LBB39_1961
; %bb.1954:
	v_cndmask_b32_e64 v5, 0, 1.0, s[6:7]
	s_mov_b32 s4, 0x47800000
	v_cmp_gt_u32_e32 vcc, s4, v5
	v_mov_b32_e32 v6, 0x80
	s_and_saveexec_b64 s[4:5], vcc
	s_cbranch_execz .LBB39_1960
; %bb.1955:
	s_mov_b32 s14, 0x37ffffff
	v_cmp_lt_u32_e32 vcc, s14, v5
	s_mov_b64 s[14:15], 0
                                        ; implicit-def: $vgpr1
	s_and_saveexec_b64 s[16:17], vcc
	s_xor_b64 s[16:17], exec, s[16:17]
	s_cbranch_execz .LBB39_2241
; %bb.1956:
	v_bfe_u32 v1, v5, 21, 1
	s_mov_b32 s18, 0x88fffff
	v_add3_u32 v1, v5, v1, s18
	s_mov_b64 s[14:15], exec
	v_lshrrev_b32_e32 v1, 21, v1
                                        ; implicit-def: $vgpr5
	s_andn2_saveexec_b64 s[16:17], s[16:17]
	s_cbranch_execnz .LBB39_2242
.LBB39_1957:
	s_or_b64 exec, exec, s[16:17]
	v_mov_b32_e32 v6, 0
	s_and_saveexec_b64 s[16:17], s[14:15]
.LBB39_1958:
	v_mov_b32_e32 v6, v1
.LBB39_1959:
	s_or_b64 exec, exec, s[16:17]
.LBB39_1960:
	s_or_b64 exec, exec, s[4:5]
	s_mov_b64 s[4:5], 0
	global_store_byte v[3:4], v6, off
.LBB39_1961:
	s_and_b64 vcc, exec, s[4:5]
	s_cbranch_vccz .LBB39_1971
; %bb.1962:
	v_cndmask_b32_e64 v1, 0, 1.0, s[6:7]
	s_mov_b32 s4, 0x43f00000
	v_cmp_gt_u32_e32 vcc, s4, v1
                                        ; implicit-def: $vgpr5
	s_and_saveexec_b64 s[4:5], vcc
	s_xor_b64 s[4:5], exec, s[4:5]
	s_cbranch_execz .LBB39_1968
; %bb.1963:
	s_mov_b32 s14, 0x3c7fffff
	v_cmp_lt_u32_e32 vcc, s14, v1
                                        ; implicit-def: $vgpr5
	s_and_saveexec_b64 s[14:15], vcc
	s_xor_b64 s[14:15], exec, s[14:15]
; %bb.1964:
	v_bfe_u32 v5, v1, 20, 1
	s_mov_b32 s16, 0x407ffff
	v_add3_u32 v1, v1, v5, s16
	v_lshrrev_b32_e32 v5, 20, v1
	v_and_b32_e32 v1, 0xff00000, v1
	s_mov_b32 s16, 0x7f00000
	v_mov_b32_e32 v6, 0x7e
	v_cmp_ne_u32_e32 vcc, s16, v1
	v_cndmask_b32_e32 v5, v6, v5, vcc
                                        ; implicit-def: $vgpr1
; %bb.1965:
	s_andn2_saveexec_b64 s[14:15], s[14:15]
; %bb.1966:
	v_add_f32_e32 v5, 0x46800000, v1
; %bb.1967:
	s_or_b64 exec, exec, s[14:15]
                                        ; implicit-def: $vgpr1
.LBB39_1968:
	s_andn2_saveexec_b64 s[4:5], s[4:5]
; %bb.1969:
	s_mov_b32 s14, 0x7f800000
	v_mov_b32_e32 v5, 0x7e
	v_mov_b32_e32 v6, 0x7f
	v_cmp_lt_u32_e32 vcc, s14, v1
	v_cndmask_b32_e32 v5, v5, v6, vcc
; %bb.1970:
	s_or_b64 exec, exec, s[4:5]
	global_store_byte v[3:4], v5, off
.LBB39_1971:
	s_mov_b64 s[4:5], 0
.LBB39_1972:
	s_andn2_b64 vcc, exec, s[4:5]
	s_cbranch_vccnz .LBB39_1982
; %bb.1973:
	v_cndmask_b32_e64 v1, 0, 1.0, s[6:7]
	s_mov_b32 s4, 0x47800000
	v_cmp_gt_u32_e32 vcc, s4, v1
                                        ; implicit-def: $vgpr5
	s_and_saveexec_b64 s[4:5], vcc
	s_xor_b64 s[4:5], exec, s[4:5]
	s_cbranch_execz .LBB39_1979
; %bb.1974:
	s_mov_b32 s14, 0x387fffff
	v_cmp_lt_u32_e32 vcc, s14, v1
                                        ; implicit-def: $vgpr5
	s_and_saveexec_b64 s[14:15], vcc
	s_xor_b64 s[14:15], exec, s[14:15]
; %bb.1975:
	v_bfe_u32 v5, v1, 21, 1
	s_mov_b32 s16, 0x80fffff
	v_add3_u32 v1, v1, v5, s16
	v_lshrrev_b32_e32 v5, 21, v1
                                        ; implicit-def: $vgpr1
; %bb.1976:
	s_andn2_saveexec_b64 s[14:15], s[14:15]
; %bb.1977:
	v_add_f32_e32 v5, 0x43000000, v1
; %bb.1978:
	s_or_b64 exec, exec, s[14:15]
                                        ; implicit-def: $vgpr1
.LBB39_1979:
	s_andn2_saveexec_b64 s[4:5], s[4:5]
; %bb.1980:
	s_mov_b32 s14, 0x7f800000
	v_mov_b32_e32 v5, 0x7c
	v_mov_b32_e32 v6, 0x7f
	v_cmp_lt_u32_e32 vcc, s14, v1
	v_cndmask_b32_e32 v5, v5, v6, vcc
; %bb.1981:
	s_or_b64 exec, exec, s[4:5]
	global_store_byte v[3:4], v5, off
.LBB39_1982:
	s_mov_b64 s[4:5], 0
	s_mov_b64 s[14:15], -1
.LBB39_1983:
	s_andn2_b64 vcc, exec, s[4:5]
	s_mov_b64 s[4:5], 0
	s_cbranch_vccnz .LBB39_1990
; %bb.1984:
	s_cmp_gt_i32 s20, 14
	s_mov_b64 s[16:17], -1
	s_cbranch_scc0 .LBB39_1988
; %bb.1985:
	s_cmp_eq_u32 s20, 15
	s_mov_b64 s[0:1], -1
	s_cbranch_scc0 .LBB39_1987
; %bb.1986:
	v_cndmask_b32_e64 v1, 0, 1.0, s[6:7]
	v_bfe_u32 v5, v1, 16, 1
	s_movk_i32 s0, 0x7fff
	v_add3_u32 v1, v1, v5, s0
	global_store_short_d16_hi v[3:4], v1, off
	s_mov_b64 s[0:1], 0
	s_mov_b64 s[14:15], -1
.LBB39_1987:
	s_mov_b64 s[16:17], 0
.LBB39_1988:
	s_and_b64 vcc, exec, s[16:17]
	s_cbranch_vccz .LBB39_1990
; %bb.1989:
	s_cmp_lg_u32 s20, 11
	s_mov_b64 s[4:5], -1
	s_cselect_b64 s[0:1], -1, 0
.LBB39_1990:
	s_and_b64 vcc, exec, s[0:1]
	s_cbranch_vccnz .LBB39_2240
; %bb.1991:
	s_andn2_b64 vcc, exec, s[4:5]
	s_cbranch_vccnz .LBB39_1993
.LBB39_1992:
	v_cndmask_b32_e64 v1, 0, 1, s[6:7]
	s_mov_b64 s[14:15], -1
	global_store_byte v[3:4], v1, off
.LBB39_1993:
	s_mov_b64 s[0:1], 0
	s_branch .LBB39_1995
.LBB39_1994:
	s_mov_b64 s[0:1], -1
	s_mov_b64 s[14:15], 0
.LBB39_1995:
	s_and_b64 vcc, exec, s[0:1]
	s_cbranch_vccz .LBB39_2034
; %bb.1996:
	s_cmp_lt_i32 s20, 5
	s_mov_b64 s[0:1], -1
	s_cbranch_scc1 .LBB39_2017
; %bb.1997:
	s_cmp_lt_i32 s20, 8
	s_cbranch_scc1 .LBB39_2007
; %bb.1998:
	s_cmp_lt_i32 s20, 9
	s_cbranch_scc1 .LBB39_2004
; %bb.1999:
	s_cmp_gt_i32 s20, 9
	s_cbranch_scc0 .LBB39_2001
; %bb.2000:
	v_cndmask_b32_e64 v1, 0, 1, s[6:7]
	v_cvt_f64_u32_e32 v[5:6], v1
	v_mov_b32_e32 v7, 0
	v_mov_b32_e32 v8, v7
	s_mov_b64 s[0:1], 0
	global_store_dwordx4 v[3:4], v[5:8], off
.LBB39_2001:
	s_andn2_b64 vcc, exec, s[0:1]
	s_cbranch_vccnz .LBB39_2003
; %bb.2002:
	v_cndmask_b32_e64 v5, 0, 1.0, s[6:7]
	v_mov_b32_e32 v6, 0
	global_store_dwordx2 v[3:4], v[5:6], off
.LBB39_2003:
	s_mov_b64 s[0:1], 0
.LBB39_2004:
	s_andn2_b64 vcc, exec, s[0:1]
	s_cbranch_vccnz .LBB39_2006
; %bb.2005:
	v_cndmask_b32_e64 v1, 0, 1.0, s[6:7]
	v_cvt_f16_f32_e32 v1, v1
	global_store_dword v[3:4], v1, off
.LBB39_2006:
	s_mov_b64 s[0:1], 0
.LBB39_2007:
	s_andn2_b64 vcc, exec, s[0:1]
	s_cbranch_vccnz .LBB39_2016
; %bb.2008:
	s_cmp_lt_i32 s20, 6
	s_mov_b64 s[0:1], -1
	s_cbranch_scc1 .LBB39_2014
; %bb.2009:
	s_cmp_gt_i32 s20, 6
	s_cbranch_scc0 .LBB39_2011
; %bb.2010:
	v_cndmask_b32_e64 v1, 0, 1, s[6:7]
	v_cvt_f64_u32_e32 v[5:6], v1
	s_mov_b64 s[0:1], 0
	global_store_dwordx2 v[3:4], v[5:6], off
.LBB39_2011:
	s_andn2_b64 vcc, exec, s[0:1]
	s_cbranch_vccnz .LBB39_2013
; %bb.2012:
	v_cndmask_b32_e64 v1, 0, 1.0, s[6:7]
	global_store_dword v[3:4], v1, off
.LBB39_2013:
	s_mov_b64 s[0:1], 0
.LBB39_2014:
	s_andn2_b64 vcc, exec, s[0:1]
	s_cbranch_vccnz .LBB39_2016
; %bb.2015:
	v_cndmask_b32_e64 v1, 0, 1.0, s[6:7]
	v_cvt_f16_f32_e32 v1, v1
	global_store_short v[3:4], v1, off
.LBB39_2016:
	s_mov_b64 s[0:1], 0
.LBB39_2017:
	s_andn2_b64 vcc, exec, s[0:1]
	s_cbranch_vccnz .LBB39_2033
; %bb.2018:
	s_cmp_lt_i32 s20, 2
	s_mov_b64 s[0:1], -1
	s_cbranch_scc1 .LBB39_2028
; %bb.2019:
	s_cmp_lt_i32 s20, 3
	s_cbranch_scc1 .LBB39_2025
; %bb.2020:
	s_cmp_gt_i32 s20, 3
	s_cbranch_scc0 .LBB39_2022
; %bb.2021:
	s_mov_b32 s0, 0
	v_cndmask_b32_e64 v5, 0, 1, s[6:7]
	v_mov_b32_e32 v6, s0
	global_store_dwordx2 v[3:4], v[5:6], off
	s_mov_b64 s[0:1], 0
.LBB39_2022:
	s_andn2_b64 vcc, exec, s[0:1]
	s_cbranch_vccnz .LBB39_2024
; %bb.2023:
	v_cndmask_b32_e64 v1, 0, 1, s[6:7]
	global_store_dword v[3:4], v1, off
.LBB39_2024:
	s_mov_b64 s[0:1], 0
.LBB39_2025:
	s_andn2_b64 vcc, exec, s[0:1]
	s_cbranch_vccnz .LBB39_2027
; %bb.2026:
	v_cndmask_b32_e64 v1, 0, 1, s[6:7]
	global_store_short v[3:4], v1, off
.LBB39_2027:
	s_mov_b64 s[0:1], 0
.LBB39_2028:
	s_andn2_b64 vcc, exec, s[0:1]
	s_cbranch_vccnz .LBB39_2033
; %bb.2029:
	s_mov_b64 s[0:1], -1
	s_cmp_gt_i32 s20, 0
	v_cndmask_b32_e64 v1, 0, 1, s[6:7]
	s_cbranch_scc0 .LBB39_2031
; %bb.2030:
	global_store_byte v[3:4], v1, off
	s_mov_b64 s[0:1], 0
.LBB39_2031:
	s_andn2_b64 vcc, exec, s[0:1]
	s_cbranch_vccnz .LBB39_2033
; %bb.2032:
	global_store_byte v[3:4], v1, off
.LBB39_2033:
	s_mov_b64 s[14:15], -1
.LBB39_2034:
	s_andn2_b64 vcc, exec, s[14:15]
	s_cbranch_vccnz .LBB39_2230
; %bb.2035:
	v_mov_b32_e32 v3, s9
	v_add_co_u32_e32 v1, vcc, s8, v2
	s_cmp_lt_i32 s20, 11
	v_addc_co_u32_e32 v2, vcc, 0, v3, vcc
	s_cbranch_scc1 .LBB39_2113
; %bb.2036:
	s_mov_b64 s[14:15], -1
	s_mov_b64 s[4:5], 0
	s_cmp_gt_i32 s20, 25
	s_mov_b64 s[6:7], 0
	s_mov_b64 s[0:1], 0
	s_cbranch_scc0 .LBB39_2069
; %bb.2037:
	s_cmp_gt_i32 s20, 28
	s_cbranch_scc0 .LBB39_2052
; %bb.2038:
	s_cmp_gt_i32 s20, 43
	;; [unrolled: 3-line block ×3, first 2 shown]
	s_cbranch_scc0 .LBB39_2042
; %bb.2040:
	s_mov_b64 s[0:1], -1
	s_mov_b64 s[14:15], 0
	s_cmp_eq_u32 s20, 46
	s_cbranch_scc0 .LBB39_2042
; %bb.2041:
	v_cndmask_b32_e64 v3, 0, 1.0, s[12:13]
	v_bfe_u32 v4, v3, 16, 1
	s_movk_i32 s0, 0x7fff
	v_add3_u32 v3, v3, v4, s0
	v_lshrrev_b32_e32 v3, 16, v3
	global_store_dword v[1:2], v3, off
	s_mov_b64 s[0:1], 0
	s_mov_b64 s[6:7], -1
.LBB39_2042:
	s_and_b64 vcc, exec, s[14:15]
	s_cbranch_vccz .LBB39_2047
; %bb.2043:
	s_cmp_eq_u32 s20, 44
	s_mov_b64 s[0:1], -1
	s_cbranch_scc0 .LBB39_2047
; %bb.2044:
	v_cndmask_b32_e64 v4, 0, 1.0, s[12:13]
	v_lshrrev_b32_e32 v3, 23, v4
	s_movk_i32 s0, 0xff
	v_cmp_ne_u32_e32 vcc, s0, v3
	v_mov_b32_e32 v5, 0xff
	s_and_saveexec_b64 s[6:7], vcc
; %bb.2045:
	s_mov_b32 s0, 0x3fffff
	v_and_b32_e32 v5, 0x400000, v4
	v_and_or_b32 v4, v4, s0, v3
	v_cmp_ne_u32_e32 vcc, 0, v5
	v_cmp_ne_u32_e64 s[0:1], 0, v4
	s_and_b64 s[0:1], vcc, s[0:1]
	v_cndmask_b32_e64 v4, 0, 1, s[0:1]
	v_add_u32_e32 v5, v3, v4
; %bb.2046:
	s_or_b64 exec, exec, s[6:7]
	s_mov_b64 s[0:1], 0
	s_mov_b64 s[6:7], -1
	global_store_byte v[1:2], v5, off
.LBB39_2047:
	s_mov_b64 s[14:15], 0
.LBB39_2048:
	s_and_b64 vcc, exec, s[14:15]
	s_cbranch_vccz .LBB39_2051
; %bb.2049:
	s_cmp_eq_u32 s20, 29
	s_mov_b64 s[0:1], -1
	s_cbranch_scc0 .LBB39_2051
; %bb.2050:
	s_mov_b32 s0, 0
	v_cndmask_b32_e64 v3, 0, 1, s[12:13]
	v_mov_b32_e32 v4, s0
	global_store_dwordx2 v[1:2], v[3:4], off
	s_mov_b64 s[0:1], 0
	s_mov_b64 s[6:7], -1
.LBB39_2051:
	s_mov_b64 s[14:15], 0
.LBB39_2052:
	s_and_b64 vcc, exec, s[14:15]
	s_cbranch_vccz .LBB39_2068
; %bb.2053:
	s_cmp_lt_i32 s20, 27
	s_mov_b64 s[6:7], -1
	s_cbranch_scc1 .LBB39_2059
; %bb.2054:
	s_cmp_gt_i32 s20, 27
	s_cbranch_scc0 .LBB39_2056
; %bb.2055:
	v_cndmask_b32_e64 v3, 0, 1, s[12:13]
	s_mov_b64 s[6:7], 0
	global_store_dword v[1:2], v3, off
.LBB39_2056:
	s_andn2_b64 vcc, exec, s[6:7]
	s_cbranch_vccnz .LBB39_2058
; %bb.2057:
	v_cndmask_b32_e64 v3, 0, 1, s[12:13]
	global_store_short v[1:2], v3, off
.LBB39_2058:
	s_mov_b64 s[6:7], 0
.LBB39_2059:
	s_andn2_b64 vcc, exec, s[6:7]
	s_cbranch_vccnz .LBB39_2067
; %bb.2060:
	v_cndmask_b32_e64 v4, 0, 1.0, s[12:13]
	s_mov_b32 s6, 0x43800000
	v_cmp_gt_u32_e32 vcc, s6, v4
	v_mov_b32_e32 v5, 0x80
	s_and_saveexec_b64 s[6:7], vcc
	s_cbranch_execz .LBB39_2066
; %bb.2061:
	s_mov_b32 s14, 0x3bffffff
	v_cmp_lt_u32_e32 vcc, s14, v4
	s_mov_b64 s[14:15], 0
                                        ; implicit-def: $vgpr3
	s_and_saveexec_b64 s[16:17], vcc
	s_xor_b64 s[16:17], exec, s[16:17]
	s_cbranch_execz .LBB39_2243
; %bb.2062:
	v_bfe_u32 v3, v4, 20, 1
	s_mov_b32 s18, 0x487ffff
	v_add3_u32 v3, v4, v3, s18
	s_mov_b64 s[14:15], exec
	v_lshrrev_b32_e32 v3, 20, v3
                                        ; implicit-def: $vgpr4
	s_andn2_saveexec_b64 s[16:17], s[16:17]
	s_cbranch_execnz .LBB39_2244
.LBB39_2063:
	s_or_b64 exec, exec, s[16:17]
	v_mov_b32_e32 v5, 0
	s_and_saveexec_b64 s[16:17], s[14:15]
.LBB39_2064:
	v_mov_b32_e32 v5, v3
.LBB39_2065:
	s_or_b64 exec, exec, s[16:17]
.LBB39_2066:
	s_or_b64 exec, exec, s[6:7]
	global_store_byte v[1:2], v5, off
.LBB39_2067:
	s_mov_b64 s[6:7], -1
.LBB39_2068:
	s_mov_b64 s[14:15], 0
.LBB39_2069:
	s_and_b64 vcc, exec, s[14:15]
	s_cbranch_vccz .LBB39_2109
; %bb.2070:
	s_cmp_gt_i32 s20, 22
	s_mov_b64 s[4:5], -1
	s_cbranch_scc0 .LBB39_2102
; %bb.2071:
	s_cmp_lt_i32 s20, 24
	s_cbranch_scc1 .LBB39_2091
; %bb.2072:
	s_cmp_gt_i32 s20, 24
	s_cbranch_scc0 .LBB39_2080
; %bb.2073:
	v_cndmask_b32_e64 v4, 0, 1.0, s[12:13]
	s_mov_b32 s4, 0x47800000
	v_cmp_gt_u32_e32 vcc, s4, v4
	v_mov_b32_e32 v5, 0x80
	s_and_saveexec_b64 s[4:5], vcc
	s_cbranch_execz .LBB39_2079
; %bb.2074:
	s_mov_b32 s6, 0x37ffffff
	v_cmp_lt_u32_e32 vcc, s6, v4
	s_mov_b64 s[6:7], 0
                                        ; implicit-def: $vgpr3
	s_and_saveexec_b64 s[14:15], vcc
	s_xor_b64 s[14:15], exec, s[14:15]
	s_cbranch_execz .LBB39_2246
; %bb.2075:
	v_bfe_u32 v3, v4, 21, 1
	s_mov_b32 s16, 0x88fffff
	v_add3_u32 v3, v4, v3, s16
	s_mov_b64 s[6:7], exec
	v_lshrrev_b32_e32 v3, 21, v3
                                        ; implicit-def: $vgpr4
	s_andn2_saveexec_b64 s[14:15], s[14:15]
	s_cbranch_execnz .LBB39_2247
.LBB39_2076:
	s_or_b64 exec, exec, s[14:15]
	v_mov_b32_e32 v5, 0
	s_and_saveexec_b64 s[14:15], s[6:7]
.LBB39_2077:
	v_mov_b32_e32 v5, v3
.LBB39_2078:
	s_or_b64 exec, exec, s[14:15]
.LBB39_2079:
	s_or_b64 exec, exec, s[4:5]
	s_mov_b64 s[4:5], 0
	global_store_byte v[1:2], v5, off
.LBB39_2080:
	s_and_b64 vcc, exec, s[4:5]
	s_cbranch_vccz .LBB39_2090
; %bb.2081:
	v_cndmask_b32_e64 v3, 0, 1.0, s[12:13]
	s_mov_b32 s4, 0x43f00000
	v_cmp_gt_u32_e32 vcc, s4, v3
                                        ; implicit-def: $vgpr4
	s_and_saveexec_b64 s[4:5], vcc
	s_xor_b64 s[4:5], exec, s[4:5]
	s_cbranch_execz .LBB39_2087
; %bb.2082:
	s_mov_b32 s6, 0x3c7fffff
	v_cmp_lt_u32_e32 vcc, s6, v3
                                        ; implicit-def: $vgpr4
	s_and_saveexec_b64 s[6:7], vcc
	s_xor_b64 s[6:7], exec, s[6:7]
; %bb.2083:
	v_bfe_u32 v4, v3, 20, 1
	s_mov_b32 s14, 0x407ffff
	v_add3_u32 v3, v3, v4, s14
	v_lshrrev_b32_e32 v4, 20, v3
	v_and_b32_e32 v3, 0xff00000, v3
	s_mov_b32 s14, 0x7f00000
	v_mov_b32_e32 v5, 0x7e
	v_cmp_ne_u32_e32 vcc, s14, v3
	v_cndmask_b32_e32 v4, v5, v4, vcc
                                        ; implicit-def: $vgpr3
; %bb.2084:
	s_andn2_saveexec_b64 s[6:7], s[6:7]
; %bb.2085:
	v_add_f32_e32 v4, 0x46800000, v3
; %bb.2086:
	s_or_b64 exec, exec, s[6:7]
                                        ; implicit-def: $vgpr3
.LBB39_2087:
	s_andn2_saveexec_b64 s[4:5], s[4:5]
; %bb.2088:
	s_mov_b32 s6, 0x7f800000
	v_mov_b32_e32 v4, 0x7e
	v_mov_b32_e32 v5, 0x7f
	v_cmp_lt_u32_e32 vcc, s6, v3
	v_cndmask_b32_e32 v4, v4, v5, vcc
; %bb.2089:
	s_or_b64 exec, exec, s[4:5]
	global_store_byte v[1:2], v4, off
.LBB39_2090:
	s_mov_b64 s[4:5], 0
.LBB39_2091:
	s_andn2_b64 vcc, exec, s[4:5]
	s_cbranch_vccnz .LBB39_2101
; %bb.2092:
	v_cndmask_b32_e64 v3, 0, 1.0, s[12:13]
	s_mov_b32 s4, 0x47800000
	v_cmp_gt_u32_e32 vcc, s4, v3
                                        ; implicit-def: $vgpr4
	s_and_saveexec_b64 s[4:5], vcc
	s_xor_b64 s[4:5], exec, s[4:5]
	s_cbranch_execz .LBB39_2098
; %bb.2093:
	s_mov_b32 s6, 0x387fffff
	v_cmp_lt_u32_e32 vcc, s6, v3
                                        ; implicit-def: $vgpr4
	s_and_saveexec_b64 s[6:7], vcc
	s_xor_b64 s[6:7], exec, s[6:7]
; %bb.2094:
	v_bfe_u32 v4, v3, 21, 1
	s_mov_b32 s14, 0x80fffff
	v_add3_u32 v3, v3, v4, s14
	v_lshrrev_b32_e32 v4, 21, v3
                                        ; implicit-def: $vgpr3
; %bb.2095:
	s_andn2_saveexec_b64 s[6:7], s[6:7]
; %bb.2096:
	v_add_f32_e32 v4, 0x43000000, v3
; %bb.2097:
	s_or_b64 exec, exec, s[6:7]
                                        ; implicit-def: $vgpr3
.LBB39_2098:
	s_andn2_saveexec_b64 s[4:5], s[4:5]
; %bb.2099:
	s_mov_b32 s6, 0x7f800000
	v_mov_b32_e32 v4, 0x7c
	v_mov_b32_e32 v5, 0x7f
	v_cmp_lt_u32_e32 vcc, s6, v3
	v_cndmask_b32_e32 v4, v4, v5, vcc
; %bb.2100:
	s_or_b64 exec, exec, s[4:5]
	global_store_byte v[1:2], v4, off
.LBB39_2101:
	s_mov_b64 s[4:5], 0
	s_mov_b64 s[6:7], -1
.LBB39_2102:
	s_andn2_b64 vcc, exec, s[4:5]
	s_mov_b64 s[4:5], 0
	s_cbranch_vccnz .LBB39_2109
; %bb.2103:
	s_cmp_gt_i32 s20, 14
	s_mov_b64 s[14:15], -1
	s_cbranch_scc0 .LBB39_2107
; %bb.2104:
	s_cmp_eq_u32 s20, 15
	s_mov_b64 s[0:1], -1
	s_cbranch_scc0 .LBB39_2106
; %bb.2105:
	v_cndmask_b32_e64 v3, 0, 1.0, s[12:13]
	v_bfe_u32 v4, v3, 16, 1
	s_movk_i32 s0, 0x7fff
	v_add3_u32 v3, v3, v4, s0
	global_store_short_d16_hi v[1:2], v3, off
	s_mov_b64 s[0:1], 0
	s_mov_b64 s[6:7], -1
.LBB39_2106:
	s_mov_b64 s[14:15], 0
.LBB39_2107:
	s_and_b64 vcc, exec, s[14:15]
	s_cbranch_vccz .LBB39_2109
; %bb.2108:
	s_cmp_lg_u32 s20, 11
	s_mov_b64 s[4:5], -1
	s_cselect_b64 s[0:1], -1, 0
.LBB39_2109:
	s_and_b64 vcc, exec, s[0:1]
	s_cbranch_vccnz .LBB39_2245
; %bb.2110:
	s_andn2_b64 vcc, exec, s[4:5]
	s_cbranch_vccnz .LBB39_2112
.LBB39_2111:
	v_cndmask_b32_e64 v3, 0, 1, s[12:13]
	s_mov_b64 s[6:7], -1
	global_store_byte v[1:2], v3, off
.LBB39_2112:
	s_mov_b64 s[0:1], 0
	s_branch .LBB39_2114
.LBB39_2113:
	s_mov_b64 s[0:1], -1
	s_mov_b64 s[6:7], 0
.LBB39_2114:
	s_and_b64 vcc, exec, s[0:1]
	s_cbranch_vccz .LBB39_2153
; %bb.2115:
	s_cmp_lt_i32 s20, 5
	s_mov_b64 s[0:1], -1
	s_cbranch_scc1 .LBB39_2136
; %bb.2116:
	s_cmp_lt_i32 s20, 8
	s_cbranch_scc1 .LBB39_2126
; %bb.2117:
	s_cmp_lt_i32 s20, 9
	s_cbranch_scc1 .LBB39_2123
; %bb.2118:
	s_cmp_gt_i32 s20, 9
	s_cbranch_scc0 .LBB39_2120
; %bb.2119:
	v_cndmask_b32_e64 v3, 0, 1, s[12:13]
	v_cvt_f64_u32_e32 v[3:4], v3
	v_mov_b32_e32 v5, 0
	v_mov_b32_e32 v6, v5
	s_mov_b64 s[0:1], 0
	global_store_dwordx4 v[1:2], v[3:6], off
.LBB39_2120:
	s_andn2_b64 vcc, exec, s[0:1]
	s_cbranch_vccnz .LBB39_2122
; %bb.2121:
	v_cndmask_b32_e64 v3, 0, 1.0, s[12:13]
	v_mov_b32_e32 v4, 0
	global_store_dwordx2 v[1:2], v[3:4], off
.LBB39_2122:
	s_mov_b64 s[0:1], 0
.LBB39_2123:
	s_andn2_b64 vcc, exec, s[0:1]
	s_cbranch_vccnz .LBB39_2125
; %bb.2124:
	v_cndmask_b32_e64 v3, 0, 1.0, s[12:13]
	v_cvt_f16_f32_e32 v3, v3
	global_store_dword v[1:2], v3, off
.LBB39_2125:
	s_mov_b64 s[0:1], 0
.LBB39_2126:
	s_andn2_b64 vcc, exec, s[0:1]
	s_cbranch_vccnz .LBB39_2135
; %bb.2127:
	s_cmp_lt_i32 s20, 6
	s_mov_b64 s[0:1], -1
	s_cbranch_scc1 .LBB39_2133
; %bb.2128:
	s_cmp_gt_i32 s20, 6
	s_cbranch_scc0 .LBB39_2130
; %bb.2129:
	v_cndmask_b32_e64 v3, 0, 1, s[12:13]
	v_cvt_f64_u32_e32 v[3:4], v3
	s_mov_b64 s[0:1], 0
	global_store_dwordx2 v[1:2], v[3:4], off
.LBB39_2130:
	s_andn2_b64 vcc, exec, s[0:1]
	s_cbranch_vccnz .LBB39_2132
; %bb.2131:
	v_cndmask_b32_e64 v3, 0, 1.0, s[12:13]
	global_store_dword v[1:2], v3, off
.LBB39_2132:
	s_mov_b64 s[0:1], 0
.LBB39_2133:
	s_andn2_b64 vcc, exec, s[0:1]
	s_cbranch_vccnz .LBB39_2135
; %bb.2134:
	v_cndmask_b32_e64 v3, 0, 1.0, s[12:13]
	v_cvt_f16_f32_e32 v3, v3
	global_store_short v[1:2], v3, off
.LBB39_2135:
	s_mov_b64 s[0:1], 0
.LBB39_2136:
	s_andn2_b64 vcc, exec, s[0:1]
	s_cbranch_vccnz .LBB39_2152
; %bb.2137:
	s_cmp_lt_i32 s20, 2
	s_mov_b64 s[0:1], -1
	s_cbranch_scc1 .LBB39_2147
; %bb.2138:
	s_cmp_lt_i32 s20, 3
	s_cbranch_scc1 .LBB39_2144
; %bb.2139:
	s_cmp_gt_i32 s20, 3
	s_cbranch_scc0 .LBB39_2141
; %bb.2140:
	s_mov_b32 s0, 0
	v_cndmask_b32_e64 v3, 0, 1, s[12:13]
	v_mov_b32_e32 v4, s0
	global_store_dwordx2 v[1:2], v[3:4], off
	s_mov_b64 s[0:1], 0
.LBB39_2141:
	s_andn2_b64 vcc, exec, s[0:1]
	s_cbranch_vccnz .LBB39_2143
; %bb.2142:
	v_cndmask_b32_e64 v3, 0, 1, s[12:13]
	global_store_dword v[1:2], v3, off
.LBB39_2143:
	s_mov_b64 s[0:1], 0
.LBB39_2144:
	s_andn2_b64 vcc, exec, s[0:1]
	s_cbranch_vccnz .LBB39_2146
; %bb.2145:
	v_cndmask_b32_e64 v3, 0, 1, s[12:13]
	global_store_short v[1:2], v3, off
.LBB39_2146:
	s_mov_b64 s[0:1], 0
.LBB39_2147:
	s_andn2_b64 vcc, exec, s[0:1]
	s_cbranch_vccnz .LBB39_2152
; %bb.2148:
	s_cmp_gt_i32 s20, 0
	s_mov_b64 s[0:1], -1
	s_cbranch_scc0 .LBB39_2150
; %bb.2149:
	v_cndmask_b32_e64 v3, 0, 1, s[12:13]
	global_store_byte v[1:2], v3, off
	s_mov_b64 s[0:1], 0
.LBB39_2150:
	s_andn2_b64 vcc, exec, s[0:1]
	s_cbranch_vccnz .LBB39_2152
; %bb.2151:
	v_cndmask_b32_e64 v3, 0, 1, s[12:13]
	global_store_byte v[1:2], v3, off
.LBB39_2152:
	s_mov_b64 s[6:7], -1
.LBB39_2153:
	s_andn2_b64 vcc, exec, s[6:7]
	s_cbranch_vccnz .LBB39_2230
; %bb.2154:
	v_mov_b32_e32 v1, s9
	v_add_co_u32_e32 v0, vcc, s8, v0
	s_cmp_lt_i32 s20, 11
	v_addc_co_u32_e32 v1, vcc, 0, v1, vcc
	s_cbranch_scc1 .LBB39_2231
; %bb.2155:
	s_mov_b64 s[6:7], -1
	s_mov_b64 s[4:5], 0
	s_cmp_gt_i32 s20, 25
	s_mov_b64 s[0:1], 0
	s_cbranch_scc0 .LBB39_2188
; %bb.2156:
	s_cmp_gt_i32 s20, 28
	s_cbranch_scc0 .LBB39_2172
; %bb.2157:
	s_cmp_gt_i32 s20, 43
	;; [unrolled: 3-line block ×3, first 2 shown]
	s_cbranch_scc0 .LBB39_2162
; %bb.2159:
	s_cmp_eq_u32 s20, 46
	s_mov_b64 s[0:1], -1
	s_cbranch_scc0 .LBB39_2161
; %bb.2160:
	v_cndmask_b32_e64 v2, 0, 1.0, s[10:11]
	v_bfe_u32 v3, v2, 16, 1
	s_movk_i32 s0, 0x7fff
	v_add3_u32 v2, v2, v3, s0
	v_lshrrev_b32_e32 v2, 16, v2
	global_store_dword v[0:1], v2, off
	s_mov_b64 s[0:1], 0
.LBB39_2161:
	s_mov_b64 s[6:7], 0
.LBB39_2162:
	s_and_b64 vcc, exec, s[6:7]
	s_cbranch_vccz .LBB39_2167
; %bb.2163:
	s_cmp_eq_u32 s20, 44
	s_mov_b64 s[0:1], -1
	s_cbranch_scc0 .LBB39_2167
; %bb.2164:
	v_cndmask_b32_e64 v3, 0, 1.0, s[10:11]
	v_lshrrev_b32_e32 v2, 23, v3
	s_movk_i32 s0, 0xff
	v_cmp_ne_u32_e32 vcc, s0, v2
	v_mov_b32_e32 v4, 0xff
	s_and_saveexec_b64 s[6:7], vcc
; %bb.2165:
	s_mov_b32 s0, 0x3fffff
	v_and_b32_e32 v4, 0x400000, v3
	v_and_or_b32 v3, v3, s0, v2
	v_cmp_ne_u32_e32 vcc, 0, v4
	v_cmp_ne_u32_e64 s[0:1], 0, v3
	s_and_b64 s[0:1], vcc, s[0:1]
	v_cndmask_b32_e64 v3, 0, 1, s[0:1]
	v_add_u32_e32 v4, v2, v3
; %bb.2166:
	s_or_b64 exec, exec, s[6:7]
	s_mov_b64 s[0:1], 0
	global_store_byte v[0:1], v4, off
.LBB39_2167:
	s_mov_b64 s[6:7], 0
.LBB39_2168:
	s_and_b64 vcc, exec, s[6:7]
	s_cbranch_vccz .LBB39_2171
; %bb.2169:
	s_cmp_eq_u32 s20, 29
	s_mov_b64 s[0:1], -1
	s_cbranch_scc0 .LBB39_2171
; %bb.2170:
	s_mov_b32 s0, 0
	v_cndmask_b32_e64 v2, 0, 1, s[10:11]
	v_mov_b32_e32 v3, s0
	global_store_dwordx2 v[0:1], v[2:3], off
	s_mov_b64 s[0:1], 0
.LBB39_2171:
	s_mov_b64 s[6:7], 0
.LBB39_2172:
	s_and_b64 vcc, exec, s[6:7]
	s_cbranch_vccz .LBB39_2187
; %bb.2173:
	s_cmp_lt_i32 s20, 27
	s_mov_b64 s[6:7], -1
	s_cbranch_scc1 .LBB39_2179
; %bb.2174:
	s_cmp_gt_i32 s20, 27
	s_cbranch_scc0 .LBB39_2176
; %bb.2175:
	v_cndmask_b32_e64 v2, 0, 1, s[10:11]
	global_store_dword v[0:1], v2, off
	s_mov_b64 s[6:7], 0
.LBB39_2176:
	s_andn2_b64 vcc, exec, s[6:7]
	s_cbranch_vccnz .LBB39_2178
; %bb.2177:
	v_cndmask_b32_e64 v2, 0, 1, s[10:11]
	global_store_short v[0:1], v2, off
.LBB39_2178:
	s_mov_b64 s[6:7], 0
.LBB39_2179:
	s_andn2_b64 vcc, exec, s[6:7]
	s_cbranch_vccnz .LBB39_2187
; %bb.2180:
	v_cndmask_b32_e64 v3, 0, 1.0, s[10:11]
	s_mov_b32 s6, 0x43800000
	v_cmp_gt_u32_e32 vcc, s6, v3
	v_mov_b32_e32 v4, 0x80
	s_and_saveexec_b64 s[6:7], vcc
	s_cbranch_execz .LBB39_2186
; %bb.2181:
	s_mov_b32 s8, 0x3bffffff
	v_cmp_lt_u32_e32 vcc, s8, v3
	s_mov_b64 s[8:9], 0
                                        ; implicit-def: $vgpr2
	s_and_saveexec_b64 s[12:13], vcc
	s_xor_b64 s[12:13], exec, s[12:13]
	s_cbranch_execz .LBB39_2248
; %bb.2182:
	v_bfe_u32 v2, v3, 20, 1
	s_mov_b32 s14, 0x487ffff
	v_add3_u32 v2, v3, v2, s14
	s_mov_b64 s[8:9], exec
	v_lshrrev_b32_e32 v2, 20, v2
                                        ; implicit-def: $vgpr3
	s_andn2_saveexec_b64 s[12:13], s[12:13]
	s_cbranch_execnz .LBB39_2249
.LBB39_2183:
	s_or_b64 exec, exec, s[12:13]
	v_mov_b32_e32 v4, 0
	s_and_saveexec_b64 s[12:13], s[8:9]
.LBB39_2184:
	v_mov_b32_e32 v4, v2
.LBB39_2185:
	s_or_b64 exec, exec, s[12:13]
.LBB39_2186:
	s_or_b64 exec, exec, s[6:7]
	global_store_byte v[0:1], v4, off
.LBB39_2187:
	s_mov_b64 s[6:7], 0
.LBB39_2188:
	s_and_b64 vcc, exec, s[6:7]
	s_cbranch_vccz .LBB39_2228
; %bb.2189:
	s_cmp_gt_i32 s20, 22
	s_mov_b64 s[4:5], -1
	s_cbranch_scc0 .LBB39_2221
; %bb.2190:
	s_cmp_lt_i32 s20, 24
	s_cbranch_scc1 .LBB39_2210
; %bb.2191:
	s_cmp_gt_i32 s20, 24
	s_cbranch_scc0 .LBB39_2199
; %bb.2192:
	v_cndmask_b32_e64 v3, 0, 1.0, s[10:11]
	s_mov_b32 s4, 0x47800000
	v_cmp_gt_u32_e32 vcc, s4, v3
	v_mov_b32_e32 v4, 0x80
	s_and_saveexec_b64 s[4:5], vcc
	s_cbranch_execz .LBB39_2198
; %bb.2193:
	s_mov_b32 s6, 0x37ffffff
	v_cmp_lt_u32_e32 vcc, s6, v3
	s_mov_b64 s[6:7], 0
                                        ; implicit-def: $vgpr2
	s_and_saveexec_b64 s[8:9], vcc
	s_xor_b64 s[8:9], exec, s[8:9]
	s_cbranch_execz .LBB39_2251
; %bb.2194:
	v_bfe_u32 v2, v3, 21, 1
	s_mov_b32 s12, 0x88fffff
	v_add3_u32 v2, v3, v2, s12
	s_mov_b64 s[6:7], exec
	v_lshrrev_b32_e32 v2, 21, v2
                                        ; implicit-def: $vgpr3
	s_andn2_saveexec_b64 s[8:9], s[8:9]
	s_cbranch_execnz .LBB39_2252
.LBB39_2195:
	s_or_b64 exec, exec, s[8:9]
	v_mov_b32_e32 v4, 0
	s_and_saveexec_b64 s[8:9], s[6:7]
.LBB39_2196:
	v_mov_b32_e32 v4, v2
.LBB39_2197:
	s_or_b64 exec, exec, s[8:9]
.LBB39_2198:
	s_or_b64 exec, exec, s[4:5]
	s_mov_b64 s[4:5], 0
	global_store_byte v[0:1], v4, off
.LBB39_2199:
	s_and_b64 vcc, exec, s[4:5]
	s_cbranch_vccz .LBB39_2209
; %bb.2200:
	v_cndmask_b32_e64 v2, 0, 1.0, s[10:11]
	s_mov_b32 s4, 0x43f00000
	v_cmp_gt_u32_e32 vcc, s4, v2
                                        ; implicit-def: $vgpr3
	s_and_saveexec_b64 s[4:5], vcc
	s_xor_b64 s[4:5], exec, s[4:5]
	s_cbranch_execz .LBB39_2206
; %bb.2201:
	s_mov_b32 s6, 0x3c7fffff
	v_cmp_lt_u32_e32 vcc, s6, v2
                                        ; implicit-def: $vgpr3
	s_and_saveexec_b64 s[6:7], vcc
	s_xor_b64 s[6:7], exec, s[6:7]
; %bb.2202:
	v_bfe_u32 v3, v2, 20, 1
	s_mov_b32 s8, 0x407ffff
	v_add3_u32 v2, v2, v3, s8
	v_lshrrev_b32_e32 v3, 20, v2
	v_and_b32_e32 v2, 0xff00000, v2
	s_mov_b32 s8, 0x7f00000
	v_mov_b32_e32 v4, 0x7e
	v_cmp_ne_u32_e32 vcc, s8, v2
	v_cndmask_b32_e32 v3, v4, v3, vcc
                                        ; implicit-def: $vgpr2
; %bb.2203:
	s_andn2_saveexec_b64 s[6:7], s[6:7]
; %bb.2204:
	v_add_f32_e32 v3, 0x46800000, v2
; %bb.2205:
	s_or_b64 exec, exec, s[6:7]
                                        ; implicit-def: $vgpr2
.LBB39_2206:
	s_andn2_saveexec_b64 s[4:5], s[4:5]
; %bb.2207:
	s_mov_b32 s6, 0x7f800000
	v_mov_b32_e32 v3, 0x7e
	v_mov_b32_e32 v4, 0x7f
	v_cmp_lt_u32_e32 vcc, s6, v2
	v_cndmask_b32_e32 v3, v3, v4, vcc
; %bb.2208:
	s_or_b64 exec, exec, s[4:5]
	global_store_byte v[0:1], v3, off
.LBB39_2209:
	s_mov_b64 s[4:5], 0
.LBB39_2210:
	s_andn2_b64 vcc, exec, s[4:5]
	s_cbranch_vccnz .LBB39_2220
; %bb.2211:
	v_cndmask_b32_e64 v2, 0, 1.0, s[10:11]
	s_mov_b32 s4, 0x47800000
	v_cmp_gt_u32_e32 vcc, s4, v2
                                        ; implicit-def: $vgpr3
	s_and_saveexec_b64 s[4:5], vcc
	s_xor_b64 s[4:5], exec, s[4:5]
	s_cbranch_execz .LBB39_2217
; %bb.2212:
	s_mov_b32 s6, 0x387fffff
	v_cmp_lt_u32_e32 vcc, s6, v2
                                        ; implicit-def: $vgpr3
	s_and_saveexec_b64 s[6:7], vcc
	s_xor_b64 s[6:7], exec, s[6:7]
; %bb.2213:
	v_bfe_u32 v3, v2, 21, 1
	s_mov_b32 s8, 0x80fffff
	v_add3_u32 v2, v2, v3, s8
	v_lshrrev_b32_e32 v3, 21, v2
                                        ; implicit-def: $vgpr2
; %bb.2214:
	s_andn2_saveexec_b64 s[6:7], s[6:7]
; %bb.2215:
	v_add_f32_e32 v3, 0x43000000, v2
; %bb.2216:
	s_or_b64 exec, exec, s[6:7]
                                        ; implicit-def: $vgpr2
.LBB39_2217:
	s_andn2_saveexec_b64 s[4:5], s[4:5]
; %bb.2218:
	s_mov_b32 s6, 0x7f800000
	v_mov_b32_e32 v3, 0x7c
	v_mov_b32_e32 v4, 0x7f
	v_cmp_lt_u32_e32 vcc, s6, v2
	v_cndmask_b32_e32 v3, v3, v4, vcc
; %bb.2219:
	s_or_b64 exec, exec, s[4:5]
	global_store_byte v[0:1], v3, off
.LBB39_2220:
	s_mov_b64 s[4:5], 0
.LBB39_2221:
	s_andn2_b64 vcc, exec, s[4:5]
	s_mov_b64 s[4:5], 0
	s_cbranch_vccnz .LBB39_2228
; %bb.2222:
	s_cmp_gt_i32 s20, 14
	s_mov_b64 s[6:7], -1
	s_cbranch_scc0 .LBB39_2226
; %bb.2223:
	s_cmp_eq_u32 s20, 15
	s_mov_b64 s[0:1], -1
	s_cbranch_scc0 .LBB39_2225
; %bb.2224:
	v_cndmask_b32_e64 v2, 0, 1.0, s[10:11]
	v_bfe_u32 v3, v2, 16, 1
	s_movk_i32 s0, 0x7fff
	v_add3_u32 v2, v2, v3, s0
	global_store_short_d16_hi v[0:1], v2, off
	s_mov_b64 s[0:1], 0
.LBB39_2225:
	s_mov_b64 s[6:7], 0
.LBB39_2226:
	s_and_b64 vcc, exec, s[6:7]
	s_cbranch_vccz .LBB39_2228
; %bb.2227:
	s_cmp_lg_u32 s20, 11
	s_mov_b64 s[4:5], -1
	s_cselect_b64 s[0:1], -1, 0
.LBB39_2228:
	s_and_b64 vcc, exec, s[0:1]
	s_cbranch_vccnz .LBB39_2250
.LBB39_2229:
	s_mov_b64 s[0:1], 0
	s_branch .LBB39_1740
.LBB39_2230:
	s_mov_b64 s[0:1], 0
	s_branch .LBB39_1739
.LBB39_2231:
	s_mov_b64 s[4:5], 0
	s_mov_b64 s[0:1], -1
	s_branch .LBB39_1740
.LBB39_2232:
	s_trap 2
	s_or_b64 s[2:3], s[2:3], exec
	s_cbranch_execz .LBB39_1682
	s_branch .LBB39_1683
.LBB39_2233:
	s_andn2_saveexec_b64 s[20:21], s[20:21]
	s_cbranch_execz .LBB39_1823
.LBB39_2234:
	v_add_f32_e32 v1, 0x46000000, v3
	v_and_b32_e32 v1, 0xff, v1
	v_cmp_ne_u32_e32 vcc, 0, v1
	s_andn2_b64 s[18:19], s[18:19], exec
	s_and_b64 s[24:25], vcc, exec
	s_or_b64 s[18:19], s[18:19], s[24:25]
	s_or_b64 exec, exec, s[20:21]
	v_mov_b32_e32 v7, 0
	s_and_saveexec_b64 s[20:21], s[18:19]
	s_cbranch_execnz .LBB39_1824
	s_branch .LBB39_1825
.LBB39_2235:
	s_trap 2
	s_or_b64 s[2:3], s[2:3], exec
	s_cbranch_execz .LBB39_1871
	s_branch .LBB39_1872
.LBB39_2236:
	s_andn2_saveexec_b64 s[18:19], s[18:19]
	s_cbranch_execz .LBB39_1836
.LBB39_2237:
	v_add_f32_e32 v1, 0x42800000, v3
	v_and_b32_e32 v1, 0xff, v1
	v_cmp_ne_u32_e32 vcc, 0, v1
	s_andn2_b64 s[16:17], s[16:17], exec
	s_and_b64 s[20:21], vcc, exec
	s_or_b64 s[16:17], s[16:17], s[20:21]
	s_or_b64 exec, exec, s[18:19]
	v_mov_b32_e32 v7, 0
	s_and_saveexec_b64 s[18:19], s[16:17]
	s_cbranch_execnz .LBB39_1837
	s_branch .LBB39_1838
.LBB39_2238:
	s_andn2_saveexec_b64 s[18:19], s[18:19]
	s_cbranch_execz .LBB39_1944
.LBB39_2239:
	v_add_f32_e32 v1, 0x46000000, v5
	v_and_b32_e32 v1, 0xff, v1
	v_cmp_ne_u32_e32 vcc, 0, v1
	s_andn2_b64 s[16:17], s[16:17], exec
	s_and_b64 s[24:25], vcc, exec
	s_or_b64 s[16:17], s[16:17], s[24:25]
	s_or_b64 exec, exec, s[18:19]
	v_mov_b32_e32 v6, 0
	s_and_saveexec_b64 s[18:19], s[16:17]
	s_cbranch_execnz .LBB39_1945
	s_branch .LBB39_1946
.LBB39_2240:
	s_trap 2
	s_or_b64 s[2:3], s[2:3], exec
	s_cbranch_execz .LBB39_1992
	s_branch .LBB39_1993
.LBB39_2241:
	s_andn2_saveexec_b64 s[16:17], s[16:17]
	s_cbranch_execz .LBB39_1957
.LBB39_2242:
	v_add_f32_e32 v1, 0x42800000, v5
	v_and_b32_e32 v1, 0xff, v1
	v_cmp_ne_u32_e32 vcc, 0, v1
	s_andn2_b64 s[14:15], s[14:15], exec
	s_and_b64 s[18:19], vcc, exec
	s_or_b64 s[14:15], s[14:15], s[18:19]
	s_or_b64 exec, exec, s[16:17]
	v_mov_b32_e32 v6, 0
	s_and_saveexec_b64 s[16:17], s[14:15]
	s_cbranch_execnz .LBB39_1958
	s_branch .LBB39_1959
.LBB39_2243:
	s_andn2_saveexec_b64 s[16:17], s[16:17]
	s_cbranch_execz .LBB39_2063
.LBB39_2244:
	v_add_f32_e32 v3, 0x46000000, v4
	v_and_b32_e32 v3, 0xff, v3
	v_cmp_ne_u32_e32 vcc, 0, v3
	s_andn2_b64 s[14:15], s[14:15], exec
	s_and_b64 s[18:19], vcc, exec
	s_or_b64 s[14:15], s[14:15], s[18:19]
	s_or_b64 exec, exec, s[16:17]
	v_mov_b32_e32 v5, 0
	s_and_saveexec_b64 s[16:17], s[14:15]
	s_cbranch_execnz .LBB39_2064
	s_branch .LBB39_2065
.LBB39_2245:
	s_trap 2
	s_or_b64 s[2:3], s[2:3], exec
	s_cbranch_execz .LBB39_2111
	s_branch .LBB39_2112
.LBB39_2246:
	s_andn2_saveexec_b64 s[14:15], s[14:15]
	s_cbranch_execz .LBB39_2076
.LBB39_2247:
	v_add_f32_e32 v3, 0x42800000, v4
	v_and_b32_e32 v3, 0xff, v3
	v_cmp_ne_u32_e32 vcc, 0, v3
	s_andn2_b64 s[6:7], s[6:7], exec
	s_and_b64 s[16:17], vcc, exec
	s_or_b64 s[6:7], s[6:7], s[16:17]
	s_or_b64 exec, exec, s[14:15]
	v_mov_b32_e32 v5, 0
	s_and_saveexec_b64 s[14:15], s[6:7]
	s_cbranch_execnz .LBB39_2077
	s_branch .LBB39_2078
.LBB39_2248:
	s_andn2_saveexec_b64 s[12:13], s[12:13]
	s_cbranch_execz .LBB39_2183
.LBB39_2249:
	v_add_f32_e32 v2, 0x46000000, v3
	v_and_b32_e32 v2, 0xff, v2
	v_cmp_ne_u32_e32 vcc, 0, v2
	s_andn2_b64 s[8:9], s[8:9], exec
	s_and_b64 s[14:15], vcc, exec
	s_or_b64 s[8:9], s[8:9], s[14:15]
	s_or_b64 exec, exec, s[12:13]
	v_mov_b32_e32 v4, 0
	s_and_saveexec_b64 s[12:13], s[8:9]
	s_cbranch_execnz .LBB39_2184
	s_branch .LBB39_2185
.LBB39_2250:
	s_mov_b64 s[4:5], 0
	s_or_b64 s[2:3], s[2:3], exec
	s_trap 2
	s_branch .LBB39_2229
.LBB39_2251:
	s_andn2_saveexec_b64 s[8:9], s[8:9]
	s_cbranch_execz .LBB39_2195
.LBB39_2252:
	v_add_f32_e32 v2, 0x42800000, v3
	v_and_b32_e32 v2, 0xff, v2
	v_cmp_ne_u32_e32 vcc, 0, v2
	s_andn2_b64 s[6:7], s[6:7], exec
	s_and_b64 s[12:13], vcc, exec
	s_or_b64 s[6:7], s[6:7], s[12:13]
	s_or_b64 exec, exec, s[8:9]
	v_mov_b32_e32 v4, 0
	s_and_saveexec_b64 s[8:9], s[6:7]
	s_cbranch_execnz .LBB39_2196
	s_branch .LBB39_2197
	.section	.rodata,"a",@progbits
	.p2align	6, 0x0
	.amdhsa_kernel _ZN2at6native32elementwise_kernel_manual_unrollILi128ELi4EZNS0_15gpu_kernel_implIZNS0_21compare_scalar_kernelIiEEvRNS_18TensorIteratorBaseENS0_12_GLOBAL__N_16OpTypeET_EUliE_EEvS5_RKS8_EUlibE0_EEviT1_
		.amdhsa_group_segment_fixed_size 0
		.amdhsa_private_segment_fixed_size 0
		.amdhsa_kernarg_size 368
		.amdhsa_user_sgpr_count 6
		.amdhsa_user_sgpr_private_segment_buffer 1
		.amdhsa_user_sgpr_dispatch_ptr 0
		.amdhsa_user_sgpr_queue_ptr 0
		.amdhsa_user_sgpr_kernarg_segment_ptr 1
		.amdhsa_user_sgpr_dispatch_id 0
		.amdhsa_user_sgpr_flat_scratch_init 0
		.amdhsa_user_sgpr_private_segment_size 0
		.amdhsa_uses_dynamic_stack 0
		.amdhsa_system_sgpr_private_segment_wavefront_offset 0
		.amdhsa_system_sgpr_workgroup_id_x 1
		.amdhsa_system_sgpr_workgroup_id_y 0
		.amdhsa_system_sgpr_workgroup_id_z 0
		.amdhsa_system_sgpr_workgroup_info 0
		.amdhsa_system_vgpr_workitem_id 0
		.amdhsa_next_free_vgpr 18
		.amdhsa_next_free_sgpr 80
		.amdhsa_reserve_vcc 1
		.amdhsa_reserve_flat_scratch 0
		.amdhsa_float_round_mode_32 0
		.amdhsa_float_round_mode_16_64 0
		.amdhsa_float_denorm_mode_32 3
		.amdhsa_float_denorm_mode_16_64 3
		.amdhsa_dx10_clamp 1
		.amdhsa_ieee_mode 1
		.amdhsa_fp16_overflow 0
		.amdhsa_exception_fp_ieee_invalid_op 0
		.amdhsa_exception_fp_denorm_src 0
		.amdhsa_exception_fp_ieee_div_zero 0
		.amdhsa_exception_fp_ieee_overflow 0
		.amdhsa_exception_fp_ieee_underflow 0
		.amdhsa_exception_fp_ieee_inexact 0
		.amdhsa_exception_int_div_zero 0
	.end_amdhsa_kernel
	.section	.text._ZN2at6native32elementwise_kernel_manual_unrollILi128ELi4EZNS0_15gpu_kernel_implIZNS0_21compare_scalar_kernelIiEEvRNS_18TensorIteratorBaseENS0_12_GLOBAL__N_16OpTypeET_EUliE_EEvS5_RKS8_EUlibE0_EEviT1_,"axG",@progbits,_ZN2at6native32elementwise_kernel_manual_unrollILi128ELi4EZNS0_15gpu_kernel_implIZNS0_21compare_scalar_kernelIiEEvRNS_18TensorIteratorBaseENS0_12_GLOBAL__N_16OpTypeET_EUliE_EEvS5_RKS8_EUlibE0_EEviT1_,comdat
.Lfunc_end39:
	.size	_ZN2at6native32elementwise_kernel_manual_unrollILi128ELi4EZNS0_15gpu_kernel_implIZNS0_21compare_scalar_kernelIiEEvRNS_18TensorIteratorBaseENS0_12_GLOBAL__N_16OpTypeET_EUliE_EEvS5_RKS8_EUlibE0_EEviT1_, .Lfunc_end39-_ZN2at6native32elementwise_kernel_manual_unrollILi128ELi4EZNS0_15gpu_kernel_implIZNS0_21compare_scalar_kernelIiEEvRNS_18TensorIteratorBaseENS0_12_GLOBAL__N_16OpTypeET_EUliE_EEvS5_RKS8_EUlibE0_EEviT1_
                                        ; -- End function
	.set _ZN2at6native32elementwise_kernel_manual_unrollILi128ELi4EZNS0_15gpu_kernel_implIZNS0_21compare_scalar_kernelIiEEvRNS_18TensorIteratorBaseENS0_12_GLOBAL__N_16OpTypeET_EUliE_EEvS5_RKS8_EUlibE0_EEviT1_.num_vgpr, 18
	.set _ZN2at6native32elementwise_kernel_manual_unrollILi128ELi4EZNS0_15gpu_kernel_implIZNS0_21compare_scalar_kernelIiEEvRNS_18TensorIteratorBaseENS0_12_GLOBAL__N_16OpTypeET_EUliE_EEvS5_RKS8_EUlibE0_EEviT1_.num_agpr, 0
	.set _ZN2at6native32elementwise_kernel_manual_unrollILi128ELi4EZNS0_15gpu_kernel_implIZNS0_21compare_scalar_kernelIiEEvRNS_18TensorIteratorBaseENS0_12_GLOBAL__N_16OpTypeET_EUliE_EEvS5_RKS8_EUlibE0_EEviT1_.numbered_sgpr, 80
	.set _ZN2at6native32elementwise_kernel_manual_unrollILi128ELi4EZNS0_15gpu_kernel_implIZNS0_21compare_scalar_kernelIiEEvRNS_18TensorIteratorBaseENS0_12_GLOBAL__N_16OpTypeET_EUliE_EEvS5_RKS8_EUlibE0_EEviT1_.num_named_barrier, 0
	.set _ZN2at6native32elementwise_kernel_manual_unrollILi128ELi4EZNS0_15gpu_kernel_implIZNS0_21compare_scalar_kernelIiEEvRNS_18TensorIteratorBaseENS0_12_GLOBAL__N_16OpTypeET_EUliE_EEvS5_RKS8_EUlibE0_EEviT1_.private_seg_size, 0
	.set _ZN2at6native32elementwise_kernel_manual_unrollILi128ELi4EZNS0_15gpu_kernel_implIZNS0_21compare_scalar_kernelIiEEvRNS_18TensorIteratorBaseENS0_12_GLOBAL__N_16OpTypeET_EUliE_EEvS5_RKS8_EUlibE0_EEviT1_.uses_vcc, 1
	.set _ZN2at6native32elementwise_kernel_manual_unrollILi128ELi4EZNS0_15gpu_kernel_implIZNS0_21compare_scalar_kernelIiEEvRNS_18TensorIteratorBaseENS0_12_GLOBAL__N_16OpTypeET_EUliE_EEvS5_RKS8_EUlibE0_EEviT1_.uses_flat_scratch, 0
	.set _ZN2at6native32elementwise_kernel_manual_unrollILi128ELi4EZNS0_15gpu_kernel_implIZNS0_21compare_scalar_kernelIiEEvRNS_18TensorIteratorBaseENS0_12_GLOBAL__N_16OpTypeET_EUliE_EEvS5_RKS8_EUlibE0_EEviT1_.has_dyn_sized_stack, 0
	.set _ZN2at6native32elementwise_kernel_manual_unrollILi128ELi4EZNS0_15gpu_kernel_implIZNS0_21compare_scalar_kernelIiEEvRNS_18TensorIteratorBaseENS0_12_GLOBAL__N_16OpTypeET_EUliE_EEvS5_RKS8_EUlibE0_EEviT1_.has_recursion, 0
	.set _ZN2at6native32elementwise_kernel_manual_unrollILi128ELi4EZNS0_15gpu_kernel_implIZNS0_21compare_scalar_kernelIiEEvRNS_18TensorIteratorBaseENS0_12_GLOBAL__N_16OpTypeET_EUliE_EEvS5_RKS8_EUlibE0_EEviT1_.has_indirect_call, 0
	.section	.AMDGPU.csdata,"",@progbits
; Kernel info:
; codeLenInByte = 36376
; TotalNumSgprs: 84
; NumVgprs: 18
; ScratchSize: 0
; MemoryBound: 1
; FloatMode: 240
; IeeeMode: 1
; LDSByteSize: 0 bytes/workgroup (compile time only)
; SGPRBlocks: 10
; VGPRBlocks: 4
; NumSGPRsForWavesPerEU: 84
; NumVGPRsForWavesPerEU: 18
; Occupancy: 9
; WaveLimiterHint : 1
; COMPUTE_PGM_RSRC2:SCRATCH_EN: 0
; COMPUTE_PGM_RSRC2:USER_SGPR: 6
; COMPUTE_PGM_RSRC2:TRAP_HANDLER: 0
; COMPUTE_PGM_RSRC2:TGID_X_EN: 1
; COMPUTE_PGM_RSRC2:TGID_Y_EN: 0
; COMPUTE_PGM_RSRC2:TGID_Z_EN: 0
; COMPUTE_PGM_RSRC2:TIDIG_COMP_CNT: 0
	.section	.text._ZN2at6native29vectorized_elementwise_kernelILi16ENS0_12_GLOBAL__N_114CompareFunctorIiEESt5arrayIPcLm3EEEEviT0_T1_,"axG",@progbits,_ZN2at6native29vectorized_elementwise_kernelILi16ENS0_12_GLOBAL__N_114CompareFunctorIiEESt5arrayIPcLm3EEEEviT0_T1_,comdat
	.globl	_ZN2at6native29vectorized_elementwise_kernelILi16ENS0_12_GLOBAL__N_114CompareFunctorIiEESt5arrayIPcLm3EEEEviT0_T1_ ; -- Begin function _ZN2at6native29vectorized_elementwise_kernelILi16ENS0_12_GLOBAL__N_114CompareFunctorIiEESt5arrayIPcLm3EEEEviT0_T1_
	.p2align	8
	.type	_ZN2at6native29vectorized_elementwise_kernelILi16ENS0_12_GLOBAL__N_114CompareFunctorIiEESt5arrayIPcLm3EEEEviT0_T1_,@function
_ZN2at6native29vectorized_elementwise_kernelILi16ENS0_12_GLOBAL__N_114CompareFunctorIiEESt5arrayIPcLm3EEEEviT0_T1_: ; @_ZN2at6native29vectorized_elementwise_kernelILi16ENS0_12_GLOBAL__N_114CompareFunctorIiEESt5arrayIPcLm3EEEEviT0_T1_
; %bb.0:
	s_load_dwordx2 s[12:13], s[4:5], 0x0
	s_load_dwordx4 s[8:11], s[4:5], 0x8
	s_load_dwordx2 s[14:15], s[4:5], 0x18
	s_lshl_b32 s2, s6, 12
	s_mov_b64 s[0:1], -1
	s_waitcnt lgkmcnt(0)
	s_sub_i32 s12, s12, s2
	s_cmpk_gt_i32 s12, 0xfff
	s_cbranch_scc0 .LBB40_211
; %bb.1:
	s_ashr_i32 s3, s2, 31
	s_lshl_b64 s[0:1], s[2:3], 2
	s_add_u32 s4, s10, s0
	s_addc_u32 s5, s11, s1
	s_add_u32 s0, s14, s0
	v_lshlrev_b32_e32 v33, 6, v0
	s_addc_u32 s1, s15, s1
	global_load_dwordx4 v[1:4], v33, s[4:5] offset:48
	global_load_dwordx4 v[9:12], v33, s[4:5] offset:32
	;; [unrolled: 1-line block ×3, first 2 shown]
	global_load_dwordx4 v[25:28], v33, s[4:5]
	global_load_dwordx4 v[5:8], v33, s[0:1] offset:48
	global_load_dwordx4 v[13:16], v33, s[0:1] offset:32
	;; [unrolled: 1-line block ×3, first 2 shown]
	global_load_dwordx4 v[29:32], v33, s[0:1]
	s_cmp_lt_i32 s13, 1
	s_mov_b64 s[4:5], 0
	s_cbranch_scc1 .LBB40_5
; %bb.2:
	s_cmp_gt_i32 s13, 1
	s_cbranch_scc0 .LBB40_6
; %bb.3:
	s_cmp_eq_u32 s13, 2
	s_cbranch_scc0 .LBB40_7
; %bb.4:
	s_waitcnt vmcnt(0)
	v_cmp_le_i32_e64 s[0:1], v25, v29
	s_mov_b64 s[6:7], 0
	s_branch .LBB40_8
.LBB40_5:
                                        ; implicit-def: $sgpr0_sgpr1
	s_mov_b64 s[6:7], 0
	s_cbranch_execnz .LBB40_11
	s_branch .LBB40_12
.LBB40_6:
	s_mov_b64 s[6:7], 0
                                        ; implicit-def: $sgpr0_sgpr1
	s_cbranch_execnz .LBB40_9
	s_branch .LBB40_10
.LBB40_7:
	s_mov_b64 s[6:7], -1
                                        ; implicit-def: $sgpr0_sgpr1
.LBB40_8:
	s_branch .LBB40_10
.LBB40_9:
	s_waitcnt vmcnt(0)
	v_cmp_gt_i32_e32 vcc, v25, v29
	s_andn2_b64 s[0:1], s[0:1], exec
	s_and_b64 s[16:17], vcc, exec
	s_or_b64 s[0:1], s[0:1], s[16:17]
.LBB40_10:
	s_branch .LBB40_12
.LBB40_11:
	s_cmp_lg_u32 s13, 0
	s_mov_b64 s[4:5], -1
	s_cselect_b64 s[6:7], -1, 0
.LBB40_12:
	s_andn2_b64 vcc, exec, s[6:7]
	s_cbranch_vccz .LBB40_18
; %bb.13:
	s_andn2_b64 vcc, exec, s[4:5]
	s_cbranch_vccz .LBB40_19
.LBB40_14:
	s_cmp_lt_i32 s13, 1
	s_mov_b64 s[6:7], 0
	s_cbranch_scc1 .LBB40_20
.LBB40_15:
	s_cmp_gt_i32 s13, 1
	s_cbranch_scc0 .LBB40_21
; %bb.16:
	s_cmp_eq_u32 s13, 2
	s_cbranch_scc0 .LBB40_251
; %bb.17:
	s_waitcnt vmcnt(0)
	v_cmp_le_i32_e64 s[4:5], v26, v30
	s_mov_b64 s[16:17], 0
	s_branch .LBB40_23
.LBB40_18:
	s_waitcnt vmcnt(0)
	v_cmp_lt_i32_e32 vcc, v25, v29
	s_andn2_b64 s[0:1], s[0:1], exec
	s_and_b64 s[6:7], vcc, exec
	s_or_b64 s[0:1], s[0:1], s[6:7]
	s_cbranch_execnz .LBB40_14
.LBB40_19:
	s_waitcnt vmcnt(0)
	v_cmp_ge_i32_e32 vcc, v25, v29
	s_andn2_b64 s[0:1], s[0:1], exec
	s_and_b64 s[4:5], vcc, exec
	s_or_b64 s[0:1], s[0:1], s[4:5]
	s_cmp_lt_i32 s13, 1
	s_mov_b64 s[6:7], 0
	s_cbranch_scc0 .LBB40_15
.LBB40_20:
                                        ; implicit-def: $sgpr4_sgpr5
	s_mov_b64 s[16:17], 0
	s_cbranch_execnz .LBB40_24
	s_branch .LBB40_25
.LBB40_21:
	s_mov_b64 s[16:17], 0
                                        ; implicit-def: $sgpr4_sgpr5
	s_cbranch_execz .LBB40_23
; %bb.22:
	s_waitcnt vmcnt(0)
	v_cmp_gt_i32_e32 vcc, v26, v30
	s_andn2_b64 s[4:5], s[4:5], exec
	s_and_b64 s[18:19], vcc, exec
	s_or_b64 s[4:5], s[4:5], s[18:19]
.LBB40_23:
	s_branch .LBB40_25
.LBB40_24:
	s_cmp_lg_u32 s13, 0
	s_mov_b64 s[6:7], -1
	s_cselect_b64 s[16:17], -1, 0
.LBB40_25:
	s_andn2_b64 vcc, exec, s[16:17]
	s_cbranch_vccz .LBB40_31
; %bb.26:
	s_andn2_b64 vcc, exec, s[6:7]
	s_cbranch_vccz .LBB40_32
.LBB40_27:
	s_cmp_lt_i32 s13, 1
	s_mov_b64 s[16:17], 0
	s_cbranch_scc1 .LBB40_33
.LBB40_28:
	s_cmp_gt_i32 s13, 1
	s_cbranch_scc0 .LBB40_34
; %bb.29:
	s_cmp_eq_u32 s13, 2
	s_cbranch_scc0 .LBB40_252
; %bb.30:
	s_waitcnt vmcnt(0)
	v_cmp_le_i32_e64 s[6:7], v27, v31
	s_mov_b64 s[18:19], 0
	s_branch .LBB40_36
.LBB40_31:
	s_waitcnt vmcnt(0)
	v_cmp_lt_i32_e32 vcc, v26, v30
	s_andn2_b64 s[4:5], s[4:5], exec
	s_and_b64 s[16:17], vcc, exec
	s_or_b64 s[4:5], s[4:5], s[16:17]
	s_cbranch_execnz .LBB40_27
.LBB40_32:
	s_waitcnt vmcnt(0)
	v_cmp_ge_i32_e32 vcc, v26, v30
	s_andn2_b64 s[4:5], s[4:5], exec
	s_and_b64 s[6:7], vcc, exec
	s_or_b64 s[4:5], s[4:5], s[6:7]
	s_cmp_lt_i32 s13, 1
	s_mov_b64 s[16:17], 0
	s_cbranch_scc0 .LBB40_28
.LBB40_33:
                                        ; implicit-def: $sgpr6_sgpr7
	s_mov_b64 s[18:19], 0
	s_cbranch_execnz .LBB40_37
	s_branch .LBB40_38
.LBB40_34:
	s_mov_b64 s[18:19], 0
                                        ; implicit-def: $sgpr6_sgpr7
	s_cbranch_execz .LBB40_36
; %bb.35:
	s_waitcnt vmcnt(0)
	v_cmp_gt_i32_e32 vcc, v27, v31
	s_andn2_b64 s[6:7], s[6:7], exec
	s_and_b64 s[20:21], vcc, exec
	s_or_b64 s[6:7], s[6:7], s[20:21]
.LBB40_36:
	s_branch .LBB40_38
.LBB40_37:
	s_cmp_lg_u32 s13, 0
	s_mov_b64 s[16:17], -1
	s_cselect_b64 s[18:19], -1, 0
.LBB40_38:
	s_andn2_b64 vcc, exec, s[18:19]
	s_cbranch_vccz .LBB40_44
; %bb.39:
	s_andn2_b64 vcc, exec, s[16:17]
	s_cbranch_vccz .LBB40_45
.LBB40_40:
	s_cmp_lt_i32 s13, 1
	s_mov_b64 s[18:19], 0
	s_cbranch_scc1 .LBB40_46
.LBB40_41:
	s_cmp_gt_i32 s13, 1
	s_cbranch_scc0 .LBB40_47
; %bb.42:
	s_cmp_eq_u32 s13, 2
	s_cbranch_scc0 .LBB40_253
; %bb.43:
	s_waitcnt vmcnt(0)
	v_cmp_le_i32_e64 s[16:17], v28, v32
	s_mov_b64 s[20:21], 0
	s_branch .LBB40_49
.LBB40_44:
	s_waitcnt vmcnt(0)
	v_cmp_lt_i32_e32 vcc, v27, v31
	s_andn2_b64 s[6:7], s[6:7], exec
	s_and_b64 s[18:19], vcc, exec
	s_or_b64 s[6:7], s[6:7], s[18:19]
	s_cbranch_execnz .LBB40_40
.LBB40_45:
	s_waitcnt vmcnt(0)
	v_cmp_ge_i32_e32 vcc, v27, v31
	s_andn2_b64 s[6:7], s[6:7], exec
	s_and_b64 s[16:17], vcc, exec
	s_or_b64 s[6:7], s[6:7], s[16:17]
	s_cmp_lt_i32 s13, 1
	s_mov_b64 s[18:19], 0
	s_cbranch_scc0 .LBB40_41
.LBB40_46:
                                        ; implicit-def: $sgpr16_sgpr17
	s_mov_b64 s[20:21], 0
	s_cbranch_execnz .LBB40_50
	s_branch .LBB40_51
.LBB40_47:
	s_mov_b64 s[20:21], 0
                                        ; implicit-def: $sgpr16_sgpr17
	s_cbranch_execz .LBB40_49
; %bb.48:
	s_waitcnt vmcnt(0)
	v_cmp_gt_i32_e32 vcc, v28, v32
	s_andn2_b64 s[16:17], s[16:17], exec
	s_and_b64 s[22:23], vcc, exec
	s_or_b64 s[16:17], s[16:17], s[22:23]
.LBB40_49:
	s_branch .LBB40_51
.LBB40_50:
	s_cmp_lg_u32 s13, 0
	s_mov_b64 s[18:19], -1
	s_cselect_b64 s[20:21], -1, 0
.LBB40_51:
	s_andn2_b64 vcc, exec, s[20:21]
	s_cbranch_vccz .LBB40_57
; %bb.52:
	s_andn2_b64 vcc, exec, s[18:19]
	s_cbranch_vccz .LBB40_58
.LBB40_53:
	s_cmp_lt_i32 s13, 1
	s_mov_b64 s[20:21], 0
	s_cbranch_scc1 .LBB40_59
.LBB40_54:
	s_cmp_gt_i32 s13, 1
	s_cbranch_scc0 .LBB40_60
; %bb.55:
	s_cmp_eq_u32 s13, 2
	s_cbranch_scc0 .LBB40_254
; %bb.56:
	s_waitcnt vmcnt(1)
	v_cmp_le_i32_e64 s[18:19], v17, v21
	s_mov_b64 s[22:23], 0
	s_branch .LBB40_62
.LBB40_57:
	s_waitcnt vmcnt(0)
	v_cmp_lt_i32_e32 vcc, v28, v32
	s_andn2_b64 s[16:17], s[16:17], exec
	s_and_b64 s[20:21], vcc, exec
	s_or_b64 s[16:17], s[16:17], s[20:21]
	s_cbranch_execnz .LBB40_53
.LBB40_58:
	s_waitcnt vmcnt(0)
	v_cmp_ge_i32_e32 vcc, v28, v32
	s_andn2_b64 s[16:17], s[16:17], exec
	s_and_b64 s[18:19], vcc, exec
	s_or_b64 s[16:17], s[16:17], s[18:19]
	s_cmp_lt_i32 s13, 1
	s_mov_b64 s[20:21], 0
	s_cbranch_scc0 .LBB40_54
.LBB40_59:
                                        ; implicit-def: $sgpr18_sgpr19
	s_mov_b64 s[22:23], 0
	s_cbranch_execnz .LBB40_63
	s_branch .LBB40_64
.LBB40_60:
	s_mov_b64 s[22:23], 0
                                        ; implicit-def: $sgpr18_sgpr19
	s_cbranch_execz .LBB40_62
; %bb.61:
	s_waitcnt vmcnt(1)
	v_cmp_gt_i32_e32 vcc, v17, v21
	s_andn2_b64 s[18:19], s[18:19], exec
	s_and_b64 s[24:25], vcc, exec
	s_or_b64 s[18:19], s[18:19], s[24:25]
.LBB40_62:
	s_branch .LBB40_64
.LBB40_63:
	s_cmp_lg_u32 s13, 0
	s_mov_b64 s[20:21], -1
	s_cselect_b64 s[22:23], -1, 0
.LBB40_64:
	s_andn2_b64 vcc, exec, s[22:23]
	s_cbranch_vccz .LBB40_70
; %bb.65:
	s_andn2_b64 vcc, exec, s[20:21]
	s_cbranch_vccz .LBB40_71
.LBB40_66:
	s_cmp_lt_i32 s13, 1
	s_mov_b64 s[22:23], 0
	s_cbranch_scc1 .LBB40_72
.LBB40_67:
	s_cmp_gt_i32 s13, 1
	s_cbranch_scc0 .LBB40_73
; %bb.68:
	s_cmp_eq_u32 s13, 2
	s_cbranch_scc0 .LBB40_255
; %bb.69:
	s_waitcnt vmcnt(1)
	v_cmp_le_i32_e64 s[20:21], v18, v22
	s_mov_b64 s[24:25], 0
	s_branch .LBB40_75
.LBB40_70:
	s_waitcnt vmcnt(1)
	v_cmp_lt_i32_e32 vcc, v17, v21
	s_andn2_b64 s[18:19], s[18:19], exec
	s_and_b64 s[22:23], vcc, exec
	s_or_b64 s[18:19], s[18:19], s[22:23]
	s_cbranch_execnz .LBB40_66
.LBB40_71:
	s_waitcnt vmcnt(1)
	v_cmp_ge_i32_e32 vcc, v17, v21
	s_andn2_b64 s[18:19], s[18:19], exec
	s_and_b64 s[20:21], vcc, exec
	s_or_b64 s[18:19], s[18:19], s[20:21]
	s_cmp_lt_i32 s13, 1
	s_mov_b64 s[22:23], 0
	s_cbranch_scc0 .LBB40_67
.LBB40_72:
                                        ; implicit-def: $sgpr20_sgpr21
	s_mov_b64 s[24:25], 0
	s_cbranch_execnz .LBB40_76
	s_branch .LBB40_77
.LBB40_73:
	s_mov_b64 s[24:25], 0
                                        ; implicit-def: $sgpr20_sgpr21
	s_cbranch_execz .LBB40_75
; %bb.74:
	s_waitcnt vmcnt(1)
	v_cmp_gt_i32_e32 vcc, v18, v22
	s_andn2_b64 s[20:21], s[20:21], exec
	s_and_b64 s[26:27], vcc, exec
	s_or_b64 s[20:21], s[20:21], s[26:27]
.LBB40_75:
	s_branch .LBB40_77
.LBB40_76:
	s_cmp_lg_u32 s13, 0
	s_mov_b64 s[22:23], -1
	s_cselect_b64 s[24:25], -1, 0
.LBB40_77:
	s_andn2_b64 vcc, exec, s[24:25]
	s_cbranch_vccz .LBB40_83
; %bb.78:
	s_andn2_b64 vcc, exec, s[22:23]
	s_cbranch_vccz .LBB40_84
.LBB40_79:
	s_cmp_lt_i32 s13, 1
	s_mov_b64 s[24:25], 0
	s_cbranch_scc1 .LBB40_85
.LBB40_80:
	s_cmp_gt_i32 s13, 1
	s_cbranch_scc0 .LBB40_86
; %bb.81:
	s_cmp_eq_u32 s13, 2
	s_cbranch_scc0 .LBB40_256
; %bb.82:
	s_waitcnt vmcnt(1)
	v_cmp_le_i32_e64 s[22:23], v19, v23
	s_mov_b64 s[26:27], 0
	s_branch .LBB40_88
.LBB40_83:
	s_waitcnt vmcnt(1)
	v_cmp_lt_i32_e32 vcc, v18, v22
	s_andn2_b64 s[20:21], s[20:21], exec
	s_and_b64 s[24:25], vcc, exec
	s_or_b64 s[20:21], s[20:21], s[24:25]
	s_cbranch_execnz .LBB40_79
.LBB40_84:
	s_waitcnt vmcnt(1)
	v_cmp_ge_i32_e32 vcc, v18, v22
	s_andn2_b64 s[20:21], s[20:21], exec
	s_and_b64 s[22:23], vcc, exec
	s_or_b64 s[20:21], s[20:21], s[22:23]
	s_cmp_lt_i32 s13, 1
	s_mov_b64 s[24:25], 0
	s_cbranch_scc0 .LBB40_80
.LBB40_85:
                                        ; implicit-def: $sgpr22_sgpr23
	s_mov_b64 s[26:27], 0
	s_cbranch_execnz .LBB40_89
	s_branch .LBB40_90
.LBB40_86:
	s_mov_b64 s[26:27], 0
                                        ; implicit-def: $sgpr22_sgpr23
	s_cbranch_execz .LBB40_88
; %bb.87:
	s_waitcnt vmcnt(1)
	v_cmp_gt_i32_e32 vcc, v19, v23
	s_andn2_b64 s[22:23], s[22:23], exec
	s_and_b64 s[28:29], vcc, exec
	s_or_b64 s[22:23], s[22:23], s[28:29]
.LBB40_88:
	s_branch .LBB40_90
.LBB40_89:
	s_cmp_lg_u32 s13, 0
	s_mov_b64 s[24:25], -1
	s_cselect_b64 s[26:27], -1, 0
.LBB40_90:
	s_andn2_b64 vcc, exec, s[26:27]
	s_cbranch_vccz .LBB40_96
; %bb.91:
	s_andn2_b64 vcc, exec, s[24:25]
	s_cbranch_vccz .LBB40_97
.LBB40_92:
	s_cmp_lt_i32 s13, 1
	s_mov_b64 s[26:27], 0
	s_cbranch_scc1 .LBB40_98
.LBB40_93:
	s_cmp_gt_i32 s13, 1
	s_cbranch_scc0 .LBB40_99
; %bb.94:
	s_cmp_eq_u32 s13, 2
	s_cbranch_scc0 .LBB40_257
; %bb.95:
	s_waitcnt vmcnt(1)
	v_cmp_le_i32_e64 s[24:25], v20, v24
	s_mov_b64 s[28:29], 0
	s_branch .LBB40_101
.LBB40_96:
	s_waitcnt vmcnt(1)
	v_cmp_lt_i32_e32 vcc, v19, v23
	s_andn2_b64 s[22:23], s[22:23], exec
	s_and_b64 s[26:27], vcc, exec
	s_or_b64 s[22:23], s[22:23], s[26:27]
	s_cbranch_execnz .LBB40_92
.LBB40_97:
	s_waitcnt vmcnt(1)
	v_cmp_ge_i32_e32 vcc, v19, v23
	s_andn2_b64 s[22:23], s[22:23], exec
	s_and_b64 s[24:25], vcc, exec
	s_or_b64 s[22:23], s[22:23], s[24:25]
	s_cmp_lt_i32 s13, 1
	s_mov_b64 s[26:27], 0
	s_cbranch_scc0 .LBB40_93
.LBB40_98:
                                        ; implicit-def: $sgpr24_sgpr25
	s_mov_b64 s[28:29], 0
	s_cbranch_execnz .LBB40_102
	s_branch .LBB40_103
.LBB40_99:
	s_mov_b64 s[28:29], 0
                                        ; implicit-def: $sgpr24_sgpr25
	s_cbranch_execz .LBB40_101
; %bb.100:
	s_waitcnt vmcnt(1)
	v_cmp_gt_i32_e32 vcc, v20, v24
	s_andn2_b64 s[24:25], s[24:25], exec
	s_and_b64 s[30:31], vcc, exec
	s_or_b64 s[24:25], s[24:25], s[30:31]
.LBB40_101:
	s_branch .LBB40_103
.LBB40_102:
	s_cmp_lg_u32 s13, 0
	s_mov_b64 s[26:27], -1
	s_cselect_b64 s[28:29], -1, 0
.LBB40_103:
	s_andn2_b64 vcc, exec, s[28:29]
	s_cbranch_vccz .LBB40_109
; %bb.104:
	s_andn2_b64 vcc, exec, s[26:27]
	s_cbranch_vccz .LBB40_110
.LBB40_105:
	s_cmp_lt_i32 s13, 1
	s_mov_b64 s[28:29], 0
	s_cbranch_scc1 .LBB40_111
.LBB40_106:
	s_cmp_gt_i32 s13, 1
	s_cbranch_scc0 .LBB40_112
; %bb.107:
	s_cmp_eq_u32 s13, 2
	s_cbranch_scc0 .LBB40_258
; %bb.108:
	s_waitcnt vmcnt(2)
	v_cmp_le_i32_e64 s[26:27], v9, v13
	s_mov_b64 s[30:31], 0
	s_branch .LBB40_114
.LBB40_109:
	s_waitcnt vmcnt(1)
	v_cmp_lt_i32_e32 vcc, v20, v24
	s_andn2_b64 s[24:25], s[24:25], exec
	s_and_b64 s[28:29], vcc, exec
	s_or_b64 s[24:25], s[24:25], s[28:29]
	s_cbranch_execnz .LBB40_105
.LBB40_110:
	s_waitcnt vmcnt(1)
	v_cmp_ge_i32_e32 vcc, v20, v24
	s_andn2_b64 s[24:25], s[24:25], exec
	s_and_b64 s[26:27], vcc, exec
	s_or_b64 s[24:25], s[24:25], s[26:27]
	s_cmp_lt_i32 s13, 1
	s_mov_b64 s[28:29], 0
	s_cbranch_scc0 .LBB40_106
.LBB40_111:
                                        ; implicit-def: $sgpr26_sgpr27
	s_mov_b64 s[30:31], 0
	s_cbranch_execnz .LBB40_115
	s_branch .LBB40_116
.LBB40_112:
	s_mov_b64 s[30:31], 0
                                        ; implicit-def: $sgpr26_sgpr27
	s_cbranch_execz .LBB40_114
; %bb.113:
	s_waitcnt vmcnt(2)
	v_cmp_gt_i32_e32 vcc, v9, v13
	s_andn2_b64 s[26:27], s[26:27], exec
	s_and_b64 s[34:35], vcc, exec
	s_or_b64 s[26:27], s[26:27], s[34:35]
.LBB40_114:
	s_branch .LBB40_116
.LBB40_115:
	s_cmp_lg_u32 s13, 0
	s_mov_b64 s[28:29], -1
	s_cselect_b64 s[30:31], -1, 0
.LBB40_116:
	s_andn2_b64 vcc, exec, s[30:31]
	s_cbranch_vccz .LBB40_122
; %bb.117:
	s_andn2_b64 vcc, exec, s[28:29]
	s_cbranch_vccz .LBB40_123
.LBB40_118:
	s_cmp_lt_i32 s13, 1
	s_mov_b64 s[30:31], 0
	s_cbranch_scc1 .LBB40_124
.LBB40_119:
	s_cmp_gt_i32 s13, 1
	s_cbranch_scc0 .LBB40_125
; %bb.120:
	s_cmp_eq_u32 s13, 2
	s_cbranch_scc0 .LBB40_259
; %bb.121:
	s_waitcnt vmcnt(2)
	v_cmp_le_i32_e64 s[28:29], v10, v14
	s_mov_b64 s[34:35], 0
	s_branch .LBB40_127
.LBB40_122:
	s_waitcnt vmcnt(2)
	v_cmp_lt_i32_e32 vcc, v9, v13
	s_andn2_b64 s[26:27], s[26:27], exec
	s_and_b64 s[30:31], vcc, exec
	s_or_b64 s[26:27], s[26:27], s[30:31]
	s_cbranch_execnz .LBB40_118
.LBB40_123:
	s_waitcnt vmcnt(2)
	v_cmp_ge_i32_e32 vcc, v9, v13
	s_andn2_b64 s[26:27], s[26:27], exec
	s_and_b64 s[28:29], vcc, exec
	s_or_b64 s[26:27], s[26:27], s[28:29]
	s_cmp_lt_i32 s13, 1
	s_mov_b64 s[30:31], 0
	s_cbranch_scc0 .LBB40_119
.LBB40_124:
                                        ; implicit-def: $sgpr28_sgpr29
	s_mov_b64 s[34:35], 0
	s_cbranch_execnz .LBB40_128
	s_branch .LBB40_129
.LBB40_125:
	s_mov_b64 s[34:35], 0
                                        ; implicit-def: $sgpr28_sgpr29
	s_cbranch_execz .LBB40_127
; %bb.126:
	s_waitcnt vmcnt(2)
	v_cmp_gt_i32_e32 vcc, v10, v14
	s_andn2_b64 s[28:29], s[28:29], exec
	s_and_b64 s[36:37], vcc, exec
	s_or_b64 s[28:29], s[28:29], s[36:37]
.LBB40_127:
	s_branch .LBB40_129
.LBB40_128:
	s_cmp_lg_u32 s13, 0
	s_mov_b64 s[30:31], -1
	s_cselect_b64 s[34:35], -1, 0
.LBB40_129:
	s_andn2_b64 vcc, exec, s[34:35]
	s_cbranch_vccz .LBB40_135
; %bb.130:
	s_andn2_b64 vcc, exec, s[30:31]
	s_cbranch_vccz .LBB40_136
.LBB40_131:
	s_cmp_lt_i32 s13, 1
	s_mov_b64 s[34:35], 0
	s_cbranch_scc1 .LBB40_137
.LBB40_132:
	s_cmp_gt_i32 s13, 1
	s_cbranch_scc0 .LBB40_138
; %bb.133:
	s_cmp_eq_u32 s13, 2
	s_cbranch_scc0 .LBB40_260
; %bb.134:
	s_waitcnt vmcnt(2)
	v_cmp_le_i32_e64 s[30:31], v11, v15
	s_mov_b64 s[36:37], 0
	s_branch .LBB40_140
.LBB40_135:
	s_waitcnt vmcnt(2)
	v_cmp_lt_i32_e32 vcc, v10, v14
	s_andn2_b64 s[28:29], s[28:29], exec
	s_and_b64 s[34:35], vcc, exec
	s_or_b64 s[28:29], s[28:29], s[34:35]
	s_cbranch_execnz .LBB40_131
.LBB40_136:
	s_waitcnt vmcnt(2)
	v_cmp_ge_i32_e32 vcc, v10, v14
	s_andn2_b64 s[28:29], s[28:29], exec
	s_and_b64 s[30:31], vcc, exec
	s_or_b64 s[28:29], s[28:29], s[30:31]
	s_cmp_lt_i32 s13, 1
	s_mov_b64 s[34:35], 0
	s_cbranch_scc0 .LBB40_132
.LBB40_137:
                                        ; implicit-def: $sgpr30_sgpr31
	s_mov_b64 s[36:37], 0
	s_cbranch_execnz .LBB40_141
	s_branch .LBB40_142
.LBB40_138:
	s_mov_b64 s[36:37], 0
                                        ; implicit-def: $sgpr30_sgpr31
	s_cbranch_execz .LBB40_140
; %bb.139:
	s_waitcnt vmcnt(2)
	v_cmp_gt_i32_e32 vcc, v11, v15
	s_andn2_b64 s[30:31], s[30:31], exec
	s_and_b64 s[38:39], vcc, exec
	s_or_b64 s[30:31], s[30:31], s[38:39]
.LBB40_140:
	s_branch .LBB40_142
.LBB40_141:
	s_cmp_lg_u32 s13, 0
	s_mov_b64 s[34:35], -1
	s_cselect_b64 s[36:37], -1, 0
.LBB40_142:
	s_andn2_b64 vcc, exec, s[36:37]
	s_cbranch_vccz .LBB40_148
; %bb.143:
	s_andn2_b64 vcc, exec, s[34:35]
	s_cbranch_vccz .LBB40_149
.LBB40_144:
	s_cmp_lt_i32 s13, 1
	s_mov_b64 s[36:37], 0
	s_cbranch_scc1 .LBB40_150
.LBB40_145:
	s_cmp_gt_i32 s13, 1
	s_cbranch_scc0 .LBB40_151
; %bb.146:
	s_cmp_eq_u32 s13, 2
	s_cbranch_scc0 .LBB40_261
; %bb.147:
	s_waitcnt vmcnt(2)
	v_cmp_le_i32_e64 s[34:35], v12, v16
	s_mov_b64 s[38:39], 0
	s_branch .LBB40_153
.LBB40_148:
	s_waitcnt vmcnt(2)
	v_cmp_lt_i32_e32 vcc, v11, v15
	s_andn2_b64 s[30:31], s[30:31], exec
	s_and_b64 s[36:37], vcc, exec
	s_or_b64 s[30:31], s[30:31], s[36:37]
	s_cbranch_execnz .LBB40_144
.LBB40_149:
	s_waitcnt vmcnt(2)
	v_cmp_ge_i32_e32 vcc, v11, v15
	s_andn2_b64 s[30:31], s[30:31], exec
	s_and_b64 s[34:35], vcc, exec
	s_or_b64 s[30:31], s[30:31], s[34:35]
	s_cmp_lt_i32 s13, 1
	s_mov_b64 s[36:37], 0
	s_cbranch_scc0 .LBB40_145
.LBB40_150:
                                        ; implicit-def: $sgpr34_sgpr35
	s_mov_b64 s[38:39], 0
	s_cbranch_execnz .LBB40_154
	s_branch .LBB40_155
.LBB40_151:
	s_mov_b64 s[38:39], 0
                                        ; implicit-def: $sgpr34_sgpr35
	s_cbranch_execz .LBB40_153
; %bb.152:
	s_waitcnt vmcnt(2)
	v_cmp_gt_i32_e32 vcc, v12, v16
	s_andn2_b64 s[34:35], s[34:35], exec
	s_and_b64 s[40:41], vcc, exec
	s_or_b64 s[34:35], s[34:35], s[40:41]
.LBB40_153:
	s_branch .LBB40_155
.LBB40_154:
	s_cmp_lg_u32 s13, 0
	s_mov_b64 s[36:37], -1
	s_cselect_b64 s[38:39], -1, 0
.LBB40_155:
	s_andn2_b64 vcc, exec, s[38:39]
	s_cbranch_vccz .LBB40_161
; %bb.156:
	s_andn2_b64 vcc, exec, s[36:37]
	s_cbranch_vccz .LBB40_162
.LBB40_157:
	s_cmp_lt_i32 s13, 1
	s_mov_b64 s[38:39], 0
	s_cbranch_scc1 .LBB40_163
.LBB40_158:
	s_cmp_gt_i32 s13, 1
	s_cbranch_scc0 .LBB40_164
; %bb.159:
	s_cmp_eq_u32 s13, 2
	s_cbranch_scc0 .LBB40_262
; %bb.160:
	s_waitcnt vmcnt(3)
	v_cmp_le_i32_e64 s[36:37], v1, v5
	s_mov_b64 s[40:41], 0
	s_branch .LBB40_166
.LBB40_161:
	s_waitcnt vmcnt(2)
	v_cmp_lt_i32_e32 vcc, v12, v16
	s_andn2_b64 s[34:35], s[34:35], exec
	s_and_b64 s[38:39], vcc, exec
	s_or_b64 s[34:35], s[34:35], s[38:39]
	s_cbranch_execnz .LBB40_157
.LBB40_162:
	s_waitcnt vmcnt(2)
	v_cmp_ge_i32_e32 vcc, v12, v16
	s_andn2_b64 s[34:35], s[34:35], exec
	s_and_b64 s[36:37], vcc, exec
	s_or_b64 s[34:35], s[34:35], s[36:37]
	s_cmp_lt_i32 s13, 1
	s_mov_b64 s[38:39], 0
	s_cbranch_scc0 .LBB40_158
.LBB40_163:
                                        ; implicit-def: $sgpr36_sgpr37
	s_mov_b64 s[40:41], 0
	s_cbranch_execnz .LBB40_167
	s_branch .LBB40_168
.LBB40_164:
	s_mov_b64 s[40:41], 0
                                        ; implicit-def: $sgpr36_sgpr37
	s_cbranch_execz .LBB40_166
; %bb.165:
	s_waitcnt vmcnt(3)
	v_cmp_gt_i32_e32 vcc, v1, v5
	s_andn2_b64 s[36:37], s[36:37], exec
	s_and_b64 s[42:43], vcc, exec
	s_or_b64 s[36:37], s[36:37], s[42:43]
.LBB40_166:
	s_branch .LBB40_168
.LBB40_167:
	s_cmp_lg_u32 s13, 0
	s_mov_b64 s[38:39], -1
	s_cselect_b64 s[40:41], -1, 0
.LBB40_168:
	s_andn2_b64 vcc, exec, s[40:41]
	s_cbranch_vccz .LBB40_174
; %bb.169:
	s_andn2_b64 vcc, exec, s[38:39]
	s_cbranch_vccz .LBB40_175
.LBB40_170:
	s_cmp_lt_i32 s13, 1
	s_mov_b64 s[40:41], 0
	s_cbranch_scc1 .LBB40_176
.LBB40_171:
	s_cmp_gt_i32 s13, 1
	s_cbranch_scc0 .LBB40_177
; %bb.172:
	s_cmp_eq_u32 s13, 2
	s_cbranch_scc0 .LBB40_263
; %bb.173:
	s_waitcnt vmcnt(3)
	v_cmp_le_i32_e64 s[38:39], v2, v6
	s_mov_b64 s[42:43], 0
	s_branch .LBB40_179
.LBB40_174:
	s_waitcnt vmcnt(3)
	v_cmp_lt_i32_e32 vcc, v1, v5
	s_andn2_b64 s[36:37], s[36:37], exec
	s_and_b64 s[40:41], vcc, exec
	s_or_b64 s[36:37], s[36:37], s[40:41]
	s_cbranch_execnz .LBB40_170
.LBB40_175:
	s_waitcnt vmcnt(3)
	v_cmp_ge_i32_e32 vcc, v1, v5
	s_andn2_b64 s[36:37], s[36:37], exec
	s_and_b64 s[38:39], vcc, exec
	s_or_b64 s[36:37], s[36:37], s[38:39]
	s_cmp_lt_i32 s13, 1
	s_mov_b64 s[40:41], 0
	s_cbranch_scc0 .LBB40_171
.LBB40_176:
                                        ; implicit-def: $sgpr38_sgpr39
	s_mov_b64 s[42:43], 0
	s_cbranch_execnz .LBB40_180
	s_branch .LBB40_181
.LBB40_177:
	s_mov_b64 s[42:43], 0
                                        ; implicit-def: $sgpr38_sgpr39
	s_cbranch_execz .LBB40_179
; %bb.178:
	s_waitcnt vmcnt(3)
	v_cmp_gt_i32_e32 vcc, v2, v6
	s_andn2_b64 s[38:39], s[38:39], exec
	s_and_b64 s[44:45], vcc, exec
	s_or_b64 s[38:39], s[38:39], s[44:45]
.LBB40_179:
	s_branch .LBB40_181
.LBB40_180:
	s_cmp_lg_u32 s13, 0
	s_mov_b64 s[40:41], -1
	s_cselect_b64 s[42:43], -1, 0
.LBB40_181:
	s_andn2_b64 vcc, exec, s[42:43]
	s_cbranch_vccz .LBB40_187
; %bb.182:
	s_andn2_b64 vcc, exec, s[40:41]
	s_cbranch_vccz .LBB40_188
.LBB40_183:
	s_cmp_lt_i32 s13, 1
	s_mov_b64 s[42:43], 0
	s_cbranch_scc1 .LBB40_189
.LBB40_184:
	s_cmp_gt_i32 s13, 1
	s_cbranch_scc0 .LBB40_190
; %bb.185:
	s_cmp_eq_u32 s13, 2
	s_cbranch_scc0 .LBB40_264
; %bb.186:
	s_waitcnt vmcnt(3)
	v_cmp_le_i32_e64 s[40:41], v3, v7
	s_mov_b64 s[44:45], 0
	s_branch .LBB40_192
.LBB40_187:
	s_waitcnt vmcnt(3)
	v_cmp_lt_i32_e32 vcc, v2, v6
	s_andn2_b64 s[38:39], s[38:39], exec
	s_and_b64 s[42:43], vcc, exec
	s_or_b64 s[38:39], s[38:39], s[42:43]
	s_cbranch_execnz .LBB40_183
.LBB40_188:
	s_waitcnt vmcnt(3)
	v_cmp_ge_i32_e32 vcc, v2, v6
	s_andn2_b64 s[38:39], s[38:39], exec
	s_and_b64 s[40:41], vcc, exec
	s_or_b64 s[38:39], s[38:39], s[40:41]
	s_cmp_lt_i32 s13, 1
	s_mov_b64 s[42:43], 0
	s_cbranch_scc0 .LBB40_184
.LBB40_189:
                                        ; implicit-def: $sgpr40_sgpr41
	s_mov_b64 s[44:45], 0
	s_cbranch_execnz .LBB40_193
	s_branch .LBB40_194
.LBB40_190:
	s_mov_b64 s[44:45], 0
                                        ; implicit-def: $sgpr40_sgpr41
	s_cbranch_execz .LBB40_192
; %bb.191:
	s_waitcnt vmcnt(3)
	v_cmp_gt_i32_e32 vcc, v3, v7
	s_andn2_b64 s[40:41], s[40:41], exec
	s_and_b64 s[46:47], vcc, exec
	s_or_b64 s[40:41], s[40:41], s[46:47]
.LBB40_192:
	s_branch .LBB40_194
.LBB40_193:
	s_cmp_lg_u32 s13, 0
	s_mov_b64 s[42:43], -1
	s_cselect_b64 s[44:45], -1, 0
.LBB40_194:
	s_andn2_b64 vcc, exec, s[44:45]
	s_cbranch_vccz .LBB40_200
; %bb.195:
	s_andn2_b64 vcc, exec, s[42:43]
	s_cbranch_vccz .LBB40_201
.LBB40_196:
	s_cmp_lt_i32 s13, 1
	s_mov_b64 s[44:45], 0
	s_cbranch_scc1 .LBB40_202
.LBB40_197:
	s_cmp_gt_i32 s13, 1
	s_cbranch_scc0 .LBB40_203
; %bb.198:
	s_cmp_eq_u32 s13, 2
	s_cbranch_scc0 .LBB40_265
; %bb.199:
	s_waitcnt vmcnt(3)
	v_cmp_le_i32_e64 s[42:43], v4, v8
	s_mov_b64 s[46:47], 0
	s_branch .LBB40_205
.LBB40_200:
	s_waitcnt vmcnt(3)
	v_cmp_lt_i32_e32 vcc, v3, v7
	s_andn2_b64 s[40:41], s[40:41], exec
	s_and_b64 s[44:45], vcc, exec
	s_or_b64 s[40:41], s[40:41], s[44:45]
	s_cbranch_execnz .LBB40_196
.LBB40_201:
	s_waitcnt vmcnt(3)
	v_cmp_ge_i32_e32 vcc, v3, v7
	s_andn2_b64 s[40:41], s[40:41], exec
	s_and_b64 s[42:43], vcc, exec
	s_or_b64 s[40:41], s[40:41], s[42:43]
	s_cmp_lt_i32 s13, 1
	s_mov_b64 s[44:45], 0
	s_cbranch_scc0 .LBB40_197
.LBB40_202:
                                        ; implicit-def: $sgpr42_sgpr43
	s_mov_b64 s[46:47], 0
	s_cbranch_execnz .LBB40_206
	s_branch .LBB40_207
.LBB40_203:
	s_mov_b64 s[46:47], 0
                                        ; implicit-def: $sgpr42_sgpr43
	s_cbranch_execz .LBB40_205
; %bb.204:
	s_waitcnt vmcnt(3)
	v_cmp_gt_i32_e32 vcc, v4, v8
	s_andn2_b64 s[42:43], s[42:43], exec
	s_and_b64 s[48:49], vcc, exec
	s_or_b64 s[42:43], s[42:43], s[48:49]
.LBB40_205:
	s_branch .LBB40_207
.LBB40_206:
	s_cmp_lg_u32 s13, 0
	s_mov_b64 s[44:45], -1
	s_cselect_b64 s[46:47], -1, 0
.LBB40_207:
	s_andn2_b64 vcc, exec, s[46:47]
	s_cbranch_vccz .LBB40_249
; %bb.208:
	s_andn2_b64 vcc, exec, s[44:45]
	s_cbranch_vccnz .LBB40_210
.LBB40_209:
	s_waitcnt vmcnt(3)
	v_cmp_ge_i32_e32 vcc, v4, v8
	s_andn2_b64 s[42:43], s[42:43], exec
	s_and_b64 s[44:45], vcc, exec
	s_or_b64 s[42:43], s[42:43], s[44:45]
.LBB40_210:
	s_waitcnt vmcnt(7)
	v_cndmask_b32_e64 v1, 0, 1, s[4:5]
	v_lshlrev_b16_e32 v1, 8, v1
	v_cndmask_b32_e64 v2, 0, 1, s[0:1]
	v_or_b32_e32 v1, v2, v1
	v_cndmask_b32_e64 v2, 0, 1, s[16:17]
	v_lshlrev_b16_e32 v2, 8, v2
	v_cndmask_b32_e64 v3, 0, 1, s[6:7]
	v_or_b32_sdwa v2, v3, v2 dst_sel:WORD_1 dst_unused:UNUSED_PAD src0_sel:DWORD src1_sel:DWORD
	v_or_b32_sdwa v1, v1, v2 dst_sel:DWORD dst_unused:UNUSED_PAD src0_sel:WORD_0 src1_sel:DWORD
	v_cndmask_b32_e64 v2, 0, 1, s[20:21]
	v_lshlrev_b16_e32 v2, 8, v2
	v_cndmask_b32_e64 v3, 0, 1, s[18:19]
	v_or_b32_e32 v2, v3, v2
	v_cndmask_b32_e64 v3, 0, 1, s[24:25]
	v_lshlrev_b16_e32 v3, 8, v3
	v_cndmask_b32_e64 v4, 0, 1, s[22:23]
	v_or_b32_sdwa v3, v4, v3 dst_sel:WORD_1 dst_unused:UNUSED_PAD src0_sel:DWORD src1_sel:DWORD
	v_or_b32_sdwa v2, v2, v3 dst_sel:DWORD dst_unused:UNUSED_PAD src0_sel:WORD_0 src1_sel:DWORD
	v_cndmask_b32_e64 v3, 0, 1, s[28:29]
	v_lshlrev_b16_e32 v3, 8, v3
	v_cndmask_b32_e64 v4, 0, 1, s[26:27]
	v_or_b32_e32 v3, v4, v3
	v_cndmask_b32_e64 v4, 0, 1, s[34:35]
	v_lshlrev_b16_e32 v4, 8, v4
	s_waitcnt vmcnt(3)
	v_cndmask_b32_e64 v6, 0, 1, s[30:31]
	v_or_b32_sdwa v4, v6, v4 dst_sel:WORD_1 dst_unused:UNUSED_PAD src0_sel:DWORD src1_sel:DWORD
	v_or_b32_sdwa v3, v3, v4 dst_sel:DWORD dst_unused:UNUSED_PAD src0_sel:WORD_0 src1_sel:DWORD
	v_cndmask_b32_e64 v4, 0, 1, s[38:39]
	v_lshlrev_b16_e32 v4, 8, v4
	v_cndmask_b32_e64 v6, 0, 1, s[36:37]
	v_or_b32_e32 v4, v6, v4
	v_cndmask_b32_e64 v6, 0, 1, s[42:43]
	v_lshlrev_b16_e32 v6, 8, v6
	v_cndmask_b32_e64 v7, 0, 1, s[40:41]
	s_add_u32 s44, s8, s2
	v_or_b32_sdwa v6, v7, v6 dst_sel:WORD_1 dst_unused:UNUSED_PAD src0_sel:DWORD src1_sel:DWORD
	s_addc_u32 s45, s9, s3
	v_lshlrev_b32_e32 v5, 4, v0
	v_or_b32_sdwa v4, v4, v6 dst_sel:DWORD dst_unused:UNUSED_PAD src0_sel:WORD_0 src1_sel:DWORD
	global_store_dwordx4 v5, v[1:4], s[44:45]
	s_mov_b64 s[0:1], 0
.LBB40_211:
	s_and_b64 vcc, exec, s[0:1]
	s_cbranch_vccz .LBB40_519
; %bb.212:
	v_cmp_gt_i32_e64 s[0:1], s12, v0
	v_mov_b32_e32 v3, 0
	v_or_b32_e32 v1, s2, v0
	v_mov_b32_e32 v20, 0
	s_waitcnt vmcnt(2)
	v_mov_b32_e32 v21, 0
	v_mov_b32_e32 v22, 0
	;; [unrolled: 1-line block ×8, first 2 shown]
	s_waitcnt vmcnt(1)
	v_mov_b32_e32 v29, 0
	v_mov_b32_e32 v30, 0
	;; [unrolled: 1-line block ×22, first 2 shown]
	s_and_saveexec_b64 s[4:5], s[0:1]
	s_cbranch_execz .LBB40_244
; %bb.213:
	v_mov_b32_e32 v2, 0
	v_lshlrev_b64 v[3:4], 2, v[1:2]
	v_mov_b32_e32 v6, s11
	v_add_co_u32_e32 v5, vcc, s10, v3
	v_addc_co_u32_e32 v6, vcc, v6, v4, vcc
	global_load_dword v36, v[5:6], off
	v_mov_b32_e32 v5, s15
	v_add_co_u32_e32 v3, vcc, s14, v3
	v_addc_co_u32_e32 v4, vcc, v5, v4, vcc
	global_load_dword v37, v[3:4], off
	v_or_b32_e32 v3, 0x100, v0
	v_cmp_gt_u32_e32 vcc, s12, v3
	v_mov_b32_e32 v35, v2
	v_mov_b32_e32 v15, v2
	v_mov_b32_e32 v34, v2
	v_mov_b32_e32 v32, v2
	v_mov_b32_e32 v33, v2
	v_mov_b32_e32 v31, v2
	v_mov_b32_e32 v30, v2
	v_mov_b32_e32 v14, v2
	v_mov_b32_e32 v29, v2
	v_mov_b32_e32 v13, v2
	v_mov_b32_e32 v28, v2
	v_mov_b32_e32 v12, v2
	v_mov_b32_e32 v27, v2
	v_mov_b32_e32 v11, v2
	v_mov_b32_e32 v26, v2
	v_mov_b32_e32 v25, v2
	v_mov_b32_e32 v24, v2
	v_mov_b32_e32 v23, v2
	v_mov_b32_e32 v22, v2
	v_mov_b32_e32 v21, v2
	v_mov_b32_e32 v20, v2
	v_mov_b32_e32 v3, v2
	v_mov_b32_e32 v10, v2
	v_mov_b32_e32 v9, v2
	v_mov_b32_e32 v8, v2
	v_mov_b32_e32 v7, v2
	v_mov_b32_e32 v6, v2
	v_mov_b32_e32 v5, v2
	v_mov_b32_e32 v4, v2
	s_and_saveexec_b64 s[6:7], vcc
	s_cbranch_execz .LBB40_243
; %bb.214:
	v_add_u32_e32 v14, s2, v0
	v_mov_b32_e32 v15, 0
	v_lshlrev_b64 v[2:3], 2, v[14:15]
	v_mov_b32_e32 v4, s11
	v_add_co_u32_e32 v16, vcc, s10, v2
	v_addc_co_u32_e32 v17, vcc, v4, v3, vcc
	v_mov_b32_e32 v4, s15
	v_add_co_u32_e32 v18, vcc, s14, v2
	v_addc_co_u32_e32 v19, vcc, v4, v3, vcc
	global_load_dword v35, v[16:17], off offset:1024
	global_load_dword v2, v[18:19], off offset:1024
	v_or_b32_e32 v3, 0x200, v0
	v_cmp_gt_u32_e32 vcc, s12, v3
	v_mov_b32_e32 v34, v15
	v_mov_b32_e32 v32, v15
	v_mov_b32_e32 v33, v15
	v_mov_b32_e32 v31, v15
	v_mov_b32_e32 v30, v15
	v_mov_b32_e32 v29, v15
	v_mov_b32_e32 v28, v15
	v_mov_b32_e32 v27, v15
	v_mov_b32_e32 v26, v15
	v_mov_b32_e32 v25, v15
	v_mov_b32_e32 v24, v15
	v_mov_b32_e32 v23, v15
	v_mov_b32_e32 v22, v15
	v_mov_b32_e32 v21, v15
	v_mov_b32_e32 v20, v15
	v_mov_b32_e32 v3, v15
	v_mov_b32_e32 v14, v15
	v_mov_b32_e32 v13, v15
	v_mov_b32_e32 v12, v15
	v_mov_b32_e32 v11, v15
	v_mov_b32_e32 v10, v15
	v_mov_b32_e32 v9, v15
	v_mov_b32_e32 v8, v15
	v_mov_b32_e32 v7, v15
	v_mov_b32_e32 v6, v15
	v_mov_b32_e32 v5, v15
	v_mov_b32_e32 v4, v15
	s_and_saveexec_b64 s[16:17], vcc
	s_cbranch_execz .LBB40_242
; %bb.215:
	global_load_dword v34, v[16:17], off offset:2048
	global_load_dword v15, v[18:19], off offset:2048
	v_or_b32_e32 v3, 0x300, v0
	v_cmp_gt_u32_e32 vcc, s12, v3
	v_mov_b32_e32 v32, 0
	v_mov_b32_e32 v33, 0
	;; [unrolled: 1-line block ×26, first 2 shown]
	s_and_saveexec_b64 s[18:19], vcc
	s_cbranch_execz .LBB40_241
; %bb.216:
	global_load_dword v33, v[16:17], off offset:3072
	global_load_dword v32, v[18:19], off offset:3072
	v_or_b32_e32 v16, 0x400, v0
	v_cmp_gt_u32_e32 vcc, s12, v16
	v_mov_b32_e32 v31, 0
	v_mov_b32_e32 v30, 0
	;; [unrolled: 1-line block ×24, first 2 shown]
	s_and_saveexec_b64 s[20:21], vcc
	s_cbranch_execz .LBB40_240
; %bb.217:
	v_or_b32_e32 v13, s2, v16
	v_mov_b32_e32 v14, 0
	v_lshlrev_b64 v[3:4], 2, v[13:14]
	v_mov_b32_e32 v6, s11
	v_add_co_u32_e32 v5, vcc, s10, v3
	v_addc_co_u32_e32 v6, vcc, v6, v4, vcc
	global_load_dword v30, v[5:6], off
	v_mov_b32_e32 v5, s15
	v_add_co_u32_e32 v3, vcc, s14, v3
	v_addc_co_u32_e32 v4, vcc, v5, v4, vcc
	global_load_dword v31, v[3:4], off
	v_or_b32_e32 v16, 0x500, v0
	v_cmp_gt_u32_e32 vcc, s12, v16
	v_mov_b32_e32 v29, v14
	v_mov_b32_e32 v13, v14
	v_mov_b32_e32 v28, v14
	v_mov_b32_e32 v12, v14
	v_mov_b32_e32 v27, v14
	v_mov_b32_e32 v11, v14
	v_mov_b32_e32 v26, v14
	v_mov_b32_e32 v10, v14
	v_mov_b32_e32 v25, v14
	v_mov_b32_e32 v9, v14
	v_mov_b32_e32 v24, v14
	v_mov_b32_e32 v8, v14
	v_mov_b32_e32 v23, v14
	v_mov_b32_e32 v7, v14
	v_mov_b32_e32 v22, v14
	v_mov_b32_e32 v6, v14
	v_mov_b32_e32 v21, v14
	v_mov_b32_e32 v5, v14
	v_mov_b32_e32 v20, v14
	v_mov_b32_e32 v4, v14
	v_mov_b32_e32 v3, v14
	s_and_saveexec_b64 s[22:23], vcc
	s_cbranch_execz .LBB40_239
; %bb.218:
	v_or_b32_e32 v12, s2, v16
	v_mov_b32_e32 v13, 0
	v_lshlrev_b64 v[3:4], 2, v[12:13]
	v_mov_b32_e32 v6, s11
	v_add_co_u32_e32 v5, vcc, s10, v3
	v_addc_co_u32_e32 v6, vcc, v6, v4, vcc
	global_load_dword v29, v[5:6], off
	v_mov_b32_e32 v5, s15
	v_add_co_u32_e32 v3, vcc, s14, v3
	v_addc_co_u32_e32 v4, vcc, v5, v4, vcc
	global_load_dword v14, v[3:4], off
	v_or_b32_e32 v16, 0x600, v0
	v_cmp_gt_u32_e32 vcc, s12, v16
	v_mov_b32_e32 v28, v13
	v_mov_b32_e32 v12, v13
	;; [unrolled: 1-line block ×19, first 2 shown]
	s_and_saveexec_b64 s[24:25], vcc
	s_cbranch_execz .LBB40_238
; %bb.219:
	v_or_b32_e32 v11, s2, v16
	v_mov_b32_e32 v12, 0
	v_lshlrev_b64 v[3:4], 2, v[11:12]
	v_mov_b32_e32 v6, s11
	v_add_co_u32_e32 v5, vcc, s10, v3
	v_addc_co_u32_e32 v6, vcc, v6, v4, vcc
	global_load_dword v28, v[5:6], off
	v_mov_b32_e32 v5, s15
	v_add_co_u32_e32 v3, vcc, s14, v3
	v_addc_co_u32_e32 v4, vcc, v5, v4, vcc
	global_load_dword v13, v[3:4], off
	v_or_b32_e32 v16, 0x700, v0
	v_cmp_gt_u32_e32 vcc, s12, v16
	v_mov_b32_e32 v27, v12
	v_mov_b32_e32 v11, v12
	;; [unrolled: 1-line block ×17, first 2 shown]
	s_and_saveexec_b64 s[26:27], vcc
	s_cbranch_execz .LBB40_237
; %bb.220:
	v_or_b32_e32 v10, s2, v16
	v_mov_b32_e32 v11, 0
	v_lshlrev_b64 v[3:4], 2, v[10:11]
	v_mov_b32_e32 v6, s11
	v_add_co_u32_e32 v5, vcc, s10, v3
	v_addc_co_u32_e32 v6, vcc, v6, v4, vcc
	global_load_dword v27, v[5:6], off
	v_mov_b32_e32 v5, s15
	v_add_co_u32_e32 v3, vcc, s14, v3
	v_addc_co_u32_e32 v4, vcc, v5, v4, vcc
	global_load_dword v12, v[3:4], off
	v_or_b32_e32 v16, 0x800, v0
	v_cmp_gt_u32_e32 vcc, s12, v16
	v_mov_b32_e32 v26, v11
	v_mov_b32_e32 v10, v11
	v_mov_b32_e32 v25, v11
	v_mov_b32_e32 v9, v11
	v_mov_b32_e32 v24, v11
	v_mov_b32_e32 v8, v11
	v_mov_b32_e32 v23, v11
	v_mov_b32_e32 v7, v11
	v_mov_b32_e32 v22, v11
	v_mov_b32_e32 v6, v11
	v_mov_b32_e32 v21, v11
	v_mov_b32_e32 v5, v11
	v_mov_b32_e32 v20, v11
	v_mov_b32_e32 v4, v11
	v_mov_b32_e32 v3, v11
	s_and_saveexec_b64 s[28:29], vcc
	s_cbranch_execz .LBB40_236
; %bb.221:
	v_or_b32_e32 v9, s2, v16
	v_mov_b32_e32 v10, 0
	v_lshlrev_b64 v[3:4], 2, v[9:10]
	v_mov_b32_e32 v6, s11
	v_add_co_u32_e32 v5, vcc, s10, v3
	v_addc_co_u32_e32 v6, vcc, v6, v4, vcc
	global_load_dword v26, v[5:6], off
	v_mov_b32_e32 v5, s15
	v_add_co_u32_e32 v3, vcc, s14, v3
	v_addc_co_u32_e32 v4, vcc, v5, v4, vcc
	global_load_dword v11, v[3:4], off
	v_or_b32_e32 v16, 0x900, v0
	v_cmp_gt_u32_e32 vcc, s12, v16
	v_mov_b32_e32 v25, v10
	v_mov_b32_e32 v9, v10
	;; [unrolled: 1-line block ×13, first 2 shown]
	s_and_saveexec_b64 s[30:31], vcc
	s_cbranch_execz .LBB40_235
; %bb.222:
	v_or_b32_e32 v8, s2, v16
	v_mov_b32_e32 v9, 0
	v_lshlrev_b64 v[3:4], 2, v[8:9]
	v_mov_b32_e32 v6, s11
	v_add_co_u32_e32 v5, vcc, s10, v3
	v_addc_co_u32_e32 v6, vcc, v6, v4, vcc
	global_load_dword v25, v[5:6], off
	v_mov_b32_e32 v5, s15
	v_add_co_u32_e32 v3, vcc, s14, v3
	v_addc_co_u32_e32 v4, vcc, v5, v4, vcc
	global_load_dword v10, v[3:4], off
	v_or_b32_e32 v16, 0xa00, v0
	v_cmp_gt_u32_e32 vcc, s12, v16
	v_mov_b32_e32 v24, v9
	v_mov_b32_e32 v8, v9
	;; [unrolled: 1-line block ×11, first 2 shown]
	s_and_saveexec_b64 s[34:35], vcc
	s_cbranch_execz .LBB40_234
; %bb.223:
	v_or_b32_e32 v7, s2, v16
	v_mov_b32_e32 v8, 0
	v_lshlrev_b64 v[3:4], 2, v[7:8]
	v_mov_b32_e32 v6, s11
	v_add_co_u32_e32 v5, vcc, s10, v3
	v_addc_co_u32_e32 v6, vcc, v6, v4, vcc
	global_load_dword v24, v[5:6], off
	v_mov_b32_e32 v5, s15
	v_add_co_u32_e32 v3, vcc, s14, v3
	v_addc_co_u32_e32 v4, vcc, v5, v4, vcc
	global_load_dword v9, v[3:4], off
	v_or_b32_e32 v16, 0xb00, v0
	v_cmp_gt_u32_e32 vcc, s12, v16
	v_mov_b32_e32 v23, v8
	v_mov_b32_e32 v7, v8
	;; [unrolled: 1-line block ×9, first 2 shown]
	s_and_saveexec_b64 s[36:37], vcc
	s_cbranch_execz .LBB40_233
; %bb.224:
	v_or_b32_e32 v6, s2, v16
	v_mov_b32_e32 v7, 0
	v_lshlrev_b64 v[3:4], 2, v[6:7]
	v_mov_b32_e32 v6, s11
	v_add_co_u32_e32 v5, vcc, s10, v3
	v_addc_co_u32_e32 v6, vcc, v6, v4, vcc
	global_load_dword v23, v[5:6], off
	v_mov_b32_e32 v5, s15
	v_add_co_u32_e32 v3, vcc, s14, v3
	v_addc_co_u32_e32 v4, vcc, v5, v4, vcc
	global_load_dword v8, v[3:4], off
	v_or_b32_e32 v16, 0xc00, v0
	v_cmp_gt_u32_e32 vcc, s12, v16
	v_mov_b32_e32 v22, v7
	v_mov_b32_e32 v6, v7
	;; [unrolled: 1-line block ×7, first 2 shown]
	s_and_saveexec_b64 s[38:39], vcc
	s_cbranch_execz .LBB40_232
; %bb.225:
	v_or_b32_e32 v5, s2, v16
	v_mov_b32_e32 v6, 0
	v_lshlrev_b64 v[3:4], 2, v[5:6]
	v_mov_b32_e32 v5, s11
	v_add_co_u32_e32 v16, vcc, s10, v3
	v_addc_co_u32_e32 v17, vcc, v5, v4, vcc
	v_mov_b32_e32 v5, s15
	v_add_co_u32_e32 v3, vcc, s14, v3
	v_addc_co_u32_e32 v4, vcc, v5, v4, vcc
	global_load_dword v22, v[16:17], off
	global_load_dword v7, v[3:4], off
	v_or_b32_e32 v16, 0xd00, v0
	v_cmp_gt_u32_e32 vcc, s12, v16
	v_mov_b32_e32 v21, v6
	v_mov_b32_e32 v5, v6
	;; [unrolled: 1-line block ×5, first 2 shown]
	s_and_saveexec_b64 s[40:41], vcc
	s_cbranch_execz .LBB40_231
; %bb.226:
	v_add_u32_e32 v4, s2, v16
	v_mov_b32_e32 v5, 0
	v_lshlrev_b64 v[3:4], 2, v[4:5]
	v_mov_b32_e32 v6, s11
	v_add_co_u32_e32 v16, vcc, s10, v3
	v_addc_co_u32_e32 v17, vcc, v6, v4, vcc
	v_mov_b32_e32 v6, s15
	v_add_co_u32_e32 v3, vcc, s14, v3
	v_addc_co_u32_e32 v4, vcc, v6, v4, vcc
	global_load_dword v21, v[16:17], off
	global_load_dword v6, v[3:4], off
	v_or_b32_e32 v16, 0xe00, v0
	v_cmp_gt_u32_e32 vcc, s12, v16
	v_mov_b32_e32 v20, v5
	v_mov_b32_e32 v4, v5
	;; [unrolled: 1-line block ×3, first 2 shown]
	s_and_saveexec_b64 s[42:43], vcc
	s_cbranch_execz .LBB40_230
; %bb.227:
	v_add_u32_e32 v3, s2, v16
	v_mov_b32_e32 v4, 0
	v_lshlrev_b64 v[16:17], 2, v[3:4]
	v_mov_b32_e32 v3, s11
	v_add_co_u32_e32 v18, vcc, s10, v16
	v_addc_co_u32_e32 v19, vcc, v3, v17, vcc
	v_mov_b32_e32 v3, s15
	v_add_co_u32_e32 v16, vcc, s14, v16
	v_addc_co_u32_e32 v17, vcc, v3, v17, vcc
	global_load_dword v20, v[18:19], off
	global_load_dword v5, v[16:17], off
	v_or_b32_e32 v16, 0xf00, v0
	v_cmp_gt_u32_e32 vcc, s12, v16
	v_mov_b32_e32 v3, v4
	s_and_saveexec_b64 s[44:45], vcc
	s_cbranch_execz .LBB40_229
; %bb.228:
	v_add_u32_e32 v3, s2, v16
	v_mov_b32_e32 v4, 0
	v_lshlrev_b64 v[3:4], 2, v[3:4]
	v_mov_b32_e32 v17, s15
	v_add_co_u32_e32 v16, vcc, s14, v3
	v_addc_co_u32_e32 v17, vcc, v17, v4, vcc
	v_mov_b32_e32 v19, s11
	v_add_co_u32_e32 v18, vcc, s10, v3
	v_addc_co_u32_e32 v19, vcc, v19, v4, vcc
	global_load_dword v3, v[18:19], off
	global_load_dword v4, v[16:17], off
.LBB40_229:
	s_or_b64 exec, exec, s[44:45]
.LBB40_230:
	s_or_b64 exec, exec, s[42:43]
.LBB40_231:
	s_or_b64 exec, exec, s[40:41]
.LBB40_232:
	s_or_b64 exec, exec, s[38:39]
.LBB40_233:
	s_or_b64 exec, exec, s[36:37]
.LBB40_234:
	s_or_b64 exec, exec, s[34:35]
.LBB40_235:
	s_or_b64 exec, exec, s[30:31]
.LBB40_236:
	s_or_b64 exec, exec, s[28:29]
.LBB40_237:
	s_or_b64 exec, exec, s[26:27]
.LBB40_238:
	s_or_b64 exec, exec, s[24:25]
.LBB40_239:
	s_or_b64 exec, exec, s[22:23]
.LBB40_240:
	s_or_b64 exec, exec, s[20:21]
.LBB40_241:
	s_or_b64 exec, exec, s[18:19]
.LBB40_242:
	s_or_b64 exec, exec, s[16:17]
.LBB40_243:
	s_or_b64 exec, exec, s[6:7]
.LBB40_244:
	s_or_b64 exec, exec, s[4:5]
                                        ; implicit-def: $vgpr16
	s_and_saveexec_b64 s[4:5], s[0:1]
	s_cbranch_execz .LBB40_276
; %bb.245:
	s_cmp_lt_i32 s13, 1
	s_mov_b64 s[6:7], 0
	s_cbranch_scc1 .LBB40_250
; %bb.246:
	s_cmp_gt_i32 s13, 1
	s_cbranch_scc0 .LBB40_266
; %bb.247:
	s_cmp_eq_u32 s13, 2
	s_cbranch_scc0 .LBB40_267
; %bb.248:
	s_waitcnt vmcnt(0)
	v_cmp_le_i32_e64 s[10:11], v36, v37
	s_mov_b64 s[14:15], 0
	s_branch .LBB40_268
.LBB40_249:
	s_waitcnt vmcnt(3)
	v_cmp_lt_i32_e32 vcc, v4, v8
	s_andn2_b64 s[42:43], s[42:43], exec
	s_and_b64 s[46:47], vcc, exec
	s_or_b64 s[42:43], s[42:43], s[46:47]
	s_cbranch_execz .LBB40_209
	s_branch .LBB40_210
.LBB40_250:
                                        ; implicit-def: $sgpr10_sgpr11
	s_mov_b64 s[14:15], 0
	s_cbranch_execnz .LBB40_271
	s_branch .LBB40_272
.LBB40_251:
	s_mov_b64 s[16:17], -1
                                        ; implicit-def: $sgpr4_sgpr5
	s_branch .LBB40_23
.LBB40_252:
	s_mov_b64 s[18:19], -1
                                        ; implicit-def: $sgpr6_sgpr7
	s_branch .LBB40_36
.LBB40_253:
	s_mov_b64 s[20:21], -1
                                        ; implicit-def: $sgpr16_sgpr17
	s_branch .LBB40_49
.LBB40_254:
	s_mov_b64 s[22:23], -1
                                        ; implicit-def: $sgpr18_sgpr19
	s_branch .LBB40_62
.LBB40_255:
	s_mov_b64 s[24:25], -1
                                        ; implicit-def: $sgpr20_sgpr21
	s_branch .LBB40_75
.LBB40_256:
	s_mov_b64 s[26:27], -1
                                        ; implicit-def: $sgpr22_sgpr23
	s_branch .LBB40_88
.LBB40_257:
	s_mov_b64 s[28:29], -1
                                        ; implicit-def: $sgpr24_sgpr25
	s_branch .LBB40_101
.LBB40_258:
	s_mov_b64 s[30:31], -1
                                        ; implicit-def: $sgpr26_sgpr27
	s_branch .LBB40_114
.LBB40_259:
	s_mov_b64 s[34:35], -1
                                        ; implicit-def: $sgpr28_sgpr29
	s_branch .LBB40_127
.LBB40_260:
	s_mov_b64 s[36:37], -1
                                        ; implicit-def: $sgpr30_sgpr31
	s_branch .LBB40_140
.LBB40_261:
	s_mov_b64 s[38:39], -1
                                        ; implicit-def: $sgpr34_sgpr35
	s_branch .LBB40_153
.LBB40_262:
	s_mov_b64 s[40:41], -1
                                        ; implicit-def: $sgpr36_sgpr37
	s_branch .LBB40_166
.LBB40_263:
	s_mov_b64 s[42:43], -1
                                        ; implicit-def: $sgpr38_sgpr39
	s_branch .LBB40_179
.LBB40_264:
	s_mov_b64 s[44:45], -1
                                        ; implicit-def: $sgpr40_sgpr41
	s_branch .LBB40_192
.LBB40_265:
	s_mov_b64 s[46:47], -1
                                        ; implicit-def: $sgpr42_sgpr43
	s_branch .LBB40_205
.LBB40_266:
	s_mov_b64 s[14:15], 0
                                        ; implicit-def: $sgpr10_sgpr11
	s_cbranch_execnz .LBB40_269
	s_branch .LBB40_270
.LBB40_267:
	s_mov_b64 s[14:15], -1
                                        ; implicit-def: $sgpr10_sgpr11
.LBB40_268:
	s_branch .LBB40_270
.LBB40_269:
	s_waitcnt vmcnt(0)
	v_cmp_gt_i32_e32 vcc, v36, v37
	s_andn2_b64 s[10:11], s[10:11], exec
	s_and_b64 s[16:17], vcc, exec
	s_or_b64 s[10:11], s[10:11], s[16:17]
.LBB40_270:
	s_branch .LBB40_272
.LBB40_271:
	s_cmp_lg_u32 s13, 0
	s_mov_b64 s[6:7], -1
	s_cselect_b64 s[14:15], -1, 0
.LBB40_272:
	s_andn2_b64 vcc, exec, s[14:15]
	s_cbranch_vccz .LBB40_281
; %bb.273:
	s_andn2_b64 vcc, exec, s[6:7]
	s_cbranch_vccnz .LBB40_275
.LBB40_274:
	s_waitcnt vmcnt(0)
	v_cmp_ge_i32_e32 vcc, v36, v37
	s_andn2_b64 s[6:7], s[10:11], exec
	s_and_b64 s[10:11], vcc, exec
	s_or_b64 s[10:11], s[6:7], s[10:11]
.LBB40_275:
	v_cndmask_b32_e64 v16, 0, 1, s[10:11]
.LBB40_276:
	s_or_b64 exec, exec, s[4:5]
	v_or_b32_e32 v17, 0x100, v0
	v_cmp_gt_i32_e32 vcc, s12, v17
                                        ; implicit-def: $vgpr18
	s_and_saveexec_b64 s[4:5], vcc
	s_cbranch_execz .LBB40_291
; %bb.277:
	s_cmp_lt_i32 s13, 1
	s_mov_b64 s[6:7], 0
	s_cbranch_scc1 .LBB40_282
; %bb.278:
	s_cmp_gt_i32 s13, 1
	s_cbranch_scc0 .LBB40_283
; %bb.279:
	s_cmp_eq_u32 s13, 2
	s_cbranch_scc0 .LBB40_535
; %bb.280:
	s_waitcnt vmcnt(0)
	v_cmp_le_i32_e64 s[10:11], v35, v2
	s_mov_b64 s[14:15], 0
	s_branch .LBB40_285
.LBB40_281:
	s_waitcnt vmcnt(0)
	v_cmp_lt_i32_e32 vcc, v36, v37
	s_andn2_b64 s[10:11], s[10:11], exec
	s_and_b64 s[14:15], vcc, exec
	s_or_b64 s[10:11], s[10:11], s[14:15]
	s_cbranch_execz .LBB40_274
	s_branch .LBB40_275
.LBB40_282:
                                        ; implicit-def: $sgpr10_sgpr11
	s_mov_b64 s[14:15], 0
	s_cbranch_execnz .LBB40_286
	s_branch .LBB40_287
.LBB40_283:
	s_mov_b64 s[14:15], 0
                                        ; implicit-def: $sgpr10_sgpr11
	s_cbranch_execz .LBB40_285
; %bb.284:
	s_waitcnt vmcnt(0)
	v_cmp_gt_i32_e32 vcc, v35, v2
	s_andn2_b64 s[10:11], s[10:11], exec
	s_and_b64 s[16:17], vcc, exec
	s_or_b64 s[10:11], s[10:11], s[16:17]
.LBB40_285:
	s_branch .LBB40_287
.LBB40_286:
	s_cmp_lg_u32 s13, 0
	s_mov_b64 s[6:7], -1
	s_cselect_b64 s[14:15], -1, 0
.LBB40_287:
	s_andn2_b64 vcc, exec, s[14:15]
	s_cbranch_vccz .LBB40_296
; %bb.288:
	s_andn2_b64 vcc, exec, s[6:7]
	s_cbranch_vccnz .LBB40_290
.LBB40_289:
	s_waitcnt vmcnt(0)
	v_cmp_ge_i32_e32 vcc, v35, v2
	s_andn2_b64 s[6:7], s[10:11], exec
	s_and_b64 s[10:11], vcc, exec
	s_or_b64 s[10:11], s[6:7], s[10:11]
.LBB40_290:
	v_cndmask_b32_e64 v18, 0, 1, s[10:11]
.LBB40_291:
	s_or_b64 exec, exec, s[4:5]
	s_waitcnt vmcnt(0)
	v_or_b32_e32 v2, 0x200, v0
	v_cmp_gt_i32_e32 vcc, s12, v2
                                        ; implicit-def: $vgpr2
	s_and_saveexec_b64 s[4:5], vcc
	s_cbranch_execz .LBB40_306
; %bb.292:
	s_cmp_lt_i32 s13, 1
	s_mov_b64 s[6:7], 0
	s_cbranch_scc1 .LBB40_297
; %bb.293:
	s_cmp_gt_i32 s13, 1
	s_cbranch_scc0 .LBB40_298
; %bb.294:
	s_cmp_eq_u32 s13, 2
	s_cbranch_scc0 .LBB40_536
; %bb.295:
	v_cmp_le_i32_e64 s[10:11], v34, v15
	s_mov_b64 s[14:15], 0
	s_branch .LBB40_300
.LBB40_296:
	s_waitcnt vmcnt(0)
	v_cmp_lt_i32_e32 vcc, v35, v2
	s_andn2_b64 s[10:11], s[10:11], exec
	s_and_b64 s[14:15], vcc, exec
	s_or_b64 s[10:11], s[10:11], s[14:15]
	s_cbranch_execz .LBB40_289
	s_branch .LBB40_290
.LBB40_297:
                                        ; implicit-def: $sgpr10_sgpr11
	s_mov_b64 s[14:15], 0
	s_cbranch_execnz .LBB40_301
	s_branch .LBB40_302
.LBB40_298:
	s_mov_b64 s[14:15], 0
                                        ; implicit-def: $sgpr10_sgpr11
	s_cbranch_execz .LBB40_300
; %bb.299:
	v_cmp_gt_i32_e32 vcc, v34, v15
	s_andn2_b64 s[10:11], s[10:11], exec
	s_and_b64 s[16:17], vcc, exec
	s_or_b64 s[10:11], s[10:11], s[16:17]
.LBB40_300:
	s_branch .LBB40_302
.LBB40_301:
	s_cmp_lg_u32 s13, 0
	s_mov_b64 s[6:7], -1
	s_cselect_b64 s[14:15], -1, 0
.LBB40_302:
	s_andn2_b64 vcc, exec, s[14:15]
	s_cbranch_vccz .LBB40_311
; %bb.303:
	s_andn2_b64 vcc, exec, s[6:7]
	s_cbranch_vccnz .LBB40_305
.LBB40_304:
	v_cmp_ge_i32_e32 vcc, v34, v15
	s_andn2_b64 s[6:7], s[10:11], exec
	s_and_b64 s[10:11], vcc, exec
	s_or_b64 s[10:11], s[6:7], s[10:11]
.LBB40_305:
	v_cndmask_b32_e64 v2, 0, 1, s[10:11]
.LBB40_306:
	s_or_b64 exec, exec, s[4:5]
	v_or_b32_e32 v15, 0x300, v0
	v_cmp_gt_i32_e32 vcc, s12, v15
                                        ; implicit-def: $vgpr15
	s_and_saveexec_b64 s[4:5], vcc
	s_cbranch_execz .LBB40_321
; %bb.307:
	s_cmp_lt_i32 s13, 1
	s_mov_b64 s[6:7], 0
	s_cbranch_scc1 .LBB40_312
; %bb.308:
	s_cmp_gt_i32 s13, 1
	s_cbranch_scc0 .LBB40_313
; %bb.309:
	s_cmp_eq_u32 s13, 2
	s_cbranch_scc0 .LBB40_537
; %bb.310:
	v_cmp_le_i32_e64 s[10:11], v33, v32
	s_mov_b64 s[14:15], 0
	s_branch .LBB40_315
.LBB40_311:
	v_cmp_lt_i32_e32 vcc, v34, v15
	s_andn2_b64 s[10:11], s[10:11], exec
	s_and_b64 s[14:15], vcc, exec
	s_or_b64 s[10:11], s[10:11], s[14:15]
	s_cbranch_execz .LBB40_304
	s_branch .LBB40_305
.LBB40_312:
                                        ; implicit-def: $sgpr10_sgpr11
	s_mov_b64 s[14:15], 0
	s_cbranch_execnz .LBB40_316
	s_branch .LBB40_317
.LBB40_313:
	s_mov_b64 s[14:15], 0
                                        ; implicit-def: $sgpr10_sgpr11
	s_cbranch_execz .LBB40_315
; %bb.314:
	v_cmp_gt_i32_e32 vcc, v33, v32
	s_andn2_b64 s[10:11], s[10:11], exec
	s_and_b64 s[16:17], vcc, exec
	s_or_b64 s[10:11], s[10:11], s[16:17]
.LBB40_315:
	s_branch .LBB40_317
.LBB40_316:
	s_cmp_lg_u32 s13, 0
	s_mov_b64 s[6:7], -1
	s_cselect_b64 s[14:15], -1, 0
.LBB40_317:
	s_andn2_b64 vcc, exec, s[14:15]
	s_cbranch_vccz .LBB40_326
; %bb.318:
	s_andn2_b64 vcc, exec, s[6:7]
	s_cbranch_vccnz .LBB40_320
.LBB40_319:
	v_cmp_ge_i32_e32 vcc, v33, v32
	s_andn2_b64 s[6:7], s[10:11], exec
	s_and_b64 s[10:11], vcc, exec
	s_or_b64 s[10:11], s[6:7], s[10:11]
.LBB40_320:
	v_cndmask_b32_e64 v15, 0, 1, s[10:11]
.LBB40_321:
	s_or_b64 exec, exec, s[4:5]
	v_or_b32_e32 v19, 0x400, v0
	v_cmp_gt_i32_e32 vcc, s12, v19
                                        ; implicit-def: $vgpr19
	s_and_saveexec_b64 s[4:5], vcc
	s_cbranch_execz .LBB40_336
; %bb.322:
	s_cmp_lt_i32 s13, 1
	s_mov_b64 s[6:7], 0
	s_cbranch_scc1 .LBB40_327
; %bb.323:
	s_cmp_gt_i32 s13, 1
	s_cbranch_scc0 .LBB40_328
; %bb.324:
	s_cmp_eq_u32 s13, 2
	s_cbranch_scc0 .LBB40_538
; %bb.325:
	v_cmp_le_i32_e64 s[10:11], v30, v31
	s_mov_b64 s[14:15], 0
	s_branch .LBB40_330
.LBB40_326:
	v_cmp_lt_i32_e32 vcc, v33, v32
	s_andn2_b64 s[10:11], s[10:11], exec
	s_and_b64 s[14:15], vcc, exec
	s_or_b64 s[10:11], s[10:11], s[14:15]
	s_cbranch_execz .LBB40_319
	s_branch .LBB40_320
.LBB40_327:
                                        ; implicit-def: $sgpr10_sgpr11
	s_mov_b64 s[14:15], 0
	s_cbranch_execnz .LBB40_331
	s_branch .LBB40_332
.LBB40_328:
	s_mov_b64 s[14:15], 0
                                        ; implicit-def: $sgpr10_sgpr11
	s_cbranch_execz .LBB40_330
; %bb.329:
	v_cmp_gt_i32_e32 vcc, v30, v31
	s_andn2_b64 s[10:11], s[10:11], exec
	s_and_b64 s[16:17], vcc, exec
	s_or_b64 s[10:11], s[10:11], s[16:17]
.LBB40_330:
	s_branch .LBB40_332
.LBB40_331:
	s_cmp_lg_u32 s13, 0
	s_mov_b64 s[6:7], -1
	s_cselect_b64 s[14:15], -1, 0
.LBB40_332:
	s_andn2_b64 vcc, exec, s[14:15]
	s_cbranch_vccz .LBB40_341
; %bb.333:
	s_andn2_b64 vcc, exec, s[6:7]
	s_cbranch_vccnz .LBB40_335
.LBB40_334:
	v_cmp_ge_i32_e32 vcc, v30, v31
	s_andn2_b64 s[6:7], s[10:11], exec
	s_and_b64 s[10:11], vcc, exec
	s_or_b64 s[10:11], s[6:7], s[10:11]
.LBB40_335:
	v_cndmask_b32_e64 v19, 0, 1, s[10:11]
.LBB40_336:
	s_or_b64 exec, exec, s[4:5]
	v_or_b32_e32 v30, 0x500, v0
	v_cmp_gt_i32_e32 vcc, s12, v30
                                        ; implicit-def: $vgpr30
	s_and_saveexec_b64 s[4:5], vcc
	s_cbranch_execz .LBB40_351
; %bb.337:
	s_cmp_lt_i32 s13, 1
	s_mov_b64 s[6:7], 0
	s_cbranch_scc1 .LBB40_342
; %bb.338:
	s_cmp_gt_i32 s13, 1
	s_cbranch_scc0 .LBB40_343
; %bb.339:
	s_cmp_eq_u32 s13, 2
	s_cbranch_scc0 .LBB40_539
; %bb.340:
	v_cmp_le_i32_e64 s[10:11], v29, v14
	s_mov_b64 s[14:15], 0
	s_branch .LBB40_345
.LBB40_341:
	v_cmp_lt_i32_e32 vcc, v30, v31
	s_andn2_b64 s[10:11], s[10:11], exec
	s_and_b64 s[14:15], vcc, exec
	s_or_b64 s[10:11], s[10:11], s[14:15]
	s_cbranch_execz .LBB40_334
	s_branch .LBB40_335
.LBB40_342:
                                        ; implicit-def: $sgpr10_sgpr11
	s_mov_b64 s[14:15], 0
	s_cbranch_execnz .LBB40_346
	s_branch .LBB40_347
.LBB40_343:
	s_mov_b64 s[14:15], 0
                                        ; implicit-def: $sgpr10_sgpr11
	s_cbranch_execz .LBB40_345
; %bb.344:
	v_cmp_gt_i32_e32 vcc, v29, v14
	s_andn2_b64 s[10:11], s[10:11], exec
	s_and_b64 s[16:17], vcc, exec
	s_or_b64 s[10:11], s[10:11], s[16:17]
.LBB40_345:
	s_branch .LBB40_347
.LBB40_346:
	s_cmp_lg_u32 s13, 0
	s_mov_b64 s[6:7], -1
	s_cselect_b64 s[14:15], -1, 0
.LBB40_347:
	s_andn2_b64 vcc, exec, s[14:15]
	s_cbranch_vccz .LBB40_356
; %bb.348:
	s_andn2_b64 vcc, exec, s[6:7]
	s_cbranch_vccnz .LBB40_350
.LBB40_349:
	v_cmp_ge_i32_e32 vcc, v29, v14
	s_andn2_b64 s[6:7], s[10:11], exec
	s_and_b64 s[10:11], vcc, exec
	s_or_b64 s[10:11], s[6:7], s[10:11]
.LBB40_350:
	v_cndmask_b32_e64 v30, 0, 1, s[10:11]
.LBB40_351:
	s_or_b64 exec, exec, s[4:5]
	v_or_b32_e32 v14, 0x600, v0
	v_cmp_gt_i32_e32 vcc, s12, v14
                                        ; implicit-def: $vgpr14
	s_and_saveexec_b64 s[4:5], vcc
	s_cbranch_execz .LBB40_366
; %bb.352:
	s_cmp_lt_i32 s13, 1
	s_mov_b64 s[6:7], 0
	s_cbranch_scc1 .LBB40_357
; %bb.353:
	s_cmp_gt_i32 s13, 1
	s_cbranch_scc0 .LBB40_358
; %bb.354:
	s_cmp_eq_u32 s13, 2
	s_cbranch_scc0 .LBB40_540
; %bb.355:
	v_cmp_le_i32_e64 s[10:11], v28, v13
	s_mov_b64 s[14:15], 0
	s_branch .LBB40_360
.LBB40_356:
	v_cmp_lt_i32_e32 vcc, v29, v14
	s_andn2_b64 s[10:11], s[10:11], exec
	s_and_b64 s[14:15], vcc, exec
	s_or_b64 s[10:11], s[10:11], s[14:15]
	s_cbranch_execz .LBB40_349
	s_branch .LBB40_350
.LBB40_357:
                                        ; implicit-def: $sgpr10_sgpr11
	s_mov_b64 s[14:15], 0
	s_cbranch_execnz .LBB40_361
	s_branch .LBB40_362
.LBB40_358:
	s_mov_b64 s[14:15], 0
                                        ; implicit-def: $sgpr10_sgpr11
	s_cbranch_execz .LBB40_360
; %bb.359:
	v_cmp_gt_i32_e32 vcc, v28, v13
	s_andn2_b64 s[10:11], s[10:11], exec
	s_and_b64 s[16:17], vcc, exec
	s_or_b64 s[10:11], s[10:11], s[16:17]
.LBB40_360:
	s_branch .LBB40_362
.LBB40_361:
	s_cmp_lg_u32 s13, 0
	s_mov_b64 s[6:7], -1
	s_cselect_b64 s[14:15], -1, 0
.LBB40_362:
	s_andn2_b64 vcc, exec, s[14:15]
	s_cbranch_vccz .LBB40_371
; %bb.363:
	s_andn2_b64 vcc, exec, s[6:7]
	s_cbranch_vccnz .LBB40_365
.LBB40_364:
	v_cmp_ge_i32_e32 vcc, v28, v13
	s_andn2_b64 s[6:7], s[10:11], exec
	s_and_b64 s[10:11], vcc, exec
	s_or_b64 s[10:11], s[6:7], s[10:11]
.LBB40_365:
	v_cndmask_b32_e64 v14, 0, 1, s[10:11]
.LBB40_366:
	s_or_b64 exec, exec, s[4:5]
	v_or_b32_e32 v13, 0x700, v0
	v_cmp_gt_i32_e32 vcc, s12, v13
                                        ; implicit-def: $vgpr13
	s_and_saveexec_b64 s[4:5], vcc
	s_cbranch_execz .LBB40_381
; %bb.367:
	s_cmp_lt_i32 s13, 1
	s_mov_b64 s[6:7], 0
	s_cbranch_scc1 .LBB40_372
; %bb.368:
	s_cmp_gt_i32 s13, 1
	s_cbranch_scc0 .LBB40_373
; %bb.369:
	s_cmp_eq_u32 s13, 2
	s_cbranch_scc0 .LBB40_541
; %bb.370:
	v_cmp_le_i32_e64 s[10:11], v27, v12
	s_mov_b64 s[14:15], 0
	s_branch .LBB40_375
.LBB40_371:
	v_cmp_lt_i32_e32 vcc, v28, v13
	s_andn2_b64 s[10:11], s[10:11], exec
	s_and_b64 s[14:15], vcc, exec
	s_or_b64 s[10:11], s[10:11], s[14:15]
	s_cbranch_execz .LBB40_364
	s_branch .LBB40_365
.LBB40_372:
                                        ; implicit-def: $sgpr10_sgpr11
	s_mov_b64 s[14:15], 0
	s_cbranch_execnz .LBB40_376
	s_branch .LBB40_377
.LBB40_373:
	s_mov_b64 s[14:15], 0
                                        ; implicit-def: $sgpr10_sgpr11
	s_cbranch_execz .LBB40_375
; %bb.374:
	v_cmp_gt_i32_e32 vcc, v27, v12
	s_andn2_b64 s[10:11], s[10:11], exec
	s_and_b64 s[16:17], vcc, exec
	s_or_b64 s[10:11], s[10:11], s[16:17]
.LBB40_375:
	s_branch .LBB40_377
.LBB40_376:
	s_cmp_lg_u32 s13, 0
	s_mov_b64 s[6:7], -1
	s_cselect_b64 s[14:15], -1, 0
.LBB40_377:
	s_andn2_b64 vcc, exec, s[14:15]
	s_cbranch_vccz .LBB40_386
; %bb.378:
	s_andn2_b64 vcc, exec, s[6:7]
	s_cbranch_vccnz .LBB40_380
.LBB40_379:
	v_cmp_ge_i32_e32 vcc, v27, v12
	s_andn2_b64 s[6:7], s[10:11], exec
	s_and_b64 s[10:11], vcc, exec
	s_or_b64 s[10:11], s[6:7], s[10:11]
.LBB40_380:
	v_cndmask_b32_e64 v13, 0, 1, s[10:11]
.LBB40_381:
	s_or_b64 exec, exec, s[4:5]
	v_or_b32_e32 v12, 0x800, v0
	v_cmp_gt_i32_e32 vcc, s12, v12
                                        ; implicit-def: $vgpr12
	s_and_saveexec_b64 s[4:5], vcc
	s_cbranch_execz .LBB40_396
; %bb.382:
	s_cmp_lt_i32 s13, 1
	s_mov_b64 s[6:7], 0
	s_cbranch_scc1 .LBB40_387
; %bb.383:
	s_cmp_gt_i32 s13, 1
	s_cbranch_scc0 .LBB40_388
; %bb.384:
	s_cmp_eq_u32 s13, 2
	s_cbranch_scc0 .LBB40_542
; %bb.385:
	v_cmp_le_i32_e64 s[10:11], v26, v11
	s_mov_b64 s[14:15], 0
	s_branch .LBB40_390
.LBB40_386:
	v_cmp_lt_i32_e32 vcc, v27, v12
	s_andn2_b64 s[10:11], s[10:11], exec
	s_and_b64 s[14:15], vcc, exec
	s_or_b64 s[10:11], s[10:11], s[14:15]
	s_cbranch_execz .LBB40_379
	s_branch .LBB40_380
.LBB40_387:
                                        ; implicit-def: $sgpr10_sgpr11
	s_mov_b64 s[14:15], 0
	s_cbranch_execnz .LBB40_391
	s_branch .LBB40_392
.LBB40_388:
	s_mov_b64 s[14:15], 0
                                        ; implicit-def: $sgpr10_sgpr11
	s_cbranch_execz .LBB40_390
; %bb.389:
	v_cmp_gt_i32_e32 vcc, v26, v11
	s_andn2_b64 s[10:11], s[10:11], exec
	s_and_b64 s[16:17], vcc, exec
	s_or_b64 s[10:11], s[10:11], s[16:17]
.LBB40_390:
	s_branch .LBB40_392
.LBB40_391:
	s_cmp_lg_u32 s13, 0
	s_mov_b64 s[6:7], -1
	s_cselect_b64 s[14:15], -1, 0
.LBB40_392:
	s_andn2_b64 vcc, exec, s[14:15]
	s_cbranch_vccz .LBB40_401
; %bb.393:
	s_andn2_b64 vcc, exec, s[6:7]
	s_cbranch_vccnz .LBB40_395
.LBB40_394:
	v_cmp_ge_i32_e32 vcc, v26, v11
	s_andn2_b64 s[6:7], s[10:11], exec
	s_and_b64 s[10:11], vcc, exec
	s_or_b64 s[10:11], s[6:7], s[10:11]
.LBB40_395:
	v_cndmask_b32_e64 v12, 0, 1, s[10:11]
.LBB40_396:
	s_or_b64 exec, exec, s[4:5]
	v_or_b32_e32 v11, 0x900, v0
	v_cmp_gt_i32_e32 vcc, s12, v11
                                        ; implicit-def: $vgpr11
	s_and_saveexec_b64 s[4:5], vcc
	s_cbranch_execz .LBB40_411
; %bb.397:
	s_cmp_lt_i32 s13, 1
	s_mov_b64 s[6:7], 0
	s_cbranch_scc1 .LBB40_402
; %bb.398:
	s_cmp_gt_i32 s13, 1
	s_cbranch_scc0 .LBB40_403
; %bb.399:
	s_cmp_eq_u32 s13, 2
	s_cbranch_scc0 .LBB40_543
; %bb.400:
	v_cmp_le_i32_e64 s[10:11], v25, v10
	s_mov_b64 s[14:15], 0
	s_branch .LBB40_405
.LBB40_401:
	v_cmp_lt_i32_e32 vcc, v26, v11
	s_andn2_b64 s[10:11], s[10:11], exec
	s_and_b64 s[14:15], vcc, exec
	s_or_b64 s[10:11], s[10:11], s[14:15]
	s_cbranch_execz .LBB40_394
	s_branch .LBB40_395
.LBB40_402:
                                        ; implicit-def: $sgpr10_sgpr11
	s_mov_b64 s[14:15], 0
	s_cbranch_execnz .LBB40_406
	s_branch .LBB40_407
.LBB40_403:
	s_mov_b64 s[14:15], 0
                                        ; implicit-def: $sgpr10_sgpr11
	s_cbranch_execz .LBB40_405
; %bb.404:
	v_cmp_gt_i32_e32 vcc, v25, v10
	s_andn2_b64 s[10:11], s[10:11], exec
	s_and_b64 s[16:17], vcc, exec
	s_or_b64 s[10:11], s[10:11], s[16:17]
.LBB40_405:
	s_branch .LBB40_407
.LBB40_406:
	s_cmp_lg_u32 s13, 0
	s_mov_b64 s[6:7], -1
	s_cselect_b64 s[14:15], -1, 0
.LBB40_407:
	s_andn2_b64 vcc, exec, s[14:15]
	s_cbranch_vccz .LBB40_416
; %bb.408:
	s_andn2_b64 vcc, exec, s[6:7]
	s_cbranch_vccnz .LBB40_410
.LBB40_409:
	v_cmp_ge_i32_e32 vcc, v25, v10
	s_andn2_b64 s[6:7], s[10:11], exec
	s_and_b64 s[10:11], vcc, exec
	s_or_b64 s[10:11], s[6:7], s[10:11]
.LBB40_410:
	v_cndmask_b32_e64 v11, 0, 1, s[10:11]
.LBB40_411:
	s_or_b64 exec, exec, s[4:5]
	v_or_b32_e32 v10, 0xa00, v0
	v_cmp_gt_i32_e32 vcc, s12, v10
                                        ; implicit-def: $vgpr10
	s_and_saveexec_b64 s[4:5], vcc
	s_cbranch_execz .LBB40_426
; %bb.412:
	s_cmp_lt_i32 s13, 1
	s_mov_b64 s[6:7], 0
	s_cbranch_scc1 .LBB40_417
; %bb.413:
	s_cmp_gt_i32 s13, 1
	s_cbranch_scc0 .LBB40_418
; %bb.414:
	s_cmp_eq_u32 s13, 2
	s_cbranch_scc0 .LBB40_544
; %bb.415:
	v_cmp_le_i32_e64 s[10:11], v24, v9
	s_mov_b64 s[14:15], 0
	s_branch .LBB40_420
.LBB40_416:
	v_cmp_lt_i32_e32 vcc, v25, v10
	s_andn2_b64 s[10:11], s[10:11], exec
	s_and_b64 s[14:15], vcc, exec
	s_or_b64 s[10:11], s[10:11], s[14:15]
	s_cbranch_execz .LBB40_409
	s_branch .LBB40_410
.LBB40_417:
                                        ; implicit-def: $sgpr10_sgpr11
	s_mov_b64 s[14:15], 0
	s_cbranch_execnz .LBB40_421
	s_branch .LBB40_422
.LBB40_418:
	s_mov_b64 s[14:15], 0
                                        ; implicit-def: $sgpr10_sgpr11
	s_cbranch_execz .LBB40_420
; %bb.419:
	v_cmp_gt_i32_e32 vcc, v24, v9
	s_andn2_b64 s[10:11], s[10:11], exec
	s_and_b64 s[16:17], vcc, exec
	s_or_b64 s[10:11], s[10:11], s[16:17]
.LBB40_420:
	s_branch .LBB40_422
.LBB40_421:
	s_cmp_lg_u32 s13, 0
	s_mov_b64 s[6:7], -1
	s_cselect_b64 s[14:15], -1, 0
.LBB40_422:
	s_andn2_b64 vcc, exec, s[14:15]
	s_cbranch_vccz .LBB40_431
; %bb.423:
	s_andn2_b64 vcc, exec, s[6:7]
	s_cbranch_vccnz .LBB40_425
.LBB40_424:
	v_cmp_ge_i32_e32 vcc, v24, v9
	s_andn2_b64 s[6:7], s[10:11], exec
	s_and_b64 s[10:11], vcc, exec
	s_or_b64 s[10:11], s[6:7], s[10:11]
.LBB40_425:
	v_cndmask_b32_e64 v10, 0, 1, s[10:11]
.LBB40_426:
	s_or_b64 exec, exec, s[4:5]
	v_or_b32_e32 v9, 0xb00, v0
	v_cmp_gt_i32_e32 vcc, s12, v9
                                        ; implicit-def: $vgpr9
	s_and_saveexec_b64 s[4:5], vcc
	s_cbranch_execz .LBB40_441
; %bb.427:
	s_cmp_lt_i32 s13, 1
	s_mov_b64 s[6:7], 0
	s_cbranch_scc1 .LBB40_432
; %bb.428:
	s_cmp_gt_i32 s13, 1
	s_cbranch_scc0 .LBB40_433
; %bb.429:
	s_cmp_eq_u32 s13, 2
	s_cbranch_scc0 .LBB40_545
; %bb.430:
	v_cmp_le_i32_e64 s[10:11], v23, v8
	s_mov_b64 s[14:15], 0
	s_branch .LBB40_435
.LBB40_431:
	v_cmp_lt_i32_e32 vcc, v24, v9
	s_andn2_b64 s[10:11], s[10:11], exec
	s_and_b64 s[14:15], vcc, exec
	s_or_b64 s[10:11], s[10:11], s[14:15]
	s_cbranch_execz .LBB40_424
	s_branch .LBB40_425
.LBB40_432:
                                        ; implicit-def: $sgpr10_sgpr11
	s_mov_b64 s[14:15], 0
	s_cbranch_execnz .LBB40_436
	s_branch .LBB40_437
.LBB40_433:
	s_mov_b64 s[14:15], 0
                                        ; implicit-def: $sgpr10_sgpr11
	s_cbranch_execz .LBB40_435
; %bb.434:
	v_cmp_gt_i32_e32 vcc, v23, v8
	s_andn2_b64 s[10:11], s[10:11], exec
	s_and_b64 s[16:17], vcc, exec
	s_or_b64 s[10:11], s[10:11], s[16:17]
.LBB40_435:
	s_branch .LBB40_437
.LBB40_436:
	s_cmp_lg_u32 s13, 0
	s_mov_b64 s[6:7], -1
	s_cselect_b64 s[14:15], -1, 0
.LBB40_437:
	s_andn2_b64 vcc, exec, s[14:15]
	s_cbranch_vccz .LBB40_446
; %bb.438:
	s_andn2_b64 vcc, exec, s[6:7]
	s_cbranch_vccnz .LBB40_440
.LBB40_439:
	v_cmp_ge_i32_e32 vcc, v23, v8
	s_andn2_b64 s[6:7], s[10:11], exec
	s_and_b64 s[10:11], vcc, exec
	s_or_b64 s[10:11], s[6:7], s[10:11]
.LBB40_440:
	v_cndmask_b32_e64 v9, 0, 1, s[10:11]
.LBB40_441:
	s_or_b64 exec, exec, s[4:5]
	v_or_b32_e32 v8, 0xc00, v0
	v_cmp_gt_i32_e32 vcc, s12, v8
                                        ; implicit-def: $vgpr8
	s_and_saveexec_b64 s[4:5], vcc
	s_cbranch_execz .LBB40_456
; %bb.442:
	s_cmp_lt_i32 s13, 1
	s_mov_b64 s[6:7], 0
	s_cbranch_scc1 .LBB40_447
; %bb.443:
	s_cmp_gt_i32 s13, 1
	s_cbranch_scc0 .LBB40_448
; %bb.444:
	s_cmp_eq_u32 s13, 2
	s_cbranch_scc0 .LBB40_546
; %bb.445:
	v_cmp_le_i32_e64 s[10:11], v22, v7
	s_mov_b64 s[14:15], 0
	s_branch .LBB40_450
.LBB40_446:
	v_cmp_lt_i32_e32 vcc, v23, v8
	s_andn2_b64 s[10:11], s[10:11], exec
	s_and_b64 s[14:15], vcc, exec
	s_or_b64 s[10:11], s[10:11], s[14:15]
	s_cbranch_execz .LBB40_439
	s_branch .LBB40_440
.LBB40_447:
                                        ; implicit-def: $sgpr10_sgpr11
	s_mov_b64 s[14:15], 0
	s_cbranch_execnz .LBB40_451
	s_branch .LBB40_452
.LBB40_448:
	s_mov_b64 s[14:15], 0
                                        ; implicit-def: $sgpr10_sgpr11
	s_cbranch_execz .LBB40_450
; %bb.449:
	v_cmp_gt_i32_e32 vcc, v22, v7
	s_andn2_b64 s[10:11], s[10:11], exec
	s_and_b64 s[16:17], vcc, exec
	s_or_b64 s[10:11], s[10:11], s[16:17]
.LBB40_450:
	s_branch .LBB40_452
.LBB40_451:
	s_cmp_lg_u32 s13, 0
	s_mov_b64 s[6:7], -1
	s_cselect_b64 s[14:15], -1, 0
.LBB40_452:
	s_andn2_b64 vcc, exec, s[14:15]
	s_cbranch_vccz .LBB40_461
; %bb.453:
	s_andn2_b64 vcc, exec, s[6:7]
	s_cbranch_vccnz .LBB40_455
.LBB40_454:
	v_cmp_ge_i32_e32 vcc, v22, v7
	s_andn2_b64 s[6:7], s[10:11], exec
	s_and_b64 s[10:11], vcc, exec
	s_or_b64 s[10:11], s[6:7], s[10:11]
.LBB40_455:
	v_cndmask_b32_e64 v8, 0, 1, s[10:11]
.LBB40_456:
	s_or_b64 exec, exec, s[4:5]
	v_or_b32_e32 v7, 0xd00, v0
	v_cmp_gt_i32_e32 vcc, s12, v7
                                        ; implicit-def: $vgpr7
	s_and_saveexec_b64 s[4:5], vcc
	s_cbranch_execz .LBB40_471
; %bb.457:
	s_cmp_lt_i32 s13, 1
	s_mov_b64 s[6:7], 0
	s_cbranch_scc1 .LBB40_462
; %bb.458:
	s_cmp_gt_i32 s13, 1
	s_cbranch_scc0 .LBB40_463
; %bb.459:
	s_cmp_eq_u32 s13, 2
	s_cbranch_scc0 .LBB40_547
; %bb.460:
	v_cmp_le_i32_e64 s[10:11], v21, v6
	s_mov_b64 s[14:15], 0
	s_branch .LBB40_465
.LBB40_461:
	v_cmp_lt_i32_e32 vcc, v22, v7
	s_andn2_b64 s[10:11], s[10:11], exec
	s_and_b64 s[14:15], vcc, exec
	s_or_b64 s[10:11], s[10:11], s[14:15]
	s_cbranch_execz .LBB40_454
	s_branch .LBB40_455
.LBB40_462:
                                        ; implicit-def: $sgpr10_sgpr11
	s_mov_b64 s[14:15], 0
	s_cbranch_execnz .LBB40_466
	s_branch .LBB40_467
.LBB40_463:
	s_mov_b64 s[14:15], 0
                                        ; implicit-def: $sgpr10_sgpr11
	s_cbranch_execz .LBB40_465
; %bb.464:
	v_cmp_gt_i32_e32 vcc, v21, v6
	s_andn2_b64 s[10:11], s[10:11], exec
	s_and_b64 s[16:17], vcc, exec
	s_or_b64 s[10:11], s[10:11], s[16:17]
.LBB40_465:
	s_branch .LBB40_467
.LBB40_466:
	s_cmp_lg_u32 s13, 0
	s_mov_b64 s[6:7], -1
	s_cselect_b64 s[14:15], -1, 0
.LBB40_467:
	s_andn2_b64 vcc, exec, s[14:15]
	s_cbranch_vccz .LBB40_476
; %bb.468:
	s_andn2_b64 vcc, exec, s[6:7]
	s_cbranch_vccnz .LBB40_470
.LBB40_469:
	v_cmp_ge_i32_e32 vcc, v21, v6
	s_andn2_b64 s[6:7], s[10:11], exec
	s_and_b64 s[10:11], vcc, exec
	s_or_b64 s[10:11], s[6:7], s[10:11]
.LBB40_470:
	v_cndmask_b32_e64 v7, 0, 1, s[10:11]
.LBB40_471:
	s_or_b64 exec, exec, s[4:5]
	v_or_b32_e32 v6, 0xe00, v0
	v_cmp_gt_i32_e32 vcc, s12, v6
                                        ; implicit-def: $vgpr6
	s_and_saveexec_b64 s[4:5], vcc
	s_cbranch_execz .LBB40_486
; %bb.472:
	s_cmp_lt_i32 s13, 1
	s_mov_b64 s[6:7], 0
	s_cbranch_scc1 .LBB40_477
; %bb.473:
	s_cmp_gt_i32 s13, 1
	s_cbranch_scc0 .LBB40_478
; %bb.474:
	s_cmp_eq_u32 s13, 2
	s_cbranch_scc0 .LBB40_548
; %bb.475:
	v_cmp_le_i32_e64 s[10:11], v20, v5
	s_mov_b64 s[14:15], 0
	s_branch .LBB40_480
.LBB40_476:
	v_cmp_lt_i32_e32 vcc, v21, v6
	s_andn2_b64 s[10:11], s[10:11], exec
	s_and_b64 s[14:15], vcc, exec
	s_or_b64 s[10:11], s[10:11], s[14:15]
	s_cbranch_execz .LBB40_469
	s_branch .LBB40_470
.LBB40_477:
                                        ; implicit-def: $sgpr10_sgpr11
	s_mov_b64 s[14:15], 0
	s_cbranch_execnz .LBB40_481
	s_branch .LBB40_482
.LBB40_478:
	s_mov_b64 s[14:15], 0
                                        ; implicit-def: $sgpr10_sgpr11
	s_cbranch_execz .LBB40_480
; %bb.479:
	v_cmp_gt_i32_e32 vcc, v20, v5
	s_andn2_b64 s[10:11], s[10:11], exec
	s_and_b64 s[16:17], vcc, exec
	s_or_b64 s[10:11], s[10:11], s[16:17]
.LBB40_480:
	s_branch .LBB40_482
.LBB40_481:
	s_cmp_lg_u32 s13, 0
	s_mov_b64 s[6:7], -1
	s_cselect_b64 s[14:15], -1, 0
.LBB40_482:
	s_andn2_b64 vcc, exec, s[14:15]
	s_cbranch_vccz .LBB40_491
; %bb.483:
	s_andn2_b64 vcc, exec, s[6:7]
	s_cbranch_vccnz .LBB40_485
.LBB40_484:
	v_cmp_ge_i32_e32 vcc, v20, v5
	s_andn2_b64 s[6:7], s[10:11], exec
	s_and_b64 s[10:11], vcc, exec
	s_or_b64 s[10:11], s[6:7], s[10:11]
.LBB40_485:
	v_cndmask_b32_e64 v6, 0, 1, s[10:11]
.LBB40_486:
	s_or_b64 exec, exec, s[4:5]
	v_or_b32_e32 v5, 0xf00, v0
	v_cmp_gt_i32_e32 vcc, s12, v5
                                        ; implicit-def: $vgpr5
	s_and_saveexec_b64 s[4:5], vcc
	s_cbranch_execz .LBB40_501
; %bb.487:
	s_cmp_lt_i32 s13, 1
	s_mov_b64 s[6:7], 0
	s_cbranch_scc1 .LBB40_492
; %bb.488:
	s_cmp_gt_i32 s13, 1
	s_cbranch_scc0 .LBB40_493
; %bb.489:
	s_cmp_eq_u32 s13, 2
	s_cbranch_scc0 .LBB40_549
; %bb.490:
	v_cmp_le_i32_e64 s[10:11], v3, v4
	s_mov_b64 s[14:15], 0
	s_branch .LBB40_495
.LBB40_491:
	v_cmp_lt_i32_e32 vcc, v20, v5
	s_andn2_b64 s[10:11], s[10:11], exec
	s_and_b64 s[14:15], vcc, exec
	s_or_b64 s[10:11], s[10:11], s[14:15]
	s_cbranch_execz .LBB40_484
	s_branch .LBB40_485
.LBB40_492:
                                        ; implicit-def: $sgpr10_sgpr11
	s_mov_b64 s[14:15], 0
	s_cbranch_execnz .LBB40_496
	s_branch .LBB40_497
.LBB40_493:
	s_mov_b64 s[14:15], 0
                                        ; implicit-def: $sgpr10_sgpr11
	s_cbranch_execz .LBB40_495
; %bb.494:
	v_cmp_gt_i32_e32 vcc, v3, v4
	s_andn2_b64 s[10:11], s[10:11], exec
	s_and_b64 s[16:17], vcc, exec
	s_or_b64 s[10:11], s[10:11], s[16:17]
.LBB40_495:
	s_branch .LBB40_497
.LBB40_496:
	s_cmp_lg_u32 s13, 0
	s_mov_b64 s[6:7], -1
	s_cselect_b64 s[14:15], -1, 0
.LBB40_497:
	s_andn2_b64 vcc, exec, s[14:15]
	s_cbranch_vccz .LBB40_534
; %bb.498:
	s_andn2_b64 vcc, exec, s[6:7]
	s_cbranch_vccnz .LBB40_500
.LBB40_499:
	v_cmp_ge_i32_e32 vcc, v3, v4
	s_andn2_b64 s[6:7], s[10:11], exec
	s_and_b64 s[10:11], vcc, exec
	s_or_b64 s[10:11], s[6:7], s[10:11]
.LBB40_500:
	v_cndmask_b32_e64 v5, 0, 1, s[10:11]
.LBB40_501:
	s_or_b64 exec, exec, s[4:5]
	s_and_saveexec_b64 s[4:5], s[0:1]
	s_xor_b64 s[0:1], exec, s[4:5]
	s_cbranch_execz .LBB40_503
; %bb.502:
	v_mov_b32_e32 v0, v17
	global_store_byte v1, v16, s[8:9]
.LBB40_503:
	s_or_b64 exec, exec, s[0:1]
	v_cmp_gt_i32_e32 vcc, s12, v0
	s_and_saveexec_b64 s[0:1], vcc
	s_cbranch_execnz .LBB40_520
; %bb.504:
	s_or_b64 exec, exec, s[0:1]
	v_cmp_gt_i32_e32 vcc, s12, v0
	s_and_saveexec_b64 s[0:1], vcc
	s_cbranch_execnz .LBB40_521
.LBB40_505:
	s_or_b64 exec, exec, s[0:1]
	v_cmp_gt_i32_e32 vcc, s12, v0
	s_and_saveexec_b64 s[0:1], vcc
	s_cbranch_execnz .LBB40_522
.LBB40_506:
	s_or_b64 exec, exec, s[0:1]
	v_cmp_gt_i32_e32 vcc, s12, v0
	s_and_saveexec_b64 s[0:1], vcc
	s_cbranch_execnz .LBB40_523
.LBB40_507:
	s_or_b64 exec, exec, s[0:1]
	v_cmp_gt_i32_e32 vcc, s12, v0
	s_and_saveexec_b64 s[0:1], vcc
	s_cbranch_execnz .LBB40_524
.LBB40_508:
	s_or_b64 exec, exec, s[0:1]
	v_cmp_gt_i32_e32 vcc, s12, v0
	s_and_saveexec_b64 s[0:1], vcc
	s_cbranch_execnz .LBB40_525
.LBB40_509:
	s_or_b64 exec, exec, s[0:1]
	v_cmp_gt_i32_e32 vcc, s12, v0
	s_and_saveexec_b64 s[0:1], vcc
	s_cbranch_execnz .LBB40_526
.LBB40_510:
	s_or_b64 exec, exec, s[0:1]
	v_cmp_gt_i32_e32 vcc, s12, v0
	s_and_saveexec_b64 s[0:1], vcc
	s_cbranch_execnz .LBB40_527
.LBB40_511:
	s_or_b64 exec, exec, s[0:1]
	v_cmp_gt_i32_e32 vcc, s12, v0
	s_and_saveexec_b64 s[0:1], vcc
	s_cbranch_execnz .LBB40_528
.LBB40_512:
	s_or_b64 exec, exec, s[0:1]
	v_cmp_gt_i32_e32 vcc, s12, v0
	s_and_saveexec_b64 s[0:1], vcc
	s_cbranch_execnz .LBB40_529
.LBB40_513:
	s_or_b64 exec, exec, s[0:1]
	v_cmp_gt_i32_e32 vcc, s12, v0
	s_and_saveexec_b64 s[0:1], vcc
	s_cbranch_execnz .LBB40_530
.LBB40_514:
	s_or_b64 exec, exec, s[0:1]
	v_cmp_gt_i32_e32 vcc, s12, v0
	s_and_saveexec_b64 s[0:1], vcc
	s_cbranch_execnz .LBB40_531
.LBB40_515:
	s_or_b64 exec, exec, s[0:1]
	v_cmp_gt_i32_e32 vcc, s12, v0
	s_and_saveexec_b64 s[0:1], vcc
	s_cbranch_execnz .LBB40_532
.LBB40_516:
	s_or_b64 exec, exec, s[0:1]
	v_cmp_gt_i32_e32 vcc, s12, v0
	s_and_saveexec_b64 s[0:1], vcc
	s_cbranch_execnz .LBB40_533
.LBB40_517:
	s_or_b64 exec, exec, s[0:1]
	v_cmp_gt_i32_e32 vcc, s12, v0
	s_and_saveexec_b64 s[0:1], vcc
	s_cbranch_execz .LBB40_519
.LBB40_518:
	v_add_u32_e32 v0, s2, v0
	global_store_byte v0, v5, s[8:9]
.LBB40_519:
	s_endpgm
.LBB40_520:
	v_add_u32_e32 v1, s2, v0
	v_add_u32_e32 v0, 0x100, v0
	global_store_byte v1, v18, s[8:9]
	s_or_b64 exec, exec, s[0:1]
	v_cmp_gt_i32_e32 vcc, s12, v0
	s_and_saveexec_b64 s[0:1], vcc
	s_cbranch_execz .LBB40_505
.LBB40_521:
	v_add_u32_e32 v1, s2, v0
	v_add_u32_e32 v0, 0x100, v0
	global_store_byte v1, v2, s[8:9]
	s_or_b64 exec, exec, s[0:1]
	v_cmp_gt_i32_e32 vcc, s12, v0
	s_and_saveexec_b64 s[0:1], vcc
	s_cbranch_execz .LBB40_506
.LBB40_522:
	v_add_u32_e32 v1, s2, v0
	v_add_u32_e32 v0, 0x100, v0
	global_store_byte v1, v15, s[8:9]
	s_or_b64 exec, exec, s[0:1]
	v_cmp_gt_i32_e32 vcc, s12, v0
	s_and_saveexec_b64 s[0:1], vcc
	s_cbranch_execz .LBB40_507
.LBB40_523:
	v_add_u32_e32 v1, s2, v0
	v_add_u32_e32 v0, 0x100, v0
	global_store_byte v1, v19, s[8:9]
	s_or_b64 exec, exec, s[0:1]
	v_cmp_gt_i32_e32 vcc, s12, v0
	s_and_saveexec_b64 s[0:1], vcc
	s_cbranch_execz .LBB40_508
.LBB40_524:
	v_add_u32_e32 v1, s2, v0
	v_add_u32_e32 v0, 0x100, v0
	global_store_byte v1, v30, s[8:9]
	s_or_b64 exec, exec, s[0:1]
	v_cmp_gt_i32_e32 vcc, s12, v0
	s_and_saveexec_b64 s[0:1], vcc
	s_cbranch_execz .LBB40_509
.LBB40_525:
	v_add_u32_e32 v1, s2, v0
	v_add_u32_e32 v0, 0x100, v0
	global_store_byte v1, v14, s[8:9]
	s_or_b64 exec, exec, s[0:1]
	v_cmp_gt_i32_e32 vcc, s12, v0
	s_and_saveexec_b64 s[0:1], vcc
	s_cbranch_execz .LBB40_510
.LBB40_526:
	v_add_u32_e32 v1, s2, v0
	v_add_u32_e32 v0, 0x100, v0
	global_store_byte v1, v13, s[8:9]
	s_or_b64 exec, exec, s[0:1]
	v_cmp_gt_i32_e32 vcc, s12, v0
	s_and_saveexec_b64 s[0:1], vcc
	s_cbranch_execz .LBB40_511
.LBB40_527:
	v_add_u32_e32 v1, s2, v0
	v_add_u32_e32 v0, 0x100, v0
	global_store_byte v1, v12, s[8:9]
	s_or_b64 exec, exec, s[0:1]
	v_cmp_gt_i32_e32 vcc, s12, v0
	s_and_saveexec_b64 s[0:1], vcc
	s_cbranch_execz .LBB40_512
.LBB40_528:
	v_add_u32_e32 v1, s2, v0
	v_add_u32_e32 v0, 0x100, v0
	global_store_byte v1, v11, s[8:9]
	s_or_b64 exec, exec, s[0:1]
	v_cmp_gt_i32_e32 vcc, s12, v0
	s_and_saveexec_b64 s[0:1], vcc
	s_cbranch_execz .LBB40_513
.LBB40_529:
	v_add_u32_e32 v1, s2, v0
	v_add_u32_e32 v0, 0x100, v0
	global_store_byte v1, v10, s[8:9]
	s_or_b64 exec, exec, s[0:1]
	v_cmp_gt_i32_e32 vcc, s12, v0
	s_and_saveexec_b64 s[0:1], vcc
	s_cbranch_execz .LBB40_514
.LBB40_530:
	v_add_u32_e32 v1, s2, v0
	v_add_u32_e32 v0, 0x100, v0
	global_store_byte v1, v9, s[8:9]
	s_or_b64 exec, exec, s[0:1]
	v_cmp_gt_i32_e32 vcc, s12, v0
	s_and_saveexec_b64 s[0:1], vcc
	s_cbranch_execz .LBB40_515
.LBB40_531:
	v_add_u32_e32 v1, s2, v0
	v_add_u32_e32 v0, 0x100, v0
	global_store_byte v1, v8, s[8:9]
	s_or_b64 exec, exec, s[0:1]
	v_cmp_gt_i32_e32 vcc, s12, v0
	s_and_saveexec_b64 s[0:1], vcc
	s_cbranch_execz .LBB40_516
.LBB40_532:
	v_add_u32_e32 v1, s2, v0
	v_add_u32_e32 v0, 0x100, v0
	global_store_byte v1, v7, s[8:9]
	s_or_b64 exec, exec, s[0:1]
	v_cmp_gt_i32_e32 vcc, s12, v0
	s_and_saveexec_b64 s[0:1], vcc
	s_cbranch_execz .LBB40_517
.LBB40_533:
	v_add_u32_e32 v1, s2, v0
	v_add_u32_e32 v0, 0x100, v0
	global_store_byte v1, v6, s[8:9]
	s_or_b64 exec, exec, s[0:1]
	v_cmp_gt_i32_e32 vcc, s12, v0
	s_and_saveexec_b64 s[0:1], vcc
	s_cbranch_execnz .LBB40_518
	s_branch .LBB40_519
.LBB40_534:
	v_cmp_lt_i32_e32 vcc, v3, v4
	s_andn2_b64 s[10:11], s[10:11], exec
	s_and_b64 s[14:15], vcc, exec
	s_or_b64 s[10:11], s[10:11], s[14:15]
	s_cbranch_execz .LBB40_499
	s_branch .LBB40_500
.LBB40_535:
	s_mov_b64 s[14:15], -1
                                        ; implicit-def: $sgpr10_sgpr11
	s_branch .LBB40_285
.LBB40_536:
	s_mov_b64 s[14:15], -1
                                        ; implicit-def: $sgpr10_sgpr11
	s_branch .LBB40_300
.LBB40_537:
	s_mov_b64 s[14:15], -1
                                        ; implicit-def: $sgpr10_sgpr11
	s_branch .LBB40_315
.LBB40_538:
	s_mov_b64 s[14:15], -1
                                        ; implicit-def: $sgpr10_sgpr11
	s_branch .LBB40_330
.LBB40_539:
	s_mov_b64 s[14:15], -1
                                        ; implicit-def: $sgpr10_sgpr11
	s_branch .LBB40_345
.LBB40_540:
	s_mov_b64 s[14:15], -1
                                        ; implicit-def: $sgpr10_sgpr11
	s_branch .LBB40_360
.LBB40_541:
	s_mov_b64 s[14:15], -1
                                        ; implicit-def: $sgpr10_sgpr11
	s_branch .LBB40_375
.LBB40_542:
	s_mov_b64 s[14:15], -1
                                        ; implicit-def: $sgpr10_sgpr11
	s_branch .LBB40_390
.LBB40_543:
	s_mov_b64 s[14:15], -1
                                        ; implicit-def: $sgpr10_sgpr11
	s_branch .LBB40_405
.LBB40_544:
	s_mov_b64 s[14:15], -1
                                        ; implicit-def: $sgpr10_sgpr11
	s_branch .LBB40_420
.LBB40_545:
	s_mov_b64 s[14:15], -1
                                        ; implicit-def: $sgpr10_sgpr11
	s_branch .LBB40_435
.LBB40_546:
	s_mov_b64 s[14:15], -1
                                        ; implicit-def: $sgpr10_sgpr11
	s_branch .LBB40_450
.LBB40_547:
	s_mov_b64 s[14:15], -1
                                        ; implicit-def: $sgpr10_sgpr11
	s_branch .LBB40_465
.LBB40_548:
	s_mov_b64 s[14:15], -1
                                        ; implicit-def: $sgpr10_sgpr11
	s_branch .LBB40_480
.LBB40_549:
	s_mov_b64 s[14:15], -1
                                        ; implicit-def: $sgpr10_sgpr11
	s_branch .LBB40_495
	.section	.rodata,"a",@progbits
	.p2align	6, 0x0
	.amdhsa_kernel _ZN2at6native29vectorized_elementwise_kernelILi16ENS0_12_GLOBAL__N_114CompareFunctorIiEESt5arrayIPcLm3EEEEviT0_T1_
		.amdhsa_group_segment_fixed_size 0
		.amdhsa_private_segment_fixed_size 0
		.amdhsa_kernarg_size 32
		.amdhsa_user_sgpr_count 6
		.amdhsa_user_sgpr_private_segment_buffer 1
		.amdhsa_user_sgpr_dispatch_ptr 0
		.amdhsa_user_sgpr_queue_ptr 0
		.amdhsa_user_sgpr_kernarg_segment_ptr 1
		.amdhsa_user_sgpr_dispatch_id 0
		.amdhsa_user_sgpr_flat_scratch_init 0
		.amdhsa_user_sgpr_private_segment_size 0
		.amdhsa_uses_dynamic_stack 0
		.amdhsa_system_sgpr_private_segment_wavefront_offset 0
		.amdhsa_system_sgpr_workgroup_id_x 1
		.amdhsa_system_sgpr_workgroup_id_y 0
		.amdhsa_system_sgpr_workgroup_id_z 0
		.amdhsa_system_sgpr_workgroup_info 0
		.amdhsa_system_vgpr_workitem_id 0
		.amdhsa_next_free_vgpr 38
		.amdhsa_next_free_sgpr 50
		.amdhsa_reserve_vcc 1
		.amdhsa_reserve_flat_scratch 0
		.amdhsa_float_round_mode_32 0
		.amdhsa_float_round_mode_16_64 0
		.amdhsa_float_denorm_mode_32 3
		.amdhsa_float_denorm_mode_16_64 3
		.amdhsa_dx10_clamp 1
		.amdhsa_ieee_mode 1
		.amdhsa_fp16_overflow 0
		.amdhsa_exception_fp_ieee_invalid_op 0
		.amdhsa_exception_fp_denorm_src 0
		.amdhsa_exception_fp_ieee_div_zero 0
		.amdhsa_exception_fp_ieee_overflow 0
		.amdhsa_exception_fp_ieee_underflow 0
		.amdhsa_exception_fp_ieee_inexact 0
		.amdhsa_exception_int_div_zero 0
	.end_amdhsa_kernel
	.section	.text._ZN2at6native29vectorized_elementwise_kernelILi16ENS0_12_GLOBAL__N_114CompareFunctorIiEESt5arrayIPcLm3EEEEviT0_T1_,"axG",@progbits,_ZN2at6native29vectorized_elementwise_kernelILi16ENS0_12_GLOBAL__N_114CompareFunctorIiEESt5arrayIPcLm3EEEEviT0_T1_,comdat
.Lfunc_end40:
	.size	_ZN2at6native29vectorized_elementwise_kernelILi16ENS0_12_GLOBAL__N_114CompareFunctorIiEESt5arrayIPcLm3EEEEviT0_T1_, .Lfunc_end40-_ZN2at6native29vectorized_elementwise_kernelILi16ENS0_12_GLOBAL__N_114CompareFunctorIiEESt5arrayIPcLm3EEEEviT0_T1_
                                        ; -- End function
	.set _ZN2at6native29vectorized_elementwise_kernelILi16ENS0_12_GLOBAL__N_114CompareFunctorIiEESt5arrayIPcLm3EEEEviT0_T1_.num_vgpr, 38
	.set _ZN2at6native29vectorized_elementwise_kernelILi16ENS0_12_GLOBAL__N_114CompareFunctorIiEESt5arrayIPcLm3EEEEviT0_T1_.num_agpr, 0
	.set _ZN2at6native29vectorized_elementwise_kernelILi16ENS0_12_GLOBAL__N_114CompareFunctorIiEESt5arrayIPcLm3EEEEviT0_T1_.numbered_sgpr, 50
	.set _ZN2at6native29vectorized_elementwise_kernelILi16ENS0_12_GLOBAL__N_114CompareFunctorIiEESt5arrayIPcLm3EEEEviT0_T1_.num_named_barrier, 0
	.set _ZN2at6native29vectorized_elementwise_kernelILi16ENS0_12_GLOBAL__N_114CompareFunctorIiEESt5arrayIPcLm3EEEEviT0_T1_.private_seg_size, 0
	.set _ZN2at6native29vectorized_elementwise_kernelILi16ENS0_12_GLOBAL__N_114CompareFunctorIiEESt5arrayIPcLm3EEEEviT0_T1_.uses_vcc, 1
	.set _ZN2at6native29vectorized_elementwise_kernelILi16ENS0_12_GLOBAL__N_114CompareFunctorIiEESt5arrayIPcLm3EEEEviT0_T1_.uses_flat_scratch, 0
	.set _ZN2at6native29vectorized_elementwise_kernelILi16ENS0_12_GLOBAL__N_114CompareFunctorIiEESt5arrayIPcLm3EEEEviT0_T1_.has_dyn_sized_stack, 0
	.set _ZN2at6native29vectorized_elementwise_kernelILi16ENS0_12_GLOBAL__N_114CompareFunctorIiEESt5arrayIPcLm3EEEEviT0_T1_.has_recursion, 0
	.set _ZN2at6native29vectorized_elementwise_kernelILi16ENS0_12_GLOBAL__N_114CompareFunctorIiEESt5arrayIPcLm3EEEEviT0_T1_.has_indirect_call, 0
	.section	.AMDGPU.csdata,"",@progbits
; Kernel info:
; codeLenInByte = 9488
; TotalNumSgprs: 54
; NumVgprs: 38
; ScratchSize: 0
; MemoryBound: 1
; FloatMode: 240
; IeeeMode: 1
; LDSByteSize: 0 bytes/workgroup (compile time only)
; SGPRBlocks: 6
; VGPRBlocks: 9
; NumSGPRsForWavesPerEU: 54
; NumVGPRsForWavesPerEU: 38
; Occupancy: 6
; WaveLimiterHint : 0
; COMPUTE_PGM_RSRC2:SCRATCH_EN: 0
; COMPUTE_PGM_RSRC2:USER_SGPR: 6
; COMPUTE_PGM_RSRC2:TRAP_HANDLER: 0
; COMPUTE_PGM_RSRC2:TGID_X_EN: 1
; COMPUTE_PGM_RSRC2:TGID_Y_EN: 0
; COMPUTE_PGM_RSRC2:TGID_Z_EN: 0
; COMPUTE_PGM_RSRC2:TIDIG_COMP_CNT: 0
	.section	.text._ZN2at6native29vectorized_elementwise_kernelILi8ENS0_12_GLOBAL__N_114CompareFunctorIiEESt5arrayIPcLm3EEEEviT0_T1_,"axG",@progbits,_ZN2at6native29vectorized_elementwise_kernelILi8ENS0_12_GLOBAL__N_114CompareFunctorIiEESt5arrayIPcLm3EEEEviT0_T1_,comdat
	.globl	_ZN2at6native29vectorized_elementwise_kernelILi8ENS0_12_GLOBAL__N_114CompareFunctorIiEESt5arrayIPcLm3EEEEviT0_T1_ ; -- Begin function _ZN2at6native29vectorized_elementwise_kernelILi8ENS0_12_GLOBAL__N_114CompareFunctorIiEESt5arrayIPcLm3EEEEviT0_T1_
	.p2align	8
	.type	_ZN2at6native29vectorized_elementwise_kernelILi8ENS0_12_GLOBAL__N_114CompareFunctorIiEESt5arrayIPcLm3EEEEviT0_T1_,@function
_ZN2at6native29vectorized_elementwise_kernelILi8ENS0_12_GLOBAL__N_114CompareFunctorIiEESt5arrayIPcLm3EEEEviT0_T1_: ; @_ZN2at6native29vectorized_elementwise_kernelILi8ENS0_12_GLOBAL__N_114CompareFunctorIiEESt5arrayIPcLm3EEEEviT0_T1_
; %bb.0:
	s_load_dwordx2 s[12:13], s[4:5], 0x0
	s_load_dwordx4 s[8:11], s[4:5], 0x8
	s_load_dwordx2 s[14:15], s[4:5], 0x18
	s_lshl_b32 s2, s6, 12
	s_mov_b64 s[0:1], -1
	s_waitcnt lgkmcnt(0)
	s_sub_i32 s12, s12, s2
	s_cmpk_gt_i32 s12, 0xfff
	s_cbranch_scc0 .LBB41_211
; %bb.1:
	s_ashr_i32 s3, s2, 31
	s_lshl_b64 s[4:5], s[2:3], 2
	s_add_u32 s0, s10, s4
	s_addc_u32 s1, s11, s5
	v_lshlrev_b32_e32 v13, 5, v0
	v_mov_b32_e32 v1, s1
	v_add_co_u32_e32 v2, vcc, s0, v13
	v_addc_co_u32_e32 v1, vcc, 0, v1, vcc
	v_add_co_u32_e32 v5, vcc, 0x2000, v2
	global_load_dwordx4 v[17:20], v13, s[0:1] offset:16
	global_load_dwordx4 v[25:28], v13, s[0:1]
	v_addc_co_u32_e64 v6, s[0:1], 0, v1, vcc
	s_add_u32 s0, s14, s4
	v_addc_co_u32_e32 v8, vcc, 0, v1, vcc
	v_mov_b32_e32 v7, v5
	s_addc_u32 s1, s15, s5
	global_load_dwordx4 v[9:12], v[7:8], off
	global_load_dwordx4 v[1:4], v[5:6], off offset:16
	v_mov_b32_e32 v5, s1
	v_add_co_u32_e32 v6, vcc, s0, v13
	v_addc_co_u32_e32 v5, vcc, 0, v5, vcc
	v_add_co_u32_e32 v33, vcc, 0x2000, v6
	global_load_dwordx4 v[21:24], v13, s[0:1] offset:16
	global_load_dwordx4 v[29:32], v13, s[0:1]
	v_addc_co_u32_e64 v34, s[0:1], 0, v5, vcc
	v_addc_co_u32_e32 v36, vcc, 0, v5, vcc
	v_mov_b32_e32 v35, v33
	global_load_dwordx4 v[13:16], v[35:36], off
	global_load_dwordx4 v[5:8], v[33:34], off offset:16
	s_cmp_lt_i32 s13, 1
	s_mov_b64 s[4:5], 0
	s_cbranch_scc1 .LBB41_5
; %bb.2:
	s_cmp_gt_i32 s13, 1
	s_cbranch_scc0 .LBB41_6
; %bb.3:
	s_cmp_eq_u32 s13, 2
	s_cbranch_scc0 .LBB41_7
; %bb.4:
	s_waitcnt vmcnt(2)
	v_cmp_le_i32_e64 s[0:1], v25, v29
	s_mov_b64 s[6:7], 0
	s_branch .LBB41_8
.LBB41_5:
                                        ; implicit-def: $sgpr0_sgpr1
	s_mov_b64 s[6:7], 0
	s_cbranch_execnz .LBB41_11
	s_branch .LBB41_12
.LBB41_6:
	s_mov_b64 s[6:7], 0
                                        ; implicit-def: $sgpr0_sgpr1
	s_cbranch_execnz .LBB41_9
	s_branch .LBB41_10
.LBB41_7:
	s_mov_b64 s[6:7], -1
                                        ; implicit-def: $sgpr0_sgpr1
.LBB41_8:
	s_branch .LBB41_10
.LBB41_9:
	s_waitcnt vmcnt(2)
	v_cmp_gt_i32_e32 vcc, v25, v29
	s_andn2_b64 s[0:1], s[0:1], exec
	s_and_b64 s[16:17], vcc, exec
	s_or_b64 s[0:1], s[0:1], s[16:17]
.LBB41_10:
	s_branch .LBB41_12
.LBB41_11:
	s_cmp_lg_u32 s13, 0
	s_mov_b64 s[4:5], -1
	s_cselect_b64 s[6:7], -1, 0
.LBB41_12:
	s_andn2_b64 vcc, exec, s[6:7]
	s_cbranch_vccz .LBB41_18
; %bb.13:
	s_andn2_b64 vcc, exec, s[4:5]
	s_cbranch_vccz .LBB41_19
.LBB41_14:
	s_cmp_lt_i32 s13, 1
	s_mov_b64 s[6:7], 0
	s_cbranch_scc1 .LBB41_20
.LBB41_15:
	s_cmp_gt_i32 s13, 1
	s_cbranch_scc0 .LBB41_21
; %bb.16:
	s_cmp_eq_u32 s13, 2
	s_cbranch_scc0 .LBB41_251
; %bb.17:
	s_waitcnt vmcnt(2)
	v_cmp_le_i32_e64 s[4:5], v26, v30
	s_mov_b64 s[16:17], 0
	s_branch .LBB41_23
.LBB41_18:
	s_waitcnt vmcnt(2)
	v_cmp_lt_i32_e32 vcc, v25, v29
	s_andn2_b64 s[0:1], s[0:1], exec
	s_and_b64 s[6:7], vcc, exec
	s_or_b64 s[0:1], s[0:1], s[6:7]
	s_cbranch_execnz .LBB41_14
.LBB41_19:
	s_waitcnt vmcnt(2)
	v_cmp_ge_i32_e32 vcc, v25, v29
	s_andn2_b64 s[0:1], s[0:1], exec
	s_and_b64 s[4:5], vcc, exec
	s_or_b64 s[0:1], s[0:1], s[4:5]
	s_cmp_lt_i32 s13, 1
	s_mov_b64 s[6:7], 0
	s_cbranch_scc0 .LBB41_15
.LBB41_20:
                                        ; implicit-def: $sgpr4_sgpr5
	s_mov_b64 s[16:17], 0
	s_cbranch_execnz .LBB41_24
	s_branch .LBB41_25
.LBB41_21:
	s_mov_b64 s[16:17], 0
                                        ; implicit-def: $sgpr4_sgpr5
	s_cbranch_execz .LBB41_23
; %bb.22:
	s_waitcnt vmcnt(2)
	v_cmp_gt_i32_e32 vcc, v26, v30
	s_andn2_b64 s[4:5], s[4:5], exec
	s_and_b64 s[18:19], vcc, exec
	s_or_b64 s[4:5], s[4:5], s[18:19]
.LBB41_23:
	s_branch .LBB41_25
.LBB41_24:
	s_cmp_lg_u32 s13, 0
	s_mov_b64 s[6:7], -1
	s_cselect_b64 s[16:17], -1, 0
.LBB41_25:
	s_andn2_b64 vcc, exec, s[16:17]
	s_cbranch_vccz .LBB41_31
; %bb.26:
	s_andn2_b64 vcc, exec, s[6:7]
	s_cbranch_vccz .LBB41_32
.LBB41_27:
	s_cmp_lt_i32 s13, 1
	s_mov_b64 s[16:17], 0
	s_cbranch_scc1 .LBB41_33
.LBB41_28:
	s_cmp_gt_i32 s13, 1
	s_cbranch_scc0 .LBB41_34
; %bb.29:
	s_cmp_eq_u32 s13, 2
	s_cbranch_scc0 .LBB41_252
; %bb.30:
	s_waitcnt vmcnt(2)
	v_cmp_le_i32_e64 s[6:7], v27, v31
	s_mov_b64 s[18:19], 0
	s_branch .LBB41_36
.LBB41_31:
	s_waitcnt vmcnt(2)
	v_cmp_lt_i32_e32 vcc, v26, v30
	s_andn2_b64 s[4:5], s[4:5], exec
	s_and_b64 s[16:17], vcc, exec
	s_or_b64 s[4:5], s[4:5], s[16:17]
	s_cbranch_execnz .LBB41_27
.LBB41_32:
	s_waitcnt vmcnt(2)
	v_cmp_ge_i32_e32 vcc, v26, v30
	s_andn2_b64 s[4:5], s[4:5], exec
	s_and_b64 s[6:7], vcc, exec
	s_or_b64 s[4:5], s[4:5], s[6:7]
	s_cmp_lt_i32 s13, 1
	s_mov_b64 s[16:17], 0
	s_cbranch_scc0 .LBB41_28
.LBB41_33:
                                        ; implicit-def: $sgpr6_sgpr7
	s_mov_b64 s[18:19], 0
	s_cbranch_execnz .LBB41_37
	s_branch .LBB41_38
.LBB41_34:
	s_mov_b64 s[18:19], 0
                                        ; implicit-def: $sgpr6_sgpr7
	s_cbranch_execz .LBB41_36
; %bb.35:
	s_waitcnt vmcnt(2)
	v_cmp_gt_i32_e32 vcc, v27, v31
	s_andn2_b64 s[6:7], s[6:7], exec
	s_and_b64 s[20:21], vcc, exec
	s_or_b64 s[6:7], s[6:7], s[20:21]
.LBB41_36:
	s_branch .LBB41_38
.LBB41_37:
	s_cmp_lg_u32 s13, 0
	s_mov_b64 s[16:17], -1
	s_cselect_b64 s[18:19], -1, 0
.LBB41_38:
	s_andn2_b64 vcc, exec, s[18:19]
	s_cbranch_vccz .LBB41_44
; %bb.39:
	s_andn2_b64 vcc, exec, s[16:17]
	s_cbranch_vccz .LBB41_45
.LBB41_40:
	s_cmp_lt_i32 s13, 1
	s_mov_b64 s[18:19], 0
	s_cbranch_scc1 .LBB41_46
.LBB41_41:
	s_cmp_gt_i32 s13, 1
	s_cbranch_scc0 .LBB41_47
; %bb.42:
	s_cmp_eq_u32 s13, 2
	s_cbranch_scc0 .LBB41_253
; %bb.43:
	s_waitcnt vmcnt(2)
	v_cmp_le_i32_e64 s[16:17], v28, v32
	s_mov_b64 s[20:21], 0
	s_branch .LBB41_49
.LBB41_44:
	s_waitcnt vmcnt(2)
	v_cmp_lt_i32_e32 vcc, v27, v31
	s_andn2_b64 s[6:7], s[6:7], exec
	s_and_b64 s[18:19], vcc, exec
	s_or_b64 s[6:7], s[6:7], s[18:19]
	s_cbranch_execnz .LBB41_40
.LBB41_45:
	s_waitcnt vmcnt(2)
	v_cmp_ge_i32_e32 vcc, v27, v31
	s_andn2_b64 s[6:7], s[6:7], exec
	s_and_b64 s[16:17], vcc, exec
	s_or_b64 s[6:7], s[6:7], s[16:17]
	s_cmp_lt_i32 s13, 1
	s_mov_b64 s[18:19], 0
	s_cbranch_scc0 .LBB41_41
.LBB41_46:
                                        ; implicit-def: $sgpr16_sgpr17
	s_mov_b64 s[20:21], 0
	s_cbranch_execnz .LBB41_50
	s_branch .LBB41_51
.LBB41_47:
	s_mov_b64 s[20:21], 0
                                        ; implicit-def: $sgpr16_sgpr17
	s_cbranch_execz .LBB41_49
; %bb.48:
	s_waitcnt vmcnt(2)
	v_cmp_gt_i32_e32 vcc, v28, v32
	s_andn2_b64 s[16:17], s[16:17], exec
	s_and_b64 s[22:23], vcc, exec
	s_or_b64 s[16:17], s[16:17], s[22:23]
.LBB41_49:
	s_branch .LBB41_51
.LBB41_50:
	s_cmp_lg_u32 s13, 0
	s_mov_b64 s[18:19], -1
	s_cselect_b64 s[20:21], -1, 0
.LBB41_51:
	s_andn2_b64 vcc, exec, s[20:21]
	s_cbranch_vccz .LBB41_57
; %bb.52:
	s_andn2_b64 vcc, exec, s[18:19]
	s_cbranch_vccz .LBB41_58
.LBB41_53:
	s_cmp_lt_i32 s13, 1
	s_mov_b64 s[20:21], 0
	s_cbranch_scc1 .LBB41_59
.LBB41_54:
	s_cmp_gt_i32 s13, 1
	s_cbranch_scc0 .LBB41_60
; %bb.55:
	s_cmp_eq_u32 s13, 2
	s_cbranch_scc0 .LBB41_254
; %bb.56:
	s_waitcnt vmcnt(3)
	v_cmp_le_i32_e64 s[18:19], v17, v21
	s_mov_b64 s[22:23], 0
	s_branch .LBB41_62
.LBB41_57:
	s_waitcnt vmcnt(2)
	v_cmp_lt_i32_e32 vcc, v28, v32
	s_andn2_b64 s[16:17], s[16:17], exec
	s_and_b64 s[20:21], vcc, exec
	s_or_b64 s[16:17], s[16:17], s[20:21]
	s_cbranch_execnz .LBB41_53
.LBB41_58:
	s_waitcnt vmcnt(2)
	v_cmp_ge_i32_e32 vcc, v28, v32
	s_andn2_b64 s[16:17], s[16:17], exec
	s_and_b64 s[18:19], vcc, exec
	s_or_b64 s[16:17], s[16:17], s[18:19]
	s_cmp_lt_i32 s13, 1
	s_mov_b64 s[20:21], 0
	s_cbranch_scc0 .LBB41_54
.LBB41_59:
                                        ; implicit-def: $sgpr18_sgpr19
	s_mov_b64 s[22:23], 0
	s_cbranch_execnz .LBB41_63
	s_branch .LBB41_64
.LBB41_60:
	s_mov_b64 s[22:23], 0
                                        ; implicit-def: $sgpr18_sgpr19
	s_cbranch_execz .LBB41_62
; %bb.61:
	s_waitcnt vmcnt(3)
	v_cmp_gt_i32_e32 vcc, v17, v21
	s_andn2_b64 s[18:19], s[18:19], exec
	s_and_b64 s[24:25], vcc, exec
	s_or_b64 s[18:19], s[18:19], s[24:25]
.LBB41_62:
	s_branch .LBB41_64
.LBB41_63:
	s_cmp_lg_u32 s13, 0
	s_mov_b64 s[20:21], -1
	s_cselect_b64 s[22:23], -1, 0
.LBB41_64:
	s_andn2_b64 vcc, exec, s[22:23]
	s_cbranch_vccz .LBB41_70
; %bb.65:
	s_andn2_b64 vcc, exec, s[20:21]
	s_cbranch_vccz .LBB41_71
.LBB41_66:
	s_cmp_lt_i32 s13, 1
	s_mov_b64 s[22:23], 0
	s_cbranch_scc1 .LBB41_72
.LBB41_67:
	s_cmp_gt_i32 s13, 1
	s_cbranch_scc0 .LBB41_73
; %bb.68:
	s_cmp_eq_u32 s13, 2
	s_cbranch_scc0 .LBB41_255
; %bb.69:
	s_waitcnt vmcnt(3)
	v_cmp_le_i32_e64 s[20:21], v18, v22
	s_mov_b64 s[24:25], 0
	s_branch .LBB41_75
.LBB41_70:
	s_waitcnt vmcnt(3)
	v_cmp_lt_i32_e32 vcc, v17, v21
	s_andn2_b64 s[18:19], s[18:19], exec
	s_and_b64 s[22:23], vcc, exec
	s_or_b64 s[18:19], s[18:19], s[22:23]
	s_cbranch_execnz .LBB41_66
.LBB41_71:
	s_waitcnt vmcnt(3)
	v_cmp_ge_i32_e32 vcc, v17, v21
	s_andn2_b64 s[18:19], s[18:19], exec
	s_and_b64 s[20:21], vcc, exec
	s_or_b64 s[18:19], s[18:19], s[20:21]
	s_cmp_lt_i32 s13, 1
	s_mov_b64 s[22:23], 0
	s_cbranch_scc0 .LBB41_67
.LBB41_72:
                                        ; implicit-def: $sgpr20_sgpr21
	s_mov_b64 s[24:25], 0
	s_cbranch_execnz .LBB41_76
	s_branch .LBB41_77
.LBB41_73:
	s_mov_b64 s[24:25], 0
                                        ; implicit-def: $sgpr20_sgpr21
	s_cbranch_execz .LBB41_75
; %bb.74:
	s_waitcnt vmcnt(3)
	v_cmp_gt_i32_e32 vcc, v18, v22
	s_andn2_b64 s[20:21], s[20:21], exec
	s_and_b64 s[26:27], vcc, exec
	s_or_b64 s[20:21], s[20:21], s[26:27]
.LBB41_75:
	s_branch .LBB41_77
.LBB41_76:
	s_cmp_lg_u32 s13, 0
	s_mov_b64 s[22:23], -1
	s_cselect_b64 s[24:25], -1, 0
.LBB41_77:
	s_andn2_b64 vcc, exec, s[24:25]
	s_cbranch_vccz .LBB41_83
; %bb.78:
	s_andn2_b64 vcc, exec, s[22:23]
	s_cbranch_vccz .LBB41_84
.LBB41_79:
	s_cmp_lt_i32 s13, 1
	s_mov_b64 s[24:25], 0
	s_cbranch_scc1 .LBB41_85
.LBB41_80:
	s_cmp_gt_i32 s13, 1
	s_cbranch_scc0 .LBB41_86
; %bb.81:
	s_cmp_eq_u32 s13, 2
	s_cbranch_scc0 .LBB41_256
; %bb.82:
	s_waitcnt vmcnt(3)
	v_cmp_le_i32_e64 s[22:23], v19, v23
	s_mov_b64 s[26:27], 0
	s_branch .LBB41_88
.LBB41_83:
	s_waitcnt vmcnt(3)
	v_cmp_lt_i32_e32 vcc, v18, v22
	s_andn2_b64 s[20:21], s[20:21], exec
	s_and_b64 s[24:25], vcc, exec
	s_or_b64 s[20:21], s[20:21], s[24:25]
	s_cbranch_execnz .LBB41_79
.LBB41_84:
	s_waitcnt vmcnt(3)
	v_cmp_ge_i32_e32 vcc, v18, v22
	s_andn2_b64 s[20:21], s[20:21], exec
	s_and_b64 s[22:23], vcc, exec
	s_or_b64 s[20:21], s[20:21], s[22:23]
	s_cmp_lt_i32 s13, 1
	s_mov_b64 s[24:25], 0
	s_cbranch_scc0 .LBB41_80
.LBB41_85:
                                        ; implicit-def: $sgpr22_sgpr23
	s_mov_b64 s[26:27], 0
	s_cbranch_execnz .LBB41_89
	s_branch .LBB41_90
.LBB41_86:
	s_mov_b64 s[26:27], 0
                                        ; implicit-def: $sgpr22_sgpr23
	s_cbranch_execz .LBB41_88
; %bb.87:
	s_waitcnt vmcnt(3)
	v_cmp_gt_i32_e32 vcc, v19, v23
	s_andn2_b64 s[22:23], s[22:23], exec
	s_and_b64 s[28:29], vcc, exec
	s_or_b64 s[22:23], s[22:23], s[28:29]
.LBB41_88:
	s_branch .LBB41_90
.LBB41_89:
	s_cmp_lg_u32 s13, 0
	s_mov_b64 s[24:25], -1
	s_cselect_b64 s[26:27], -1, 0
.LBB41_90:
	s_andn2_b64 vcc, exec, s[26:27]
	s_cbranch_vccz .LBB41_96
; %bb.91:
	s_andn2_b64 vcc, exec, s[24:25]
	s_cbranch_vccz .LBB41_97
.LBB41_92:
	s_cmp_lt_i32 s13, 1
	s_mov_b64 s[26:27], 0
	s_cbranch_scc1 .LBB41_98
.LBB41_93:
	s_cmp_gt_i32 s13, 1
	s_cbranch_scc0 .LBB41_99
; %bb.94:
	s_cmp_eq_u32 s13, 2
	s_cbranch_scc0 .LBB41_257
; %bb.95:
	s_waitcnt vmcnt(3)
	v_cmp_le_i32_e64 s[24:25], v20, v24
	s_mov_b64 s[28:29], 0
	s_branch .LBB41_101
.LBB41_96:
	s_waitcnt vmcnt(3)
	v_cmp_lt_i32_e32 vcc, v19, v23
	s_andn2_b64 s[22:23], s[22:23], exec
	s_and_b64 s[26:27], vcc, exec
	s_or_b64 s[22:23], s[22:23], s[26:27]
	s_cbranch_execnz .LBB41_92
.LBB41_97:
	s_waitcnt vmcnt(3)
	v_cmp_ge_i32_e32 vcc, v19, v23
	s_andn2_b64 s[22:23], s[22:23], exec
	s_and_b64 s[24:25], vcc, exec
	s_or_b64 s[22:23], s[22:23], s[24:25]
	s_cmp_lt_i32 s13, 1
	s_mov_b64 s[26:27], 0
	s_cbranch_scc0 .LBB41_93
.LBB41_98:
                                        ; implicit-def: $sgpr24_sgpr25
	s_mov_b64 s[28:29], 0
	s_cbranch_execnz .LBB41_102
	s_branch .LBB41_103
.LBB41_99:
	s_mov_b64 s[28:29], 0
                                        ; implicit-def: $sgpr24_sgpr25
	s_cbranch_execz .LBB41_101
; %bb.100:
	s_waitcnt vmcnt(3)
	v_cmp_gt_i32_e32 vcc, v20, v24
	s_andn2_b64 s[24:25], s[24:25], exec
	s_and_b64 s[30:31], vcc, exec
	s_or_b64 s[24:25], s[24:25], s[30:31]
.LBB41_101:
	s_branch .LBB41_103
.LBB41_102:
	s_cmp_lg_u32 s13, 0
	s_mov_b64 s[26:27], -1
	s_cselect_b64 s[28:29], -1, 0
.LBB41_103:
	s_andn2_b64 vcc, exec, s[28:29]
	s_cbranch_vccz .LBB41_109
; %bb.104:
	s_andn2_b64 vcc, exec, s[26:27]
	s_cbranch_vccz .LBB41_110
.LBB41_105:
	s_cmp_lt_i32 s13, 1
	s_mov_b64 s[28:29], 0
	s_cbranch_scc1 .LBB41_111
.LBB41_106:
	s_cmp_gt_i32 s13, 1
	s_cbranch_scc0 .LBB41_112
; %bb.107:
	s_cmp_eq_u32 s13, 2
	s_cbranch_scc0 .LBB41_258
; %bb.108:
	s_waitcnt vmcnt(1)
	v_cmp_le_i32_e64 s[26:27], v9, v13
	s_mov_b64 s[30:31], 0
	s_branch .LBB41_114
.LBB41_109:
	s_waitcnt vmcnt(3)
	v_cmp_lt_i32_e32 vcc, v20, v24
	s_andn2_b64 s[24:25], s[24:25], exec
	s_and_b64 s[28:29], vcc, exec
	s_or_b64 s[24:25], s[24:25], s[28:29]
	s_cbranch_execnz .LBB41_105
.LBB41_110:
	s_waitcnt vmcnt(3)
	v_cmp_ge_i32_e32 vcc, v20, v24
	s_andn2_b64 s[24:25], s[24:25], exec
	s_and_b64 s[26:27], vcc, exec
	s_or_b64 s[24:25], s[24:25], s[26:27]
	s_cmp_lt_i32 s13, 1
	s_mov_b64 s[28:29], 0
	s_cbranch_scc0 .LBB41_106
.LBB41_111:
                                        ; implicit-def: $sgpr26_sgpr27
	s_mov_b64 s[30:31], 0
	s_cbranch_execnz .LBB41_115
	s_branch .LBB41_116
.LBB41_112:
	s_mov_b64 s[30:31], 0
                                        ; implicit-def: $sgpr26_sgpr27
	s_cbranch_execz .LBB41_114
; %bb.113:
	s_waitcnt vmcnt(1)
	v_cmp_gt_i32_e32 vcc, v9, v13
	s_andn2_b64 s[26:27], s[26:27], exec
	s_and_b64 s[34:35], vcc, exec
	s_or_b64 s[26:27], s[26:27], s[34:35]
.LBB41_114:
	s_branch .LBB41_116
.LBB41_115:
	s_cmp_lg_u32 s13, 0
	s_mov_b64 s[28:29], -1
	s_cselect_b64 s[30:31], -1, 0
.LBB41_116:
	s_andn2_b64 vcc, exec, s[30:31]
	s_cbranch_vccz .LBB41_122
; %bb.117:
	s_andn2_b64 vcc, exec, s[28:29]
	s_cbranch_vccz .LBB41_123
.LBB41_118:
	s_cmp_lt_i32 s13, 1
	s_mov_b64 s[30:31], 0
	s_cbranch_scc1 .LBB41_124
.LBB41_119:
	s_cmp_gt_i32 s13, 1
	s_cbranch_scc0 .LBB41_125
; %bb.120:
	s_cmp_eq_u32 s13, 2
	s_cbranch_scc0 .LBB41_259
; %bb.121:
	s_waitcnt vmcnt(1)
	v_cmp_le_i32_e64 s[28:29], v10, v14
	s_mov_b64 s[34:35], 0
	s_branch .LBB41_127
.LBB41_122:
	s_waitcnt vmcnt(1)
	v_cmp_lt_i32_e32 vcc, v9, v13
	s_andn2_b64 s[26:27], s[26:27], exec
	s_and_b64 s[30:31], vcc, exec
	s_or_b64 s[26:27], s[26:27], s[30:31]
	s_cbranch_execnz .LBB41_118
.LBB41_123:
	s_waitcnt vmcnt(1)
	v_cmp_ge_i32_e32 vcc, v9, v13
	s_andn2_b64 s[26:27], s[26:27], exec
	s_and_b64 s[28:29], vcc, exec
	s_or_b64 s[26:27], s[26:27], s[28:29]
	s_cmp_lt_i32 s13, 1
	s_mov_b64 s[30:31], 0
	s_cbranch_scc0 .LBB41_119
.LBB41_124:
                                        ; implicit-def: $sgpr28_sgpr29
	s_mov_b64 s[34:35], 0
	s_cbranch_execnz .LBB41_128
	s_branch .LBB41_129
.LBB41_125:
	s_mov_b64 s[34:35], 0
                                        ; implicit-def: $sgpr28_sgpr29
	s_cbranch_execz .LBB41_127
; %bb.126:
	s_waitcnt vmcnt(1)
	v_cmp_gt_i32_e32 vcc, v10, v14
	s_andn2_b64 s[28:29], s[28:29], exec
	s_and_b64 s[36:37], vcc, exec
	s_or_b64 s[28:29], s[28:29], s[36:37]
.LBB41_127:
	s_branch .LBB41_129
.LBB41_128:
	s_cmp_lg_u32 s13, 0
	s_mov_b64 s[30:31], -1
	s_cselect_b64 s[34:35], -1, 0
.LBB41_129:
	s_andn2_b64 vcc, exec, s[34:35]
	s_cbranch_vccz .LBB41_135
; %bb.130:
	s_andn2_b64 vcc, exec, s[30:31]
	s_cbranch_vccz .LBB41_136
.LBB41_131:
	s_cmp_lt_i32 s13, 1
	s_mov_b64 s[34:35], 0
	s_cbranch_scc1 .LBB41_137
.LBB41_132:
	s_cmp_gt_i32 s13, 1
	s_cbranch_scc0 .LBB41_138
; %bb.133:
	s_cmp_eq_u32 s13, 2
	s_cbranch_scc0 .LBB41_260
; %bb.134:
	s_waitcnt vmcnt(1)
	v_cmp_le_i32_e64 s[30:31], v11, v15
	s_mov_b64 s[36:37], 0
	s_branch .LBB41_140
.LBB41_135:
	s_waitcnt vmcnt(1)
	v_cmp_lt_i32_e32 vcc, v10, v14
	s_andn2_b64 s[28:29], s[28:29], exec
	s_and_b64 s[34:35], vcc, exec
	s_or_b64 s[28:29], s[28:29], s[34:35]
	s_cbranch_execnz .LBB41_131
.LBB41_136:
	s_waitcnt vmcnt(1)
	v_cmp_ge_i32_e32 vcc, v10, v14
	s_andn2_b64 s[28:29], s[28:29], exec
	s_and_b64 s[30:31], vcc, exec
	s_or_b64 s[28:29], s[28:29], s[30:31]
	s_cmp_lt_i32 s13, 1
	s_mov_b64 s[34:35], 0
	s_cbranch_scc0 .LBB41_132
.LBB41_137:
                                        ; implicit-def: $sgpr30_sgpr31
	s_mov_b64 s[36:37], 0
	s_cbranch_execnz .LBB41_141
	s_branch .LBB41_142
.LBB41_138:
	s_mov_b64 s[36:37], 0
                                        ; implicit-def: $sgpr30_sgpr31
	s_cbranch_execz .LBB41_140
; %bb.139:
	s_waitcnt vmcnt(1)
	v_cmp_gt_i32_e32 vcc, v11, v15
	s_andn2_b64 s[30:31], s[30:31], exec
	s_and_b64 s[38:39], vcc, exec
	s_or_b64 s[30:31], s[30:31], s[38:39]
.LBB41_140:
	s_branch .LBB41_142
.LBB41_141:
	s_cmp_lg_u32 s13, 0
	s_mov_b64 s[34:35], -1
	s_cselect_b64 s[36:37], -1, 0
.LBB41_142:
	s_andn2_b64 vcc, exec, s[36:37]
	s_cbranch_vccz .LBB41_148
; %bb.143:
	s_andn2_b64 vcc, exec, s[34:35]
	s_cbranch_vccz .LBB41_149
.LBB41_144:
	s_cmp_lt_i32 s13, 1
	s_mov_b64 s[36:37], 0
	s_cbranch_scc1 .LBB41_150
.LBB41_145:
	s_cmp_gt_i32 s13, 1
	s_cbranch_scc0 .LBB41_151
; %bb.146:
	s_cmp_eq_u32 s13, 2
	s_cbranch_scc0 .LBB41_261
; %bb.147:
	s_waitcnt vmcnt(1)
	v_cmp_le_i32_e64 s[34:35], v12, v16
	s_mov_b64 s[38:39], 0
	s_branch .LBB41_153
.LBB41_148:
	s_waitcnt vmcnt(1)
	v_cmp_lt_i32_e32 vcc, v11, v15
	s_andn2_b64 s[30:31], s[30:31], exec
	s_and_b64 s[36:37], vcc, exec
	s_or_b64 s[30:31], s[30:31], s[36:37]
	s_cbranch_execnz .LBB41_144
.LBB41_149:
	s_waitcnt vmcnt(1)
	v_cmp_ge_i32_e32 vcc, v11, v15
	s_andn2_b64 s[30:31], s[30:31], exec
	s_and_b64 s[34:35], vcc, exec
	s_or_b64 s[30:31], s[30:31], s[34:35]
	s_cmp_lt_i32 s13, 1
	s_mov_b64 s[36:37], 0
	s_cbranch_scc0 .LBB41_145
.LBB41_150:
                                        ; implicit-def: $sgpr34_sgpr35
	s_mov_b64 s[38:39], 0
	s_cbranch_execnz .LBB41_154
	s_branch .LBB41_155
.LBB41_151:
	s_mov_b64 s[38:39], 0
                                        ; implicit-def: $sgpr34_sgpr35
	s_cbranch_execz .LBB41_153
; %bb.152:
	s_waitcnt vmcnt(1)
	v_cmp_gt_i32_e32 vcc, v12, v16
	s_andn2_b64 s[34:35], s[34:35], exec
	s_and_b64 s[40:41], vcc, exec
	s_or_b64 s[34:35], s[34:35], s[40:41]
.LBB41_153:
	s_branch .LBB41_155
.LBB41_154:
	s_cmp_lg_u32 s13, 0
	s_mov_b64 s[36:37], -1
	s_cselect_b64 s[38:39], -1, 0
.LBB41_155:
	s_andn2_b64 vcc, exec, s[38:39]
	s_cbranch_vccz .LBB41_161
; %bb.156:
	s_andn2_b64 vcc, exec, s[36:37]
	s_cbranch_vccz .LBB41_162
.LBB41_157:
	s_cmp_lt_i32 s13, 1
	s_mov_b64 s[38:39], 0
	s_cbranch_scc1 .LBB41_163
.LBB41_158:
	s_cmp_gt_i32 s13, 1
	s_cbranch_scc0 .LBB41_164
; %bb.159:
	s_cmp_eq_u32 s13, 2
	s_cbranch_scc0 .LBB41_262
; %bb.160:
	s_waitcnt vmcnt(0)
	v_cmp_le_i32_e64 s[36:37], v1, v5
	s_mov_b64 s[40:41], 0
	s_branch .LBB41_166
.LBB41_161:
	s_waitcnt vmcnt(1)
	v_cmp_lt_i32_e32 vcc, v12, v16
	s_andn2_b64 s[34:35], s[34:35], exec
	s_and_b64 s[38:39], vcc, exec
	s_or_b64 s[34:35], s[34:35], s[38:39]
	s_cbranch_execnz .LBB41_157
.LBB41_162:
	s_waitcnt vmcnt(1)
	v_cmp_ge_i32_e32 vcc, v12, v16
	s_andn2_b64 s[34:35], s[34:35], exec
	s_and_b64 s[36:37], vcc, exec
	s_or_b64 s[34:35], s[34:35], s[36:37]
	s_cmp_lt_i32 s13, 1
	s_mov_b64 s[38:39], 0
	s_cbranch_scc0 .LBB41_158
.LBB41_163:
                                        ; implicit-def: $sgpr36_sgpr37
	s_mov_b64 s[40:41], 0
	s_cbranch_execnz .LBB41_167
	s_branch .LBB41_168
.LBB41_164:
	s_mov_b64 s[40:41], 0
                                        ; implicit-def: $sgpr36_sgpr37
	s_cbranch_execz .LBB41_166
; %bb.165:
	s_waitcnt vmcnt(0)
	v_cmp_gt_i32_e32 vcc, v1, v5
	s_andn2_b64 s[36:37], s[36:37], exec
	s_and_b64 s[42:43], vcc, exec
	s_or_b64 s[36:37], s[36:37], s[42:43]
.LBB41_166:
	s_branch .LBB41_168
.LBB41_167:
	s_cmp_lg_u32 s13, 0
	s_mov_b64 s[38:39], -1
	s_cselect_b64 s[40:41], -1, 0
.LBB41_168:
	s_andn2_b64 vcc, exec, s[40:41]
	s_cbranch_vccz .LBB41_174
; %bb.169:
	s_andn2_b64 vcc, exec, s[38:39]
	s_cbranch_vccz .LBB41_175
.LBB41_170:
	s_cmp_lt_i32 s13, 1
	s_mov_b64 s[40:41], 0
	s_cbranch_scc1 .LBB41_176
.LBB41_171:
	s_cmp_gt_i32 s13, 1
	s_cbranch_scc0 .LBB41_177
; %bb.172:
	s_cmp_eq_u32 s13, 2
	s_cbranch_scc0 .LBB41_263
; %bb.173:
	s_waitcnt vmcnt(0)
	v_cmp_le_i32_e64 s[38:39], v2, v6
	s_mov_b64 s[42:43], 0
	s_branch .LBB41_179
.LBB41_174:
	s_waitcnt vmcnt(0)
	v_cmp_lt_i32_e32 vcc, v1, v5
	s_andn2_b64 s[36:37], s[36:37], exec
	s_and_b64 s[40:41], vcc, exec
	s_or_b64 s[36:37], s[36:37], s[40:41]
	s_cbranch_execnz .LBB41_170
.LBB41_175:
	s_waitcnt vmcnt(0)
	v_cmp_ge_i32_e32 vcc, v1, v5
	s_andn2_b64 s[36:37], s[36:37], exec
	s_and_b64 s[38:39], vcc, exec
	s_or_b64 s[36:37], s[36:37], s[38:39]
	s_cmp_lt_i32 s13, 1
	s_mov_b64 s[40:41], 0
	s_cbranch_scc0 .LBB41_171
.LBB41_176:
                                        ; implicit-def: $sgpr38_sgpr39
	s_mov_b64 s[42:43], 0
	s_cbranch_execnz .LBB41_180
	s_branch .LBB41_181
.LBB41_177:
	s_mov_b64 s[42:43], 0
                                        ; implicit-def: $sgpr38_sgpr39
	s_cbranch_execz .LBB41_179
; %bb.178:
	s_waitcnt vmcnt(0)
	v_cmp_gt_i32_e32 vcc, v2, v6
	s_andn2_b64 s[38:39], s[38:39], exec
	s_and_b64 s[44:45], vcc, exec
	s_or_b64 s[38:39], s[38:39], s[44:45]
.LBB41_179:
	s_branch .LBB41_181
.LBB41_180:
	s_cmp_lg_u32 s13, 0
	s_mov_b64 s[40:41], -1
	s_cselect_b64 s[42:43], -1, 0
.LBB41_181:
	s_andn2_b64 vcc, exec, s[42:43]
	s_cbranch_vccz .LBB41_187
; %bb.182:
	s_andn2_b64 vcc, exec, s[40:41]
	s_cbranch_vccz .LBB41_188
.LBB41_183:
	s_cmp_lt_i32 s13, 1
	s_mov_b64 s[42:43], 0
	s_cbranch_scc1 .LBB41_189
.LBB41_184:
	s_cmp_gt_i32 s13, 1
	s_cbranch_scc0 .LBB41_190
; %bb.185:
	s_cmp_eq_u32 s13, 2
	s_cbranch_scc0 .LBB41_264
; %bb.186:
	s_waitcnt vmcnt(0)
	v_cmp_le_i32_e64 s[40:41], v3, v7
	s_mov_b64 s[44:45], 0
	s_branch .LBB41_192
.LBB41_187:
	s_waitcnt vmcnt(0)
	v_cmp_lt_i32_e32 vcc, v2, v6
	s_andn2_b64 s[38:39], s[38:39], exec
	s_and_b64 s[42:43], vcc, exec
	s_or_b64 s[38:39], s[38:39], s[42:43]
	s_cbranch_execnz .LBB41_183
.LBB41_188:
	s_waitcnt vmcnt(0)
	v_cmp_ge_i32_e32 vcc, v2, v6
	s_andn2_b64 s[38:39], s[38:39], exec
	s_and_b64 s[40:41], vcc, exec
	s_or_b64 s[38:39], s[38:39], s[40:41]
	s_cmp_lt_i32 s13, 1
	s_mov_b64 s[42:43], 0
	s_cbranch_scc0 .LBB41_184
.LBB41_189:
                                        ; implicit-def: $sgpr40_sgpr41
	s_mov_b64 s[44:45], 0
	s_cbranch_execnz .LBB41_193
	s_branch .LBB41_194
.LBB41_190:
	s_mov_b64 s[44:45], 0
                                        ; implicit-def: $sgpr40_sgpr41
	s_cbranch_execz .LBB41_192
; %bb.191:
	s_waitcnt vmcnt(0)
	v_cmp_gt_i32_e32 vcc, v3, v7
	s_andn2_b64 s[40:41], s[40:41], exec
	s_and_b64 s[46:47], vcc, exec
	s_or_b64 s[40:41], s[40:41], s[46:47]
.LBB41_192:
	s_branch .LBB41_194
.LBB41_193:
	s_cmp_lg_u32 s13, 0
	s_mov_b64 s[42:43], -1
	s_cselect_b64 s[44:45], -1, 0
.LBB41_194:
	s_andn2_b64 vcc, exec, s[44:45]
	s_cbranch_vccz .LBB41_200
; %bb.195:
	s_andn2_b64 vcc, exec, s[42:43]
	s_cbranch_vccz .LBB41_201
.LBB41_196:
	s_cmp_lt_i32 s13, 1
	s_mov_b64 s[44:45], 0
	s_cbranch_scc1 .LBB41_202
.LBB41_197:
	s_cmp_gt_i32 s13, 1
	s_cbranch_scc0 .LBB41_203
; %bb.198:
	s_cmp_eq_u32 s13, 2
	s_cbranch_scc0 .LBB41_265
; %bb.199:
	s_waitcnt vmcnt(0)
	v_cmp_le_i32_e64 s[42:43], v4, v8
	s_mov_b64 s[46:47], 0
	s_branch .LBB41_205
.LBB41_200:
	s_waitcnt vmcnt(0)
	v_cmp_lt_i32_e32 vcc, v3, v7
	s_andn2_b64 s[40:41], s[40:41], exec
	s_and_b64 s[44:45], vcc, exec
	s_or_b64 s[40:41], s[40:41], s[44:45]
	s_cbranch_execnz .LBB41_196
.LBB41_201:
	s_waitcnt vmcnt(0)
	v_cmp_ge_i32_e32 vcc, v3, v7
	s_andn2_b64 s[40:41], s[40:41], exec
	s_and_b64 s[42:43], vcc, exec
	s_or_b64 s[40:41], s[40:41], s[42:43]
	s_cmp_lt_i32 s13, 1
	s_mov_b64 s[44:45], 0
	s_cbranch_scc0 .LBB41_197
.LBB41_202:
                                        ; implicit-def: $sgpr42_sgpr43
	s_mov_b64 s[46:47], 0
	s_cbranch_execnz .LBB41_206
	s_branch .LBB41_207
.LBB41_203:
	s_mov_b64 s[46:47], 0
                                        ; implicit-def: $sgpr42_sgpr43
	s_cbranch_execz .LBB41_205
; %bb.204:
	s_waitcnt vmcnt(0)
	v_cmp_gt_i32_e32 vcc, v4, v8
	s_andn2_b64 s[42:43], s[42:43], exec
	s_and_b64 s[48:49], vcc, exec
	s_or_b64 s[42:43], s[42:43], s[48:49]
.LBB41_205:
	s_branch .LBB41_207
.LBB41_206:
	s_cmp_lg_u32 s13, 0
	s_mov_b64 s[44:45], -1
	s_cselect_b64 s[46:47], -1, 0
.LBB41_207:
	s_andn2_b64 vcc, exec, s[46:47]
	s_cbranch_vccz .LBB41_249
; %bb.208:
	s_andn2_b64 vcc, exec, s[44:45]
	s_cbranch_vccnz .LBB41_210
.LBB41_209:
	s_waitcnt vmcnt(0)
	v_cmp_ge_i32_e32 vcc, v4, v8
	s_andn2_b64 s[42:43], s[42:43], exec
	s_and_b64 s[44:45], vcc, exec
	s_or_b64 s[42:43], s[42:43], s[44:45]
.LBB41_210:
	s_waitcnt vmcnt(4)
	v_mov_b32_e32 v1, 0x100
	v_cndmask_b32_e64 v2, 0, v1, s[28:29]
	v_cndmask_b32_e64 v3, 0, 1, s[26:27]
	v_or_b32_e32 v2, v2, v3
	v_mov_b32_e32 v3, 0x10000
	s_waitcnt vmcnt(0)
	v_mov_b32_e32 v5, 0x1000000
	v_cndmask_b32_e64 v4, 0, v3, s[30:31]
	v_cndmask_b32_e64 v6, 0, v5, s[34:35]
	v_or3_b32 v7, 0, 0, 0
	v_or3_b32 v2, v2, v4, v6
	v_cndmask_b32_e64 v4, 0, 1, s[36:37]
	v_cndmask_b32_e64 v6, 0, v1, s[38:39]
	v_or3_b32 v4, v7, v4, v6
	v_or3_b32 v6, v2, 0, 0
	v_cndmask_b32_e64 v2, 0, v1, s[4:5]
	v_cndmask_b32_e64 v9, 0, 1, s[0:1]
	v_or_b32_e32 v2, v2, v9
	v_cndmask_b32_e64 v9, 0, v3, s[6:7]
	v_cndmask_b32_e64 v10, 0, v5, s[16:17]
	v_or3_b32 v2, v2, v9, v10
	v_cndmask_b32_e64 v9, 0, 1, s[18:19]
	v_cndmask_b32_e64 v1, 0, v1, s[20:21]
	v_cndmask_b32_e64 v8, 0, v3, s[40:41]
	v_or3_b32 v1, v7, v9, v1
	v_or3_b32 v7, v2, 0, 0
	v_cndmask_b32_e64 v2, 0, v3, s[22:23]
	v_cndmask_b32_e64 v3, 0, v5, s[24:25]
	s_add_u32 s0, s8, s2
	v_or3_b32 v2, v1, v2, v3
	v_or3_b32 v1, v7, 0, 0
	v_cndmask_b32_e64 v3, 0, v5, s[42:43]
	s_addc_u32 s1, s9, s3
	v_lshlrev_b32_e32 v5, 3, v0
	v_or3_b32 v4, v4, v8, v3
	v_or3_b32 v3, v6, 0, 0
	global_store_dwordx2 v5, v[1:2], s[0:1]
	global_store_dwordx2 v5, v[3:4], s[0:1] offset:2048
	s_mov_b64 s[0:1], 0
.LBB41_211:
	s_and_b64 vcc, exec, s[0:1]
	s_cbranch_vccz .LBB41_519
; %bb.212:
	v_cmp_gt_i32_e64 s[0:1], s12, v0
	v_mov_b32_e32 v3, 0
	v_or_b32_e32 v1, s2, v0
	v_mov_b32_e32 v20, 0
	v_mov_b32_e32 v21, 0
	;; [unrolled: 1-line block ×31, first 2 shown]
	s_and_saveexec_b64 s[4:5], s[0:1]
	s_cbranch_execz .LBB41_244
; %bb.213:
	v_mov_b32_e32 v2, 0
	v_lshlrev_b64 v[3:4], 2, v[1:2]
	v_mov_b32_e32 v6, s11
	v_add_co_u32_e32 v5, vcc, s10, v3
	v_addc_co_u32_e32 v6, vcc, v6, v4, vcc
	global_load_dword v36, v[5:6], off
	v_mov_b32_e32 v5, s15
	v_add_co_u32_e32 v3, vcc, s14, v3
	v_addc_co_u32_e32 v4, vcc, v5, v4, vcc
	global_load_dword v37, v[3:4], off
	v_or_b32_e32 v3, 0x100, v0
	v_cmp_gt_u32_e32 vcc, s12, v3
	v_mov_b32_e32 v35, v2
	v_mov_b32_e32 v15, v2
	v_mov_b32_e32 v34, v2
	v_mov_b32_e32 v32, v2
	v_mov_b32_e32 v33, v2
	v_mov_b32_e32 v31, v2
	v_mov_b32_e32 v30, v2
	v_mov_b32_e32 v14, v2
	v_mov_b32_e32 v29, v2
	v_mov_b32_e32 v13, v2
	v_mov_b32_e32 v28, v2
	v_mov_b32_e32 v12, v2
	v_mov_b32_e32 v27, v2
	v_mov_b32_e32 v11, v2
	v_mov_b32_e32 v26, v2
	v_mov_b32_e32 v25, v2
	v_mov_b32_e32 v24, v2
	v_mov_b32_e32 v23, v2
	v_mov_b32_e32 v22, v2
	v_mov_b32_e32 v21, v2
	v_mov_b32_e32 v20, v2
	v_mov_b32_e32 v3, v2
	v_mov_b32_e32 v10, v2
	v_mov_b32_e32 v9, v2
	v_mov_b32_e32 v8, v2
	v_mov_b32_e32 v7, v2
	v_mov_b32_e32 v6, v2
	v_mov_b32_e32 v5, v2
	v_mov_b32_e32 v4, v2
	s_and_saveexec_b64 s[6:7], vcc
	s_cbranch_execz .LBB41_243
; %bb.214:
	v_add_u32_e32 v14, s2, v0
	v_mov_b32_e32 v15, 0
	v_lshlrev_b64 v[2:3], 2, v[14:15]
	v_mov_b32_e32 v4, s11
	v_add_co_u32_e32 v16, vcc, s10, v2
	v_addc_co_u32_e32 v17, vcc, v4, v3, vcc
	v_mov_b32_e32 v4, s15
	v_add_co_u32_e32 v18, vcc, s14, v2
	v_addc_co_u32_e32 v19, vcc, v4, v3, vcc
	global_load_dword v35, v[16:17], off offset:1024
	global_load_dword v2, v[18:19], off offset:1024
	v_or_b32_e32 v3, 0x200, v0
	v_cmp_gt_u32_e32 vcc, s12, v3
	v_mov_b32_e32 v34, v15
	v_mov_b32_e32 v32, v15
	;; [unrolled: 1-line block ×27, first 2 shown]
	s_and_saveexec_b64 s[16:17], vcc
	s_cbranch_execz .LBB41_242
; %bb.215:
	global_load_dword v34, v[16:17], off offset:2048
	global_load_dword v15, v[18:19], off offset:2048
	v_or_b32_e32 v3, 0x300, v0
	v_cmp_gt_u32_e32 vcc, s12, v3
	v_mov_b32_e32 v32, 0
	v_mov_b32_e32 v33, 0
	v_mov_b32_e32 v31, 0
	v_mov_b32_e32 v30, 0
	v_mov_b32_e32 v14, 0
	v_mov_b32_e32 v29, 0
	v_mov_b32_e32 v13, 0
	v_mov_b32_e32 v28, 0
	v_mov_b32_e32 v12, 0
	v_mov_b32_e32 v27, 0
	v_mov_b32_e32 v11, 0
	v_mov_b32_e32 v26, 0
	v_mov_b32_e32 v10, 0
	v_mov_b32_e32 v25, 0
	v_mov_b32_e32 v9, 0
	v_mov_b32_e32 v24, 0
	v_mov_b32_e32 v8, 0
	v_mov_b32_e32 v23, 0
	v_mov_b32_e32 v22, 0
	v_mov_b32_e32 v21, 0
	v_mov_b32_e32 v20, 0
	v_mov_b32_e32 v3, 0
	v_mov_b32_e32 v7, 0
	v_mov_b32_e32 v6, 0
	v_mov_b32_e32 v5, 0
	v_mov_b32_e32 v4, 0
	s_and_saveexec_b64 s[18:19], vcc
	s_cbranch_execz .LBB41_241
; %bb.216:
	global_load_dword v33, v[16:17], off offset:3072
	global_load_dword v32, v[18:19], off offset:3072
	v_or_b32_e32 v16, 0x400, v0
	v_cmp_gt_u32_e32 vcc, s12, v16
	v_mov_b32_e32 v31, 0
	v_mov_b32_e32 v30, 0
	;; [unrolled: 1-line block ×24, first 2 shown]
	s_and_saveexec_b64 s[20:21], vcc
	s_cbranch_execz .LBB41_240
; %bb.217:
	v_or_b32_e32 v13, s2, v16
	v_mov_b32_e32 v14, 0
	v_lshlrev_b64 v[3:4], 2, v[13:14]
	v_mov_b32_e32 v6, s11
	v_add_co_u32_e32 v5, vcc, s10, v3
	v_addc_co_u32_e32 v6, vcc, v6, v4, vcc
	global_load_dword v30, v[5:6], off
	v_mov_b32_e32 v5, s15
	v_add_co_u32_e32 v3, vcc, s14, v3
	v_addc_co_u32_e32 v4, vcc, v5, v4, vcc
	global_load_dword v31, v[3:4], off
	v_or_b32_e32 v16, 0x500, v0
	v_cmp_gt_u32_e32 vcc, s12, v16
	v_mov_b32_e32 v29, v14
	v_mov_b32_e32 v13, v14
	;; [unrolled: 1-line block ×21, first 2 shown]
	s_and_saveexec_b64 s[22:23], vcc
	s_cbranch_execz .LBB41_239
; %bb.218:
	v_or_b32_e32 v12, s2, v16
	v_mov_b32_e32 v13, 0
	v_lshlrev_b64 v[3:4], 2, v[12:13]
	v_mov_b32_e32 v6, s11
	v_add_co_u32_e32 v5, vcc, s10, v3
	v_addc_co_u32_e32 v6, vcc, v6, v4, vcc
	global_load_dword v29, v[5:6], off
	v_mov_b32_e32 v5, s15
	v_add_co_u32_e32 v3, vcc, s14, v3
	v_addc_co_u32_e32 v4, vcc, v5, v4, vcc
	global_load_dword v14, v[3:4], off
	v_or_b32_e32 v16, 0x600, v0
	v_cmp_gt_u32_e32 vcc, s12, v16
	v_mov_b32_e32 v28, v13
	v_mov_b32_e32 v12, v13
	;; [unrolled: 1-line block ×19, first 2 shown]
	s_and_saveexec_b64 s[24:25], vcc
	s_cbranch_execz .LBB41_238
; %bb.219:
	v_or_b32_e32 v11, s2, v16
	v_mov_b32_e32 v12, 0
	v_lshlrev_b64 v[3:4], 2, v[11:12]
	v_mov_b32_e32 v6, s11
	v_add_co_u32_e32 v5, vcc, s10, v3
	v_addc_co_u32_e32 v6, vcc, v6, v4, vcc
	global_load_dword v28, v[5:6], off
	v_mov_b32_e32 v5, s15
	v_add_co_u32_e32 v3, vcc, s14, v3
	v_addc_co_u32_e32 v4, vcc, v5, v4, vcc
	global_load_dword v13, v[3:4], off
	v_or_b32_e32 v16, 0x700, v0
	v_cmp_gt_u32_e32 vcc, s12, v16
	v_mov_b32_e32 v27, v12
	v_mov_b32_e32 v11, v12
	;; [unrolled: 1-line block ×17, first 2 shown]
	s_and_saveexec_b64 s[26:27], vcc
	s_cbranch_execz .LBB41_237
; %bb.220:
	v_or_b32_e32 v10, s2, v16
	v_mov_b32_e32 v11, 0
	v_lshlrev_b64 v[3:4], 2, v[10:11]
	v_mov_b32_e32 v6, s11
	v_add_co_u32_e32 v5, vcc, s10, v3
	v_addc_co_u32_e32 v6, vcc, v6, v4, vcc
	global_load_dword v27, v[5:6], off
	v_mov_b32_e32 v5, s15
	v_add_co_u32_e32 v3, vcc, s14, v3
	v_addc_co_u32_e32 v4, vcc, v5, v4, vcc
	global_load_dword v12, v[3:4], off
	v_or_b32_e32 v16, 0x800, v0
	v_cmp_gt_u32_e32 vcc, s12, v16
	v_mov_b32_e32 v26, v11
	v_mov_b32_e32 v10, v11
	;; [unrolled: 1-line block ×15, first 2 shown]
	s_and_saveexec_b64 s[28:29], vcc
	s_cbranch_execz .LBB41_236
; %bb.221:
	v_or_b32_e32 v9, s2, v16
	v_mov_b32_e32 v10, 0
	v_lshlrev_b64 v[3:4], 2, v[9:10]
	v_mov_b32_e32 v6, s11
	v_add_co_u32_e32 v5, vcc, s10, v3
	v_addc_co_u32_e32 v6, vcc, v6, v4, vcc
	global_load_dword v26, v[5:6], off
	v_mov_b32_e32 v5, s15
	v_add_co_u32_e32 v3, vcc, s14, v3
	v_addc_co_u32_e32 v4, vcc, v5, v4, vcc
	global_load_dword v11, v[3:4], off
	v_or_b32_e32 v16, 0x900, v0
	v_cmp_gt_u32_e32 vcc, s12, v16
	v_mov_b32_e32 v25, v10
	v_mov_b32_e32 v9, v10
	;; [unrolled: 1-line block ×13, first 2 shown]
	s_and_saveexec_b64 s[30:31], vcc
	s_cbranch_execz .LBB41_235
; %bb.222:
	v_or_b32_e32 v8, s2, v16
	v_mov_b32_e32 v9, 0
	v_lshlrev_b64 v[3:4], 2, v[8:9]
	v_mov_b32_e32 v6, s11
	v_add_co_u32_e32 v5, vcc, s10, v3
	v_addc_co_u32_e32 v6, vcc, v6, v4, vcc
	global_load_dword v25, v[5:6], off
	v_mov_b32_e32 v5, s15
	v_add_co_u32_e32 v3, vcc, s14, v3
	v_addc_co_u32_e32 v4, vcc, v5, v4, vcc
	global_load_dword v10, v[3:4], off
	v_or_b32_e32 v16, 0xa00, v0
	v_cmp_gt_u32_e32 vcc, s12, v16
	v_mov_b32_e32 v24, v9
	v_mov_b32_e32 v8, v9
	;; [unrolled: 1-line block ×11, first 2 shown]
	s_and_saveexec_b64 s[34:35], vcc
	s_cbranch_execz .LBB41_234
; %bb.223:
	v_or_b32_e32 v7, s2, v16
	v_mov_b32_e32 v8, 0
	v_lshlrev_b64 v[3:4], 2, v[7:8]
	v_mov_b32_e32 v6, s11
	v_add_co_u32_e32 v5, vcc, s10, v3
	v_addc_co_u32_e32 v6, vcc, v6, v4, vcc
	global_load_dword v24, v[5:6], off
	v_mov_b32_e32 v5, s15
	v_add_co_u32_e32 v3, vcc, s14, v3
	v_addc_co_u32_e32 v4, vcc, v5, v4, vcc
	global_load_dword v9, v[3:4], off
	v_or_b32_e32 v16, 0xb00, v0
	v_cmp_gt_u32_e32 vcc, s12, v16
	v_mov_b32_e32 v23, v8
	v_mov_b32_e32 v7, v8
	;; [unrolled: 1-line block ×9, first 2 shown]
	s_and_saveexec_b64 s[36:37], vcc
	s_cbranch_execz .LBB41_233
; %bb.224:
	v_or_b32_e32 v6, s2, v16
	v_mov_b32_e32 v7, 0
	v_lshlrev_b64 v[3:4], 2, v[6:7]
	v_mov_b32_e32 v6, s11
	v_add_co_u32_e32 v5, vcc, s10, v3
	v_addc_co_u32_e32 v6, vcc, v6, v4, vcc
	global_load_dword v23, v[5:6], off
	v_mov_b32_e32 v5, s15
	v_add_co_u32_e32 v3, vcc, s14, v3
	v_addc_co_u32_e32 v4, vcc, v5, v4, vcc
	global_load_dword v8, v[3:4], off
	v_or_b32_e32 v16, 0xc00, v0
	v_cmp_gt_u32_e32 vcc, s12, v16
	v_mov_b32_e32 v22, v7
	v_mov_b32_e32 v6, v7
	;; [unrolled: 1-line block ×7, first 2 shown]
	s_and_saveexec_b64 s[38:39], vcc
	s_cbranch_execz .LBB41_232
; %bb.225:
	v_or_b32_e32 v5, s2, v16
	v_mov_b32_e32 v6, 0
	v_lshlrev_b64 v[3:4], 2, v[5:6]
	v_mov_b32_e32 v5, s11
	v_add_co_u32_e32 v16, vcc, s10, v3
	v_addc_co_u32_e32 v17, vcc, v5, v4, vcc
	v_mov_b32_e32 v5, s15
	v_add_co_u32_e32 v3, vcc, s14, v3
	v_addc_co_u32_e32 v4, vcc, v5, v4, vcc
	global_load_dword v22, v[16:17], off
	global_load_dword v7, v[3:4], off
	v_or_b32_e32 v16, 0xd00, v0
	v_cmp_gt_u32_e32 vcc, s12, v16
	v_mov_b32_e32 v21, v6
	v_mov_b32_e32 v5, v6
	;; [unrolled: 1-line block ×5, first 2 shown]
	s_and_saveexec_b64 s[40:41], vcc
	s_cbranch_execz .LBB41_231
; %bb.226:
	v_add_u32_e32 v4, s2, v16
	v_mov_b32_e32 v5, 0
	v_lshlrev_b64 v[3:4], 2, v[4:5]
	v_mov_b32_e32 v6, s11
	v_add_co_u32_e32 v16, vcc, s10, v3
	v_addc_co_u32_e32 v17, vcc, v6, v4, vcc
	v_mov_b32_e32 v6, s15
	v_add_co_u32_e32 v3, vcc, s14, v3
	v_addc_co_u32_e32 v4, vcc, v6, v4, vcc
	global_load_dword v21, v[16:17], off
	global_load_dword v6, v[3:4], off
	v_or_b32_e32 v16, 0xe00, v0
	v_cmp_gt_u32_e32 vcc, s12, v16
	v_mov_b32_e32 v20, v5
	v_mov_b32_e32 v4, v5
	;; [unrolled: 1-line block ×3, first 2 shown]
	s_and_saveexec_b64 s[42:43], vcc
	s_cbranch_execz .LBB41_230
; %bb.227:
	v_add_u32_e32 v3, s2, v16
	v_mov_b32_e32 v4, 0
	v_lshlrev_b64 v[16:17], 2, v[3:4]
	v_mov_b32_e32 v3, s11
	v_add_co_u32_e32 v18, vcc, s10, v16
	v_addc_co_u32_e32 v19, vcc, v3, v17, vcc
	v_mov_b32_e32 v3, s15
	v_add_co_u32_e32 v16, vcc, s14, v16
	v_addc_co_u32_e32 v17, vcc, v3, v17, vcc
	global_load_dword v20, v[18:19], off
	global_load_dword v5, v[16:17], off
	v_or_b32_e32 v16, 0xf00, v0
	v_cmp_gt_u32_e32 vcc, s12, v16
	v_mov_b32_e32 v3, v4
	s_and_saveexec_b64 s[44:45], vcc
	s_cbranch_execz .LBB41_229
; %bb.228:
	v_add_u32_e32 v3, s2, v16
	v_mov_b32_e32 v4, 0
	v_lshlrev_b64 v[3:4], 2, v[3:4]
	v_mov_b32_e32 v17, s15
	v_add_co_u32_e32 v16, vcc, s14, v3
	v_addc_co_u32_e32 v17, vcc, v17, v4, vcc
	v_mov_b32_e32 v19, s11
	v_add_co_u32_e32 v18, vcc, s10, v3
	v_addc_co_u32_e32 v19, vcc, v19, v4, vcc
	global_load_dword v3, v[18:19], off
	global_load_dword v4, v[16:17], off
.LBB41_229:
	s_or_b64 exec, exec, s[44:45]
.LBB41_230:
	s_or_b64 exec, exec, s[42:43]
.LBB41_231:
	s_or_b64 exec, exec, s[40:41]
.LBB41_232:
	s_or_b64 exec, exec, s[38:39]
.LBB41_233:
	s_or_b64 exec, exec, s[36:37]
.LBB41_234:
	s_or_b64 exec, exec, s[34:35]
.LBB41_235:
	s_or_b64 exec, exec, s[30:31]
.LBB41_236:
	s_or_b64 exec, exec, s[28:29]
.LBB41_237:
	s_or_b64 exec, exec, s[26:27]
.LBB41_238:
	s_or_b64 exec, exec, s[24:25]
.LBB41_239:
	s_or_b64 exec, exec, s[22:23]
.LBB41_240:
	s_or_b64 exec, exec, s[20:21]
.LBB41_241:
	s_or_b64 exec, exec, s[18:19]
.LBB41_242:
	s_or_b64 exec, exec, s[16:17]
.LBB41_243:
	s_or_b64 exec, exec, s[6:7]
.LBB41_244:
	s_or_b64 exec, exec, s[4:5]
                                        ; implicit-def: $vgpr16
	s_and_saveexec_b64 s[4:5], s[0:1]
	s_cbranch_execz .LBB41_276
; %bb.245:
	s_cmp_lt_i32 s13, 1
	s_mov_b64 s[6:7], 0
	s_cbranch_scc1 .LBB41_250
; %bb.246:
	s_cmp_gt_i32 s13, 1
	s_cbranch_scc0 .LBB41_266
; %bb.247:
	s_cmp_eq_u32 s13, 2
	s_cbranch_scc0 .LBB41_267
; %bb.248:
	s_waitcnt vmcnt(0)
	v_cmp_le_i32_e64 s[10:11], v36, v37
	s_mov_b64 s[14:15], 0
	s_branch .LBB41_268
.LBB41_249:
	s_waitcnt vmcnt(0)
	v_cmp_lt_i32_e32 vcc, v4, v8
	s_andn2_b64 s[42:43], s[42:43], exec
	s_and_b64 s[46:47], vcc, exec
	s_or_b64 s[42:43], s[42:43], s[46:47]
	s_cbranch_execz .LBB41_209
	s_branch .LBB41_210
.LBB41_250:
                                        ; implicit-def: $sgpr10_sgpr11
	s_mov_b64 s[14:15], 0
	s_cbranch_execnz .LBB41_271
	s_branch .LBB41_272
.LBB41_251:
	s_mov_b64 s[16:17], -1
                                        ; implicit-def: $sgpr4_sgpr5
	s_branch .LBB41_23
.LBB41_252:
	s_mov_b64 s[18:19], -1
                                        ; implicit-def: $sgpr6_sgpr7
	s_branch .LBB41_36
.LBB41_253:
	s_mov_b64 s[20:21], -1
                                        ; implicit-def: $sgpr16_sgpr17
	s_branch .LBB41_49
.LBB41_254:
	s_mov_b64 s[22:23], -1
                                        ; implicit-def: $sgpr18_sgpr19
	s_branch .LBB41_62
.LBB41_255:
	s_mov_b64 s[24:25], -1
                                        ; implicit-def: $sgpr20_sgpr21
	s_branch .LBB41_75
.LBB41_256:
	s_mov_b64 s[26:27], -1
                                        ; implicit-def: $sgpr22_sgpr23
	s_branch .LBB41_88
.LBB41_257:
	s_mov_b64 s[28:29], -1
                                        ; implicit-def: $sgpr24_sgpr25
	s_branch .LBB41_101
.LBB41_258:
	s_mov_b64 s[30:31], -1
                                        ; implicit-def: $sgpr26_sgpr27
	s_branch .LBB41_114
.LBB41_259:
	s_mov_b64 s[34:35], -1
                                        ; implicit-def: $sgpr28_sgpr29
	s_branch .LBB41_127
.LBB41_260:
	s_mov_b64 s[36:37], -1
                                        ; implicit-def: $sgpr30_sgpr31
	s_branch .LBB41_140
.LBB41_261:
	s_mov_b64 s[38:39], -1
                                        ; implicit-def: $sgpr34_sgpr35
	s_branch .LBB41_153
.LBB41_262:
	s_mov_b64 s[40:41], -1
                                        ; implicit-def: $sgpr36_sgpr37
	s_branch .LBB41_166
.LBB41_263:
	s_mov_b64 s[42:43], -1
                                        ; implicit-def: $sgpr38_sgpr39
	s_branch .LBB41_179
.LBB41_264:
	s_mov_b64 s[44:45], -1
                                        ; implicit-def: $sgpr40_sgpr41
	s_branch .LBB41_192
.LBB41_265:
	s_mov_b64 s[46:47], -1
                                        ; implicit-def: $sgpr42_sgpr43
	s_branch .LBB41_205
.LBB41_266:
	s_mov_b64 s[14:15], 0
                                        ; implicit-def: $sgpr10_sgpr11
	s_cbranch_execnz .LBB41_269
	s_branch .LBB41_270
.LBB41_267:
	s_mov_b64 s[14:15], -1
                                        ; implicit-def: $sgpr10_sgpr11
.LBB41_268:
	s_branch .LBB41_270
.LBB41_269:
	s_waitcnt vmcnt(0)
	v_cmp_gt_i32_e32 vcc, v36, v37
	s_andn2_b64 s[10:11], s[10:11], exec
	s_and_b64 s[16:17], vcc, exec
	s_or_b64 s[10:11], s[10:11], s[16:17]
.LBB41_270:
	s_branch .LBB41_272
.LBB41_271:
	s_cmp_lg_u32 s13, 0
	s_mov_b64 s[6:7], -1
	s_cselect_b64 s[14:15], -1, 0
.LBB41_272:
	s_andn2_b64 vcc, exec, s[14:15]
	s_cbranch_vccz .LBB41_281
; %bb.273:
	s_andn2_b64 vcc, exec, s[6:7]
	s_cbranch_vccnz .LBB41_275
.LBB41_274:
	s_waitcnt vmcnt(0)
	v_cmp_ge_i32_e32 vcc, v36, v37
	s_andn2_b64 s[6:7], s[10:11], exec
	s_and_b64 s[10:11], vcc, exec
	s_or_b64 s[10:11], s[6:7], s[10:11]
.LBB41_275:
	v_cndmask_b32_e64 v16, 0, 1, s[10:11]
.LBB41_276:
	s_or_b64 exec, exec, s[4:5]
	v_or_b32_e32 v17, 0x100, v0
	v_cmp_gt_i32_e32 vcc, s12, v17
                                        ; implicit-def: $vgpr18
	s_and_saveexec_b64 s[4:5], vcc
	s_cbranch_execz .LBB41_291
; %bb.277:
	s_cmp_lt_i32 s13, 1
	s_mov_b64 s[6:7], 0
	s_cbranch_scc1 .LBB41_282
; %bb.278:
	s_cmp_gt_i32 s13, 1
	s_cbranch_scc0 .LBB41_283
; %bb.279:
	s_cmp_eq_u32 s13, 2
	s_cbranch_scc0 .LBB41_535
; %bb.280:
	s_waitcnt vmcnt(0)
	v_cmp_le_i32_e64 s[10:11], v35, v2
	s_mov_b64 s[14:15], 0
	s_branch .LBB41_285
.LBB41_281:
	s_waitcnt vmcnt(0)
	v_cmp_lt_i32_e32 vcc, v36, v37
	s_andn2_b64 s[10:11], s[10:11], exec
	s_and_b64 s[14:15], vcc, exec
	s_or_b64 s[10:11], s[10:11], s[14:15]
	s_cbranch_execz .LBB41_274
	s_branch .LBB41_275
.LBB41_282:
                                        ; implicit-def: $sgpr10_sgpr11
	s_mov_b64 s[14:15], 0
	s_cbranch_execnz .LBB41_286
	s_branch .LBB41_287
.LBB41_283:
	s_mov_b64 s[14:15], 0
                                        ; implicit-def: $sgpr10_sgpr11
	s_cbranch_execz .LBB41_285
; %bb.284:
	s_waitcnt vmcnt(0)
	v_cmp_gt_i32_e32 vcc, v35, v2
	s_andn2_b64 s[10:11], s[10:11], exec
	s_and_b64 s[16:17], vcc, exec
	s_or_b64 s[10:11], s[10:11], s[16:17]
.LBB41_285:
	s_branch .LBB41_287
.LBB41_286:
	s_cmp_lg_u32 s13, 0
	s_mov_b64 s[6:7], -1
	s_cselect_b64 s[14:15], -1, 0
.LBB41_287:
	s_andn2_b64 vcc, exec, s[14:15]
	s_cbranch_vccz .LBB41_296
; %bb.288:
	s_andn2_b64 vcc, exec, s[6:7]
	s_cbranch_vccnz .LBB41_290
.LBB41_289:
	s_waitcnt vmcnt(0)
	v_cmp_ge_i32_e32 vcc, v35, v2
	s_andn2_b64 s[6:7], s[10:11], exec
	s_and_b64 s[10:11], vcc, exec
	s_or_b64 s[10:11], s[6:7], s[10:11]
.LBB41_290:
	v_cndmask_b32_e64 v18, 0, 1, s[10:11]
.LBB41_291:
	s_or_b64 exec, exec, s[4:5]
	s_waitcnt vmcnt(0)
	v_or_b32_e32 v2, 0x200, v0
	v_cmp_gt_i32_e32 vcc, s12, v2
                                        ; implicit-def: $vgpr2
	s_and_saveexec_b64 s[4:5], vcc
	s_cbranch_execz .LBB41_306
; %bb.292:
	s_cmp_lt_i32 s13, 1
	s_mov_b64 s[6:7], 0
	s_cbranch_scc1 .LBB41_297
; %bb.293:
	s_cmp_gt_i32 s13, 1
	s_cbranch_scc0 .LBB41_298
; %bb.294:
	s_cmp_eq_u32 s13, 2
	s_cbranch_scc0 .LBB41_536
; %bb.295:
	v_cmp_le_i32_e64 s[10:11], v34, v15
	s_mov_b64 s[14:15], 0
	s_branch .LBB41_300
.LBB41_296:
	s_waitcnt vmcnt(0)
	v_cmp_lt_i32_e32 vcc, v35, v2
	s_andn2_b64 s[10:11], s[10:11], exec
	s_and_b64 s[14:15], vcc, exec
	s_or_b64 s[10:11], s[10:11], s[14:15]
	s_cbranch_execz .LBB41_289
	s_branch .LBB41_290
.LBB41_297:
                                        ; implicit-def: $sgpr10_sgpr11
	s_mov_b64 s[14:15], 0
	s_cbranch_execnz .LBB41_301
	s_branch .LBB41_302
.LBB41_298:
	s_mov_b64 s[14:15], 0
                                        ; implicit-def: $sgpr10_sgpr11
	s_cbranch_execz .LBB41_300
; %bb.299:
	v_cmp_gt_i32_e32 vcc, v34, v15
	s_andn2_b64 s[10:11], s[10:11], exec
	s_and_b64 s[16:17], vcc, exec
	s_or_b64 s[10:11], s[10:11], s[16:17]
.LBB41_300:
	s_branch .LBB41_302
.LBB41_301:
	s_cmp_lg_u32 s13, 0
	s_mov_b64 s[6:7], -1
	s_cselect_b64 s[14:15], -1, 0
.LBB41_302:
	s_andn2_b64 vcc, exec, s[14:15]
	s_cbranch_vccz .LBB41_311
; %bb.303:
	s_andn2_b64 vcc, exec, s[6:7]
	s_cbranch_vccnz .LBB41_305
.LBB41_304:
	v_cmp_ge_i32_e32 vcc, v34, v15
	s_andn2_b64 s[6:7], s[10:11], exec
	s_and_b64 s[10:11], vcc, exec
	s_or_b64 s[10:11], s[6:7], s[10:11]
.LBB41_305:
	v_cndmask_b32_e64 v2, 0, 1, s[10:11]
.LBB41_306:
	s_or_b64 exec, exec, s[4:5]
	v_or_b32_e32 v15, 0x300, v0
	v_cmp_gt_i32_e32 vcc, s12, v15
                                        ; implicit-def: $vgpr15
	s_and_saveexec_b64 s[4:5], vcc
	s_cbranch_execz .LBB41_321
; %bb.307:
	s_cmp_lt_i32 s13, 1
	s_mov_b64 s[6:7], 0
	s_cbranch_scc1 .LBB41_312
; %bb.308:
	s_cmp_gt_i32 s13, 1
	s_cbranch_scc0 .LBB41_313
; %bb.309:
	s_cmp_eq_u32 s13, 2
	s_cbranch_scc0 .LBB41_537
; %bb.310:
	v_cmp_le_i32_e64 s[10:11], v33, v32
	s_mov_b64 s[14:15], 0
	s_branch .LBB41_315
.LBB41_311:
	v_cmp_lt_i32_e32 vcc, v34, v15
	s_andn2_b64 s[10:11], s[10:11], exec
	s_and_b64 s[14:15], vcc, exec
	s_or_b64 s[10:11], s[10:11], s[14:15]
	s_cbranch_execz .LBB41_304
	s_branch .LBB41_305
.LBB41_312:
                                        ; implicit-def: $sgpr10_sgpr11
	s_mov_b64 s[14:15], 0
	s_cbranch_execnz .LBB41_316
	s_branch .LBB41_317
.LBB41_313:
	s_mov_b64 s[14:15], 0
                                        ; implicit-def: $sgpr10_sgpr11
	s_cbranch_execz .LBB41_315
; %bb.314:
	v_cmp_gt_i32_e32 vcc, v33, v32
	s_andn2_b64 s[10:11], s[10:11], exec
	s_and_b64 s[16:17], vcc, exec
	s_or_b64 s[10:11], s[10:11], s[16:17]
.LBB41_315:
	s_branch .LBB41_317
.LBB41_316:
	s_cmp_lg_u32 s13, 0
	s_mov_b64 s[6:7], -1
	s_cselect_b64 s[14:15], -1, 0
.LBB41_317:
	s_andn2_b64 vcc, exec, s[14:15]
	s_cbranch_vccz .LBB41_326
; %bb.318:
	s_andn2_b64 vcc, exec, s[6:7]
	s_cbranch_vccnz .LBB41_320
.LBB41_319:
	v_cmp_ge_i32_e32 vcc, v33, v32
	s_andn2_b64 s[6:7], s[10:11], exec
	s_and_b64 s[10:11], vcc, exec
	s_or_b64 s[10:11], s[6:7], s[10:11]
.LBB41_320:
	v_cndmask_b32_e64 v15, 0, 1, s[10:11]
.LBB41_321:
	s_or_b64 exec, exec, s[4:5]
	v_or_b32_e32 v19, 0x400, v0
	v_cmp_gt_i32_e32 vcc, s12, v19
                                        ; implicit-def: $vgpr19
	s_and_saveexec_b64 s[4:5], vcc
	s_cbranch_execz .LBB41_336
; %bb.322:
	s_cmp_lt_i32 s13, 1
	s_mov_b64 s[6:7], 0
	s_cbranch_scc1 .LBB41_327
; %bb.323:
	s_cmp_gt_i32 s13, 1
	s_cbranch_scc0 .LBB41_328
; %bb.324:
	s_cmp_eq_u32 s13, 2
	s_cbranch_scc0 .LBB41_538
; %bb.325:
	v_cmp_le_i32_e64 s[10:11], v30, v31
	s_mov_b64 s[14:15], 0
	s_branch .LBB41_330
.LBB41_326:
	v_cmp_lt_i32_e32 vcc, v33, v32
	s_andn2_b64 s[10:11], s[10:11], exec
	s_and_b64 s[14:15], vcc, exec
	s_or_b64 s[10:11], s[10:11], s[14:15]
	s_cbranch_execz .LBB41_319
	s_branch .LBB41_320
.LBB41_327:
                                        ; implicit-def: $sgpr10_sgpr11
	s_mov_b64 s[14:15], 0
	s_cbranch_execnz .LBB41_331
	s_branch .LBB41_332
.LBB41_328:
	s_mov_b64 s[14:15], 0
                                        ; implicit-def: $sgpr10_sgpr11
	s_cbranch_execz .LBB41_330
; %bb.329:
	v_cmp_gt_i32_e32 vcc, v30, v31
	s_andn2_b64 s[10:11], s[10:11], exec
	s_and_b64 s[16:17], vcc, exec
	s_or_b64 s[10:11], s[10:11], s[16:17]
.LBB41_330:
	s_branch .LBB41_332
.LBB41_331:
	s_cmp_lg_u32 s13, 0
	s_mov_b64 s[6:7], -1
	s_cselect_b64 s[14:15], -1, 0
.LBB41_332:
	s_andn2_b64 vcc, exec, s[14:15]
	s_cbranch_vccz .LBB41_341
; %bb.333:
	s_andn2_b64 vcc, exec, s[6:7]
	s_cbranch_vccnz .LBB41_335
.LBB41_334:
	v_cmp_ge_i32_e32 vcc, v30, v31
	s_andn2_b64 s[6:7], s[10:11], exec
	s_and_b64 s[10:11], vcc, exec
	s_or_b64 s[10:11], s[6:7], s[10:11]
.LBB41_335:
	v_cndmask_b32_e64 v19, 0, 1, s[10:11]
.LBB41_336:
	s_or_b64 exec, exec, s[4:5]
	v_or_b32_e32 v30, 0x500, v0
	v_cmp_gt_i32_e32 vcc, s12, v30
                                        ; implicit-def: $vgpr30
	s_and_saveexec_b64 s[4:5], vcc
	s_cbranch_execz .LBB41_351
; %bb.337:
	s_cmp_lt_i32 s13, 1
	s_mov_b64 s[6:7], 0
	s_cbranch_scc1 .LBB41_342
; %bb.338:
	s_cmp_gt_i32 s13, 1
	s_cbranch_scc0 .LBB41_343
; %bb.339:
	s_cmp_eq_u32 s13, 2
	s_cbranch_scc0 .LBB41_539
; %bb.340:
	v_cmp_le_i32_e64 s[10:11], v29, v14
	s_mov_b64 s[14:15], 0
	s_branch .LBB41_345
.LBB41_341:
	v_cmp_lt_i32_e32 vcc, v30, v31
	s_andn2_b64 s[10:11], s[10:11], exec
	s_and_b64 s[14:15], vcc, exec
	s_or_b64 s[10:11], s[10:11], s[14:15]
	s_cbranch_execz .LBB41_334
	s_branch .LBB41_335
.LBB41_342:
                                        ; implicit-def: $sgpr10_sgpr11
	s_mov_b64 s[14:15], 0
	s_cbranch_execnz .LBB41_346
	s_branch .LBB41_347
.LBB41_343:
	s_mov_b64 s[14:15], 0
                                        ; implicit-def: $sgpr10_sgpr11
	s_cbranch_execz .LBB41_345
; %bb.344:
	v_cmp_gt_i32_e32 vcc, v29, v14
	s_andn2_b64 s[10:11], s[10:11], exec
	s_and_b64 s[16:17], vcc, exec
	s_or_b64 s[10:11], s[10:11], s[16:17]
.LBB41_345:
	s_branch .LBB41_347
.LBB41_346:
	s_cmp_lg_u32 s13, 0
	s_mov_b64 s[6:7], -1
	s_cselect_b64 s[14:15], -1, 0
.LBB41_347:
	s_andn2_b64 vcc, exec, s[14:15]
	s_cbranch_vccz .LBB41_356
; %bb.348:
	s_andn2_b64 vcc, exec, s[6:7]
	s_cbranch_vccnz .LBB41_350
.LBB41_349:
	v_cmp_ge_i32_e32 vcc, v29, v14
	s_andn2_b64 s[6:7], s[10:11], exec
	s_and_b64 s[10:11], vcc, exec
	s_or_b64 s[10:11], s[6:7], s[10:11]
.LBB41_350:
	v_cndmask_b32_e64 v30, 0, 1, s[10:11]
.LBB41_351:
	s_or_b64 exec, exec, s[4:5]
	v_or_b32_e32 v14, 0x600, v0
	v_cmp_gt_i32_e32 vcc, s12, v14
                                        ; implicit-def: $vgpr14
	s_and_saveexec_b64 s[4:5], vcc
	s_cbranch_execz .LBB41_366
; %bb.352:
	s_cmp_lt_i32 s13, 1
	s_mov_b64 s[6:7], 0
	s_cbranch_scc1 .LBB41_357
; %bb.353:
	s_cmp_gt_i32 s13, 1
	s_cbranch_scc0 .LBB41_358
; %bb.354:
	s_cmp_eq_u32 s13, 2
	s_cbranch_scc0 .LBB41_540
; %bb.355:
	v_cmp_le_i32_e64 s[10:11], v28, v13
	s_mov_b64 s[14:15], 0
	s_branch .LBB41_360
.LBB41_356:
	v_cmp_lt_i32_e32 vcc, v29, v14
	s_andn2_b64 s[10:11], s[10:11], exec
	s_and_b64 s[14:15], vcc, exec
	s_or_b64 s[10:11], s[10:11], s[14:15]
	s_cbranch_execz .LBB41_349
	s_branch .LBB41_350
.LBB41_357:
                                        ; implicit-def: $sgpr10_sgpr11
	s_mov_b64 s[14:15], 0
	s_cbranch_execnz .LBB41_361
	s_branch .LBB41_362
.LBB41_358:
	s_mov_b64 s[14:15], 0
                                        ; implicit-def: $sgpr10_sgpr11
	s_cbranch_execz .LBB41_360
; %bb.359:
	v_cmp_gt_i32_e32 vcc, v28, v13
	s_andn2_b64 s[10:11], s[10:11], exec
	s_and_b64 s[16:17], vcc, exec
	s_or_b64 s[10:11], s[10:11], s[16:17]
.LBB41_360:
	s_branch .LBB41_362
.LBB41_361:
	s_cmp_lg_u32 s13, 0
	s_mov_b64 s[6:7], -1
	s_cselect_b64 s[14:15], -1, 0
.LBB41_362:
	s_andn2_b64 vcc, exec, s[14:15]
	s_cbranch_vccz .LBB41_371
; %bb.363:
	s_andn2_b64 vcc, exec, s[6:7]
	s_cbranch_vccnz .LBB41_365
.LBB41_364:
	v_cmp_ge_i32_e32 vcc, v28, v13
	s_andn2_b64 s[6:7], s[10:11], exec
	s_and_b64 s[10:11], vcc, exec
	s_or_b64 s[10:11], s[6:7], s[10:11]
.LBB41_365:
	v_cndmask_b32_e64 v14, 0, 1, s[10:11]
.LBB41_366:
	s_or_b64 exec, exec, s[4:5]
	v_or_b32_e32 v13, 0x700, v0
	v_cmp_gt_i32_e32 vcc, s12, v13
                                        ; implicit-def: $vgpr13
	s_and_saveexec_b64 s[4:5], vcc
	s_cbranch_execz .LBB41_381
; %bb.367:
	s_cmp_lt_i32 s13, 1
	s_mov_b64 s[6:7], 0
	s_cbranch_scc1 .LBB41_372
; %bb.368:
	s_cmp_gt_i32 s13, 1
	s_cbranch_scc0 .LBB41_373
; %bb.369:
	s_cmp_eq_u32 s13, 2
	s_cbranch_scc0 .LBB41_541
; %bb.370:
	v_cmp_le_i32_e64 s[10:11], v27, v12
	s_mov_b64 s[14:15], 0
	s_branch .LBB41_375
.LBB41_371:
	v_cmp_lt_i32_e32 vcc, v28, v13
	s_andn2_b64 s[10:11], s[10:11], exec
	s_and_b64 s[14:15], vcc, exec
	s_or_b64 s[10:11], s[10:11], s[14:15]
	s_cbranch_execz .LBB41_364
	s_branch .LBB41_365
.LBB41_372:
                                        ; implicit-def: $sgpr10_sgpr11
	s_mov_b64 s[14:15], 0
	s_cbranch_execnz .LBB41_376
	s_branch .LBB41_377
.LBB41_373:
	s_mov_b64 s[14:15], 0
                                        ; implicit-def: $sgpr10_sgpr11
	s_cbranch_execz .LBB41_375
; %bb.374:
	v_cmp_gt_i32_e32 vcc, v27, v12
	s_andn2_b64 s[10:11], s[10:11], exec
	s_and_b64 s[16:17], vcc, exec
	s_or_b64 s[10:11], s[10:11], s[16:17]
.LBB41_375:
	s_branch .LBB41_377
.LBB41_376:
	s_cmp_lg_u32 s13, 0
	s_mov_b64 s[6:7], -1
	s_cselect_b64 s[14:15], -1, 0
.LBB41_377:
	s_andn2_b64 vcc, exec, s[14:15]
	s_cbranch_vccz .LBB41_386
; %bb.378:
	s_andn2_b64 vcc, exec, s[6:7]
	s_cbranch_vccnz .LBB41_380
.LBB41_379:
	v_cmp_ge_i32_e32 vcc, v27, v12
	s_andn2_b64 s[6:7], s[10:11], exec
	s_and_b64 s[10:11], vcc, exec
	s_or_b64 s[10:11], s[6:7], s[10:11]
.LBB41_380:
	v_cndmask_b32_e64 v13, 0, 1, s[10:11]
.LBB41_381:
	s_or_b64 exec, exec, s[4:5]
	v_or_b32_e32 v12, 0x800, v0
	v_cmp_gt_i32_e32 vcc, s12, v12
                                        ; implicit-def: $vgpr12
	s_and_saveexec_b64 s[4:5], vcc
	s_cbranch_execz .LBB41_396
; %bb.382:
	s_cmp_lt_i32 s13, 1
	s_mov_b64 s[6:7], 0
	s_cbranch_scc1 .LBB41_387
; %bb.383:
	s_cmp_gt_i32 s13, 1
	s_cbranch_scc0 .LBB41_388
; %bb.384:
	s_cmp_eq_u32 s13, 2
	s_cbranch_scc0 .LBB41_542
; %bb.385:
	v_cmp_le_i32_e64 s[10:11], v26, v11
	s_mov_b64 s[14:15], 0
	s_branch .LBB41_390
.LBB41_386:
	v_cmp_lt_i32_e32 vcc, v27, v12
	s_andn2_b64 s[10:11], s[10:11], exec
	s_and_b64 s[14:15], vcc, exec
	s_or_b64 s[10:11], s[10:11], s[14:15]
	s_cbranch_execz .LBB41_379
	s_branch .LBB41_380
.LBB41_387:
                                        ; implicit-def: $sgpr10_sgpr11
	s_mov_b64 s[14:15], 0
	s_cbranch_execnz .LBB41_391
	s_branch .LBB41_392
.LBB41_388:
	s_mov_b64 s[14:15], 0
                                        ; implicit-def: $sgpr10_sgpr11
	s_cbranch_execz .LBB41_390
; %bb.389:
	v_cmp_gt_i32_e32 vcc, v26, v11
	s_andn2_b64 s[10:11], s[10:11], exec
	s_and_b64 s[16:17], vcc, exec
	s_or_b64 s[10:11], s[10:11], s[16:17]
.LBB41_390:
	s_branch .LBB41_392
.LBB41_391:
	s_cmp_lg_u32 s13, 0
	s_mov_b64 s[6:7], -1
	s_cselect_b64 s[14:15], -1, 0
.LBB41_392:
	s_andn2_b64 vcc, exec, s[14:15]
	s_cbranch_vccz .LBB41_401
; %bb.393:
	s_andn2_b64 vcc, exec, s[6:7]
	s_cbranch_vccnz .LBB41_395
.LBB41_394:
	v_cmp_ge_i32_e32 vcc, v26, v11
	s_andn2_b64 s[6:7], s[10:11], exec
	s_and_b64 s[10:11], vcc, exec
	s_or_b64 s[10:11], s[6:7], s[10:11]
.LBB41_395:
	v_cndmask_b32_e64 v12, 0, 1, s[10:11]
.LBB41_396:
	s_or_b64 exec, exec, s[4:5]
	v_or_b32_e32 v11, 0x900, v0
	v_cmp_gt_i32_e32 vcc, s12, v11
                                        ; implicit-def: $vgpr11
	s_and_saveexec_b64 s[4:5], vcc
	s_cbranch_execz .LBB41_411
; %bb.397:
	s_cmp_lt_i32 s13, 1
	s_mov_b64 s[6:7], 0
	s_cbranch_scc1 .LBB41_402
; %bb.398:
	s_cmp_gt_i32 s13, 1
	s_cbranch_scc0 .LBB41_403
; %bb.399:
	s_cmp_eq_u32 s13, 2
	s_cbranch_scc0 .LBB41_543
; %bb.400:
	v_cmp_le_i32_e64 s[10:11], v25, v10
	s_mov_b64 s[14:15], 0
	s_branch .LBB41_405
.LBB41_401:
	v_cmp_lt_i32_e32 vcc, v26, v11
	s_andn2_b64 s[10:11], s[10:11], exec
	s_and_b64 s[14:15], vcc, exec
	s_or_b64 s[10:11], s[10:11], s[14:15]
	s_cbranch_execz .LBB41_394
	s_branch .LBB41_395
.LBB41_402:
                                        ; implicit-def: $sgpr10_sgpr11
	s_mov_b64 s[14:15], 0
	s_cbranch_execnz .LBB41_406
	s_branch .LBB41_407
.LBB41_403:
	s_mov_b64 s[14:15], 0
                                        ; implicit-def: $sgpr10_sgpr11
	s_cbranch_execz .LBB41_405
; %bb.404:
	v_cmp_gt_i32_e32 vcc, v25, v10
	s_andn2_b64 s[10:11], s[10:11], exec
	s_and_b64 s[16:17], vcc, exec
	s_or_b64 s[10:11], s[10:11], s[16:17]
.LBB41_405:
	s_branch .LBB41_407
.LBB41_406:
	s_cmp_lg_u32 s13, 0
	s_mov_b64 s[6:7], -1
	s_cselect_b64 s[14:15], -1, 0
.LBB41_407:
	s_andn2_b64 vcc, exec, s[14:15]
	s_cbranch_vccz .LBB41_416
; %bb.408:
	s_andn2_b64 vcc, exec, s[6:7]
	s_cbranch_vccnz .LBB41_410
.LBB41_409:
	v_cmp_ge_i32_e32 vcc, v25, v10
	s_andn2_b64 s[6:7], s[10:11], exec
	s_and_b64 s[10:11], vcc, exec
	s_or_b64 s[10:11], s[6:7], s[10:11]
.LBB41_410:
	v_cndmask_b32_e64 v11, 0, 1, s[10:11]
.LBB41_411:
	s_or_b64 exec, exec, s[4:5]
	v_or_b32_e32 v10, 0xa00, v0
	v_cmp_gt_i32_e32 vcc, s12, v10
                                        ; implicit-def: $vgpr10
	s_and_saveexec_b64 s[4:5], vcc
	s_cbranch_execz .LBB41_426
; %bb.412:
	s_cmp_lt_i32 s13, 1
	s_mov_b64 s[6:7], 0
	s_cbranch_scc1 .LBB41_417
; %bb.413:
	s_cmp_gt_i32 s13, 1
	s_cbranch_scc0 .LBB41_418
; %bb.414:
	s_cmp_eq_u32 s13, 2
	s_cbranch_scc0 .LBB41_544
; %bb.415:
	v_cmp_le_i32_e64 s[10:11], v24, v9
	s_mov_b64 s[14:15], 0
	s_branch .LBB41_420
.LBB41_416:
	v_cmp_lt_i32_e32 vcc, v25, v10
	s_andn2_b64 s[10:11], s[10:11], exec
	s_and_b64 s[14:15], vcc, exec
	s_or_b64 s[10:11], s[10:11], s[14:15]
	s_cbranch_execz .LBB41_409
	s_branch .LBB41_410
.LBB41_417:
                                        ; implicit-def: $sgpr10_sgpr11
	s_mov_b64 s[14:15], 0
	s_cbranch_execnz .LBB41_421
	s_branch .LBB41_422
.LBB41_418:
	s_mov_b64 s[14:15], 0
                                        ; implicit-def: $sgpr10_sgpr11
	s_cbranch_execz .LBB41_420
; %bb.419:
	v_cmp_gt_i32_e32 vcc, v24, v9
	s_andn2_b64 s[10:11], s[10:11], exec
	s_and_b64 s[16:17], vcc, exec
	s_or_b64 s[10:11], s[10:11], s[16:17]
.LBB41_420:
	s_branch .LBB41_422
.LBB41_421:
	s_cmp_lg_u32 s13, 0
	s_mov_b64 s[6:7], -1
	s_cselect_b64 s[14:15], -1, 0
.LBB41_422:
	s_andn2_b64 vcc, exec, s[14:15]
	s_cbranch_vccz .LBB41_431
; %bb.423:
	s_andn2_b64 vcc, exec, s[6:7]
	s_cbranch_vccnz .LBB41_425
.LBB41_424:
	v_cmp_ge_i32_e32 vcc, v24, v9
	s_andn2_b64 s[6:7], s[10:11], exec
	s_and_b64 s[10:11], vcc, exec
	s_or_b64 s[10:11], s[6:7], s[10:11]
.LBB41_425:
	v_cndmask_b32_e64 v10, 0, 1, s[10:11]
.LBB41_426:
	s_or_b64 exec, exec, s[4:5]
	v_or_b32_e32 v9, 0xb00, v0
	v_cmp_gt_i32_e32 vcc, s12, v9
                                        ; implicit-def: $vgpr9
	s_and_saveexec_b64 s[4:5], vcc
	s_cbranch_execz .LBB41_441
; %bb.427:
	s_cmp_lt_i32 s13, 1
	s_mov_b64 s[6:7], 0
	s_cbranch_scc1 .LBB41_432
; %bb.428:
	s_cmp_gt_i32 s13, 1
	s_cbranch_scc0 .LBB41_433
; %bb.429:
	s_cmp_eq_u32 s13, 2
	s_cbranch_scc0 .LBB41_545
; %bb.430:
	v_cmp_le_i32_e64 s[10:11], v23, v8
	s_mov_b64 s[14:15], 0
	s_branch .LBB41_435
.LBB41_431:
	v_cmp_lt_i32_e32 vcc, v24, v9
	s_andn2_b64 s[10:11], s[10:11], exec
	s_and_b64 s[14:15], vcc, exec
	s_or_b64 s[10:11], s[10:11], s[14:15]
	s_cbranch_execz .LBB41_424
	s_branch .LBB41_425
.LBB41_432:
                                        ; implicit-def: $sgpr10_sgpr11
	s_mov_b64 s[14:15], 0
	s_cbranch_execnz .LBB41_436
	s_branch .LBB41_437
.LBB41_433:
	s_mov_b64 s[14:15], 0
                                        ; implicit-def: $sgpr10_sgpr11
	s_cbranch_execz .LBB41_435
; %bb.434:
	v_cmp_gt_i32_e32 vcc, v23, v8
	s_andn2_b64 s[10:11], s[10:11], exec
	s_and_b64 s[16:17], vcc, exec
	s_or_b64 s[10:11], s[10:11], s[16:17]
.LBB41_435:
	s_branch .LBB41_437
.LBB41_436:
	s_cmp_lg_u32 s13, 0
	s_mov_b64 s[6:7], -1
	s_cselect_b64 s[14:15], -1, 0
.LBB41_437:
	s_andn2_b64 vcc, exec, s[14:15]
	s_cbranch_vccz .LBB41_446
; %bb.438:
	s_andn2_b64 vcc, exec, s[6:7]
	s_cbranch_vccnz .LBB41_440
.LBB41_439:
	v_cmp_ge_i32_e32 vcc, v23, v8
	s_andn2_b64 s[6:7], s[10:11], exec
	s_and_b64 s[10:11], vcc, exec
	s_or_b64 s[10:11], s[6:7], s[10:11]
.LBB41_440:
	v_cndmask_b32_e64 v9, 0, 1, s[10:11]
.LBB41_441:
	s_or_b64 exec, exec, s[4:5]
	v_or_b32_e32 v8, 0xc00, v0
	v_cmp_gt_i32_e32 vcc, s12, v8
                                        ; implicit-def: $vgpr8
	s_and_saveexec_b64 s[4:5], vcc
	s_cbranch_execz .LBB41_456
; %bb.442:
	s_cmp_lt_i32 s13, 1
	s_mov_b64 s[6:7], 0
	s_cbranch_scc1 .LBB41_447
; %bb.443:
	s_cmp_gt_i32 s13, 1
	s_cbranch_scc0 .LBB41_448
; %bb.444:
	s_cmp_eq_u32 s13, 2
	s_cbranch_scc0 .LBB41_546
; %bb.445:
	v_cmp_le_i32_e64 s[10:11], v22, v7
	s_mov_b64 s[14:15], 0
	s_branch .LBB41_450
.LBB41_446:
	v_cmp_lt_i32_e32 vcc, v23, v8
	s_andn2_b64 s[10:11], s[10:11], exec
	s_and_b64 s[14:15], vcc, exec
	s_or_b64 s[10:11], s[10:11], s[14:15]
	s_cbranch_execz .LBB41_439
	s_branch .LBB41_440
.LBB41_447:
                                        ; implicit-def: $sgpr10_sgpr11
	s_mov_b64 s[14:15], 0
	s_cbranch_execnz .LBB41_451
	s_branch .LBB41_452
.LBB41_448:
	s_mov_b64 s[14:15], 0
                                        ; implicit-def: $sgpr10_sgpr11
	s_cbranch_execz .LBB41_450
; %bb.449:
	v_cmp_gt_i32_e32 vcc, v22, v7
	s_andn2_b64 s[10:11], s[10:11], exec
	s_and_b64 s[16:17], vcc, exec
	s_or_b64 s[10:11], s[10:11], s[16:17]
.LBB41_450:
	s_branch .LBB41_452
.LBB41_451:
	s_cmp_lg_u32 s13, 0
	s_mov_b64 s[6:7], -1
	s_cselect_b64 s[14:15], -1, 0
.LBB41_452:
	s_andn2_b64 vcc, exec, s[14:15]
	s_cbranch_vccz .LBB41_461
; %bb.453:
	s_andn2_b64 vcc, exec, s[6:7]
	s_cbranch_vccnz .LBB41_455
.LBB41_454:
	v_cmp_ge_i32_e32 vcc, v22, v7
	s_andn2_b64 s[6:7], s[10:11], exec
	s_and_b64 s[10:11], vcc, exec
	s_or_b64 s[10:11], s[6:7], s[10:11]
.LBB41_455:
	v_cndmask_b32_e64 v8, 0, 1, s[10:11]
.LBB41_456:
	s_or_b64 exec, exec, s[4:5]
	v_or_b32_e32 v7, 0xd00, v0
	v_cmp_gt_i32_e32 vcc, s12, v7
                                        ; implicit-def: $vgpr7
	s_and_saveexec_b64 s[4:5], vcc
	s_cbranch_execz .LBB41_471
; %bb.457:
	s_cmp_lt_i32 s13, 1
	s_mov_b64 s[6:7], 0
	s_cbranch_scc1 .LBB41_462
; %bb.458:
	s_cmp_gt_i32 s13, 1
	s_cbranch_scc0 .LBB41_463
; %bb.459:
	s_cmp_eq_u32 s13, 2
	s_cbranch_scc0 .LBB41_547
; %bb.460:
	v_cmp_le_i32_e64 s[10:11], v21, v6
	s_mov_b64 s[14:15], 0
	s_branch .LBB41_465
.LBB41_461:
	v_cmp_lt_i32_e32 vcc, v22, v7
	s_andn2_b64 s[10:11], s[10:11], exec
	s_and_b64 s[14:15], vcc, exec
	s_or_b64 s[10:11], s[10:11], s[14:15]
	s_cbranch_execz .LBB41_454
	s_branch .LBB41_455
.LBB41_462:
                                        ; implicit-def: $sgpr10_sgpr11
	s_mov_b64 s[14:15], 0
	s_cbranch_execnz .LBB41_466
	s_branch .LBB41_467
.LBB41_463:
	s_mov_b64 s[14:15], 0
                                        ; implicit-def: $sgpr10_sgpr11
	s_cbranch_execz .LBB41_465
; %bb.464:
	v_cmp_gt_i32_e32 vcc, v21, v6
	s_andn2_b64 s[10:11], s[10:11], exec
	s_and_b64 s[16:17], vcc, exec
	s_or_b64 s[10:11], s[10:11], s[16:17]
.LBB41_465:
	s_branch .LBB41_467
.LBB41_466:
	s_cmp_lg_u32 s13, 0
	s_mov_b64 s[6:7], -1
	s_cselect_b64 s[14:15], -1, 0
.LBB41_467:
	s_andn2_b64 vcc, exec, s[14:15]
	s_cbranch_vccz .LBB41_476
; %bb.468:
	s_andn2_b64 vcc, exec, s[6:7]
	s_cbranch_vccnz .LBB41_470
.LBB41_469:
	v_cmp_ge_i32_e32 vcc, v21, v6
	s_andn2_b64 s[6:7], s[10:11], exec
	s_and_b64 s[10:11], vcc, exec
	s_or_b64 s[10:11], s[6:7], s[10:11]
.LBB41_470:
	v_cndmask_b32_e64 v7, 0, 1, s[10:11]
.LBB41_471:
	s_or_b64 exec, exec, s[4:5]
	v_or_b32_e32 v6, 0xe00, v0
	v_cmp_gt_i32_e32 vcc, s12, v6
                                        ; implicit-def: $vgpr6
	s_and_saveexec_b64 s[4:5], vcc
	s_cbranch_execz .LBB41_486
; %bb.472:
	s_cmp_lt_i32 s13, 1
	s_mov_b64 s[6:7], 0
	s_cbranch_scc1 .LBB41_477
; %bb.473:
	s_cmp_gt_i32 s13, 1
	s_cbranch_scc0 .LBB41_478
; %bb.474:
	s_cmp_eq_u32 s13, 2
	s_cbranch_scc0 .LBB41_548
; %bb.475:
	v_cmp_le_i32_e64 s[10:11], v20, v5
	s_mov_b64 s[14:15], 0
	s_branch .LBB41_480
.LBB41_476:
	v_cmp_lt_i32_e32 vcc, v21, v6
	s_andn2_b64 s[10:11], s[10:11], exec
	s_and_b64 s[14:15], vcc, exec
	s_or_b64 s[10:11], s[10:11], s[14:15]
	s_cbranch_execz .LBB41_469
	s_branch .LBB41_470
.LBB41_477:
                                        ; implicit-def: $sgpr10_sgpr11
	s_mov_b64 s[14:15], 0
	s_cbranch_execnz .LBB41_481
	s_branch .LBB41_482
.LBB41_478:
	s_mov_b64 s[14:15], 0
                                        ; implicit-def: $sgpr10_sgpr11
	s_cbranch_execz .LBB41_480
; %bb.479:
	v_cmp_gt_i32_e32 vcc, v20, v5
	s_andn2_b64 s[10:11], s[10:11], exec
	s_and_b64 s[16:17], vcc, exec
	s_or_b64 s[10:11], s[10:11], s[16:17]
.LBB41_480:
	s_branch .LBB41_482
.LBB41_481:
	s_cmp_lg_u32 s13, 0
	s_mov_b64 s[6:7], -1
	s_cselect_b64 s[14:15], -1, 0
.LBB41_482:
	s_andn2_b64 vcc, exec, s[14:15]
	s_cbranch_vccz .LBB41_491
; %bb.483:
	s_andn2_b64 vcc, exec, s[6:7]
	s_cbranch_vccnz .LBB41_485
.LBB41_484:
	v_cmp_ge_i32_e32 vcc, v20, v5
	s_andn2_b64 s[6:7], s[10:11], exec
	s_and_b64 s[10:11], vcc, exec
	s_or_b64 s[10:11], s[6:7], s[10:11]
.LBB41_485:
	v_cndmask_b32_e64 v6, 0, 1, s[10:11]
.LBB41_486:
	s_or_b64 exec, exec, s[4:5]
	v_or_b32_e32 v5, 0xf00, v0
	v_cmp_gt_i32_e32 vcc, s12, v5
                                        ; implicit-def: $vgpr5
	s_and_saveexec_b64 s[4:5], vcc
	s_cbranch_execz .LBB41_501
; %bb.487:
	s_cmp_lt_i32 s13, 1
	s_mov_b64 s[6:7], 0
	s_cbranch_scc1 .LBB41_492
; %bb.488:
	s_cmp_gt_i32 s13, 1
	s_cbranch_scc0 .LBB41_493
; %bb.489:
	s_cmp_eq_u32 s13, 2
	s_cbranch_scc0 .LBB41_549
; %bb.490:
	v_cmp_le_i32_e64 s[10:11], v3, v4
	s_mov_b64 s[14:15], 0
	s_branch .LBB41_495
.LBB41_491:
	v_cmp_lt_i32_e32 vcc, v20, v5
	s_andn2_b64 s[10:11], s[10:11], exec
	s_and_b64 s[14:15], vcc, exec
	s_or_b64 s[10:11], s[10:11], s[14:15]
	s_cbranch_execz .LBB41_484
	s_branch .LBB41_485
.LBB41_492:
                                        ; implicit-def: $sgpr10_sgpr11
	s_mov_b64 s[14:15], 0
	s_cbranch_execnz .LBB41_496
	s_branch .LBB41_497
.LBB41_493:
	s_mov_b64 s[14:15], 0
                                        ; implicit-def: $sgpr10_sgpr11
	s_cbranch_execz .LBB41_495
; %bb.494:
	v_cmp_gt_i32_e32 vcc, v3, v4
	s_andn2_b64 s[10:11], s[10:11], exec
	s_and_b64 s[16:17], vcc, exec
	s_or_b64 s[10:11], s[10:11], s[16:17]
.LBB41_495:
	s_branch .LBB41_497
.LBB41_496:
	s_cmp_lg_u32 s13, 0
	s_mov_b64 s[6:7], -1
	s_cselect_b64 s[14:15], -1, 0
.LBB41_497:
	s_andn2_b64 vcc, exec, s[14:15]
	s_cbranch_vccz .LBB41_534
; %bb.498:
	s_andn2_b64 vcc, exec, s[6:7]
	s_cbranch_vccnz .LBB41_500
.LBB41_499:
	v_cmp_ge_i32_e32 vcc, v3, v4
	s_andn2_b64 s[6:7], s[10:11], exec
	s_and_b64 s[10:11], vcc, exec
	s_or_b64 s[10:11], s[6:7], s[10:11]
.LBB41_500:
	v_cndmask_b32_e64 v5, 0, 1, s[10:11]
.LBB41_501:
	s_or_b64 exec, exec, s[4:5]
	s_and_saveexec_b64 s[4:5], s[0:1]
	s_xor_b64 s[0:1], exec, s[4:5]
	s_cbranch_execz .LBB41_503
; %bb.502:
	v_mov_b32_e32 v0, v17
	global_store_byte v1, v16, s[8:9]
.LBB41_503:
	s_or_b64 exec, exec, s[0:1]
	v_cmp_gt_i32_e32 vcc, s12, v0
	s_and_saveexec_b64 s[0:1], vcc
	s_cbranch_execnz .LBB41_520
; %bb.504:
	s_or_b64 exec, exec, s[0:1]
	v_cmp_gt_i32_e32 vcc, s12, v0
	s_and_saveexec_b64 s[0:1], vcc
	s_cbranch_execnz .LBB41_521
.LBB41_505:
	s_or_b64 exec, exec, s[0:1]
	v_cmp_gt_i32_e32 vcc, s12, v0
	s_and_saveexec_b64 s[0:1], vcc
	s_cbranch_execnz .LBB41_522
.LBB41_506:
	s_or_b64 exec, exec, s[0:1]
	v_cmp_gt_i32_e32 vcc, s12, v0
	s_and_saveexec_b64 s[0:1], vcc
	s_cbranch_execnz .LBB41_523
.LBB41_507:
	s_or_b64 exec, exec, s[0:1]
	v_cmp_gt_i32_e32 vcc, s12, v0
	s_and_saveexec_b64 s[0:1], vcc
	s_cbranch_execnz .LBB41_524
.LBB41_508:
	s_or_b64 exec, exec, s[0:1]
	v_cmp_gt_i32_e32 vcc, s12, v0
	s_and_saveexec_b64 s[0:1], vcc
	s_cbranch_execnz .LBB41_525
.LBB41_509:
	s_or_b64 exec, exec, s[0:1]
	v_cmp_gt_i32_e32 vcc, s12, v0
	s_and_saveexec_b64 s[0:1], vcc
	s_cbranch_execnz .LBB41_526
.LBB41_510:
	s_or_b64 exec, exec, s[0:1]
	v_cmp_gt_i32_e32 vcc, s12, v0
	s_and_saveexec_b64 s[0:1], vcc
	s_cbranch_execnz .LBB41_527
.LBB41_511:
	s_or_b64 exec, exec, s[0:1]
	v_cmp_gt_i32_e32 vcc, s12, v0
	s_and_saveexec_b64 s[0:1], vcc
	s_cbranch_execnz .LBB41_528
.LBB41_512:
	s_or_b64 exec, exec, s[0:1]
	v_cmp_gt_i32_e32 vcc, s12, v0
	s_and_saveexec_b64 s[0:1], vcc
	s_cbranch_execnz .LBB41_529
.LBB41_513:
	s_or_b64 exec, exec, s[0:1]
	v_cmp_gt_i32_e32 vcc, s12, v0
	s_and_saveexec_b64 s[0:1], vcc
	s_cbranch_execnz .LBB41_530
.LBB41_514:
	s_or_b64 exec, exec, s[0:1]
	v_cmp_gt_i32_e32 vcc, s12, v0
	s_and_saveexec_b64 s[0:1], vcc
	s_cbranch_execnz .LBB41_531
.LBB41_515:
	s_or_b64 exec, exec, s[0:1]
	v_cmp_gt_i32_e32 vcc, s12, v0
	s_and_saveexec_b64 s[0:1], vcc
	s_cbranch_execnz .LBB41_532
.LBB41_516:
	s_or_b64 exec, exec, s[0:1]
	v_cmp_gt_i32_e32 vcc, s12, v0
	s_and_saveexec_b64 s[0:1], vcc
	s_cbranch_execnz .LBB41_533
.LBB41_517:
	s_or_b64 exec, exec, s[0:1]
	v_cmp_gt_i32_e32 vcc, s12, v0
	s_and_saveexec_b64 s[0:1], vcc
	s_cbranch_execz .LBB41_519
.LBB41_518:
	v_add_u32_e32 v0, s2, v0
	global_store_byte v0, v5, s[8:9]
.LBB41_519:
	s_endpgm
.LBB41_520:
	v_add_u32_e32 v1, s2, v0
	v_add_u32_e32 v0, 0x100, v0
	global_store_byte v1, v18, s[8:9]
	s_or_b64 exec, exec, s[0:1]
	v_cmp_gt_i32_e32 vcc, s12, v0
	s_and_saveexec_b64 s[0:1], vcc
	s_cbranch_execz .LBB41_505
.LBB41_521:
	v_add_u32_e32 v1, s2, v0
	v_add_u32_e32 v0, 0x100, v0
	global_store_byte v1, v2, s[8:9]
	s_or_b64 exec, exec, s[0:1]
	v_cmp_gt_i32_e32 vcc, s12, v0
	s_and_saveexec_b64 s[0:1], vcc
	s_cbranch_execz .LBB41_506
.LBB41_522:
	v_add_u32_e32 v1, s2, v0
	v_add_u32_e32 v0, 0x100, v0
	global_store_byte v1, v15, s[8:9]
	s_or_b64 exec, exec, s[0:1]
	v_cmp_gt_i32_e32 vcc, s12, v0
	s_and_saveexec_b64 s[0:1], vcc
	s_cbranch_execz .LBB41_507
.LBB41_523:
	v_add_u32_e32 v1, s2, v0
	v_add_u32_e32 v0, 0x100, v0
	global_store_byte v1, v19, s[8:9]
	s_or_b64 exec, exec, s[0:1]
	v_cmp_gt_i32_e32 vcc, s12, v0
	s_and_saveexec_b64 s[0:1], vcc
	s_cbranch_execz .LBB41_508
.LBB41_524:
	v_add_u32_e32 v1, s2, v0
	v_add_u32_e32 v0, 0x100, v0
	global_store_byte v1, v30, s[8:9]
	s_or_b64 exec, exec, s[0:1]
	v_cmp_gt_i32_e32 vcc, s12, v0
	s_and_saveexec_b64 s[0:1], vcc
	s_cbranch_execz .LBB41_509
.LBB41_525:
	v_add_u32_e32 v1, s2, v0
	v_add_u32_e32 v0, 0x100, v0
	global_store_byte v1, v14, s[8:9]
	s_or_b64 exec, exec, s[0:1]
	v_cmp_gt_i32_e32 vcc, s12, v0
	s_and_saveexec_b64 s[0:1], vcc
	s_cbranch_execz .LBB41_510
.LBB41_526:
	v_add_u32_e32 v1, s2, v0
	v_add_u32_e32 v0, 0x100, v0
	global_store_byte v1, v13, s[8:9]
	s_or_b64 exec, exec, s[0:1]
	v_cmp_gt_i32_e32 vcc, s12, v0
	s_and_saveexec_b64 s[0:1], vcc
	s_cbranch_execz .LBB41_511
.LBB41_527:
	v_add_u32_e32 v1, s2, v0
	v_add_u32_e32 v0, 0x100, v0
	global_store_byte v1, v12, s[8:9]
	s_or_b64 exec, exec, s[0:1]
	v_cmp_gt_i32_e32 vcc, s12, v0
	s_and_saveexec_b64 s[0:1], vcc
	s_cbranch_execz .LBB41_512
.LBB41_528:
	v_add_u32_e32 v1, s2, v0
	v_add_u32_e32 v0, 0x100, v0
	global_store_byte v1, v11, s[8:9]
	s_or_b64 exec, exec, s[0:1]
	v_cmp_gt_i32_e32 vcc, s12, v0
	s_and_saveexec_b64 s[0:1], vcc
	s_cbranch_execz .LBB41_513
.LBB41_529:
	v_add_u32_e32 v1, s2, v0
	v_add_u32_e32 v0, 0x100, v0
	global_store_byte v1, v10, s[8:9]
	s_or_b64 exec, exec, s[0:1]
	v_cmp_gt_i32_e32 vcc, s12, v0
	s_and_saveexec_b64 s[0:1], vcc
	s_cbranch_execz .LBB41_514
.LBB41_530:
	v_add_u32_e32 v1, s2, v0
	v_add_u32_e32 v0, 0x100, v0
	global_store_byte v1, v9, s[8:9]
	s_or_b64 exec, exec, s[0:1]
	v_cmp_gt_i32_e32 vcc, s12, v0
	s_and_saveexec_b64 s[0:1], vcc
	s_cbranch_execz .LBB41_515
.LBB41_531:
	v_add_u32_e32 v1, s2, v0
	v_add_u32_e32 v0, 0x100, v0
	global_store_byte v1, v8, s[8:9]
	s_or_b64 exec, exec, s[0:1]
	v_cmp_gt_i32_e32 vcc, s12, v0
	s_and_saveexec_b64 s[0:1], vcc
	s_cbranch_execz .LBB41_516
.LBB41_532:
	v_add_u32_e32 v1, s2, v0
	v_add_u32_e32 v0, 0x100, v0
	global_store_byte v1, v7, s[8:9]
	s_or_b64 exec, exec, s[0:1]
	v_cmp_gt_i32_e32 vcc, s12, v0
	s_and_saveexec_b64 s[0:1], vcc
	s_cbranch_execz .LBB41_517
.LBB41_533:
	v_add_u32_e32 v1, s2, v0
	v_add_u32_e32 v0, 0x100, v0
	global_store_byte v1, v6, s[8:9]
	s_or_b64 exec, exec, s[0:1]
	v_cmp_gt_i32_e32 vcc, s12, v0
	s_and_saveexec_b64 s[0:1], vcc
	s_cbranch_execnz .LBB41_518
	s_branch .LBB41_519
.LBB41_534:
	v_cmp_lt_i32_e32 vcc, v3, v4
	s_andn2_b64 s[10:11], s[10:11], exec
	s_and_b64 s[14:15], vcc, exec
	s_or_b64 s[10:11], s[10:11], s[14:15]
	s_cbranch_execz .LBB41_499
	s_branch .LBB41_500
.LBB41_535:
	s_mov_b64 s[14:15], -1
                                        ; implicit-def: $sgpr10_sgpr11
	s_branch .LBB41_285
.LBB41_536:
	s_mov_b64 s[14:15], -1
                                        ; implicit-def: $sgpr10_sgpr11
	s_branch .LBB41_300
.LBB41_537:
	s_mov_b64 s[14:15], -1
                                        ; implicit-def: $sgpr10_sgpr11
	s_branch .LBB41_315
.LBB41_538:
	s_mov_b64 s[14:15], -1
                                        ; implicit-def: $sgpr10_sgpr11
	s_branch .LBB41_330
.LBB41_539:
	s_mov_b64 s[14:15], -1
                                        ; implicit-def: $sgpr10_sgpr11
	s_branch .LBB41_345
.LBB41_540:
	s_mov_b64 s[14:15], -1
                                        ; implicit-def: $sgpr10_sgpr11
	s_branch .LBB41_360
.LBB41_541:
	s_mov_b64 s[14:15], -1
                                        ; implicit-def: $sgpr10_sgpr11
	s_branch .LBB41_375
.LBB41_542:
	s_mov_b64 s[14:15], -1
                                        ; implicit-def: $sgpr10_sgpr11
	s_branch .LBB41_390
.LBB41_543:
	s_mov_b64 s[14:15], -1
                                        ; implicit-def: $sgpr10_sgpr11
	s_branch .LBB41_405
.LBB41_544:
	s_mov_b64 s[14:15], -1
                                        ; implicit-def: $sgpr10_sgpr11
	s_branch .LBB41_420
.LBB41_545:
	s_mov_b64 s[14:15], -1
                                        ; implicit-def: $sgpr10_sgpr11
	s_branch .LBB41_435
.LBB41_546:
	s_mov_b64 s[14:15], -1
                                        ; implicit-def: $sgpr10_sgpr11
	s_branch .LBB41_450
.LBB41_547:
	s_mov_b64 s[14:15], -1
                                        ; implicit-def: $sgpr10_sgpr11
	s_branch .LBB41_465
.LBB41_548:
	s_mov_b64 s[14:15], -1
                                        ; implicit-def: $sgpr10_sgpr11
	s_branch .LBB41_480
.LBB41_549:
	s_mov_b64 s[14:15], -1
                                        ; implicit-def: $sgpr10_sgpr11
	s_branch .LBB41_495
	.section	.rodata,"a",@progbits
	.p2align	6, 0x0
	.amdhsa_kernel _ZN2at6native29vectorized_elementwise_kernelILi8ENS0_12_GLOBAL__N_114CompareFunctorIiEESt5arrayIPcLm3EEEEviT0_T1_
		.amdhsa_group_segment_fixed_size 0
		.amdhsa_private_segment_fixed_size 0
		.amdhsa_kernarg_size 32
		.amdhsa_user_sgpr_count 6
		.amdhsa_user_sgpr_private_segment_buffer 1
		.amdhsa_user_sgpr_dispatch_ptr 0
		.amdhsa_user_sgpr_queue_ptr 0
		.amdhsa_user_sgpr_kernarg_segment_ptr 1
		.amdhsa_user_sgpr_dispatch_id 0
		.amdhsa_user_sgpr_flat_scratch_init 0
		.amdhsa_user_sgpr_private_segment_size 0
		.amdhsa_uses_dynamic_stack 0
		.amdhsa_system_sgpr_private_segment_wavefront_offset 0
		.amdhsa_system_sgpr_workgroup_id_x 1
		.amdhsa_system_sgpr_workgroup_id_y 0
		.amdhsa_system_sgpr_workgroup_id_z 0
		.amdhsa_system_sgpr_workgroup_info 0
		.amdhsa_system_vgpr_workitem_id 0
		.amdhsa_next_free_vgpr 38
		.amdhsa_next_free_sgpr 50
		.amdhsa_reserve_vcc 1
		.amdhsa_reserve_flat_scratch 0
		.amdhsa_float_round_mode_32 0
		.amdhsa_float_round_mode_16_64 0
		.amdhsa_float_denorm_mode_32 3
		.amdhsa_float_denorm_mode_16_64 3
		.amdhsa_dx10_clamp 1
		.amdhsa_ieee_mode 1
		.amdhsa_fp16_overflow 0
		.amdhsa_exception_fp_ieee_invalid_op 0
		.amdhsa_exception_fp_denorm_src 0
		.amdhsa_exception_fp_ieee_div_zero 0
		.amdhsa_exception_fp_ieee_overflow 0
		.amdhsa_exception_fp_ieee_underflow 0
		.amdhsa_exception_fp_ieee_inexact 0
		.amdhsa_exception_int_div_zero 0
	.end_amdhsa_kernel
	.section	.text._ZN2at6native29vectorized_elementwise_kernelILi8ENS0_12_GLOBAL__N_114CompareFunctorIiEESt5arrayIPcLm3EEEEviT0_T1_,"axG",@progbits,_ZN2at6native29vectorized_elementwise_kernelILi8ENS0_12_GLOBAL__N_114CompareFunctorIiEESt5arrayIPcLm3EEEEviT0_T1_,comdat
.Lfunc_end41:
	.size	_ZN2at6native29vectorized_elementwise_kernelILi8ENS0_12_GLOBAL__N_114CompareFunctorIiEESt5arrayIPcLm3EEEEviT0_T1_, .Lfunc_end41-_ZN2at6native29vectorized_elementwise_kernelILi8ENS0_12_GLOBAL__N_114CompareFunctorIiEESt5arrayIPcLm3EEEEviT0_T1_
                                        ; -- End function
	.set _ZN2at6native29vectorized_elementwise_kernelILi8ENS0_12_GLOBAL__N_114CompareFunctorIiEESt5arrayIPcLm3EEEEviT0_T1_.num_vgpr, 38
	.set _ZN2at6native29vectorized_elementwise_kernelILi8ENS0_12_GLOBAL__N_114CompareFunctorIiEESt5arrayIPcLm3EEEEviT0_T1_.num_agpr, 0
	.set _ZN2at6native29vectorized_elementwise_kernelILi8ENS0_12_GLOBAL__N_114CompareFunctorIiEESt5arrayIPcLm3EEEEviT0_T1_.numbered_sgpr, 50
	.set _ZN2at6native29vectorized_elementwise_kernelILi8ENS0_12_GLOBAL__N_114CompareFunctorIiEESt5arrayIPcLm3EEEEviT0_T1_.num_named_barrier, 0
	.set _ZN2at6native29vectorized_elementwise_kernelILi8ENS0_12_GLOBAL__N_114CompareFunctorIiEESt5arrayIPcLm3EEEEviT0_T1_.private_seg_size, 0
	.set _ZN2at6native29vectorized_elementwise_kernelILi8ENS0_12_GLOBAL__N_114CompareFunctorIiEESt5arrayIPcLm3EEEEviT0_T1_.uses_vcc, 1
	.set _ZN2at6native29vectorized_elementwise_kernelILi8ENS0_12_GLOBAL__N_114CompareFunctorIiEESt5arrayIPcLm3EEEEviT0_T1_.uses_flat_scratch, 0
	.set _ZN2at6native29vectorized_elementwise_kernelILi8ENS0_12_GLOBAL__N_114CompareFunctorIiEESt5arrayIPcLm3EEEEviT0_T1_.has_dyn_sized_stack, 0
	.set _ZN2at6native29vectorized_elementwise_kernelILi8ENS0_12_GLOBAL__N_114CompareFunctorIiEESt5arrayIPcLm3EEEEviT0_T1_.has_recursion, 0
	.set _ZN2at6native29vectorized_elementwise_kernelILi8ENS0_12_GLOBAL__N_114CompareFunctorIiEESt5arrayIPcLm3EEEEviT0_T1_.has_indirect_call, 0
	.section	.AMDGPU.csdata,"",@progbits
; Kernel info:
; codeLenInByte = 9568
; TotalNumSgprs: 54
; NumVgprs: 38
; ScratchSize: 0
; MemoryBound: 1
; FloatMode: 240
; IeeeMode: 1
; LDSByteSize: 0 bytes/workgroup (compile time only)
; SGPRBlocks: 6
; VGPRBlocks: 9
; NumSGPRsForWavesPerEU: 54
; NumVGPRsForWavesPerEU: 38
; Occupancy: 6
; WaveLimiterHint : 1
; COMPUTE_PGM_RSRC2:SCRATCH_EN: 0
; COMPUTE_PGM_RSRC2:USER_SGPR: 6
; COMPUTE_PGM_RSRC2:TRAP_HANDLER: 0
; COMPUTE_PGM_RSRC2:TGID_X_EN: 1
; COMPUTE_PGM_RSRC2:TGID_Y_EN: 0
; COMPUTE_PGM_RSRC2:TGID_Z_EN: 0
; COMPUTE_PGM_RSRC2:TIDIG_COMP_CNT: 0
	.section	.text._ZN2at6native29vectorized_elementwise_kernelILi4ENS0_12_GLOBAL__N_114CompareFunctorIiEESt5arrayIPcLm3EEEEviT0_T1_,"axG",@progbits,_ZN2at6native29vectorized_elementwise_kernelILi4ENS0_12_GLOBAL__N_114CompareFunctorIiEESt5arrayIPcLm3EEEEviT0_T1_,comdat
	.globl	_ZN2at6native29vectorized_elementwise_kernelILi4ENS0_12_GLOBAL__N_114CompareFunctorIiEESt5arrayIPcLm3EEEEviT0_T1_ ; -- Begin function _ZN2at6native29vectorized_elementwise_kernelILi4ENS0_12_GLOBAL__N_114CompareFunctorIiEESt5arrayIPcLm3EEEEviT0_T1_
	.p2align	8
	.type	_ZN2at6native29vectorized_elementwise_kernelILi4ENS0_12_GLOBAL__N_114CompareFunctorIiEESt5arrayIPcLm3EEEEviT0_T1_,@function
_ZN2at6native29vectorized_elementwise_kernelILi4ENS0_12_GLOBAL__N_114CompareFunctorIiEESt5arrayIPcLm3EEEEviT0_T1_: ; @_ZN2at6native29vectorized_elementwise_kernelILi4ENS0_12_GLOBAL__N_114CompareFunctorIiEESt5arrayIPcLm3EEEEviT0_T1_
; %bb.0:
	s_load_dwordx2 s[12:13], s[4:5], 0x0
	s_load_dwordx4 s[8:11], s[4:5], 0x8
	s_load_dwordx2 s[14:15], s[4:5], 0x18
	s_lshl_b32 s2, s6, 12
	s_mov_b64 s[0:1], -1
	s_waitcnt lgkmcnt(0)
	s_sub_i32 s12, s12, s2
	s_cmpk_gt_i32 s12, 0xfff
	s_cbranch_scc0 .LBB42_211
; %bb.1:
	s_ashr_i32 s3, s2, 31
	s_lshl_b64 s[0:1], s[2:3], 2
	s_add_u32 s4, s10, s0
	s_addc_u32 s5, s11, s1
	v_lshlrev_b32_e32 v5, 4, v0
	v_mov_b32_e32 v1, s5
	v_add_co_u32_e32 v6, vcc, s4, v5
	v_addc_co_u32_e32 v7, vcc, 0, v1, vcc
	v_add_co_u32_e32 v1, vcc, 0x1000, v6
	v_addc_co_u32_e32 v2, vcc, 0, v7, vcc
	;; [unrolled: 2-line block ×3, first 2 shown]
	global_load_dwordx4 v[17:20], v[1:2], off
	global_load_dwordx4 v[9:12], v[3:4], off
	v_add_co_u32_e32 v1, vcc, 0x3000, v6
	s_add_u32 s0, s14, s0
	v_addc_co_u32_e32 v2, vcc, 0, v7, vcc
	s_addc_u32 s1, s15, s1
	v_mov_b32_e32 v6, s1
	v_add_co_u32_e32 v33, vcc, s0, v5
	s_movk_i32 s6, 0x1000
	v_addc_co_u32_e32 v34, vcc, 0, v6, vcc
	global_load_dwordx4 v[1:4], v[1:2], off
	s_nop 0
	global_load_dwordx4 v[25:28], v5, s[4:5]
	global_load_dwordx4 v[29:32], v5, s[0:1]
	v_add_co_u32_e32 v5, vcc, s6, v33
	v_addc_co_u32_e32 v6, vcc, 0, v34, vcc
	v_add_co_u32_e32 v7, vcc, 0x2000, v33
	v_addc_co_u32_e32 v8, vcc, 0, v34, vcc
	global_load_dwordx4 v[21:24], v[5:6], off
	global_load_dwordx4 v[13:16], v[7:8], off
	v_add_co_u32_e32 v5, vcc, 0x3000, v33
	v_addc_co_u32_e32 v6, vcc, 0, v34, vcc
	global_load_dwordx4 v[5:8], v[5:6], off
	s_cmp_lt_i32 s13, 1
	s_mov_b64 s[4:5], 0
	s_cbranch_scc1 .LBB42_5
; %bb.2:
	s_cmp_gt_i32 s13, 1
	s_cbranch_scc0 .LBB42_6
; %bb.3:
	s_cmp_eq_u32 s13, 2
	s_cbranch_scc0 .LBB42_7
; %bb.4:
	s_waitcnt vmcnt(3)
	v_cmp_le_i32_e64 s[0:1], v25, v29
	s_mov_b64 s[6:7], 0
	s_branch .LBB42_8
.LBB42_5:
                                        ; implicit-def: $sgpr0_sgpr1
	s_mov_b64 s[6:7], 0
	s_cbranch_execnz .LBB42_11
	s_branch .LBB42_12
.LBB42_6:
	s_mov_b64 s[6:7], 0
                                        ; implicit-def: $sgpr0_sgpr1
	s_cbranch_execnz .LBB42_9
	s_branch .LBB42_10
.LBB42_7:
	s_mov_b64 s[6:7], -1
                                        ; implicit-def: $sgpr0_sgpr1
.LBB42_8:
	s_branch .LBB42_10
.LBB42_9:
	s_waitcnt vmcnt(3)
	v_cmp_gt_i32_e32 vcc, v25, v29
	s_andn2_b64 s[0:1], s[0:1], exec
	s_and_b64 s[16:17], vcc, exec
	s_or_b64 s[0:1], s[0:1], s[16:17]
.LBB42_10:
	s_branch .LBB42_12
.LBB42_11:
	s_cmp_lg_u32 s13, 0
	s_mov_b64 s[4:5], -1
	s_cselect_b64 s[6:7], -1, 0
.LBB42_12:
	s_andn2_b64 vcc, exec, s[6:7]
	s_cbranch_vccz .LBB42_18
; %bb.13:
	s_andn2_b64 vcc, exec, s[4:5]
	s_cbranch_vccz .LBB42_19
.LBB42_14:
	s_cmp_lt_i32 s13, 1
	s_mov_b64 s[6:7], 0
	s_cbranch_scc1 .LBB42_20
.LBB42_15:
	s_cmp_gt_i32 s13, 1
	s_cbranch_scc0 .LBB42_21
; %bb.16:
	s_cmp_eq_u32 s13, 2
	s_cbranch_scc0 .LBB42_251
; %bb.17:
	s_waitcnt vmcnt(3)
	v_cmp_le_i32_e64 s[4:5], v26, v30
	s_mov_b64 s[16:17], 0
	s_branch .LBB42_23
.LBB42_18:
	s_waitcnt vmcnt(3)
	v_cmp_lt_i32_e32 vcc, v25, v29
	s_andn2_b64 s[0:1], s[0:1], exec
	s_and_b64 s[6:7], vcc, exec
	s_or_b64 s[0:1], s[0:1], s[6:7]
	s_cbranch_execnz .LBB42_14
.LBB42_19:
	s_waitcnt vmcnt(3)
	v_cmp_ge_i32_e32 vcc, v25, v29
	s_andn2_b64 s[0:1], s[0:1], exec
	s_and_b64 s[4:5], vcc, exec
	s_or_b64 s[0:1], s[0:1], s[4:5]
	s_cmp_lt_i32 s13, 1
	s_mov_b64 s[6:7], 0
	s_cbranch_scc0 .LBB42_15
.LBB42_20:
                                        ; implicit-def: $sgpr4_sgpr5
	s_mov_b64 s[16:17], 0
	s_cbranch_execnz .LBB42_24
	s_branch .LBB42_25
.LBB42_21:
	s_mov_b64 s[16:17], 0
                                        ; implicit-def: $sgpr4_sgpr5
	s_cbranch_execz .LBB42_23
; %bb.22:
	s_waitcnt vmcnt(3)
	v_cmp_gt_i32_e32 vcc, v26, v30
	s_andn2_b64 s[4:5], s[4:5], exec
	s_and_b64 s[18:19], vcc, exec
	s_or_b64 s[4:5], s[4:5], s[18:19]
.LBB42_23:
	s_branch .LBB42_25
.LBB42_24:
	s_cmp_lg_u32 s13, 0
	s_mov_b64 s[6:7], -1
	s_cselect_b64 s[16:17], -1, 0
.LBB42_25:
	s_andn2_b64 vcc, exec, s[16:17]
	s_cbranch_vccz .LBB42_31
; %bb.26:
	s_andn2_b64 vcc, exec, s[6:7]
	s_cbranch_vccz .LBB42_32
.LBB42_27:
	s_cmp_lt_i32 s13, 1
	s_mov_b64 s[16:17], 0
	s_cbranch_scc1 .LBB42_33
.LBB42_28:
	s_cmp_gt_i32 s13, 1
	s_cbranch_scc0 .LBB42_34
; %bb.29:
	s_cmp_eq_u32 s13, 2
	s_cbranch_scc0 .LBB42_252
; %bb.30:
	s_waitcnt vmcnt(3)
	v_cmp_le_i32_e64 s[6:7], v27, v31
	s_mov_b64 s[18:19], 0
	s_branch .LBB42_36
.LBB42_31:
	s_waitcnt vmcnt(3)
	v_cmp_lt_i32_e32 vcc, v26, v30
	s_andn2_b64 s[4:5], s[4:5], exec
	s_and_b64 s[16:17], vcc, exec
	s_or_b64 s[4:5], s[4:5], s[16:17]
	s_cbranch_execnz .LBB42_27
.LBB42_32:
	s_waitcnt vmcnt(3)
	v_cmp_ge_i32_e32 vcc, v26, v30
	s_andn2_b64 s[4:5], s[4:5], exec
	s_and_b64 s[6:7], vcc, exec
	s_or_b64 s[4:5], s[4:5], s[6:7]
	s_cmp_lt_i32 s13, 1
	s_mov_b64 s[16:17], 0
	s_cbranch_scc0 .LBB42_28
.LBB42_33:
                                        ; implicit-def: $sgpr6_sgpr7
	s_mov_b64 s[18:19], 0
	s_cbranch_execnz .LBB42_37
	s_branch .LBB42_38
.LBB42_34:
	s_mov_b64 s[18:19], 0
                                        ; implicit-def: $sgpr6_sgpr7
	s_cbranch_execz .LBB42_36
; %bb.35:
	s_waitcnt vmcnt(3)
	v_cmp_gt_i32_e32 vcc, v27, v31
	s_andn2_b64 s[6:7], s[6:7], exec
	s_and_b64 s[20:21], vcc, exec
	s_or_b64 s[6:7], s[6:7], s[20:21]
.LBB42_36:
	s_branch .LBB42_38
.LBB42_37:
	s_cmp_lg_u32 s13, 0
	s_mov_b64 s[16:17], -1
	s_cselect_b64 s[18:19], -1, 0
.LBB42_38:
	s_andn2_b64 vcc, exec, s[18:19]
	s_cbranch_vccz .LBB42_44
; %bb.39:
	s_andn2_b64 vcc, exec, s[16:17]
	s_cbranch_vccz .LBB42_45
.LBB42_40:
	s_cmp_lt_i32 s13, 1
	s_mov_b64 s[18:19], 0
	s_cbranch_scc1 .LBB42_46
.LBB42_41:
	s_cmp_gt_i32 s13, 1
	s_cbranch_scc0 .LBB42_47
; %bb.42:
	s_cmp_eq_u32 s13, 2
	s_cbranch_scc0 .LBB42_253
; %bb.43:
	s_waitcnt vmcnt(3)
	v_cmp_le_i32_e64 s[16:17], v28, v32
	s_mov_b64 s[20:21], 0
	s_branch .LBB42_49
.LBB42_44:
	s_waitcnt vmcnt(3)
	v_cmp_lt_i32_e32 vcc, v27, v31
	s_andn2_b64 s[6:7], s[6:7], exec
	s_and_b64 s[18:19], vcc, exec
	s_or_b64 s[6:7], s[6:7], s[18:19]
	s_cbranch_execnz .LBB42_40
.LBB42_45:
	s_waitcnt vmcnt(3)
	v_cmp_ge_i32_e32 vcc, v27, v31
	s_andn2_b64 s[6:7], s[6:7], exec
	s_and_b64 s[16:17], vcc, exec
	s_or_b64 s[6:7], s[6:7], s[16:17]
	s_cmp_lt_i32 s13, 1
	s_mov_b64 s[18:19], 0
	s_cbranch_scc0 .LBB42_41
.LBB42_46:
                                        ; implicit-def: $sgpr16_sgpr17
	s_mov_b64 s[20:21], 0
	s_cbranch_execnz .LBB42_50
	s_branch .LBB42_51
.LBB42_47:
	s_mov_b64 s[20:21], 0
                                        ; implicit-def: $sgpr16_sgpr17
	s_cbranch_execz .LBB42_49
; %bb.48:
	s_waitcnt vmcnt(3)
	v_cmp_gt_i32_e32 vcc, v28, v32
	s_andn2_b64 s[16:17], s[16:17], exec
	s_and_b64 s[22:23], vcc, exec
	s_or_b64 s[16:17], s[16:17], s[22:23]
.LBB42_49:
	s_branch .LBB42_51
.LBB42_50:
	s_cmp_lg_u32 s13, 0
	s_mov_b64 s[18:19], -1
	s_cselect_b64 s[20:21], -1, 0
.LBB42_51:
	s_andn2_b64 vcc, exec, s[20:21]
	s_cbranch_vccz .LBB42_57
; %bb.52:
	s_andn2_b64 vcc, exec, s[18:19]
	s_cbranch_vccz .LBB42_58
.LBB42_53:
	s_cmp_lt_i32 s13, 1
	s_mov_b64 s[20:21], 0
	s_cbranch_scc1 .LBB42_59
.LBB42_54:
	s_cmp_gt_i32 s13, 1
	s_cbranch_scc0 .LBB42_60
; %bb.55:
	s_cmp_eq_u32 s13, 2
	s_cbranch_scc0 .LBB42_254
; %bb.56:
	s_waitcnt vmcnt(2)
	v_cmp_le_i32_e64 s[18:19], v17, v21
	s_mov_b64 s[22:23], 0
	s_branch .LBB42_62
.LBB42_57:
	s_waitcnt vmcnt(3)
	v_cmp_lt_i32_e32 vcc, v28, v32
	s_andn2_b64 s[16:17], s[16:17], exec
	s_and_b64 s[20:21], vcc, exec
	s_or_b64 s[16:17], s[16:17], s[20:21]
	s_cbranch_execnz .LBB42_53
.LBB42_58:
	s_waitcnt vmcnt(3)
	v_cmp_ge_i32_e32 vcc, v28, v32
	s_andn2_b64 s[16:17], s[16:17], exec
	s_and_b64 s[18:19], vcc, exec
	s_or_b64 s[16:17], s[16:17], s[18:19]
	s_cmp_lt_i32 s13, 1
	s_mov_b64 s[20:21], 0
	s_cbranch_scc0 .LBB42_54
.LBB42_59:
                                        ; implicit-def: $sgpr18_sgpr19
	s_mov_b64 s[22:23], 0
	s_cbranch_execnz .LBB42_63
	s_branch .LBB42_64
.LBB42_60:
	s_mov_b64 s[22:23], 0
                                        ; implicit-def: $sgpr18_sgpr19
	s_cbranch_execz .LBB42_62
; %bb.61:
	s_waitcnt vmcnt(2)
	v_cmp_gt_i32_e32 vcc, v17, v21
	s_andn2_b64 s[18:19], s[18:19], exec
	s_and_b64 s[24:25], vcc, exec
	s_or_b64 s[18:19], s[18:19], s[24:25]
.LBB42_62:
	s_branch .LBB42_64
.LBB42_63:
	s_cmp_lg_u32 s13, 0
	s_mov_b64 s[20:21], -1
	s_cselect_b64 s[22:23], -1, 0
.LBB42_64:
	s_andn2_b64 vcc, exec, s[22:23]
	s_cbranch_vccz .LBB42_70
; %bb.65:
	s_andn2_b64 vcc, exec, s[20:21]
	s_cbranch_vccz .LBB42_71
.LBB42_66:
	s_cmp_lt_i32 s13, 1
	s_mov_b64 s[22:23], 0
	s_cbranch_scc1 .LBB42_72
.LBB42_67:
	s_cmp_gt_i32 s13, 1
	s_cbranch_scc0 .LBB42_73
; %bb.68:
	s_cmp_eq_u32 s13, 2
	s_cbranch_scc0 .LBB42_255
; %bb.69:
	s_waitcnt vmcnt(2)
	v_cmp_le_i32_e64 s[20:21], v18, v22
	s_mov_b64 s[24:25], 0
	s_branch .LBB42_75
.LBB42_70:
	s_waitcnt vmcnt(2)
	v_cmp_lt_i32_e32 vcc, v17, v21
	s_andn2_b64 s[18:19], s[18:19], exec
	s_and_b64 s[22:23], vcc, exec
	s_or_b64 s[18:19], s[18:19], s[22:23]
	s_cbranch_execnz .LBB42_66
.LBB42_71:
	s_waitcnt vmcnt(2)
	v_cmp_ge_i32_e32 vcc, v17, v21
	s_andn2_b64 s[18:19], s[18:19], exec
	s_and_b64 s[20:21], vcc, exec
	s_or_b64 s[18:19], s[18:19], s[20:21]
	s_cmp_lt_i32 s13, 1
	s_mov_b64 s[22:23], 0
	s_cbranch_scc0 .LBB42_67
.LBB42_72:
                                        ; implicit-def: $sgpr20_sgpr21
	s_mov_b64 s[24:25], 0
	s_cbranch_execnz .LBB42_76
	s_branch .LBB42_77
.LBB42_73:
	s_mov_b64 s[24:25], 0
                                        ; implicit-def: $sgpr20_sgpr21
	s_cbranch_execz .LBB42_75
; %bb.74:
	s_waitcnt vmcnt(2)
	v_cmp_gt_i32_e32 vcc, v18, v22
	s_andn2_b64 s[20:21], s[20:21], exec
	s_and_b64 s[26:27], vcc, exec
	s_or_b64 s[20:21], s[20:21], s[26:27]
.LBB42_75:
	s_branch .LBB42_77
.LBB42_76:
	s_cmp_lg_u32 s13, 0
	s_mov_b64 s[22:23], -1
	s_cselect_b64 s[24:25], -1, 0
.LBB42_77:
	s_andn2_b64 vcc, exec, s[24:25]
	s_cbranch_vccz .LBB42_83
; %bb.78:
	s_andn2_b64 vcc, exec, s[22:23]
	s_cbranch_vccz .LBB42_84
.LBB42_79:
	s_cmp_lt_i32 s13, 1
	s_mov_b64 s[24:25], 0
	s_cbranch_scc1 .LBB42_85
.LBB42_80:
	s_cmp_gt_i32 s13, 1
	s_cbranch_scc0 .LBB42_86
; %bb.81:
	s_cmp_eq_u32 s13, 2
	s_cbranch_scc0 .LBB42_256
; %bb.82:
	s_waitcnt vmcnt(2)
	v_cmp_le_i32_e64 s[22:23], v19, v23
	s_mov_b64 s[26:27], 0
	s_branch .LBB42_88
.LBB42_83:
	s_waitcnt vmcnt(2)
	v_cmp_lt_i32_e32 vcc, v18, v22
	s_andn2_b64 s[20:21], s[20:21], exec
	s_and_b64 s[24:25], vcc, exec
	s_or_b64 s[20:21], s[20:21], s[24:25]
	s_cbranch_execnz .LBB42_79
.LBB42_84:
	s_waitcnt vmcnt(2)
	v_cmp_ge_i32_e32 vcc, v18, v22
	s_andn2_b64 s[20:21], s[20:21], exec
	s_and_b64 s[22:23], vcc, exec
	s_or_b64 s[20:21], s[20:21], s[22:23]
	s_cmp_lt_i32 s13, 1
	s_mov_b64 s[24:25], 0
	s_cbranch_scc0 .LBB42_80
.LBB42_85:
                                        ; implicit-def: $sgpr22_sgpr23
	s_mov_b64 s[26:27], 0
	s_cbranch_execnz .LBB42_89
	s_branch .LBB42_90
.LBB42_86:
	s_mov_b64 s[26:27], 0
                                        ; implicit-def: $sgpr22_sgpr23
	s_cbranch_execz .LBB42_88
; %bb.87:
	s_waitcnt vmcnt(2)
	v_cmp_gt_i32_e32 vcc, v19, v23
	s_andn2_b64 s[22:23], s[22:23], exec
	s_and_b64 s[28:29], vcc, exec
	s_or_b64 s[22:23], s[22:23], s[28:29]
.LBB42_88:
	s_branch .LBB42_90
.LBB42_89:
	s_cmp_lg_u32 s13, 0
	s_mov_b64 s[24:25], -1
	s_cselect_b64 s[26:27], -1, 0
.LBB42_90:
	s_andn2_b64 vcc, exec, s[26:27]
	s_cbranch_vccz .LBB42_96
; %bb.91:
	s_andn2_b64 vcc, exec, s[24:25]
	s_cbranch_vccz .LBB42_97
.LBB42_92:
	s_cmp_lt_i32 s13, 1
	s_mov_b64 s[26:27], 0
	s_cbranch_scc1 .LBB42_98
.LBB42_93:
	s_cmp_gt_i32 s13, 1
	s_cbranch_scc0 .LBB42_99
; %bb.94:
	s_cmp_eq_u32 s13, 2
	s_cbranch_scc0 .LBB42_257
; %bb.95:
	s_waitcnt vmcnt(2)
	v_cmp_le_i32_e64 s[24:25], v20, v24
	s_mov_b64 s[28:29], 0
	s_branch .LBB42_101
.LBB42_96:
	s_waitcnt vmcnt(2)
	v_cmp_lt_i32_e32 vcc, v19, v23
	s_andn2_b64 s[22:23], s[22:23], exec
	s_and_b64 s[26:27], vcc, exec
	s_or_b64 s[22:23], s[22:23], s[26:27]
	s_cbranch_execnz .LBB42_92
.LBB42_97:
	s_waitcnt vmcnt(2)
	v_cmp_ge_i32_e32 vcc, v19, v23
	s_andn2_b64 s[22:23], s[22:23], exec
	s_and_b64 s[24:25], vcc, exec
	s_or_b64 s[22:23], s[22:23], s[24:25]
	s_cmp_lt_i32 s13, 1
	s_mov_b64 s[26:27], 0
	s_cbranch_scc0 .LBB42_93
.LBB42_98:
                                        ; implicit-def: $sgpr24_sgpr25
	s_mov_b64 s[28:29], 0
	s_cbranch_execnz .LBB42_102
	s_branch .LBB42_103
.LBB42_99:
	s_mov_b64 s[28:29], 0
                                        ; implicit-def: $sgpr24_sgpr25
	s_cbranch_execz .LBB42_101
; %bb.100:
	s_waitcnt vmcnt(2)
	v_cmp_gt_i32_e32 vcc, v20, v24
	s_andn2_b64 s[24:25], s[24:25], exec
	s_and_b64 s[30:31], vcc, exec
	s_or_b64 s[24:25], s[24:25], s[30:31]
.LBB42_101:
	s_branch .LBB42_103
.LBB42_102:
	s_cmp_lg_u32 s13, 0
	s_mov_b64 s[26:27], -1
	s_cselect_b64 s[28:29], -1, 0
.LBB42_103:
	s_andn2_b64 vcc, exec, s[28:29]
	s_cbranch_vccz .LBB42_109
; %bb.104:
	s_andn2_b64 vcc, exec, s[26:27]
	s_cbranch_vccz .LBB42_110
.LBB42_105:
	s_cmp_lt_i32 s13, 1
	s_mov_b64 s[28:29], 0
	s_cbranch_scc1 .LBB42_111
.LBB42_106:
	s_cmp_gt_i32 s13, 1
	s_cbranch_scc0 .LBB42_112
; %bb.107:
	s_cmp_eq_u32 s13, 2
	s_cbranch_scc0 .LBB42_258
; %bb.108:
	s_waitcnt vmcnt(1)
	v_cmp_le_i32_e64 s[26:27], v9, v13
	s_mov_b64 s[30:31], 0
	s_branch .LBB42_114
.LBB42_109:
	s_waitcnt vmcnt(2)
	v_cmp_lt_i32_e32 vcc, v20, v24
	s_andn2_b64 s[24:25], s[24:25], exec
	s_and_b64 s[28:29], vcc, exec
	s_or_b64 s[24:25], s[24:25], s[28:29]
	s_cbranch_execnz .LBB42_105
.LBB42_110:
	s_waitcnt vmcnt(2)
	v_cmp_ge_i32_e32 vcc, v20, v24
	s_andn2_b64 s[24:25], s[24:25], exec
	s_and_b64 s[26:27], vcc, exec
	s_or_b64 s[24:25], s[24:25], s[26:27]
	s_cmp_lt_i32 s13, 1
	s_mov_b64 s[28:29], 0
	s_cbranch_scc0 .LBB42_106
.LBB42_111:
                                        ; implicit-def: $sgpr26_sgpr27
	s_mov_b64 s[30:31], 0
	s_cbranch_execnz .LBB42_115
	s_branch .LBB42_116
.LBB42_112:
	s_mov_b64 s[30:31], 0
                                        ; implicit-def: $sgpr26_sgpr27
	s_cbranch_execz .LBB42_114
; %bb.113:
	s_waitcnt vmcnt(1)
	v_cmp_gt_i32_e32 vcc, v9, v13
	s_andn2_b64 s[26:27], s[26:27], exec
	s_and_b64 s[34:35], vcc, exec
	s_or_b64 s[26:27], s[26:27], s[34:35]
.LBB42_114:
	s_branch .LBB42_116
.LBB42_115:
	s_cmp_lg_u32 s13, 0
	s_mov_b64 s[28:29], -1
	s_cselect_b64 s[30:31], -1, 0
.LBB42_116:
	s_andn2_b64 vcc, exec, s[30:31]
	s_cbranch_vccz .LBB42_122
; %bb.117:
	s_andn2_b64 vcc, exec, s[28:29]
	s_cbranch_vccz .LBB42_123
.LBB42_118:
	s_cmp_lt_i32 s13, 1
	s_mov_b64 s[30:31], 0
	s_cbranch_scc1 .LBB42_124
.LBB42_119:
	s_cmp_gt_i32 s13, 1
	s_cbranch_scc0 .LBB42_125
; %bb.120:
	s_cmp_eq_u32 s13, 2
	s_cbranch_scc0 .LBB42_259
; %bb.121:
	s_waitcnt vmcnt(1)
	v_cmp_le_i32_e64 s[28:29], v10, v14
	s_mov_b64 s[34:35], 0
	s_branch .LBB42_127
.LBB42_122:
	s_waitcnt vmcnt(1)
	v_cmp_lt_i32_e32 vcc, v9, v13
	s_andn2_b64 s[26:27], s[26:27], exec
	s_and_b64 s[30:31], vcc, exec
	s_or_b64 s[26:27], s[26:27], s[30:31]
	s_cbranch_execnz .LBB42_118
.LBB42_123:
	s_waitcnt vmcnt(1)
	v_cmp_ge_i32_e32 vcc, v9, v13
	s_andn2_b64 s[26:27], s[26:27], exec
	s_and_b64 s[28:29], vcc, exec
	s_or_b64 s[26:27], s[26:27], s[28:29]
	s_cmp_lt_i32 s13, 1
	s_mov_b64 s[30:31], 0
	s_cbranch_scc0 .LBB42_119
.LBB42_124:
                                        ; implicit-def: $sgpr28_sgpr29
	s_mov_b64 s[34:35], 0
	s_cbranch_execnz .LBB42_128
	s_branch .LBB42_129
.LBB42_125:
	s_mov_b64 s[34:35], 0
                                        ; implicit-def: $sgpr28_sgpr29
	s_cbranch_execz .LBB42_127
; %bb.126:
	s_waitcnt vmcnt(1)
	v_cmp_gt_i32_e32 vcc, v10, v14
	s_andn2_b64 s[28:29], s[28:29], exec
	s_and_b64 s[36:37], vcc, exec
	s_or_b64 s[28:29], s[28:29], s[36:37]
.LBB42_127:
	s_branch .LBB42_129
.LBB42_128:
	s_cmp_lg_u32 s13, 0
	s_mov_b64 s[30:31], -1
	s_cselect_b64 s[34:35], -1, 0
.LBB42_129:
	s_andn2_b64 vcc, exec, s[34:35]
	s_cbranch_vccz .LBB42_135
; %bb.130:
	s_andn2_b64 vcc, exec, s[30:31]
	s_cbranch_vccz .LBB42_136
.LBB42_131:
	s_cmp_lt_i32 s13, 1
	s_mov_b64 s[34:35], 0
	s_cbranch_scc1 .LBB42_137
.LBB42_132:
	s_cmp_gt_i32 s13, 1
	s_cbranch_scc0 .LBB42_138
; %bb.133:
	s_cmp_eq_u32 s13, 2
	s_cbranch_scc0 .LBB42_260
; %bb.134:
	s_waitcnt vmcnt(1)
	v_cmp_le_i32_e64 s[30:31], v11, v15
	s_mov_b64 s[36:37], 0
	s_branch .LBB42_140
.LBB42_135:
	s_waitcnt vmcnt(1)
	v_cmp_lt_i32_e32 vcc, v10, v14
	s_andn2_b64 s[28:29], s[28:29], exec
	s_and_b64 s[34:35], vcc, exec
	s_or_b64 s[28:29], s[28:29], s[34:35]
	s_cbranch_execnz .LBB42_131
.LBB42_136:
	s_waitcnt vmcnt(1)
	v_cmp_ge_i32_e32 vcc, v10, v14
	s_andn2_b64 s[28:29], s[28:29], exec
	s_and_b64 s[30:31], vcc, exec
	s_or_b64 s[28:29], s[28:29], s[30:31]
	s_cmp_lt_i32 s13, 1
	s_mov_b64 s[34:35], 0
	s_cbranch_scc0 .LBB42_132
.LBB42_137:
                                        ; implicit-def: $sgpr30_sgpr31
	s_mov_b64 s[36:37], 0
	s_cbranch_execnz .LBB42_141
	s_branch .LBB42_142
.LBB42_138:
	s_mov_b64 s[36:37], 0
                                        ; implicit-def: $sgpr30_sgpr31
	s_cbranch_execz .LBB42_140
; %bb.139:
	s_waitcnt vmcnt(1)
	v_cmp_gt_i32_e32 vcc, v11, v15
	s_andn2_b64 s[30:31], s[30:31], exec
	s_and_b64 s[38:39], vcc, exec
	s_or_b64 s[30:31], s[30:31], s[38:39]
.LBB42_140:
	s_branch .LBB42_142
.LBB42_141:
	s_cmp_lg_u32 s13, 0
	s_mov_b64 s[34:35], -1
	s_cselect_b64 s[36:37], -1, 0
.LBB42_142:
	s_andn2_b64 vcc, exec, s[36:37]
	s_cbranch_vccz .LBB42_148
; %bb.143:
	s_andn2_b64 vcc, exec, s[34:35]
	s_cbranch_vccz .LBB42_149
.LBB42_144:
	s_cmp_lt_i32 s13, 1
	s_mov_b64 s[36:37], 0
	s_cbranch_scc1 .LBB42_150
.LBB42_145:
	s_cmp_gt_i32 s13, 1
	s_cbranch_scc0 .LBB42_151
; %bb.146:
	s_cmp_eq_u32 s13, 2
	s_cbranch_scc0 .LBB42_261
; %bb.147:
	s_waitcnt vmcnt(1)
	v_cmp_le_i32_e64 s[34:35], v12, v16
	s_mov_b64 s[38:39], 0
	s_branch .LBB42_153
.LBB42_148:
	s_waitcnt vmcnt(1)
	v_cmp_lt_i32_e32 vcc, v11, v15
	s_andn2_b64 s[30:31], s[30:31], exec
	s_and_b64 s[36:37], vcc, exec
	s_or_b64 s[30:31], s[30:31], s[36:37]
	s_cbranch_execnz .LBB42_144
.LBB42_149:
	s_waitcnt vmcnt(1)
	v_cmp_ge_i32_e32 vcc, v11, v15
	s_andn2_b64 s[30:31], s[30:31], exec
	s_and_b64 s[34:35], vcc, exec
	s_or_b64 s[30:31], s[30:31], s[34:35]
	s_cmp_lt_i32 s13, 1
	s_mov_b64 s[36:37], 0
	s_cbranch_scc0 .LBB42_145
.LBB42_150:
                                        ; implicit-def: $sgpr34_sgpr35
	s_mov_b64 s[38:39], 0
	s_cbranch_execnz .LBB42_154
	s_branch .LBB42_155
.LBB42_151:
	s_mov_b64 s[38:39], 0
                                        ; implicit-def: $sgpr34_sgpr35
	s_cbranch_execz .LBB42_153
; %bb.152:
	s_waitcnt vmcnt(1)
	v_cmp_gt_i32_e32 vcc, v12, v16
	s_andn2_b64 s[34:35], s[34:35], exec
	s_and_b64 s[40:41], vcc, exec
	s_or_b64 s[34:35], s[34:35], s[40:41]
.LBB42_153:
	s_branch .LBB42_155
.LBB42_154:
	s_cmp_lg_u32 s13, 0
	s_mov_b64 s[36:37], -1
	s_cselect_b64 s[38:39], -1, 0
.LBB42_155:
	s_andn2_b64 vcc, exec, s[38:39]
	s_cbranch_vccz .LBB42_161
; %bb.156:
	s_andn2_b64 vcc, exec, s[36:37]
	s_cbranch_vccz .LBB42_162
.LBB42_157:
	s_cmp_lt_i32 s13, 1
	s_mov_b64 s[38:39], 0
	s_cbranch_scc1 .LBB42_163
.LBB42_158:
	s_cmp_gt_i32 s13, 1
	s_cbranch_scc0 .LBB42_164
; %bb.159:
	s_cmp_eq_u32 s13, 2
	s_cbranch_scc0 .LBB42_262
; %bb.160:
	s_waitcnt vmcnt(0)
	v_cmp_le_i32_e64 s[36:37], v1, v5
	s_mov_b64 s[40:41], 0
	s_branch .LBB42_166
.LBB42_161:
	s_waitcnt vmcnt(1)
	v_cmp_lt_i32_e32 vcc, v12, v16
	s_andn2_b64 s[34:35], s[34:35], exec
	s_and_b64 s[38:39], vcc, exec
	s_or_b64 s[34:35], s[34:35], s[38:39]
	s_cbranch_execnz .LBB42_157
.LBB42_162:
	s_waitcnt vmcnt(1)
	v_cmp_ge_i32_e32 vcc, v12, v16
	s_andn2_b64 s[34:35], s[34:35], exec
	s_and_b64 s[36:37], vcc, exec
	s_or_b64 s[34:35], s[34:35], s[36:37]
	s_cmp_lt_i32 s13, 1
	s_mov_b64 s[38:39], 0
	s_cbranch_scc0 .LBB42_158
.LBB42_163:
                                        ; implicit-def: $sgpr36_sgpr37
	s_mov_b64 s[40:41], 0
	s_cbranch_execnz .LBB42_167
	s_branch .LBB42_168
.LBB42_164:
	s_mov_b64 s[40:41], 0
                                        ; implicit-def: $sgpr36_sgpr37
	s_cbranch_execz .LBB42_166
; %bb.165:
	s_waitcnt vmcnt(0)
	v_cmp_gt_i32_e32 vcc, v1, v5
	s_andn2_b64 s[36:37], s[36:37], exec
	s_and_b64 s[42:43], vcc, exec
	s_or_b64 s[36:37], s[36:37], s[42:43]
.LBB42_166:
	s_branch .LBB42_168
.LBB42_167:
	s_cmp_lg_u32 s13, 0
	s_mov_b64 s[38:39], -1
	s_cselect_b64 s[40:41], -1, 0
.LBB42_168:
	s_andn2_b64 vcc, exec, s[40:41]
	s_cbranch_vccz .LBB42_174
; %bb.169:
	s_andn2_b64 vcc, exec, s[38:39]
	s_cbranch_vccz .LBB42_175
.LBB42_170:
	s_cmp_lt_i32 s13, 1
	s_mov_b64 s[40:41], 0
	s_cbranch_scc1 .LBB42_176
.LBB42_171:
	s_cmp_gt_i32 s13, 1
	s_cbranch_scc0 .LBB42_177
; %bb.172:
	s_cmp_eq_u32 s13, 2
	s_cbranch_scc0 .LBB42_263
; %bb.173:
	s_waitcnt vmcnt(0)
	v_cmp_le_i32_e64 s[38:39], v2, v6
	s_mov_b64 s[42:43], 0
	s_branch .LBB42_179
.LBB42_174:
	s_waitcnt vmcnt(0)
	v_cmp_lt_i32_e32 vcc, v1, v5
	s_andn2_b64 s[36:37], s[36:37], exec
	s_and_b64 s[40:41], vcc, exec
	s_or_b64 s[36:37], s[36:37], s[40:41]
	s_cbranch_execnz .LBB42_170
.LBB42_175:
	s_waitcnt vmcnt(0)
	v_cmp_ge_i32_e32 vcc, v1, v5
	s_andn2_b64 s[36:37], s[36:37], exec
	s_and_b64 s[38:39], vcc, exec
	s_or_b64 s[36:37], s[36:37], s[38:39]
	s_cmp_lt_i32 s13, 1
	s_mov_b64 s[40:41], 0
	s_cbranch_scc0 .LBB42_171
.LBB42_176:
                                        ; implicit-def: $sgpr38_sgpr39
	s_mov_b64 s[42:43], 0
	s_cbranch_execnz .LBB42_180
	s_branch .LBB42_181
.LBB42_177:
	s_mov_b64 s[42:43], 0
                                        ; implicit-def: $sgpr38_sgpr39
	s_cbranch_execz .LBB42_179
; %bb.178:
	s_waitcnt vmcnt(0)
	v_cmp_gt_i32_e32 vcc, v2, v6
	s_andn2_b64 s[38:39], s[38:39], exec
	s_and_b64 s[44:45], vcc, exec
	s_or_b64 s[38:39], s[38:39], s[44:45]
.LBB42_179:
	s_branch .LBB42_181
.LBB42_180:
	s_cmp_lg_u32 s13, 0
	s_mov_b64 s[40:41], -1
	s_cselect_b64 s[42:43], -1, 0
.LBB42_181:
	s_andn2_b64 vcc, exec, s[42:43]
	s_cbranch_vccz .LBB42_187
; %bb.182:
	s_andn2_b64 vcc, exec, s[40:41]
	s_cbranch_vccz .LBB42_188
.LBB42_183:
	s_cmp_lt_i32 s13, 1
	s_mov_b64 s[42:43], 0
	s_cbranch_scc1 .LBB42_189
.LBB42_184:
	s_cmp_gt_i32 s13, 1
	s_cbranch_scc0 .LBB42_190
; %bb.185:
	s_cmp_eq_u32 s13, 2
	s_cbranch_scc0 .LBB42_264
; %bb.186:
	s_waitcnt vmcnt(0)
	v_cmp_le_i32_e64 s[40:41], v3, v7
	s_mov_b64 s[44:45], 0
	s_branch .LBB42_192
.LBB42_187:
	s_waitcnt vmcnt(0)
	v_cmp_lt_i32_e32 vcc, v2, v6
	s_andn2_b64 s[38:39], s[38:39], exec
	s_and_b64 s[42:43], vcc, exec
	s_or_b64 s[38:39], s[38:39], s[42:43]
	s_cbranch_execnz .LBB42_183
.LBB42_188:
	s_waitcnt vmcnt(0)
	v_cmp_ge_i32_e32 vcc, v2, v6
	s_andn2_b64 s[38:39], s[38:39], exec
	s_and_b64 s[40:41], vcc, exec
	s_or_b64 s[38:39], s[38:39], s[40:41]
	s_cmp_lt_i32 s13, 1
	s_mov_b64 s[42:43], 0
	s_cbranch_scc0 .LBB42_184
.LBB42_189:
                                        ; implicit-def: $sgpr40_sgpr41
	s_mov_b64 s[44:45], 0
	s_cbranch_execnz .LBB42_193
	s_branch .LBB42_194
.LBB42_190:
	s_mov_b64 s[44:45], 0
                                        ; implicit-def: $sgpr40_sgpr41
	s_cbranch_execz .LBB42_192
; %bb.191:
	s_waitcnt vmcnt(0)
	v_cmp_gt_i32_e32 vcc, v3, v7
	s_andn2_b64 s[40:41], s[40:41], exec
	s_and_b64 s[46:47], vcc, exec
	s_or_b64 s[40:41], s[40:41], s[46:47]
.LBB42_192:
	s_branch .LBB42_194
.LBB42_193:
	s_cmp_lg_u32 s13, 0
	s_mov_b64 s[42:43], -1
	s_cselect_b64 s[44:45], -1, 0
.LBB42_194:
	s_andn2_b64 vcc, exec, s[44:45]
	s_cbranch_vccz .LBB42_200
; %bb.195:
	s_andn2_b64 vcc, exec, s[42:43]
	s_cbranch_vccz .LBB42_201
.LBB42_196:
	s_cmp_lt_i32 s13, 1
	s_mov_b64 s[44:45], 0
	s_cbranch_scc1 .LBB42_202
.LBB42_197:
	s_cmp_gt_i32 s13, 1
	s_cbranch_scc0 .LBB42_203
; %bb.198:
	s_cmp_eq_u32 s13, 2
	s_cbranch_scc0 .LBB42_265
; %bb.199:
	s_waitcnt vmcnt(0)
	v_cmp_le_i32_e64 s[42:43], v4, v8
	s_mov_b64 s[46:47], 0
	s_branch .LBB42_205
.LBB42_200:
	s_waitcnt vmcnt(0)
	v_cmp_lt_i32_e32 vcc, v3, v7
	s_andn2_b64 s[40:41], s[40:41], exec
	s_and_b64 s[44:45], vcc, exec
	s_or_b64 s[40:41], s[40:41], s[44:45]
	s_cbranch_execnz .LBB42_196
.LBB42_201:
	s_waitcnt vmcnt(0)
	v_cmp_ge_i32_e32 vcc, v3, v7
	s_andn2_b64 s[40:41], s[40:41], exec
	s_and_b64 s[42:43], vcc, exec
	s_or_b64 s[40:41], s[40:41], s[42:43]
	s_cmp_lt_i32 s13, 1
	s_mov_b64 s[44:45], 0
	s_cbranch_scc0 .LBB42_197
.LBB42_202:
                                        ; implicit-def: $sgpr42_sgpr43
	s_mov_b64 s[46:47], 0
	s_cbranch_execnz .LBB42_206
	s_branch .LBB42_207
.LBB42_203:
	s_mov_b64 s[46:47], 0
                                        ; implicit-def: $sgpr42_sgpr43
	s_cbranch_execz .LBB42_205
; %bb.204:
	s_waitcnt vmcnt(0)
	v_cmp_gt_i32_e32 vcc, v4, v8
	s_andn2_b64 s[42:43], s[42:43], exec
	s_and_b64 s[48:49], vcc, exec
	s_or_b64 s[42:43], s[42:43], s[48:49]
.LBB42_205:
	s_branch .LBB42_207
.LBB42_206:
	s_cmp_lg_u32 s13, 0
	s_mov_b64 s[44:45], -1
	s_cselect_b64 s[46:47], -1, 0
.LBB42_207:
	s_andn2_b64 vcc, exec, s[46:47]
	s_cbranch_vccz .LBB42_249
; %bb.208:
	s_andn2_b64 vcc, exec, s[44:45]
	s_cbranch_vccnz .LBB42_210
.LBB42_209:
	s_waitcnt vmcnt(0)
	v_cmp_ge_i32_e32 vcc, v4, v8
	s_andn2_b64 s[42:43], s[42:43], exec
	s_and_b64 s[44:45], vcc, exec
	s_or_b64 s[42:43], s[42:43], s[44:45]
.LBB42_210:
	s_waitcnt vmcnt(5)
	v_mov_b32_e32 v1, 0x100
	v_cndmask_b32_e64 v2, 0, v1, s[38:39]
	v_cndmask_b32_e64 v3, 0, 1, s[36:37]
	v_or_b32_e32 v2, v2, v3
	v_mov_b32_e32 v3, 0x10000
	s_waitcnt vmcnt(0)
	v_cndmask_b32_e64 v5, 0, v1, s[28:29]
	v_cndmask_b32_e64 v6, 0, 1, s[26:27]
	v_mov_b32_e32 v7, 0x1000000
	v_or_b32_e32 v5, v5, v6
	v_cndmask_b32_e64 v6, 0, v3, s[30:31]
	v_cndmask_b32_e64 v8, 0, v7, s[34:35]
	v_or3_b32 v5, v5, v6, v8
	v_cndmask_b32_e64 v6, 0, v1, s[20:21]
	v_cndmask_b32_e64 v8, 0, 1, s[18:19]
	v_or_b32_e32 v6, v6, v8
	v_cndmask_b32_e64 v8, 0, v3, s[22:23]
	v_cndmask_b32_e64 v9, 0, v7, s[24:25]
	v_or3_b32 v6, v6, v8, v9
	v_cndmask_b32_e64 v1, 0, v1, s[4:5]
	v_cndmask_b32_e64 v8, 0, 1, s[0:1]
	;; [unrolled: 1-line block ×3, first 2 shown]
	v_or_b32_e32 v1, v1, v8
	v_cndmask_b32_e64 v3, 0, v3, s[6:7]
	v_cndmask_b32_e64 v8, 0, v7, s[16:17]
	v_or3_b32 v1, v1, v3, v8
	v_cndmask_b32_e64 v3, 0, v7, s[42:43]
	s_add_u32 s0, s8, s2
	v_or3_b32 v2, v2, v4, v3
	s_addc_u32 s1, s9, s3
	v_lshlrev_b32_e32 v3, 2, v0
	global_store_dword v3, v1, s[0:1]
	global_store_dword v3, v6, s[0:1] offset:1024
	global_store_dword v3, v5, s[0:1] offset:2048
	;; [unrolled: 1-line block ×3, first 2 shown]
	s_mov_b64 s[0:1], 0
.LBB42_211:
	s_and_b64 vcc, exec, s[0:1]
	s_cbranch_vccz .LBB42_519
; %bb.212:
	v_cmp_gt_i32_e64 s[0:1], s12, v0
	v_mov_b32_e32 v3, 0
	v_or_b32_e32 v1, s2, v0
	v_mov_b32_e32 v20, 0
	v_mov_b32_e32 v21, 0
	;; [unrolled: 1-line block ×31, first 2 shown]
	s_and_saveexec_b64 s[4:5], s[0:1]
	s_cbranch_execz .LBB42_244
; %bb.213:
	v_mov_b32_e32 v2, 0
	v_lshlrev_b64 v[3:4], 2, v[1:2]
	v_mov_b32_e32 v6, s11
	v_add_co_u32_e32 v5, vcc, s10, v3
	v_addc_co_u32_e32 v6, vcc, v6, v4, vcc
	global_load_dword v36, v[5:6], off
	v_mov_b32_e32 v5, s15
	v_add_co_u32_e32 v3, vcc, s14, v3
	v_addc_co_u32_e32 v4, vcc, v5, v4, vcc
	global_load_dword v37, v[3:4], off
	v_or_b32_e32 v3, 0x100, v0
	v_cmp_gt_u32_e32 vcc, s12, v3
	v_mov_b32_e32 v35, v2
	v_mov_b32_e32 v15, v2
	;; [unrolled: 1-line block ×29, first 2 shown]
	s_and_saveexec_b64 s[6:7], vcc
	s_cbranch_execz .LBB42_243
; %bb.214:
	v_add_u32_e32 v14, s2, v0
	v_mov_b32_e32 v15, 0
	v_lshlrev_b64 v[2:3], 2, v[14:15]
	v_mov_b32_e32 v4, s11
	v_add_co_u32_e32 v16, vcc, s10, v2
	v_addc_co_u32_e32 v17, vcc, v4, v3, vcc
	v_mov_b32_e32 v4, s15
	v_add_co_u32_e32 v18, vcc, s14, v2
	v_addc_co_u32_e32 v19, vcc, v4, v3, vcc
	global_load_dword v35, v[16:17], off offset:1024
	global_load_dword v2, v[18:19], off offset:1024
	v_or_b32_e32 v3, 0x200, v0
	v_cmp_gt_u32_e32 vcc, s12, v3
	v_mov_b32_e32 v34, v15
	v_mov_b32_e32 v32, v15
	;; [unrolled: 1-line block ×27, first 2 shown]
	s_and_saveexec_b64 s[16:17], vcc
	s_cbranch_execz .LBB42_242
; %bb.215:
	global_load_dword v34, v[16:17], off offset:2048
	global_load_dword v15, v[18:19], off offset:2048
	v_or_b32_e32 v3, 0x300, v0
	v_cmp_gt_u32_e32 vcc, s12, v3
	v_mov_b32_e32 v32, 0
	v_mov_b32_e32 v33, 0
	;; [unrolled: 1-line block ×26, first 2 shown]
	s_and_saveexec_b64 s[18:19], vcc
	s_cbranch_execz .LBB42_241
; %bb.216:
	global_load_dword v33, v[16:17], off offset:3072
	global_load_dword v32, v[18:19], off offset:3072
	v_or_b32_e32 v16, 0x400, v0
	v_cmp_gt_u32_e32 vcc, s12, v16
	v_mov_b32_e32 v31, 0
	v_mov_b32_e32 v30, 0
	v_mov_b32_e32 v14, 0
	v_mov_b32_e32 v29, 0
	v_mov_b32_e32 v13, 0
	v_mov_b32_e32 v28, 0
	v_mov_b32_e32 v12, 0
	v_mov_b32_e32 v27, 0
	v_mov_b32_e32 v11, 0
	v_mov_b32_e32 v26, 0
	v_mov_b32_e32 v10, 0
	v_mov_b32_e32 v25, 0
	v_mov_b32_e32 v9, 0
	v_mov_b32_e32 v24, 0
	v_mov_b32_e32 v8, 0
	v_mov_b32_e32 v23, 0
	v_mov_b32_e32 v7, 0
	v_mov_b32_e32 v22, 0
	v_mov_b32_e32 v6, 0
	v_mov_b32_e32 v21, 0
	v_mov_b32_e32 v5, 0
	v_mov_b32_e32 v20, 0
	v_mov_b32_e32 v3, 0
	v_mov_b32_e32 v4, 0
	s_and_saveexec_b64 s[20:21], vcc
	s_cbranch_execz .LBB42_240
; %bb.217:
	v_or_b32_e32 v13, s2, v16
	v_mov_b32_e32 v14, 0
	v_lshlrev_b64 v[3:4], 2, v[13:14]
	v_mov_b32_e32 v6, s11
	v_add_co_u32_e32 v5, vcc, s10, v3
	v_addc_co_u32_e32 v6, vcc, v6, v4, vcc
	global_load_dword v30, v[5:6], off
	v_mov_b32_e32 v5, s15
	v_add_co_u32_e32 v3, vcc, s14, v3
	v_addc_co_u32_e32 v4, vcc, v5, v4, vcc
	global_load_dword v31, v[3:4], off
	v_or_b32_e32 v16, 0x500, v0
	v_cmp_gt_u32_e32 vcc, s12, v16
	v_mov_b32_e32 v29, v14
	v_mov_b32_e32 v13, v14
	;; [unrolled: 1-line block ×21, first 2 shown]
	s_and_saveexec_b64 s[22:23], vcc
	s_cbranch_execz .LBB42_239
; %bb.218:
	v_or_b32_e32 v12, s2, v16
	v_mov_b32_e32 v13, 0
	v_lshlrev_b64 v[3:4], 2, v[12:13]
	v_mov_b32_e32 v6, s11
	v_add_co_u32_e32 v5, vcc, s10, v3
	v_addc_co_u32_e32 v6, vcc, v6, v4, vcc
	global_load_dword v29, v[5:6], off
	v_mov_b32_e32 v5, s15
	v_add_co_u32_e32 v3, vcc, s14, v3
	v_addc_co_u32_e32 v4, vcc, v5, v4, vcc
	global_load_dword v14, v[3:4], off
	v_or_b32_e32 v16, 0x600, v0
	v_cmp_gt_u32_e32 vcc, s12, v16
	v_mov_b32_e32 v28, v13
	v_mov_b32_e32 v12, v13
	;; [unrolled: 1-line block ×19, first 2 shown]
	s_and_saveexec_b64 s[24:25], vcc
	s_cbranch_execz .LBB42_238
; %bb.219:
	v_or_b32_e32 v11, s2, v16
	v_mov_b32_e32 v12, 0
	v_lshlrev_b64 v[3:4], 2, v[11:12]
	v_mov_b32_e32 v6, s11
	v_add_co_u32_e32 v5, vcc, s10, v3
	v_addc_co_u32_e32 v6, vcc, v6, v4, vcc
	global_load_dword v28, v[5:6], off
	v_mov_b32_e32 v5, s15
	v_add_co_u32_e32 v3, vcc, s14, v3
	v_addc_co_u32_e32 v4, vcc, v5, v4, vcc
	global_load_dword v13, v[3:4], off
	v_or_b32_e32 v16, 0x700, v0
	v_cmp_gt_u32_e32 vcc, s12, v16
	v_mov_b32_e32 v27, v12
	v_mov_b32_e32 v11, v12
	;; [unrolled: 1-line block ×17, first 2 shown]
	s_and_saveexec_b64 s[26:27], vcc
	s_cbranch_execz .LBB42_237
; %bb.220:
	v_or_b32_e32 v10, s2, v16
	v_mov_b32_e32 v11, 0
	v_lshlrev_b64 v[3:4], 2, v[10:11]
	v_mov_b32_e32 v6, s11
	v_add_co_u32_e32 v5, vcc, s10, v3
	v_addc_co_u32_e32 v6, vcc, v6, v4, vcc
	global_load_dword v27, v[5:6], off
	v_mov_b32_e32 v5, s15
	v_add_co_u32_e32 v3, vcc, s14, v3
	v_addc_co_u32_e32 v4, vcc, v5, v4, vcc
	global_load_dword v12, v[3:4], off
	v_or_b32_e32 v16, 0x800, v0
	v_cmp_gt_u32_e32 vcc, s12, v16
	v_mov_b32_e32 v26, v11
	v_mov_b32_e32 v10, v11
	;; [unrolled: 1-line block ×15, first 2 shown]
	s_and_saveexec_b64 s[28:29], vcc
	s_cbranch_execz .LBB42_236
; %bb.221:
	v_or_b32_e32 v9, s2, v16
	v_mov_b32_e32 v10, 0
	v_lshlrev_b64 v[3:4], 2, v[9:10]
	v_mov_b32_e32 v6, s11
	v_add_co_u32_e32 v5, vcc, s10, v3
	v_addc_co_u32_e32 v6, vcc, v6, v4, vcc
	global_load_dword v26, v[5:6], off
	v_mov_b32_e32 v5, s15
	v_add_co_u32_e32 v3, vcc, s14, v3
	v_addc_co_u32_e32 v4, vcc, v5, v4, vcc
	global_load_dword v11, v[3:4], off
	v_or_b32_e32 v16, 0x900, v0
	v_cmp_gt_u32_e32 vcc, s12, v16
	v_mov_b32_e32 v25, v10
	v_mov_b32_e32 v9, v10
	;; [unrolled: 1-line block ×13, first 2 shown]
	s_and_saveexec_b64 s[30:31], vcc
	s_cbranch_execz .LBB42_235
; %bb.222:
	v_or_b32_e32 v8, s2, v16
	v_mov_b32_e32 v9, 0
	v_lshlrev_b64 v[3:4], 2, v[8:9]
	v_mov_b32_e32 v6, s11
	v_add_co_u32_e32 v5, vcc, s10, v3
	v_addc_co_u32_e32 v6, vcc, v6, v4, vcc
	global_load_dword v25, v[5:6], off
	v_mov_b32_e32 v5, s15
	v_add_co_u32_e32 v3, vcc, s14, v3
	v_addc_co_u32_e32 v4, vcc, v5, v4, vcc
	global_load_dword v10, v[3:4], off
	v_or_b32_e32 v16, 0xa00, v0
	v_cmp_gt_u32_e32 vcc, s12, v16
	v_mov_b32_e32 v24, v9
	v_mov_b32_e32 v8, v9
	;; [unrolled: 1-line block ×11, first 2 shown]
	s_and_saveexec_b64 s[34:35], vcc
	s_cbranch_execz .LBB42_234
; %bb.223:
	v_or_b32_e32 v7, s2, v16
	v_mov_b32_e32 v8, 0
	v_lshlrev_b64 v[3:4], 2, v[7:8]
	v_mov_b32_e32 v6, s11
	v_add_co_u32_e32 v5, vcc, s10, v3
	v_addc_co_u32_e32 v6, vcc, v6, v4, vcc
	global_load_dword v24, v[5:6], off
	v_mov_b32_e32 v5, s15
	v_add_co_u32_e32 v3, vcc, s14, v3
	v_addc_co_u32_e32 v4, vcc, v5, v4, vcc
	global_load_dword v9, v[3:4], off
	v_or_b32_e32 v16, 0xb00, v0
	v_cmp_gt_u32_e32 vcc, s12, v16
	v_mov_b32_e32 v23, v8
	v_mov_b32_e32 v7, v8
	;; [unrolled: 1-line block ×9, first 2 shown]
	s_and_saveexec_b64 s[36:37], vcc
	s_cbranch_execz .LBB42_233
; %bb.224:
	v_or_b32_e32 v6, s2, v16
	v_mov_b32_e32 v7, 0
	v_lshlrev_b64 v[3:4], 2, v[6:7]
	v_mov_b32_e32 v6, s11
	v_add_co_u32_e32 v5, vcc, s10, v3
	v_addc_co_u32_e32 v6, vcc, v6, v4, vcc
	global_load_dword v23, v[5:6], off
	v_mov_b32_e32 v5, s15
	v_add_co_u32_e32 v3, vcc, s14, v3
	v_addc_co_u32_e32 v4, vcc, v5, v4, vcc
	global_load_dword v8, v[3:4], off
	v_or_b32_e32 v16, 0xc00, v0
	v_cmp_gt_u32_e32 vcc, s12, v16
	v_mov_b32_e32 v22, v7
	v_mov_b32_e32 v6, v7
	;; [unrolled: 1-line block ×7, first 2 shown]
	s_and_saveexec_b64 s[38:39], vcc
	s_cbranch_execz .LBB42_232
; %bb.225:
	v_or_b32_e32 v5, s2, v16
	v_mov_b32_e32 v6, 0
	v_lshlrev_b64 v[3:4], 2, v[5:6]
	v_mov_b32_e32 v5, s11
	v_add_co_u32_e32 v16, vcc, s10, v3
	v_addc_co_u32_e32 v17, vcc, v5, v4, vcc
	v_mov_b32_e32 v5, s15
	v_add_co_u32_e32 v3, vcc, s14, v3
	v_addc_co_u32_e32 v4, vcc, v5, v4, vcc
	global_load_dword v22, v[16:17], off
	global_load_dword v7, v[3:4], off
	v_or_b32_e32 v16, 0xd00, v0
	v_cmp_gt_u32_e32 vcc, s12, v16
	v_mov_b32_e32 v21, v6
	v_mov_b32_e32 v5, v6
	;; [unrolled: 1-line block ×5, first 2 shown]
	s_and_saveexec_b64 s[40:41], vcc
	s_cbranch_execz .LBB42_231
; %bb.226:
	v_add_u32_e32 v4, s2, v16
	v_mov_b32_e32 v5, 0
	v_lshlrev_b64 v[3:4], 2, v[4:5]
	v_mov_b32_e32 v6, s11
	v_add_co_u32_e32 v16, vcc, s10, v3
	v_addc_co_u32_e32 v17, vcc, v6, v4, vcc
	v_mov_b32_e32 v6, s15
	v_add_co_u32_e32 v3, vcc, s14, v3
	v_addc_co_u32_e32 v4, vcc, v6, v4, vcc
	global_load_dword v21, v[16:17], off
	global_load_dword v6, v[3:4], off
	v_or_b32_e32 v16, 0xe00, v0
	v_cmp_gt_u32_e32 vcc, s12, v16
	v_mov_b32_e32 v20, v5
	v_mov_b32_e32 v4, v5
	;; [unrolled: 1-line block ×3, first 2 shown]
	s_and_saveexec_b64 s[42:43], vcc
	s_cbranch_execz .LBB42_230
; %bb.227:
	v_add_u32_e32 v3, s2, v16
	v_mov_b32_e32 v4, 0
	v_lshlrev_b64 v[16:17], 2, v[3:4]
	v_mov_b32_e32 v3, s11
	v_add_co_u32_e32 v18, vcc, s10, v16
	v_addc_co_u32_e32 v19, vcc, v3, v17, vcc
	v_mov_b32_e32 v3, s15
	v_add_co_u32_e32 v16, vcc, s14, v16
	v_addc_co_u32_e32 v17, vcc, v3, v17, vcc
	global_load_dword v20, v[18:19], off
	global_load_dword v5, v[16:17], off
	v_or_b32_e32 v16, 0xf00, v0
	v_cmp_gt_u32_e32 vcc, s12, v16
	v_mov_b32_e32 v3, v4
	s_and_saveexec_b64 s[44:45], vcc
	s_cbranch_execz .LBB42_229
; %bb.228:
	v_add_u32_e32 v3, s2, v16
	v_mov_b32_e32 v4, 0
	v_lshlrev_b64 v[3:4], 2, v[3:4]
	v_mov_b32_e32 v17, s15
	v_add_co_u32_e32 v16, vcc, s14, v3
	v_addc_co_u32_e32 v17, vcc, v17, v4, vcc
	v_mov_b32_e32 v19, s11
	v_add_co_u32_e32 v18, vcc, s10, v3
	v_addc_co_u32_e32 v19, vcc, v19, v4, vcc
	global_load_dword v3, v[18:19], off
	global_load_dword v4, v[16:17], off
.LBB42_229:
	s_or_b64 exec, exec, s[44:45]
.LBB42_230:
	s_or_b64 exec, exec, s[42:43]
.LBB42_231:
	s_or_b64 exec, exec, s[40:41]
.LBB42_232:
	s_or_b64 exec, exec, s[38:39]
.LBB42_233:
	s_or_b64 exec, exec, s[36:37]
.LBB42_234:
	s_or_b64 exec, exec, s[34:35]
.LBB42_235:
	s_or_b64 exec, exec, s[30:31]
.LBB42_236:
	s_or_b64 exec, exec, s[28:29]
.LBB42_237:
	s_or_b64 exec, exec, s[26:27]
.LBB42_238:
	s_or_b64 exec, exec, s[24:25]
.LBB42_239:
	s_or_b64 exec, exec, s[22:23]
.LBB42_240:
	s_or_b64 exec, exec, s[20:21]
.LBB42_241:
	s_or_b64 exec, exec, s[18:19]
.LBB42_242:
	s_or_b64 exec, exec, s[16:17]
.LBB42_243:
	s_or_b64 exec, exec, s[6:7]
.LBB42_244:
	s_or_b64 exec, exec, s[4:5]
                                        ; implicit-def: $vgpr16
	s_and_saveexec_b64 s[4:5], s[0:1]
	s_cbranch_execz .LBB42_276
; %bb.245:
	s_cmp_lt_i32 s13, 1
	s_mov_b64 s[6:7], 0
	s_cbranch_scc1 .LBB42_250
; %bb.246:
	s_cmp_gt_i32 s13, 1
	s_cbranch_scc0 .LBB42_266
; %bb.247:
	s_cmp_eq_u32 s13, 2
	s_cbranch_scc0 .LBB42_267
; %bb.248:
	s_waitcnt vmcnt(0)
	v_cmp_le_i32_e64 s[10:11], v36, v37
	s_mov_b64 s[14:15], 0
	s_branch .LBB42_268
.LBB42_249:
	s_waitcnt vmcnt(0)
	v_cmp_lt_i32_e32 vcc, v4, v8
	s_andn2_b64 s[42:43], s[42:43], exec
	s_and_b64 s[46:47], vcc, exec
	s_or_b64 s[42:43], s[42:43], s[46:47]
	s_cbranch_execz .LBB42_209
	s_branch .LBB42_210
.LBB42_250:
                                        ; implicit-def: $sgpr10_sgpr11
	s_mov_b64 s[14:15], 0
	s_cbranch_execnz .LBB42_271
	s_branch .LBB42_272
.LBB42_251:
	s_mov_b64 s[16:17], -1
                                        ; implicit-def: $sgpr4_sgpr5
	s_branch .LBB42_23
.LBB42_252:
	s_mov_b64 s[18:19], -1
                                        ; implicit-def: $sgpr6_sgpr7
	s_branch .LBB42_36
.LBB42_253:
	s_mov_b64 s[20:21], -1
                                        ; implicit-def: $sgpr16_sgpr17
	s_branch .LBB42_49
.LBB42_254:
	s_mov_b64 s[22:23], -1
                                        ; implicit-def: $sgpr18_sgpr19
	s_branch .LBB42_62
.LBB42_255:
	s_mov_b64 s[24:25], -1
                                        ; implicit-def: $sgpr20_sgpr21
	s_branch .LBB42_75
.LBB42_256:
	s_mov_b64 s[26:27], -1
                                        ; implicit-def: $sgpr22_sgpr23
	s_branch .LBB42_88
.LBB42_257:
	s_mov_b64 s[28:29], -1
                                        ; implicit-def: $sgpr24_sgpr25
	s_branch .LBB42_101
.LBB42_258:
	s_mov_b64 s[30:31], -1
                                        ; implicit-def: $sgpr26_sgpr27
	s_branch .LBB42_114
.LBB42_259:
	s_mov_b64 s[34:35], -1
                                        ; implicit-def: $sgpr28_sgpr29
	s_branch .LBB42_127
.LBB42_260:
	s_mov_b64 s[36:37], -1
                                        ; implicit-def: $sgpr30_sgpr31
	s_branch .LBB42_140
.LBB42_261:
	s_mov_b64 s[38:39], -1
                                        ; implicit-def: $sgpr34_sgpr35
	s_branch .LBB42_153
.LBB42_262:
	s_mov_b64 s[40:41], -1
                                        ; implicit-def: $sgpr36_sgpr37
	s_branch .LBB42_166
.LBB42_263:
	s_mov_b64 s[42:43], -1
                                        ; implicit-def: $sgpr38_sgpr39
	s_branch .LBB42_179
.LBB42_264:
	s_mov_b64 s[44:45], -1
                                        ; implicit-def: $sgpr40_sgpr41
	s_branch .LBB42_192
.LBB42_265:
	s_mov_b64 s[46:47], -1
                                        ; implicit-def: $sgpr42_sgpr43
	s_branch .LBB42_205
.LBB42_266:
	s_mov_b64 s[14:15], 0
                                        ; implicit-def: $sgpr10_sgpr11
	s_cbranch_execnz .LBB42_269
	s_branch .LBB42_270
.LBB42_267:
	s_mov_b64 s[14:15], -1
                                        ; implicit-def: $sgpr10_sgpr11
.LBB42_268:
	s_branch .LBB42_270
.LBB42_269:
	s_waitcnt vmcnt(0)
	v_cmp_gt_i32_e32 vcc, v36, v37
	s_andn2_b64 s[10:11], s[10:11], exec
	s_and_b64 s[16:17], vcc, exec
	s_or_b64 s[10:11], s[10:11], s[16:17]
.LBB42_270:
	s_branch .LBB42_272
.LBB42_271:
	s_cmp_lg_u32 s13, 0
	s_mov_b64 s[6:7], -1
	s_cselect_b64 s[14:15], -1, 0
.LBB42_272:
	s_andn2_b64 vcc, exec, s[14:15]
	s_cbranch_vccz .LBB42_281
; %bb.273:
	s_andn2_b64 vcc, exec, s[6:7]
	s_cbranch_vccnz .LBB42_275
.LBB42_274:
	s_waitcnt vmcnt(0)
	v_cmp_ge_i32_e32 vcc, v36, v37
	s_andn2_b64 s[6:7], s[10:11], exec
	s_and_b64 s[10:11], vcc, exec
	s_or_b64 s[10:11], s[6:7], s[10:11]
.LBB42_275:
	v_cndmask_b32_e64 v16, 0, 1, s[10:11]
.LBB42_276:
	s_or_b64 exec, exec, s[4:5]
	v_or_b32_e32 v17, 0x100, v0
	v_cmp_gt_i32_e32 vcc, s12, v17
                                        ; implicit-def: $vgpr18
	s_and_saveexec_b64 s[4:5], vcc
	s_cbranch_execz .LBB42_291
; %bb.277:
	s_cmp_lt_i32 s13, 1
	s_mov_b64 s[6:7], 0
	s_cbranch_scc1 .LBB42_282
; %bb.278:
	s_cmp_gt_i32 s13, 1
	s_cbranch_scc0 .LBB42_283
; %bb.279:
	s_cmp_eq_u32 s13, 2
	s_cbranch_scc0 .LBB42_535
; %bb.280:
	s_waitcnt vmcnt(0)
	v_cmp_le_i32_e64 s[10:11], v35, v2
	s_mov_b64 s[14:15], 0
	s_branch .LBB42_285
.LBB42_281:
	s_waitcnt vmcnt(0)
	v_cmp_lt_i32_e32 vcc, v36, v37
	s_andn2_b64 s[10:11], s[10:11], exec
	s_and_b64 s[14:15], vcc, exec
	s_or_b64 s[10:11], s[10:11], s[14:15]
	s_cbranch_execz .LBB42_274
	s_branch .LBB42_275
.LBB42_282:
                                        ; implicit-def: $sgpr10_sgpr11
	s_mov_b64 s[14:15], 0
	s_cbranch_execnz .LBB42_286
	s_branch .LBB42_287
.LBB42_283:
	s_mov_b64 s[14:15], 0
                                        ; implicit-def: $sgpr10_sgpr11
	s_cbranch_execz .LBB42_285
; %bb.284:
	s_waitcnt vmcnt(0)
	v_cmp_gt_i32_e32 vcc, v35, v2
	s_andn2_b64 s[10:11], s[10:11], exec
	s_and_b64 s[16:17], vcc, exec
	s_or_b64 s[10:11], s[10:11], s[16:17]
.LBB42_285:
	s_branch .LBB42_287
.LBB42_286:
	s_cmp_lg_u32 s13, 0
	s_mov_b64 s[6:7], -1
	s_cselect_b64 s[14:15], -1, 0
.LBB42_287:
	s_andn2_b64 vcc, exec, s[14:15]
	s_cbranch_vccz .LBB42_296
; %bb.288:
	s_andn2_b64 vcc, exec, s[6:7]
	s_cbranch_vccnz .LBB42_290
.LBB42_289:
	s_waitcnt vmcnt(0)
	v_cmp_ge_i32_e32 vcc, v35, v2
	s_andn2_b64 s[6:7], s[10:11], exec
	s_and_b64 s[10:11], vcc, exec
	s_or_b64 s[10:11], s[6:7], s[10:11]
.LBB42_290:
	v_cndmask_b32_e64 v18, 0, 1, s[10:11]
.LBB42_291:
	s_or_b64 exec, exec, s[4:5]
	s_waitcnt vmcnt(0)
	v_or_b32_e32 v2, 0x200, v0
	v_cmp_gt_i32_e32 vcc, s12, v2
                                        ; implicit-def: $vgpr2
	s_and_saveexec_b64 s[4:5], vcc
	s_cbranch_execz .LBB42_306
; %bb.292:
	s_cmp_lt_i32 s13, 1
	s_mov_b64 s[6:7], 0
	s_cbranch_scc1 .LBB42_297
; %bb.293:
	s_cmp_gt_i32 s13, 1
	s_cbranch_scc0 .LBB42_298
; %bb.294:
	s_cmp_eq_u32 s13, 2
	s_cbranch_scc0 .LBB42_536
; %bb.295:
	v_cmp_le_i32_e64 s[10:11], v34, v15
	s_mov_b64 s[14:15], 0
	s_branch .LBB42_300
.LBB42_296:
	s_waitcnt vmcnt(0)
	v_cmp_lt_i32_e32 vcc, v35, v2
	s_andn2_b64 s[10:11], s[10:11], exec
	s_and_b64 s[14:15], vcc, exec
	s_or_b64 s[10:11], s[10:11], s[14:15]
	s_cbranch_execz .LBB42_289
	s_branch .LBB42_290
.LBB42_297:
                                        ; implicit-def: $sgpr10_sgpr11
	s_mov_b64 s[14:15], 0
	s_cbranch_execnz .LBB42_301
	s_branch .LBB42_302
.LBB42_298:
	s_mov_b64 s[14:15], 0
                                        ; implicit-def: $sgpr10_sgpr11
	s_cbranch_execz .LBB42_300
; %bb.299:
	v_cmp_gt_i32_e32 vcc, v34, v15
	s_andn2_b64 s[10:11], s[10:11], exec
	s_and_b64 s[16:17], vcc, exec
	s_or_b64 s[10:11], s[10:11], s[16:17]
.LBB42_300:
	s_branch .LBB42_302
.LBB42_301:
	s_cmp_lg_u32 s13, 0
	s_mov_b64 s[6:7], -1
	s_cselect_b64 s[14:15], -1, 0
.LBB42_302:
	s_andn2_b64 vcc, exec, s[14:15]
	s_cbranch_vccz .LBB42_311
; %bb.303:
	s_andn2_b64 vcc, exec, s[6:7]
	s_cbranch_vccnz .LBB42_305
.LBB42_304:
	v_cmp_ge_i32_e32 vcc, v34, v15
	s_andn2_b64 s[6:7], s[10:11], exec
	s_and_b64 s[10:11], vcc, exec
	s_or_b64 s[10:11], s[6:7], s[10:11]
.LBB42_305:
	v_cndmask_b32_e64 v2, 0, 1, s[10:11]
.LBB42_306:
	s_or_b64 exec, exec, s[4:5]
	v_or_b32_e32 v15, 0x300, v0
	v_cmp_gt_i32_e32 vcc, s12, v15
                                        ; implicit-def: $vgpr15
	s_and_saveexec_b64 s[4:5], vcc
	s_cbranch_execz .LBB42_321
; %bb.307:
	s_cmp_lt_i32 s13, 1
	s_mov_b64 s[6:7], 0
	s_cbranch_scc1 .LBB42_312
; %bb.308:
	s_cmp_gt_i32 s13, 1
	s_cbranch_scc0 .LBB42_313
; %bb.309:
	s_cmp_eq_u32 s13, 2
	s_cbranch_scc0 .LBB42_537
; %bb.310:
	v_cmp_le_i32_e64 s[10:11], v33, v32
	s_mov_b64 s[14:15], 0
	s_branch .LBB42_315
.LBB42_311:
	v_cmp_lt_i32_e32 vcc, v34, v15
	s_andn2_b64 s[10:11], s[10:11], exec
	s_and_b64 s[14:15], vcc, exec
	s_or_b64 s[10:11], s[10:11], s[14:15]
	s_cbranch_execz .LBB42_304
	s_branch .LBB42_305
.LBB42_312:
                                        ; implicit-def: $sgpr10_sgpr11
	s_mov_b64 s[14:15], 0
	s_cbranch_execnz .LBB42_316
	s_branch .LBB42_317
.LBB42_313:
	s_mov_b64 s[14:15], 0
                                        ; implicit-def: $sgpr10_sgpr11
	s_cbranch_execz .LBB42_315
; %bb.314:
	v_cmp_gt_i32_e32 vcc, v33, v32
	s_andn2_b64 s[10:11], s[10:11], exec
	s_and_b64 s[16:17], vcc, exec
	s_or_b64 s[10:11], s[10:11], s[16:17]
.LBB42_315:
	s_branch .LBB42_317
.LBB42_316:
	s_cmp_lg_u32 s13, 0
	s_mov_b64 s[6:7], -1
	s_cselect_b64 s[14:15], -1, 0
.LBB42_317:
	s_andn2_b64 vcc, exec, s[14:15]
	s_cbranch_vccz .LBB42_326
; %bb.318:
	s_andn2_b64 vcc, exec, s[6:7]
	s_cbranch_vccnz .LBB42_320
.LBB42_319:
	v_cmp_ge_i32_e32 vcc, v33, v32
	s_andn2_b64 s[6:7], s[10:11], exec
	s_and_b64 s[10:11], vcc, exec
	s_or_b64 s[10:11], s[6:7], s[10:11]
.LBB42_320:
	v_cndmask_b32_e64 v15, 0, 1, s[10:11]
.LBB42_321:
	s_or_b64 exec, exec, s[4:5]
	v_or_b32_e32 v19, 0x400, v0
	v_cmp_gt_i32_e32 vcc, s12, v19
                                        ; implicit-def: $vgpr19
	s_and_saveexec_b64 s[4:5], vcc
	s_cbranch_execz .LBB42_336
; %bb.322:
	s_cmp_lt_i32 s13, 1
	s_mov_b64 s[6:7], 0
	s_cbranch_scc1 .LBB42_327
; %bb.323:
	s_cmp_gt_i32 s13, 1
	s_cbranch_scc0 .LBB42_328
; %bb.324:
	s_cmp_eq_u32 s13, 2
	s_cbranch_scc0 .LBB42_538
; %bb.325:
	v_cmp_le_i32_e64 s[10:11], v30, v31
	s_mov_b64 s[14:15], 0
	s_branch .LBB42_330
.LBB42_326:
	v_cmp_lt_i32_e32 vcc, v33, v32
	s_andn2_b64 s[10:11], s[10:11], exec
	s_and_b64 s[14:15], vcc, exec
	s_or_b64 s[10:11], s[10:11], s[14:15]
	s_cbranch_execz .LBB42_319
	s_branch .LBB42_320
.LBB42_327:
                                        ; implicit-def: $sgpr10_sgpr11
	s_mov_b64 s[14:15], 0
	s_cbranch_execnz .LBB42_331
	s_branch .LBB42_332
.LBB42_328:
	s_mov_b64 s[14:15], 0
                                        ; implicit-def: $sgpr10_sgpr11
	s_cbranch_execz .LBB42_330
; %bb.329:
	v_cmp_gt_i32_e32 vcc, v30, v31
	s_andn2_b64 s[10:11], s[10:11], exec
	s_and_b64 s[16:17], vcc, exec
	s_or_b64 s[10:11], s[10:11], s[16:17]
.LBB42_330:
	s_branch .LBB42_332
.LBB42_331:
	s_cmp_lg_u32 s13, 0
	s_mov_b64 s[6:7], -1
	s_cselect_b64 s[14:15], -1, 0
.LBB42_332:
	s_andn2_b64 vcc, exec, s[14:15]
	s_cbranch_vccz .LBB42_341
; %bb.333:
	s_andn2_b64 vcc, exec, s[6:7]
	s_cbranch_vccnz .LBB42_335
.LBB42_334:
	v_cmp_ge_i32_e32 vcc, v30, v31
	s_andn2_b64 s[6:7], s[10:11], exec
	s_and_b64 s[10:11], vcc, exec
	s_or_b64 s[10:11], s[6:7], s[10:11]
.LBB42_335:
	v_cndmask_b32_e64 v19, 0, 1, s[10:11]
.LBB42_336:
	s_or_b64 exec, exec, s[4:5]
	v_or_b32_e32 v30, 0x500, v0
	v_cmp_gt_i32_e32 vcc, s12, v30
                                        ; implicit-def: $vgpr30
	s_and_saveexec_b64 s[4:5], vcc
	s_cbranch_execz .LBB42_351
; %bb.337:
	s_cmp_lt_i32 s13, 1
	s_mov_b64 s[6:7], 0
	s_cbranch_scc1 .LBB42_342
; %bb.338:
	s_cmp_gt_i32 s13, 1
	s_cbranch_scc0 .LBB42_343
; %bb.339:
	s_cmp_eq_u32 s13, 2
	s_cbranch_scc0 .LBB42_539
; %bb.340:
	v_cmp_le_i32_e64 s[10:11], v29, v14
	s_mov_b64 s[14:15], 0
	s_branch .LBB42_345
.LBB42_341:
	v_cmp_lt_i32_e32 vcc, v30, v31
	s_andn2_b64 s[10:11], s[10:11], exec
	s_and_b64 s[14:15], vcc, exec
	s_or_b64 s[10:11], s[10:11], s[14:15]
	s_cbranch_execz .LBB42_334
	s_branch .LBB42_335
.LBB42_342:
                                        ; implicit-def: $sgpr10_sgpr11
	s_mov_b64 s[14:15], 0
	s_cbranch_execnz .LBB42_346
	s_branch .LBB42_347
.LBB42_343:
	s_mov_b64 s[14:15], 0
                                        ; implicit-def: $sgpr10_sgpr11
	s_cbranch_execz .LBB42_345
; %bb.344:
	v_cmp_gt_i32_e32 vcc, v29, v14
	s_andn2_b64 s[10:11], s[10:11], exec
	s_and_b64 s[16:17], vcc, exec
	s_or_b64 s[10:11], s[10:11], s[16:17]
.LBB42_345:
	s_branch .LBB42_347
.LBB42_346:
	s_cmp_lg_u32 s13, 0
	s_mov_b64 s[6:7], -1
	s_cselect_b64 s[14:15], -1, 0
.LBB42_347:
	s_andn2_b64 vcc, exec, s[14:15]
	s_cbranch_vccz .LBB42_356
; %bb.348:
	s_andn2_b64 vcc, exec, s[6:7]
	s_cbranch_vccnz .LBB42_350
.LBB42_349:
	v_cmp_ge_i32_e32 vcc, v29, v14
	s_andn2_b64 s[6:7], s[10:11], exec
	s_and_b64 s[10:11], vcc, exec
	s_or_b64 s[10:11], s[6:7], s[10:11]
.LBB42_350:
	v_cndmask_b32_e64 v30, 0, 1, s[10:11]
.LBB42_351:
	s_or_b64 exec, exec, s[4:5]
	v_or_b32_e32 v14, 0x600, v0
	v_cmp_gt_i32_e32 vcc, s12, v14
                                        ; implicit-def: $vgpr14
	s_and_saveexec_b64 s[4:5], vcc
	s_cbranch_execz .LBB42_366
; %bb.352:
	s_cmp_lt_i32 s13, 1
	s_mov_b64 s[6:7], 0
	s_cbranch_scc1 .LBB42_357
; %bb.353:
	s_cmp_gt_i32 s13, 1
	s_cbranch_scc0 .LBB42_358
; %bb.354:
	s_cmp_eq_u32 s13, 2
	s_cbranch_scc0 .LBB42_540
; %bb.355:
	v_cmp_le_i32_e64 s[10:11], v28, v13
	s_mov_b64 s[14:15], 0
	s_branch .LBB42_360
.LBB42_356:
	v_cmp_lt_i32_e32 vcc, v29, v14
	s_andn2_b64 s[10:11], s[10:11], exec
	s_and_b64 s[14:15], vcc, exec
	s_or_b64 s[10:11], s[10:11], s[14:15]
	s_cbranch_execz .LBB42_349
	s_branch .LBB42_350
.LBB42_357:
                                        ; implicit-def: $sgpr10_sgpr11
	s_mov_b64 s[14:15], 0
	s_cbranch_execnz .LBB42_361
	s_branch .LBB42_362
.LBB42_358:
	s_mov_b64 s[14:15], 0
                                        ; implicit-def: $sgpr10_sgpr11
	s_cbranch_execz .LBB42_360
; %bb.359:
	v_cmp_gt_i32_e32 vcc, v28, v13
	s_andn2_b64 s[10:11], s[10:11], exec
	s_and_b64 s[16:17], vcc, exec
	s_or_b64 s[10:11], s[10:11], s[16:17]
.LBB42_360:
	s_branch .LBB42_362
.LBB42_361:
	s_cmp_lg_u32 s13, 0
	s_mov_b64 s[6:7], -1
	s_cselect_b64 s[14:15], -1, 0
.LBB42_362:
	s_andn2_b64 vcc, exec, s[14:15]
	s_cbranch_vccz .LBB42_371
; %bb.363:
	s_andn2_b64 vcc, exec, s[6:7]
	s_cbranch_vccnz .LBB42_365
.LBB42_364:
	v_cmp_ge_i32_e32 vcc, v28, v13
	s_andn2_b64 s[6:7], s[10:11], exec
	s_and_b64 s[10:11], vcc, exec
	s_or_b64 s[10:11], s[6:7], s[10:11]
.LBB42_365:
	v_cndmask_b32_e64 v14, 0, 1, s[10:11]
.LBB42_366:
	s_or_b64 exec, exec, s[4:5]
	v_or_b32_e32 v13, 0x700, v0
	v_cmp_gt_i32_e32 vcc, s12, v13
                                        ; implicit-def: $vgpr13
	s_and_saveexec_b64 s[4:5], vcc
	s_cbranch_execz .LBB42_381
; %bb.367:
	s_cmp_lt_i32 s13, 1
	s_mov_b64 s[6:7], 0
	s_cbranch_scc1 .LBB42_372
; %bb.368:
	s_cmp_gt_i32 s13, 1
	s_cbranch_scc0 .LBB42_373
; %bb.369:
	s_cmp_eq_u32 s13, 2
	s_cbranch_scc0 .LBB42_541
; %bb.370:
	v_cmp_le_i32_e64 s[10:11], v27, v12
	s_mov_b64 s[14:15], 0
	s_branch .LBB42_375
.LBB42_371:
	v_cmp_lt_i32_e32 vcc, v28, v13
	s_andn2_b64 s[10:11], s[10:11], exec
	s_and_b64 s[14:15], vcc, exec
	s_or_b64 s[10:11], s[10:11], s[14:15]
	s_cbranch_execz .LBB42_364
	s_branch .LBB42_365
.LBB42_372:
                                        ; implicit-def: $sgpr10_sgpr11
	s_mov_b64 s[14:15], 0
	s_cbranch_execnz .LBB42_376
	s_branch .LBB42_377
.LBB42_373:
	s_mov_b64 s[14:15], 0
                                        ; implicit-def: $sgpr10_sgpr11
	s_cbranch_execz .LBB42_375
; %bb.374:
	v_cmp_gt_i32_e32 vcc, v27, v12
	s_andn2_b64 s[10:11], s[10:11], exec
	s_and_b64 s[16:17], vcc, exec
	s_or_b64 s[10:11], s[10:11], s[16:17]
.LBB42_375:
	s_branch .LBB42_377
.LBB42_376:
	s_cmp_lg_u32 s13, 0
	s_mov_b64 s[6:7], -1
	s_cselect_b64 s[14:15], -1, 0
.LBB42_377:
	s_andn2_b64 vcc, exec, s[14:15]
	s_cbranch_vccz .LBB42_386
; %bb.378:
	s_andn2_b64 vcc, exec, s[6:7]
	s_cbranch_vccnz .LBB42_380
.LBB42_379:
	v_cmp_ge_i32_e32 vcc, v27, v12
	s_andn2_b64 s[6:7], s[10:11], exec
	s_and_b64 s[10:11], vcc, exec
	s_or_b64 s[10:11], s[6:7], s[10:11]
.LBB42_380:
	v_cndmask_b32_e64 v13, 0, 1, s[10:11]
.LBB42_381:
	s_or_b64 exec, exec, s[4:5]
	v_or_b32_e32 v12, 0x800, v0
	v_cmp_gt_i32_e32 vcc, s12, v12
                                        ; implicit-def: $vgpr12
	s_and_saveexec_b64 s[4:5], vcc
	s_cbranch_execz .LBB42_396
; %bb.382:
	s_cmp_lt_i32 s13, 1
	s_mov_b64 s[6:7], 0
	s_cbranch_scc1 .LBB42_387
; %bb.383:
	s_cmp_gt_i32 s13, 1
	s_cbranch_scc0 .LBB42_388
; %bb.384:
	s_cmp_eq_u32 s13, 2
	s_cbranch_scc0 .LBB42_542
; %bb.385:
	v_cmp_le_i32_e64 s[10:11], v26, v11
	s_mov_b64 s[14:15], 0
	s_branch .LBB42_390
.LBB42_386:
	v_cmp_lt_i32_e32 vcc, v27, v12
	s_andn2_b64 s[10:11], s[10:11], exec
	s_and_b64 s[14:15], vcc, exec
	s_or_b64 s[10:11], s[10:11], s[14:15]
	s_cbranch_execz .LBB42_379
	s_branch .LBB42_380
.LBB42_387:
                                        ; implicit-def: $sgpr10_sgpr11
	s_mov_b64 s[14:15], 0
	s_cbranch_execnz .LBB42_391
	s_branch .LBB42_392
.LBB42_388:
	s_mov_b64 s[14:15], 0
                                        ; implicit-def: $sgpr10_sgpr11
	s_cbranch_execz .LBB42_390
; %bb.389:
	v_cmp_gt_i32_e32 vcc, v26, v11
	s_andn2_b64 s[10:11], s[10:11], exec
	s_and_b64 s[16:17], vcc, exec
	s_or_b64 s[10:11], s[10:11], s[16:17]
.LBB42_390:
	s_branch .LBB42_392
.LBB42_391:
	s_cmp_lg_u32 s13, 0
	s_mov_b64 s[6:7], -1
	s_cselect_b64 s[14:15], -1, 0
.LBB42_392:
	s_andn2_b64 vcc, exec, s[14:15]
	s_cbranch_vccz .LBB42_401
; %bb.393:
	s_andn2_b64 vcc, exec, s[6:7]
	s_cbranch_vccnz .LBB42_395
.LBB42_394:
	v_cmp_ge_i32_e32 vcc, v26, v11
	s_andn2_b64 s[6:7], s[10:11], exec
	s_and_b64 s[10:11], vcc, exec
	s_or_b64 s[10:11], s[6:7], s[10:11]
.LBB42_395:
	v_cndmask_b32_e64 v12, 0, 1, s[10:11]
.LBB42_396:
	s_or_b64 exec, exec, s[4:5]
	v_or_b32_e32 v11, 0x900, v0
	v_cmp_gt_i32_e32 vcc, s12, v11
                                        ; implicit-def: $vgpr11
	s_and_saveexec_b64 s[4:5], vcc
	s_cbranch_execz .LBB42_411
; %bb.397:
	s_cmp_lt_i32 s13, 1
	s_mov_b64 s[6:7], 0
	s_cbranch_scc1 .LBB42_402
; %bb.398:
	s_cmp_gt_i32 s13, 1
	s_cbranch_scc0 .LBB42_403
; %bb.399:
	s_cmp_eq_u32 s13, 2
	s_cbranch_scc0 .LBB42_543
; %bb.400:
	v_cmp_le_i32_e64 s[10:11], v25, v10
	s_mov_b64 s[14:15], 0
	s_branch .LBB42_405
.LBB42_401:
	v_cmp_lt_i32_e32 vcc, v26, v11
	s_andn2_b64 s[10:11], s[10:11], exec
	s_and_b64 s[14:15], vcc, exec
	s_or_b64 s[10:11], s[10:11], s[14:15]
	s_cbranch_execz .LBB42_394
	s_branch .LBB42_395
.LBB42_402:
                                        ; implicit-def: $sgpr10_sgpr11
	s_mov_b64 s[14:15], 0
	s_cbranch_execnz .LBB42_406
	s_branch .LBB42_407
.LBB42_403:
	s_mov_b64 s[14:15], 0
                                        ; implicit-def: $sgpr10_sgpr11
	s_cbranch_execz .LBB42_405
; %bb.404:
	v_cmp_gt_i32_e32 vcc, v25, v10
	s_andn2_b64 s[10:11], s[10:11], exec
	s_and_b64 s[16:17], vcc, exec
	s_or_b64 s[10:11], s[10:11], s[16:17]
.LBB42_405:
	s_branch .LBB42_407
.LBB42_406:
	s_cmp_lg_u32 s13, 0
	s_mov_b64 s[6:7], -1
	s_cselect_b64 s[14:15], -1, 0
.LBB42_407:
	s_andn2_b64 vcc, exec, s[14:15]
	s_cbranch_vccz .LBB42_416
; %bb.408:
	s_andn2_b64 vcc, exec, s[6:7]
	s_cbranch_vccnz .LBB42_410
.LBB42_409:
	v_cmp_ge_i32_e32 vcc, v25, v10
	s_andn2_b64 s[6:7], s[10:11], exec
	s_and_b64 s[10:11], vcc, exec
	s_or_b64 s[10:11], s[6:7], s[10:11]
.LBB42_410:
	v_cndmask_b32_e64 v11, 0, 1, s[10:11]
.LBB42_411:
	s_or_b64 exec, exec, s[4:5]
	v_or_b32_e32 v10, 0xa00, v0
	v_cmp_gt_i32_e32 vcc, s12, v10
                                        ; implicit-def: $vgpr10
	s_and_saveexec_b64 s[4:5], vcc
	s_cbranch_execz .LBB42_426
; %bb.412:
	s_cmp_lt_i32 s13, 1
	s_mov_b64 s[6:7], 0
	s_cbranch_scc1 .LBB42_417
; %bb.413:
	s_cmp_gt_i32 s13, 1
	s_cbranch_scc0 .LBB42_418
; %bb.414:
	s_cmp_eq_u32 s13, 2
	s_cbranch_scc0 .LBB42_544
; %bb.415:
	v_cmp_le_i32_e64 s[10:11], v24, v9
	s_mov_b64 s[14:15], 0
	s_branch .LBB42_420
.LBB42_416:
	v_cmp_lt_i32_e32 vcc, v25, v10
	s_andn2_b64 s[10:11], s[10:11], exec
	s_and_b64 s[14:15], vcc, exec
	s_or_b64 s[10:11], s[10:11], s[14:15]
	s_cbranch_execz .LBB42_409
	s_branch .LBB42_410
.LBB42_417:
                                        ; implicit-def: $sgpr10_sgpr11
	s_mov_b64 s[14:15], 0
	s_cbranch_execnz .LBB42_421
	s_branch .LBB42_422
.LBB42_418:
	s_mov_b64 s[14:15], 0
                                        ; implicit-def: $sgpr10_sgpr11
	s_cbranch_execz .LBB42_420
; %bb.419:
	v_cmp_gt_i32_e32 vcc, v24, v9
	s_andn2_b64 s[10:11], s[10:11], exec
	s_and_b64 s[16:17], vcc, exec
	s_or_b64 s[10:11], s[10:11], s[16:17]
.LBB42_420:
	s_branch .LBB42_422
.LBB42_421:
	s_cmp_lg_u32 s13, 0
	s_mov_b64 s[6:7], -1
	s_cselect_b64 s[14:15], -1, 0
.LBB42_422:
	s_andn2_b64 vcc, exec, s[14:15]
	s_cbranch_vccz .LBB42_431
; %bb.423:
	s_andn2_b64 vcc, exec, s[6:7]
	s_cbranch_vccnz .LBB42_425
.LBB42_424:
	v_cmp_ge_i32_e32 vcc, v24, v9
	s_andn2_b64 s[6:7], s[10:11], exec
	s_and_b64 s[10:11], vcc, exec
	s_or_b64 s[10:11], s[6:7], s[10:11]
.LBB42_425:
	v_cndmask_b32_e64 v10, 0, 1, s[10:11]
.LBB42_426:
	s_or_b64 exec, exec, s[4:5]
	v_or_b32_e32 v9, 0xb00, v0
	v_cmp_gt_i32_e32 vcc, s12, v9
                                        ; implicit-def: $vgpr9
	s_and_saveexec_b64 s[4:5], vcc
	s_cbranch_execz .LBB42_441
; %bb.427:
	s_cmp_lt_i32 s13, 1
	s_mov_b64 s[6:7], 0
	s_cbranch_scc1 .LBB42_432
; %bb.428:
	s_cmp_gt_i32 s13, 1
	s_cbranch_scc0 .LBB42_433
; %bb.429:
	s_cmp_eq_u32 s13, 2
	s_cbranch_scc0 .LBB42_545
; %bb.430:
	v_cmp_le_i32_e64 s[10:11], v23, v8
	s_mov_b64 s[14:15], 0
	s_branch .LBB42_435
.LBB42_431:
	v_cmp_lt_i32_e32 vcc, v24, v9
	s_andn2_b64 s[10:11], s[10:11], exec
	s_and_b64 s[14:15], vcc, exec
	s_or_b64 s[10:11], s[10:11], s[14:15]
	s_cbranch_execz .LBB42_424
	s_branch .LBB42_425
.LBB42_432:
                                        ; implicit-def: $sgpr10_sgpr11
	s_mov_b64 s[14:15], 0
	s_cbranch_execnz .LBB42_436
	s_branch .LBB42_437
.LBB42_433:
	s_mov_b64 s[14:15], 0
                                        ; implicit-def: $sgpr10_sgpr11
	s_cbranch_execz .LBB42_435
; %bb.434:
	v_cmp_gt_i32_e32 vcc, v23, v8
	s_andn2_b64 s[10:11], s[10:11], exec
	s_and_b64 s[16:17], vcc, exec
	s_or_b64 s[10:11], s[10:11], s[16:17]
.LBB42_435:
	s_branch .LBB42_437
.LBB42_436:
	s_cmp_lg_u32 s13, 0
	s_mov_b64 s[6:7], -1
	s_cselect_b64 s[14:15], -1, 0
.LBB42_437:
	s_andn2_b64 vcc, exec, s[14:15]
	s_cbranch_vccz .LBB42_446
; %bb.438:
	s_andn2_b64 vcc, exec, s[6:7]
	s_cbranch_vccnz .LBB42_440
.LBB42_439:
	v_cmp_ge_i32_e32 vcc, v23, v8
	s_andn2_b64 s[6:7], s[10:11], exec
	s_and_b64 s[10:11], vcc, exec
	s_or_b64 s[10:11], s[6:7], s[10:11]
.LBB42_440:
	v_cndmask_b32_e64 v9, 0, 1, s[10:11]
.LBB42_441:
	s_or_b64 exec, exec, s[4:5]
	v_or_b32_e32 v8, 0xc00, v0
	v_cmp_gt_i32_e32 vcc, s12, v8
                                        ; implicit-def: $vgpr8
	s_and_saveexec_b64 s[4:5], vcc
	s_cbranch_execz .LBB42_456
; %bb.442:
	s_cmp_lt_i32 s13, 1
	s_mov_b64 s[6:7], 0
	s_cbranch_scc1 .LBB42_447
; %bb.443:
	s_cmp_gt_i32 s13, 1
	s_cbranch_scc0 .LBB42_448
; %bb.444:
	s_cmp_eq_u32 s13, 2
	s_cbranch_scc0 .LBB42_546
; %bb.445:
	v_cmp_le_i32_e64 s[10:11], v22, v7
	s_mov_b64 s[14:15], 0
	s_branch .LBB42_450
.LBB42_446:
	v_cmp_lt_i32_e32 vcc, v23, v8
	s_andn2_b64 s[10:11], s[10:11], exec
	s_and_b64 s[14:15], vcc, exec
	s_or_b64 s[10:11], s[10:11], s[14:15]
	s_cbranch_execz .LBB42_439
	s_branch .LBB42_440
.LBB42_447:
                                        ; implicit-def: $sgpr10_sgpr11
	s_mov_b64 s[14:15], 0
	s_cbranch_execnz .LBB42_451
	s_branch .LBB42_452
.LBB42_448:
	s_mov_b64 s[14:15], 0
                                        ; implicit-def: $sgpr10_sgpr11
	s_cbranch_execz .LBB42_450
; %bb.449:
	v_cmp_gt_i32_e32 vcc, v22, v7
	s_andn2_b64 s[10:11], s[10:11], exec
	s_and_b64 s[16:17], vcc, exec
	s_or_b64 s[10:11], s[10:11], s[16:17]
.LBB42_450:
	s_branch .LBB42_452
.LBB42_451:
	s_cmp_lg_u32 s13, 0
	s_mov_b64 s[6:7], -1
	s_cselect_b64 s[14:15], -1, 0
.LBB42_452:
	s_andn2_b64 vcc, exec, s[14:15]
	s_cbranch_vccz .LBB42_461
; %bb.453:
	s_andn2_b64 vcc, exec, s[6:7]
	s_cbranch_vccnz .LBB42_455
.LBB42_454:
	v_cmp_ge_i32_e32 vcc, v22, v7
	s_andn2_b64 s[6:7], s[10:11], exec
	s_and_b64 s[10:11], vcc, exec
	s_or_b64 s[10:11], s[6:7], s[10:11]
.LBB42_455:
	v_cndmask_b32_e64 v8, 0, 1, s[10:11]
.LBB42_456:
	s_or_b64 exec, exec, s[4:5]
	v_or_b32_e32 v7, 0xd00, v0
	v_cmp_gt_i32_e32 vcc, s12, v7
                                        ; implicit-def: $vgpr7
	s_and_saveexec_b64 s[4:5], vcc
	s_cbranch_execz .LBB42_471
; %bb.457:
	s_cmp_lt_i32 s13, 1
	s_mov_b64 s[6:7], 0
	s_cbranch_scc1 .LBB42_462
; %bb.458:
	s_cmp_gt_i32 s13, 1
	s_cbranch_scc0 .LBB42_463
; %bb.459:
	s_cmp_eq_u32 s13, 2
	s_cbranch_scc0 .LBB42_547
; %bb.460:
	v_cmp_le_i32_e64 s[10:11], v21, v6
	s_mov_b64 s[14:15], 0
	s_branch .LBB42_465
.LBB42_461:
	v_cmp_lt_i32_e32 vcc, v22, v7
	s_andn2_b64 s[10:11], s[10:11], exec
	s_and_b64 s[14:15], vcc, exec
	s_or_b64 s[10:11], s[10:11], s[14:15]
	s_cbranch_execz .LBB42_454
	s_branch .LBB42_455
.LBB42_462:
                                        ; implicit-def: $sgpr10_sgpr11
	s_mov_b64 s[14:15], 0
	s_cbranch_execnz .LBB42_466
	s_branch .LBB42_467
.LBB42_463:
	s_mov_b64 s[14:15], 0
                                        ; implicit-def: $sgpr10_sgpr11
	s_cbranch_execz .LBB42_465
; %bb.464:
	v_cmp_gt_i32_e32 vcc, v21, v6
	s_andn2_b64 s[10:11], s[10:11], exec
	s_and_b64 s[16:17], vcc, exec
	s_or_b64 s[10:11], s[10:11], s[16:17]
.LBB42_465:
	s_branch .LBB42_467
.LBB42_466:
	s_cmp_lg_u32 s13, 0
	s_mov_b64 s[6:7], -1
	s_cselect_b64 s[14:15], -1, 0
.LBB42_467:
	s_andn2_b64 vcc, exec, s[14:15]
	s_cbranch_vccz .LBB42_476
; %bb.468:
	s_andn2_b64 vcc, exec, s[6:7]
	s_cbranch_vccnz .LBB42_470
.LBB42_469:
	v_cmp_ge_i32_e32 vcc, v21, v6
	s_andn2_b64 s[6:7], s[10:11], exec
	s_and_b64 s[10:11], vcc, exec
	s_or_b64 s[10:11], s[6:7], s[10:11]
.LBB42_470:
	v_cndmask_b32_e64 v7, 0, 1, s[10:11]
.LBB42_471:
	s_or_b64 exec, exec, s[4:5]
	v_or_b32_e32 v6, 0xe00, v0
	v_cmp_gt_i32_e32 vcc, s12, v6
                                        ; implicit-def: $vgpr6
	s_and_saveexec_b64 s[4:5], vcc
	s_cbranch_execz .LBB42_486
; %bb.472:
	s_cmp_lt_i32 s13, 1
	s_mov_b64 s[6:7], 0
	s_cbranch_scc1 .LBB42_477
; %bb.473:
	s_cmp_gt_i32 s13, 1
	s_cbranch_scc0 .LBB42_478
; %bb.474:
	s_cmp_eq_u32 s13, 2
	s_cbranch_scc0 .LBB42_548
; %bb.475:
	v_cmp_le_i32_e64 s[10:11], v20, v5
	s_mov_b64 s[14:15], 0
	s_branch .LBB42_480
.LBB42_476:
	v_cmp_lt_i32_e32 vcc, v21, v6
	s_andn2_b64 s[10:11], s[10:11], exec
	s_and_b64 s[14:15], vcc, exec
	s_or_b64 s[10:11], s[10:11], s[14:15]
	s_cbranch_execz .LBB42_469
	s_branch .LBB42_470
.LBB42_477:
                                        ; implicit-def: $sgpr10_sgpr11
	s_mov_b64 s[14:15], 0
	s_cbranch_execnz .LBB42_481
	s_branch .LBB42_482
.LBB42_478:
	s_mov_b64 s[14:15], 0
                                        ; implicit-def: $sgpr10_sgpr11
	s_cbranch_execz .LBB42_480
; %bb.479:
	v_cmp_gt_i32_e32 vcc, v20, v5
	s_andn2_b64 s[10:11], s[10:11], exec
	s_and_b64 s[16:17], vcc, exec
	s_or_b64 s[10:11], s[10:11], s[16:17]
.LBB42_480:
	s_branch .LBB42_482
.LBB42_481:
	s_cmp_lg_u32 s13, 0
	s_mov_b64 s[6:7], -1
	s_cselect_b64 s[14:15], -1, 0
.LBB42_482:
	s_andn2_b64 vcc, exec, s[14:15]
	s_cbranch_vccz .LBB42_491
; %bb.483:
	s_andn2_b64 vcc, exec, s[6:7]
	s_cbranch_vccnz .LBB42_485
.LBB42_484:
	v_cmp_ge_i32_e32 vcc, v20, v5
	s_andn2_b64 s[6:7], s[10:11], exec
	s_and_b64 s[10:11], vcc, exec
	s_or_b64 s[10:11], s[6:7], s[10:11]
.LBB42_485:
	v_cndmask_b32_e64 v6, 0, 1, s[10:11]
.LBB42_486:
	s_or_b64 exec, exec, s[4:5]
	v_or_b32_e32 v5, 0xf00, v0
	v_cmp_gt_i32_e32 vcc, s12, v5
                                        ; implicit-def: $vgpr5
	s_and_saveexec_b64 s[4:5], vcc
	s_cbranch_execz .LBB42_501
; %bb.487:
	s_cmp_lt_i32 s13, 1
	s_mov_b64 s[6:7], 0
	s_cbranch_scc1 .LBB42_492
; %bb.488:
	s_cmp_gt_i32 s13, 1
	s_cbranch_scc0 .LBB42_493
; %bb.489:
	s_cmp_eq_u32 s13, 2
	s_cbranch_scc0 .LBB42_549
; %bb.490:
	v_cmp_le_i32_e64 s[10:11], v3, v4
	s_mov_b64 s[14:15], 0
	s_branch .LBB42_495
.LBB42_491:
	v_cmp_lt_i32_e32 vcc, v20, v5
	s_andn2_b64 s[10:11], s[10:11], exec
	s_and_b64 s[14:15], vcc, exec
	s_or_b64 s[10:11], s[10:11], s[14:15]
	s_cbranch_execz .LBB42_484
	s_branch .LBB42_485
.LBB42_492:
                                        ; implicit-def: $sgpr10_sgpr11
	s_mov_b64 s[14:15], 0
	s_cbranch_execnz .LBB42_496
	s_branch .LBB42_497
.LBB42_493:
	s_mov_b64 s[14:15], 0
                                        ; implicit-def: $sgpr10_sgpr11
	s_cbranch_execz .LBB42_495
; %bb.494:
	v_cmp_gt_i32_e32 vcc, v3, v4
	s_andn2_b64 s[10:11], s[10:11], exec
	s_and_b64 s[16:17], vcc, exec
	s_or_b64 s[10:11], s[10:11], s[16:17]
.LBB42_495:
	s_branch .LBB42_497
.LBB42_496:
	s_cmp_lg_u32 s13, 0
	s_mov_b64 s[6:7], -1
	s_cselect_b64 s[14:15], -1, 0
.LBB42_497:
	s_andn2_b64 vcc, exec, s[14:15]
	s_cbranch_vccz .LBB42_534
; %bb.498:
	s_andn2_b64 vcc, exec, s[6:7]
	s_cbranch_vccnz .LBB42_500
.LBB42_499:
	v_cmp_ge_i32_e32 vcc, v3, v4
	s_andn2_b64 s[6:7], s[10:11], exec
	s_and_b64 s[10:11], vcc, exec
	s_or_b64 s[10:11], s[6:7], s[10:11]
.LBB42_500:
	v_cndmask_b32_e64 v5, 0, 1, s[10:11]
.LBB42_501:
	s_or_b64 exec, exec, s[4:5]
	s_and_saveexec_b64 s[4:5], s[0:1]
	s_xor_b64 s[0:1], exec, s[4:5]
	s_cbranch_execz .LBB42_503
; %bb.502:
	v_mov_b32_e32 v0, v17
	global_store_byte v1, v16, s[8:9]
.LBB42_503:
	s_or_b64 exec, exec, s[0:1]
	v_cmp_gt_i32_e32 vcc, s12, v0
	s_and_saveexec_b64 s[0:1], vcc
	s_cbranch_execnz .LBB42_520
; %bb.504:
	s_or_b64 exec, exec, s[0:1]
	v_cmp_gt_i32_e32 vcc, s12, v0
	s_and_saveexec_b64 s[0:1], vcc
	s_cbranch_execnz .LBB42_521
.LBB42_505:
	s_or_b64 exec, exec, s[0:1]
	v_cmp_gt_i32_e32 vcc, s12, v0
	s_and_saveexec_b64 s[0:1], vcc
	s_cbranch_execnz .LBB42_522
.LBB42_506:
	s_or_b64 exec, exec, s[0:1]
	v_cmp_gt_i32_e32 vcc, s12, v0
	s_and_saveexec_b64 s[0:1], vcc
	s_cbranch_execnz .LBB42_523
.LBB42_507:
	s_or_b64 exec, exec, s[0:1]
	v_cmp_gt_i32_e32 vcc, s12, v0
	s_and_saveexec_b64 s[0:1], vcc
	s_cbranch_execnz .LBB42_524
.LBB42_508:
	s_or_b64 exec, exec, s[0:1]
	v_cmp_gt_i32_e32 vcc, s12, v0
	s_and_saveexec_b64 s[0:1], vcc
	s_cbranch_execnz .LBB42_525
.LBB42_509:
	s_or_b64 exec, exec, s[0:1]
	v_cmp_gt_i32_e32 vcc, s12, v0
	s_and_saveexec_b64 s[0:1], vcc
	s_cbranch_execnz .LBB42_526
.LBB42_510:
	s_or_b64 exec, exec, s[0:1]
	v_cmp_gt_i32_e32 vcc, s12, v0
	s_and_saveexec_b64 s[0:1], vcc
	s_cbranch_execnz .LBB42_527
.LBB42_511:
	s_or_b64 exec, exec, s[0:1]
	v_cmp_gt_i32_e32 vcc, s12, v0
	s_and_saveexec_b64 s[0:1], vcc
	s_cbranch_execnz .LBB42_528
.LBB42_512:
	s_or_b64 exec, exec, s[0:1]
	v_cmp_gt_i32_e32 vcc, s12, v0
	s_and_saveexec_b64 s[0:1], vcc
	s_cbranch_execnz .LBB42_529
.LBB42_513:
	s_or_b64 exec, exec, s[0:1]
	v_cmp_gt_i32_e32 vcc, s12, v0
	s_and_saveexec_b64 s[0:1], vcc
	s_cbranch_execnz .LBB42_530
.LBB42_514:
	s_or_b64 exec, exec, s[0:1]
	v_cmp_gt_i32_e32 vcc, s12, v0
	s_and_saveexec_b64 s[0:1], vcc
	s_cbranch_execnz .LBB42_531
.LBB42_515:
	s_or_b64 exec, exec, s[0:1]
	v_cmp_gt_i32_e32 vcc, s12, v0
	s_and_saveexec_b64 s[0:1], vcc
	s_cbranch_execnz .LBB42_532
.LBB42_516:
	s_or_b64 exec, exec, s[0:1]
	v_cmp_gt_i32_e32 vcc, s12, v0
	s_and_saveexec_b64 s[0:1], vcc
	s_cbranch_execnz .LBB42_533
.LBB42_517:
	s_or_b64 exec, exec, s[0:1]
	v_cmp_gt_i32_e32 vcc, s12, v0
	s_and_saveexec_b64 s[0:1], vcc
	s_cbranch_execz .LBB42_519
.LBB42_518:
	v_add_u32_e32 v0, s2, v0
	global_store_byte v0, v5, s[8:9]
.LBB42_519:
	s_endpgm
.LBB42_520:
	v_add_u32_e32 v1, s2, v0
	v_add_u32_e32 v0, 0x100, v0
	global_store_byte v1, v18, s[8:9]
	s_or_b64 exec, exec, s[0:1]
	v_cmp_gt_i32_e32 vcc, s12, v0
	s_and_saveexec_b64 s[0:1], vcc
	s_cbranch_execz .LBB42_505
.LBB42_521:
	v_add_u32_e32 v1, s2, v0
	v_add_u32_e32 v0, 0x100, v0
	global_store_byte v1, v2, s[8:9]
	s_or_b64 exec, exec, s[0:1]
	v_cmp_gt_i32_e32 vcc, s12, v0
	s_and_saveexec_b64 s[0:1], vcc
	s_cbranch_execz .LBB42_506
.LBB42_522:
	v_add_u32_e32 v1, s2, v0
	v_add_u32_e32 v0, 0x100, v0
	global_store_byte v1, v15, s[8:9]
	s_or_b64 exec, exec, s[0:1]
	v_cmp_gt_i32_e32 vcc, s12, v0
	s_and_saveexec_b64 s[0:1], vcc
	s_cbranch_execz .LBB42_507
.LBB42_523:
	v_add_u32_e32 v1, s2, v0
	v_add_u32_e32 v0, 0x100, v0
	global_store_byte v1, v19, s[8:9]
	s_or_b64 exec, exec, s[0:1]
	v_cmp_gt_i32_e32 vcc, s12, v0
	s_and_saveexec_b64 s[0:1], vcc
	s_cbranch_execz .LBB42_508
.LBB42_524:
	v_add_u32_e32 v1, s2, v0
	v_add_u32_e32 v0, 0x100, v0
	global_store_byte v1, v30, s[8:9]
	s_or_b64 exec, exec, s[0:1]
	v_cmp_gt_i32_e32 vcc, s12, v0
	s_and_saveexec_b64 s[0:1], vcc
	s_cbranch_execz .LBB42_509
.LBB42_525:
	v_add_u32_e32 v1, s2, v0
	v_add_u32_e32 v0, 0x100, v0
	global_store_byte v1, v14, s[8:9]
	s_or_b64 exec, exec, s[0:1]
	v_cmp_gt_i32_e32 vcc, s12, v0
	s_and_saveexec_b64 s[0:1], vcc
	s_cbranch_execz .LBB42_510
.LBB42_526:
	v_add_u32_e32 v1, s2, v0
	v_add_u32_e32 v0, 0x100, v0
	global_store_byte v1, v13, s[8:9]
	s_or_b64 exec, exec, s[0:1]
	v_cmp_gt_i32_e32 vcc, s12, v0
	s_and_saveexec_b64 s[0:1], vcc
	s_cbranch_execz .LBB42_511
.LBB42_527:
	v_add_u32_e32 v1, s2, v0
	v_add_u32_e32 v0, 0x100, v0
	global_store_byte v1, v12, s[8:9]
	s_or_b64 exec, exec, s[0:1]
	v_cmp_gt_i32_e32 vcc, s12, v0
	s_and_saveexec_b64 s[0:1], vcc
	s_cbranch_execz .LBB42_512
.LBB42_528:
	v_add_u32_e32 v1, s2, v0
	v_add_u32_e32 v0, 0x100, v0
	global_store_byte v1, v11, s[8:9]
	s_or_b64 exec, exec, s[0:1]
	v_cmp_gt_i32_e32 vcc, s12, v0
	s_and_saveexec_b64 s[0:1], vcc
	s_cbranch_execz .LBB42_513
.LBB42_529:
	v_add_u32_e32 v1, s2, v0
	v_add_u32_e32 v0, 0x100, v0
	global_store_byte v1, v10, s[8:9]
	s_or_b64 exec, exec, s[0:1]
	v_cmp_gt_i32_e32 vcc, s12, v0
	s_and_saveexec_b64 s[0:1], vcc
	s_cbranch_execz .LBB42_514
.LBB42_530:
	v_add_u32_e32 v1, s2, v0
	v_add_u32_e32 v0, 0x100, v0
	global_store_byte v1, v9, s[8:9]
	s_or_b64 exec, exec, s[0:1]
	v_cmp_gt_i32_e32 vcc, s12, v0
	s_and_saveexec_b64 s[0:1], vcc
	s_cbranch_execz .LBB42_515
.LBB42_531:
	v_add_u32_e32 v1, s2, v0
	v_add_u32_e32 v0, 0x100, v0
	global_store_byte v1, v8, s[8:9]
	s_or_b64 exec, exec, s[0:1]
	v_cmp_gt_i32_e32 vcc, s12, v0
	s_and_saveexec_b64 s[0:1], vcc
	s_cbranch_execz .LBB42_516
.LBB42_532:
	v_add_u32_e32 v1, s2, v0
	v_add_u32_e32 v0, 0x100, v0
	global_store_byte v1, v7, s[8:9]
	s_or_b64 exec, exec, s[0:1]
	v_cmp_gt_i32_e32 vcc, s12, v0
	s_and_saveexec_b64 s[0:1], vcc
	s_cbranch_execz .LBB42_517
.LBB42_533:
	v_add_u32_e32 v1, s2, v0
	v_add_u32_e32 v0, 0x100, v0
	global_store_byte v1, v6, s[8:9]
	s_or_b64 exec, exec, s[0:1]
	v_cmp_gt_i32_e32 vcc, s12, v0
	s_and_saveexec_b64 s[0:1], vcc
	s_cbranch_execnz .LBB42_518
	s_branch .LBB42_519
.LBB42_534:
	v_cmp_lt_i32_e32 vcc, v3, v4
	s_andn2_b64 s[10:11], s[10:11], exec
	s_and_b64 s[14:15], vcc, exec
	s_or_b64 s[10:11], s[10:11], s[14:15]
	s_cbranch_execz .LBB42_499
	s_branch .LBB42_500
.LBB42_535:
	s_mov_b64 s[14:15], -1
                                        ; implicit-def: $sgpr10_sgpr11
	s_branch .LBB42_285
.LBB42_536:
	s_mov_b64 s[14:15], -1
                                        ; implicit-def: $sgpr10_sgpr11
	s_branch .LBB42_300
.LBB42_537:
	s_mov_b64 s[14:15], -1
                                        ; implicit-def: $sgpr10_sgpr11
	s_branch .LBB42_315
.LBB42_538:
	s_mov_b64 s[14:15], -1
                                        ; implicit-def: $sgpr10_sgpr11
	s_branch .LBB42_330
.LBB42_539:
	s_mov_b64 s[14:15], -1
                                        ; implicit-def: $sgpr10_sgpr11
	s_branch .LBB42_345
.LBB42_540:
	s_mov_b64 s[14:15], -1
                                        ; implicit-def: $sgpr10_sgpr11
	s_branch .LBB42_360
.LBB42_541:
	s_mov_b64 s[14:15], -1
                                        ; implicit-def: $sgpr10_sgpr11
	s_branch .LBB42_375
.LBB42_542:
	s_mov_b64 s[14:15], -1
                                        ; implicit-def: $sgpr10_sgpr11
	s_branch .LBB42_390
.LBB42_543:
	s_mov_b64 s[14:15], -1
                                        ; implicit-def: $sgpr10_sgpr11
	s_branch .LBB42_405
.LBB42_544:
	s_mov_b64 s[14:15], -1
                                        ; implicit-def: $sgpr10_sgpr11
	s_branch .LBB42_420
.LBB42_545:
	s_mov_b64 s[14:15], -1
                                        ; implicit-def: $sgpr10_sgpr11
	s_branch .LBB42_435
.LBB42_546:
	s_mov_b64 s[14:15], -1
                                        ; implicit-def: $sgpr10_sgpr11
	s_branch .LBB42_450
.LBB42_547:
	s_mov_b64 s[14:15], -1
                                        ; implicit-def: $sgpr10_sgpr11
	s_branch .LBB42_465
.LBB42_548:
	s_mov_b64 s[14:15], -1
                                        ; implicit-def: $sgpr10_sgpr11
	s_branch .LBB42_480
.LBB42_549:
	s_mov_b64 s[14:15], -1
                                        ; implicit-def: $sgpr10_sgpr11
	s_branch .LBB42_495
	.section	.rodata,"a",@progbits
	.p2align	6, 0x0
	.amdhsa_kernel _ZN2at6native29vectorized_elementwise_kernelILi4ENS0_12_GLOBAL__N_114CompareFunctorIiEESt5arrayIPcLm3EEEEviT0_T1_
		.amdhsa_group_segment_fixed_size 0
		.amdhsa_private_segment_fixed_size 0
		.amdhsa_kernarg_size 32
		.amdhsa_user_sgpr_count 6
		.amdhsa_user_sgpr_private_segment_buffer 1
		.amdhsa_user_sgpr_dispatch_ptr 0
		.amdhsa_user_sgpr_queue_ptr 0
		.amdhsa_user_sgpr_kernarg_segment_ptr 1
		.amdhsa_user_sgpr_dispatch_id 0
		.amdhsa_user_sgpr_flat_scratch_init 0
		.amdhsa_user_sgpr_private_segment_size 0
		.amdhsa_uses_dynamic_stack 0
		.amdhsa_system_sgpr_private_segment_wavefront_offset 0
		.amdhsa_system_sgpr_workgroup_id_x 1
		.amdhsa_system_sgpr_workgroup_id_y 0
		.amdhsa_system_sgpr_workgroup_id_z 0
		.amdhsa_system_sgpr_workgroup_info 0
		.amdhsa_system_vgpr_workitem_id 0
		.amdhsa_next_free_vgpr 38
		.amdhsa_next_free_sgpr 50
		.amdhsa_reserve_vcc 1
		.amdhsa_reserve_flat_scratch 0
		.amdhsa_float_round_mode_32 0
		.amdhsa_float_round_mode_16_64 0
		.amdhsa_float_denorm_mode_32 3
		.amdhsa_float_denorm_mode_16_64 3
		.amdhsa_dx10_clamp 1
		.amdhsa_ieee_mode 1
		.amdhsa_fp16_overflow 0
		.amdhsa_exception_fp_ieee_invalid_op 0
		.amdhsa_exception_fp_denorm_src 0
		.amdhsa_exception_fp_ieee_div_zero 0
		.amdhsa_exception_fp_ieee_overflow 0
		.amdhsa_exception_fp_ieee_underflow 0
		.amdhsa_exception_fp_ieee_inexact 0
		.amdhsa_exception_int_div_zero 0
	.end_amdhsa_kernel
	.section	.text._ZN2at6native29vectorized_elementwise_kernelILi4ENS0_12_GLOBAL__N_114CompareFunctorIiEESt5arrayIPcLm3EEEEviT0_T1_,"axG",@progbits,_ZN2at6native29vectorized_elementwise_kernelILi4ENS0_12_GLOBAL__N_114CompareFunctorIiEESt5arrayIPcLm3EEEEviT0_T1_,comdat
.Lfunc_end42:
	.size	_ZN2at6native29vectorized_elementwise_kernelILi4ENS0_12_GLOBAL__N_114CompareFunctorIiEESt5arrayIPcLm3EEEEviT0_T1_, .Lfunc_end42-_ZN2at6native29vectorized_elementwise_kernelILi4ENS0_12_GLOBAL__N_114CompareFunctorIiEESt5arrayIPcLm3EEEEviT0_T1_
                                        ; -- End function
	.set _ZN2at6native29vectorized_elementwise_kernelILi4ENS0_12_GLOBAL__N_114CompareFunctorIiEESt5arrayIPcLm3EEEEviT0_T1_.num_vgpr, 38
	.set _ZN2at6native29vectorized_elementwise_kernelILi4ENS0_12_GLOBAL__N_114CompareFunctorIiEESt5arrayIPcLm3EEEEviT0_T1_.num_agpr, 0
	.set _ZN2at6native29vectorized_elementwise_kernelILi4ENS0_12_GLOBAL__N_114CompareFunctorIiEESt5arrayIPcLm3EEEEviT0_T1_.numbered_sgpr, 50
	.set _ZN2at6native29vectorized_elementwise_kernelILi4ENS0_12_GLOBAL__N_114CompareFunctorIiEESt5arrayIPcLm3EEEEviT0_T1_.num_named_barrier, 0
	.set _ZN2at6native29vectorized_elementwise_kernelILi4ENS0_12_GLOBAL__N_114CompareFunctorIiEESt5arrayIPcLm3EEEEviT0_T1_.private_seg_size, 0
	.set _ZN2at6native29vectorized_elementwise_kernelILi4ENS0_12_GLOBAL__N_114CompareFunctorIiEESt5arrayIPcLm3EEEEviT0_T1_.uses_vcc, 1
	.set _ZN2at6native29vectorized_elementwise_kernelILi4ENS0_12_GLOBAL__N_114CompareFunctorIiEESt5arrayIPcLm3EEEEviT0_T1_.uses_flat_scratch, 0
	.set _ZN2at6native29vectorized_elementwise_kernelILi4ENS0_12_GLOBAL__N_114CompareFunctorIiEESt5arrayIPcLm3EEEEviT0_T1_.has_dyn_sized_stack, 0
	.set _ZN2at6native29vectorized_elementwise_kernelILi4ENS0_12_GLOBAL__N_114CompareFunctorIiEESt5arrayIPcLm3EEEEviT0_T1_.has_recursion, 0
	.set _ZN2at6native29vectorized_elementwise_kernelILi4ENS0_12_GLOBAL__N_114CompareFunctorIiEESt5arrayIPcLm3EEEEviT0_T1_.has_indirect_call, 0
	.section	.AMDGPU.csdata,"",@progbits
; Kernel info:
; codeLenInByte = 9564
; TotalNumSgprs: 54
; NumVgprs: 38
; ScratchSize: 0
; MemoryBound: 0
; FloatMode: 240
; IeeeMode: 1
; LDSByteSize: 0 bytes/workgroup (compile time only)
; SGPRBlocks: 6
; VGPRBlocks: 9
; NumSGPRsForWavesPerEU: 54
; NumVGPRsForWavesPerEU: 38
; Occupancy: 6
; WaveLimiterHint : 1
; COMPUTE_PGM_RSRC2:SCRATCH_EN: 0
; COMPUTE_PGM_RSRC2:USER_SGPR: 6
; COMPUTE_PGM_RSRC2:TRAP_HANDLER: 0
; COMPUTE_PGM_RSRC2:TGID_X_EN: 1
; COMPUTE_PGM_RSRC2:TGID_Y_EN: 0
; COMPUTE_PGM_RSRC2:TGID_Z_EN: 0
; COMPUTE_PGM_RSRC2:TIDIG_COMP_CNT: 0
	.section	.text._ZN2at6native29vectorized_elementwise_kernelILi2ENS0_12_GLOBAL__N_114CompareFunctorIiEESt5arrayIPcLm3EEEEviT0_T1_,"axG",@progbits,_ZN2at6native29vectorized_elementwise_kernelILi2ENS0_12_GLOBAL__N_114CompareFunctorIiEESt5arrayIPcLm3EEEEviT0_T1_,comdat
	.globl	_ZN2at6native29vectorized_elementwise_kernelILi2ENS0_12_GLOBAL__N_114CompareFunctorIiEESt5arrayIPcLm3EEEEviT0_T1_ ; -- Begin function _ZN2at6native29vectorized_elementwise_kernelILi2ENS0_12_GLOBAL__N_114CompareFunctorIiEESt5arrayIPcLm3EEEEviT0_T1_
	.p2align	8
	.type	_ZN2at6native29vectorized_elementwise_kernelILi2ENS0_12_GLOBAL__N_114CompareFunctorIiEESt5arrayIPcLm3EEEEviT0_T1_,@function
_ZN2at6native29vectorized_elementwise_kernelILi2ENS0_12_GLOBAL__N_114CompareFunctorIiEESt5arrayIPcLm3EEEEviT0_T1_: ; @_ZN2at6native29vectorized_elementwise_kernelILi2ENS0_12_GLOBAL__N_114CompareFunctorIiEESt5arrayIPcLm3EEEEviT0_T1_
; %bb.0:
	s_load_dwordx2 s[12:13], s[4:5], 0x0
	s_load_dwordx4 s[8:11], s[4:5], 0x8
	s_load_dwordx2 s[14:15], s[4:5], 0x18
	s_lshl_b32 s2, s6, 12
	s_mov_b64 s[0:1], -1
	s_waitcnt lgkmcnt(0)
	s_sub_i32 s12, s12, s2
	s_cmpk_gt_i32 s12, 0xfff
	s_cbranch_scc0 .LBB43_211
; %bb.1:
	s_ashr_i32 s3, s2, 31
	s_lshl_b64 s[0:1], s[2:3], 2
	s_add_u32 s4, s10, s0
	s_addc_u32 s5, s11, s1
	v_lshlrev_b32_e32 v7, 3, v0
	v_mov_b32_e32 v1, s5
	v_add_co_u32_e32 v5, vcc, s4, v7
	v_addc_co_u32_e32 v6, vcc, 0, v1, vcc
	v_add_co_u32_e32 v1, vcc, 0x1000, v5
	v_addc_co_u32_e32 v2, vcc, 0, v6, vcc
	v_add_co_u32_e32 v3, vcc, 0x2000, v5
	v_addc_co_u32_e32 v4, vcc, 0, v6, vcc
	global_load_dwordx2 v[21:22], v[1:2], off
	global_load_dwordx2 v[17:18], v[1:2], off offset:2048
	global_load_dwordx2 v[13:14], v[3:4], off
	global_load_dwordx2 v[9:10], v[3:4], off offset:2048
	v_add_co_u32_e32 v3, vcc, 0x3000, v5
	s_add_u32 s0, s14, s0
	v_addc_co_u32_e32 v4, vcc, 0, v6, vcc
	s_addc_u32 s1, s15, s1
	global_load_dwordx2 v[5:6], v[3:4], off
	global_load_dwordx2 v[1:2], v[3:4], off offset:2048
	v_mov_b32_e32 v3, s1
	v_add_co_u32_e32 v33, vcc, s0, v7
	s_movk_i32 s6, 0x1000
	v_addc_co_u32_e32 v34, vcc, 0, v3, vcc
	v_add_co_u32_e32 v3, vcc, s6, v33
	v_addc_co_u32_e32 v4, vcc, 0, v34, vcc
	global_load_dwordx2 v[29:30], v7, s[4:5]
	global_load_dwordx2 v[25:26], v7, s[4:5] offset:2048
	global_load_dwordx2 v[31:32], v7, s[0:1]
	global_load_dwordx2 v[27:28], v7, s[0:1] offset:2048
	v_add_co_u32_e32 v7, vcc, 0x2000, v33
	v_addc_co_u32_e32 v8, vcc, 0, v34, vcc
	global_load_dwordx2 v[23:24], v[3:4], off
	global_load_dwordx2 v[19:20], v[3:4], off offset:2048
	global_load_dwordx2 v[15:16], v[7:8], off
	global_load_dwordx2 v[11:12], v[7:8], off offset:2048
	v_add_co_u32_e32 v33, vcc, 0x3000, v33
	v_addc_co_u32_e32 v34, vcc, 0, v34, vcc
	global_load_dwordx2 v[7:8], v[33:34], off
	global_load_dwordx2 v[3:4], v[33:34], off offset:2048
	s_cmp_lt_i32 s13, 1
	s_mov_b64 s[4:5], 0
	s_cbranch_scc1 .LBB43_5
; %bb.2:
	s_cmp_gt_i32 s13, 1
	s_cbranch_scc0 .LBB43_6
; %bb.3:
	s_cmp_eq_u32 s13, 2
	s_cbranch_scc0 .LBB43_7
; %bb.4:
	s_waitcnt vmcnt(7)
	v_cmp_le_i32_e64 s[0:1], v29, v31
	s_mov_b64 s[6:7], 0
	s_branch .LBB43_8
.LBB43_5:
                                        ; implicit-def: $sgpr0_sgpr1
	s_mov_b64 s[6:7], 0
	s_cbranch_execnz .LBB43_11
	s_branch .LBB43_12
.LBB43_6:
	s_mov_b64 s[6:7], 0
                                        ; implicit-def: $sgpr0_sgpr1
	s_cbranch_execnz .LBB43_9
	s_branch .LBB43_10
.LBB43_7:
	s_mov_b64 s[6:7], -1
                                        ; implicit-def: $sgpr0_sgpr1
.LBB43_8:
	s_branch .LBB43_10
.LBB43_9:
	s_waitcnt vmcnt(7)
	v_cmp_gt_i32_e32 vcc, v29, v31
	s_andn2_b64 s[0:1], s[0:1], exec
	s_and_b64 s[16:17], vcc, exec
	s_or_b64 s[0:1], s[0:1], s[16:17]
.LBB43_10:
	s_branch .LBB43_12
.LBB43_11:
	s_cmp_lg_u32 s13, 0
	s_mov_b64 s[4:5], -1
	s_cselect_b64 s[6:7], -1, 0
.LBB43_12:
	s_andn2_b64 vcc, exec, s[6:7]
	s_cbranch_vccz .LBB43_18
; %bb.13:
	s_andn2_b64 vcc, exec, s[4:5]
	s_cbranch_vccz .LBB43_19
.LBB43_14:
	s_cmp_lt_i32 s13, 1
	s_mov_b64 s[6:7], 0
	s_cbranch_scc1 .LBB43_20
.LBB43_15:
	s_cmp_gt_i32 s13, 1
	s_cbranch_scc0 .LBB43_21
; %bb.16:
	s_cmp_eq_u32 s13, 2
	s_cbranch_scc0 .LBB43_251
; %bb.17:
	s_waitcnt vmcnt(7)
	v_cmp_le_i32_e64 s[4:5], v30, v32
	s_mov_b64 s[16:17], 0
	s_branch .LBB43_23
.LBB43_18:
	s_waitcnt vmcnt(7)
	v_cmp_lt_i32_e32 vcc, v29, v31
	s_andn2_b64 s[0:1], s[0:1], exec
	s_and_b64 s[6:7], vcc, exec
	s_or_b64 s[0:1], s[0:1], s[6:7]
	s_cbranch_execnz .LBB43_14
.LBB43_19:
	s_waitcnt vmcnt(7)
	v_cmp_ge_i32_e32 vcc, v29, v31
	s_andn2_b64 s[0:1], s[0:1], exec
	s_and_b64 s[4:5], vcc, exec
	s_or_b64 s[0:1], s[0:1], s[4:5]
	s_cmp_lt_i32 s13, 1
	s_mov_b64 s[6:7], 0
	s_cbranch_scc0 .LBB43_15
.LBB43_20:
                                        ; implicit-def: $sgpr4_sgpr5
	s_mov_b64 s[16:17], 0
	s_cbranch_execnz .LBB43_24
	s_branch .LBB43_25
.LBB43_21:
	s_mov_b64 s[16:17], 0
                                        ; implicit-def: $sgpr4_sgpr5
	s_cbranch_execz .LBB43_23
; %bb.22:
	s_waitcnt vmcnt(7)
	v_cmp_gt_i32_e32 vcc, v30, v32
	s_andn2_b64 s[4:5], s[4:5], exec
	s_and_b64 s[18:19], vcc, exec
	s_or_b64 s[4:5], s[4:5], s[18:19]
.LBB43_23:
	s_branch .LBB43_25
.LBB43_24:
	s_cmp_lg_u32 s13, 0
	s_mov_b64 s[6:7], -1
	s_cselect_b64 s[16:17], -1, 0
.LBB43_25:
	s_andn2_b64 vcc, exec, s[16:17]
	s_cbranch_vccz .LBB43_31
; %bb.26:
	s_andn2_b64 vcc, exec, s[6:7]
	s_cbranch_vccz .LBB43_32
.LBB43_27:
	s_cmp_lt_i32 s13, 1
	s_mov_b64 s[16:17], 0
	s_cbranch_scc1 .LBB43_33
.LBB43_28:
	s_cmp_gt_i32 s13, 1
	s_cbranch_scc0 .LBB43_34
; %bb.29:
	s_cmp_eq_u32 s13, 2
	s_cbranch_scc0 .LBB43_252
; %bb.30:
	s_waitcnt vmcnt(6)
	v_cmp_le_i32_e64 s[6:7], v25, v27
	s_mov_b64 s[18:19], 0
	s_branch .LBB43_36
.LBB43_31:
	s_waitcnt vmcnt(7)
	v_cmp_lt_i32_e32 vcc, v30, v32
	s_andn2_b64 s[4:5], s[4:5], exec
	s_and_b64 s[16:17], vcc, exec
	s_or_b64 s[4:5], s[4:5], s[16:17]
	s_cbranch_execnz .LBB43_27
.LBB43_32:
	s_waitcnt vmcnt(7)
	v_cmp_ge_i32_e32 vcc, v30, v32
	s_andn2_b64 s[4:5], s[4:5], exec
	s_and_b64 s[6:7], vcc, exec
	s_or_b64 s[4:5], s[4:5], s[6:7]
	s_cmp_lt_i32 s13, 1
	s_mov_b64 s[16:17], 0
	s_cbranch_scc0 .LBB43_28
.LBB43_33:
                                        ; implicit-def: $sgpr6_sgpr7
	s_mov_b64 s[18:19], 0
	s_cbranch_execnz .LBB43_37
	s_branch .LBB43_38
.LBB43_34:
	s_mov_b64 s[18:19], 0
                                        ; implicit-def: $sgpr6_sgpr7
	s_cbranch_execz .LBB43_36
; %bb.35:
	s_waitcnt vmcnt(6)
	v_cmp_gt_i32_e32 vcc, v25, v27
	s_andn2_b64 s[6:7], s[6:7], exec
	s_and_b64 s[20:21], vcc, exec
	s_or_b64 s[6:7], s[6:7], s[20:21]
.LBB43_36:
	s_branch .LBB43_38
.LBB43_37:
	s_cmp_lg_u32 s13, 0
	s_mov_b64 s[16:17], -1
	s_cselect_b64 s[18:19], -1, 0
.LBB43_38:
	s_andn2_b64 vcc, exec, s[18:19]
	s_cbranch_vccz .LBB43_44
; %bb.39:
	s_andn2_b64 vcc, exec, s[16:17]
	s_cbranch_vccz .LBB43_45
.LBB43_40:
	s_cmp_lt_i32 s13, 1
	s_mov_b64 s[18:19], 0
	s_cbranch_scc1 .LBB43_46
.LBB43_41:
	s_cmp_gt_i32 s13, 1
	s_cbranch_scc0 .LBB43_47
; %bb.42:
	s_cmp_eq_u32 s13, 2
	s_cbranch_scc0 .LBB43_253
; %bb.43:
	s_waitcnt vmcnt(6)
	v_cmp_le_i32_e64 s[16:17], v26, v28
	s_mov_b64 s[20:21], 0
	s_branch .LBB43_49
.LBB43_44:
	s_waitcnt vmcnt(6)
	v_cmp_lt_i32_e32 vcc, v25, v27
	s_andn2_b64 s[6:7], s[6:7], exec
	s_and_b64 s[18:19], vcc, exec
	s_or_b64 s[6:7], s[6:7], s[18:19]
	s_cbranch_execnz .LBB43_40
.LBB43_45:
	s_waitcnt vmcnt(6)
	v_cmp_ge_i32_e32 vcc, v25, v27
	s_andn2_b64 s[6:7], s[6:7], exec
	s_and_b64 s[16:17], vcc, exec
	s_or_b64 s[6:7], s[6:7], s[16:17]
	s_cmp_lt_i32 s13, 1
	s_mov_b64 s[18:19], 0
	s_cbranch_scc0 .LBB43_41
.LBB43_46:
                                        ; implicit-def: $sgpr16_sgpr17
	s_mov_b64 s[20:21], 0
	s_cbranch_execnz .LBB43_50
	s_branch .LBB43_51
.LBB43_47:
	s_mov_b64 s[20:21], 0
                                        ; implicit-def: $sgpr16_sgpr17
	s_cbranch_execz .LBB43_49
; %bb.48:
	s_waitcnt vmcnt(6)
	v_cmp_gt_i32_e32 vcc, v26, v28
	s_andn2_b64 s[16:17], s[16:17], exec
	s_and_b64 s[22:23], vcc, exec
	s_or_b64 s[16:17], s[16:17], s[22:23]
.LBB43_49:
	s_branch .LBB43_51
.LBB43_50:
	s_cmp_lg_u32 s13, 0
	s_mov_b64 s[18:19], -1
	s_cselect_b64 s[20:21], -1, 0
.LBB43_51:
	s_andn2_b64 vcc, exec, s[20:21]
	s_cbranch_vccz .LBB43_57
; %bb.52:
	s_andn2_b64 vcc, exec, s[18:19]
	s_cbranch_vccz .LBB43_58
.LBB43_53:
	s_cmp_lt_i32 s13, 1
	s_mov_b64 s[20:21], 0
	s_cbranch_scc1 .LBB43_59
.LBB43_54:
	s_cmp_gt_i32 s13, 1
	s_cbranch_scc0 .LBB43_60
; %bb.55:
	s_cmp_eq_u32 s13, 2
	s_cbranch_scc0 .LBB43_254
; %bb.56:
	s_waitcnt vmcnt(5)
	v_cmp_le_i32_e64 s[18:19], v21, v23
	s_mov_b64 s[22:23], 0
	s_branch .LBB43_62
.LBB43_57:
	s_waitcnt vmcnt(6)
	v_cmp_lt_i32_e32 vcc, v26, v28
	s_andn2_b64 s[16:17], s[16:17], exec
	s_and_b64 s[20:21], vcc, exec
	s_or_b64 s[16:17], s[16:17], s[20:21]
	s_cbranch_execnz .LBB43_53
.LBB43_58:
	s_waitcnt vmcnt(6)
	v_cmp_ge_i32_e32 vcc, v26, v28
	s_andn2_b64 s[16:17], s[16:17], exec
	s_and_b64 s[18:19], vcc, exec
	s_or_b64 s[16:17], s[16:17], s[18:19]
	s_cmp_lt_i32 s13, 1
	s_mov_b64 s[20:21], 0
	s_cbranch_scc0 .LBB43_54
.LBB43_59:
                                        ; implicit-def: $sgpr18_sgpr19
	s_mov_b64 s[22:23], 0
	s_cbranch_execnz .LBB43_63
	s_branch .LBB43_64
.LBB43_60:
	s_mov_b64 s[22:23], 0
                                        ; implicit-def: $sgpr18_sgpr19
	s_cbranch_execz .LBB43_62
; %bb.61:
	s_waitcnt vmcnt(5)
	v_cmp_gt_i32_e32 vcc, v21, v23
	s_andn2_b64 s[18:19], s[18:19], exec
	s_and_b64 s[24:25], vcc, exec
	s_or_b64 s[18:19], s[18:19], s[24:25]
.LBB43_62:
	s_branch .LBB43_64
.LBB43_63:
	s_cmp_lg_u32 s13, 0
	s_mov_b64 s[20:21], -1
	s_cselect_b64 s[22:23], -1, 0
.LBB43_64:
	s_andn2_b64 vcc, exec, s[22:23]
	s_cbranch_vccz .LBB43_70
; %bb.65:
	s_andn2_b64 vcc, exec, s[20:21]
	s_cbranch_vccz .LBB43_71
.LBB43_66:
	s_cmp_lt_i32 s13, 1
	s_mov_b64 s[22:23], 0
	s_cbranch_scc1 .LBB43_72
.LBB43_67:
	s_cmp_gt_i32 s13, 1
	s_cbranch_scc0 .LBB43_73
; %bb.68:
	s_cmp_eq_u32 s13, 2
	s_cbranch_scc0 .LBB43_255
; %bb.69:
	s_waitcnt vmcnt(5)
	v_cmp_le_i32_e64 s[20:21], v22, v24
	s_mov_b64 s[24:25], 0
	s_branch .LBB43_75
.LBB43_70:
	s_waitcnt vmcnt(5)
	v_cmp_lt_i32_e32 vcc, v21, v23
	s_andn2_b64 s[18:19], s[18:19], exec
	s_and_b64 s[22:23], vcc, exec
	s_or_b64 s[18:19], s[18:19], s[22:23]
	s_cbranch_execnz .LBB43_66
.LBB43_71:
	s_waitcnt vmcnt(5)
	v_cmp_ge_i32_e32 vcc, v21, v23
	s_andn2_b64 s[18:19], s[18:19], exec
	s_and_b64 s[20:21], vcc, exec
	s_or_b64 s[18:19], s[18:19], s[20:21]
	s_cmp_lt_i32 s13, 1
	s_mov_b64 s[22:23], 0
	s_cbranch_scc0 .LBB43_67
.LBB43_72:
                                        ; implicit-def: $sgpr20_sgpr21
	s_mov_b64 s[24:25], 0
	s_cbranch_execnz .LBB43_76
	s_branch .LBB43_77
.LBB43_73:
	s_mov_b64 s[24:25], 0
                                        ; implicit-def: $sgpr20_sgpr21
	s_cbranch_execz .LBB43_75
; %bb.74:
	s_waitcnt vmcnt(5)
	v_cmp_gt_i32_e32 vcc, v22, v24
	s_andn2_b64 s[20:21], s[20:21], exec
	s_and_b64 s[26:27], vcc, exec
	s_or_b64 s[20:21], s[20:21], s[26:27]
.LBB43_75:
	s_branch .LBB43_77
.LBB43_76:
	s_cmp_lg_u32 s13, 0
	s_mov_b64 s[22:23], -1
	s_cselect_b64 s[24:25], -1, 0
.LBB43_77:
	s_andn2_b64 vcc, exec, s[24:25]
	s_cbranch_vccz .LBB43_83
; %bb.78:
	s_andn2_b64 vcc, exec, s[22:23]
	s_cbranch_vccz .LBB43_84
.LBB43_79:
	s_cmp_lt_i32 s13, 1
	s_mov_b64 s[24:25], 0
	s_cbranch_scc1 .LBB43_85
.LBB43_80:
	s_cmp_gt_i32 s13, 1
	s_cbranch_scc0 .LBB43_86
; %bb.81:
	s_cmp_eq_u32 s13, 2
	s_cbranch_scc0 .LBB43_256
; %bb.82:
	s_waitcnt vmcnt(4)
	v_cmp_le_i32_e64 s[22:23], v17, v19
	s_mov_b64 s[26:27], 0
	s_branch .LBB43_88
.LBB43_83:
	s_waitcnt vmcnt(5)
	v_cmp_lt_i32_e32 vcc, v22, v24
	s_andn2_b64 s[20:21], s[20:21], exec
	s_and_b64 s[24:25], vcc, exec
	s_or_b64 s[20:21], s[20:21], s[24:25]
	s_cbranch_execnz .LBB43_79
.LBB43_84:
	s_waitcnt vmcnt(5)
	v_cmp_ge_i32_e32 vcc, v22, v24
	s_andn2_b64 s[20:21], s[20:21], exec
	s_and_b64 s[22:23], vcc, exec
	s_or_b64 s[20:21], s[20:21], s[22:23]
	s_cmp_lt_i32 s13, 1
	s_mov_b64 s[24:25], 0
	s_cbranch_scc0 .LBB43_80
.LBB43_85:
                                        ; implicit-def: $sgpr22_sgpr23
	s_mov_b64 s[26:27], 0
	s_cbranch_execnz .LBB43_89
	s_branch .LBB43_90
.LBB43_86:
	s_mov_b64 s[26:27], 0
                                        ; implicit-def: $sgpr22_sgpr23
	s_cbranch_execz .LBB43_88
; %bb.87:
	s_waitcnt vmcnt(4)
	v_cmp_gt_i32_e32 vcc, v17, v19
	s_andn2_b64 s[22:23], s[22:23], exec
	s_and_b64 s[28:29], vcc, exec
	s_or_b64 s[22:23], s[22:23], s[28:29]
.LBB43_88:
	s_branch .LBB43_90
.LBB43_89:
	s_cmp_lg_u32 s13, 0
	s_mov_b64 s[24:25], -1
	s_cselect_b64 s[26:27], -1, 0
.LBB43_90:
	s_andn2_b64 vcc, exec, s[26:27]
	s_cbranch_vccz .LBB43_96
; %bb.91:
	s_andn2_b64 vcc, exec, s[24:25]
	s_cbranch_vccz .LBB43_97
.LBB43_92:
	s_cmp_lt_i32 s13, 1
	s_mov_b64 s[26:27], 0
	s_cbranch_scc1 .LBB43_98
.LBB43_93:
	s_cmp_gt_i32 s13, 1
	s_cbranch_scc0 .LBB43_99
; %bb.94:
	s_cmp_eq_u32 s13, 2
	s_cbranch_scc0 .LBB43_257
; %bb.95:
	s_waitcnt vmcnt(4)
	v_cmp_le_i32_e64 s[24:25], v18, v20
	s_mov_b64 s[28:29], 0
	s_branch .LBB43_101
.LBB43_96:
	s_waitcnt vmcnt(4)
	v_cmp_lt_i32_e32 vcc, v17, v19
	s_andn2_b64 s[22:23], s[22:23], exec
	s_and_b64 s[26:27], vcc, exec
	s_or_b64 s[22:23], s[22:23], s[26:27]
	s_cbranch_execnz .LBB43_92
.LBB43_97:
	s_waitcnt vmcnt(4)
	v_cmp_ge_i32_e32 vcc, v17, v19
	s_andn2_b64 s[22:23], s[22:23], exec
	s_and_b64 s[24:25], vcc, exec
	s_or_b64 s[22:23], s[22:23], s[24:25]
	s_cmp_lt_i32 s13, 1
	s_mov_b64 s[26:27], 0
	s_cbranch_scc0 .LBB43_93
.LBB43_98:
                                        ; implicit-def: $sgpr24_sgpr25
	s_mov_b64 s[28:29], 0
	s_cbranch_execnz .LBB43_102
	s_branch .LBB43_103
.LBB43_99:
	s_mov_b64 s[28:29], 0
                                        ; implicit-def: $sgpr24_sgpr25
	s_cbranch_execz .LBB43_101
; %bb.100:
	s_waitcnt vmcnt(4)
	v_cmp_gt_i32_e32 vcc, v18, v20
	s_andn2_b64 s[24:25], s[24:25], exec
	s_and_b64 s[30:31], vcc, exec
	s_or_b64 s[24:25], s[24:25], s[30:31]
.LBB43_101:
	s_branch .LBB43_103
.LBB43_102:
	s_cmp_lg_u32 s13, 0
	s_mov_b64 s[26:27], -1
	s_cselect_b64 s[28:29], -1, 0
.LBB43_103:
	s_andn2_b64 vcc, exec, s[28:29]
	s_cbranch_vccz .LBB43_109
; %bb.104:
	s_andn2_b64 vcc, exec, s[26:27]
	s_cbranch_vccz .LBB43_110
.LBB43_105:
	s_cmp_lt_i32 s13, 1
	s_mov_b64 s[28:29], 0
	s_cbranch_scc1 .LBB43_111
.LBB43_106:
	s_cmp_gt_i32 s13, 1
	s_cbranch_scc0 .LBB43_112
; %bb.107:
	s_cmp_eq_u32 s13, 2
	s_cbranch_scc0 .LBB43_258
; %bb.108:
	s_waitcnt vmcnt(3)
	v_cmp_le_i32_e64 s[26:27], v13, v15
	s_mov_b64 s[30:31], 0
	s_branch .LBB43_114
.LBB43_109:
	s_waitcnt vmcnt(4)
	v_cmp_lt_i32_e32 vcc, v18, v20
	s_andn2_b64 s[24:25], s[24:25], exec
	s_and_b64 s[28:29], vcc, exec
	s_or_b64 s[24:25], s[24:25], s[28:29]
	s_cbranch_execnz .LBB43_105
.LBB43_110:
	s_waitcnt vmcnt(4)
	v_cmp_ge_i32_e32 vcc, v18, v20
	s_andn2_b64 s[24:25], s[24:25], exec
	s_and_b64 s[26:27], vcc, exec
	s_or_b64 s[24:25], s[24:25], s[26:27]
	s_cmp_lt_i32 s13, 1
	s_mov_b64 s[28:29], 0
	s_cbranch_scc0 .LBB43_106
.LBB43_111:
                                        ; implicit-def: $sgpr26_sgpr27
	s_mov_b64 s[30:31], 0
	s_cbranch_execnz .LBB43_115
	s_branch .LBB43_116
.LBB43_112:
	s_mov_b64 s[30:31], 0
                                        ; implicit-def: $sgpr26_sgpr27
	s_cbranch_execz .LBB43_114
; %bb.113:
	s_waitcnt vmcnt(3)
	v_cmp_gt_i32_e32 vcc, v13, v15
	s_andn2_b64 s[26:27], s[26:27], exec
	s_and_b64 s[34:35], vcc, exec
	s_or_b64 s[26:27], s[26:27], s[34:35]
.LBB43_114:
	s_branch .LBB43_116
.LBB43_115:
	s_cmp_lg_u32 s13, 0
	s_mov_b64 s[28:29], -1
	s_cselect_b64 s[30:31], -1, 0
.LBB43_116:
	s_andn2_b64 vcc, exec, s[30:31]
	s_cbranch_vccz .LBB43_122
; %bb.117:
	s_andn2_b64 vcc, exec, s[28:29]
	s_cbranch_vccz .LBB43_123
.LBB43_118:
	s_cmp_lt_i32 s13, 1
	s_mov_b64 s[30:31], 0
	s_cbranch_scc1 .LBB43_124
.LBB43_119:
	s_cmp_gt_i32 s13, 1
	s_cbranch_scc0 .LBB43_125
; %bb.120:
	s_cmp_eq_u32 s13, 2
	s_cbranch_scc0 .LBB43_259
; %bb.121:
	s_waitcnt vmcnt(3)
	v_cmp_le_i32_e64 s[28:29], v14, v16
	s_mov_b64 s[34:35], 0
	s_branch .LBB43_127
.LBB43_122:
	s_waitcnt vmcnt(3)
	v_cmp_lt_i32_e32 vcc, v13, v15
	s_andn2_b64 s[26:27], s[26:27], exec
	s_and_b64 s[30:31], vcc, exec
	s_or_b64 s[26:27], s[26:27], s[30:31]
	s_cbranch_execnz .LBB43_118
.LBB43_123:
	s_waitcnt vmcnt(3)
	v_cmp_ge_i32_e32 vcc, v13, v15
	s_andn2_b64 s[26:27], s[26:27], exec
	s_and_b64 s[28:29], vcc, exec
	s_or_b64 s[26:27], s[26:27], s[28:29]
	s_cmp_lt_i32 s13, 1
	s_mov_b64 s[30:31], 0
	s_cbranch_scc0 .LBB43_119
.LBB43_124:
                                        ; implicit-def: $sgpr28_sgpr29
	s_mov_b64 s[34:35], 0
	s_cbranch_execnz .LBB43_128
	s_branch .LBB43_129
.LBB43_125:
	s_mov_b64 s[34:35], 0
                                        ; implicit-def: $sgpr28_sgpr29
	s_cbranch_execz .LBB43_127
; %bb.126:
	s_waitcnt vmcnt(3)
	v_cmp_gt_i32_e32 vcc, v14, v16
	s_andn2_b64 s[28:29], s[28:29], exec
	s_and_b64 s[36:37], vcc, exec
	s_or_b64 s[28:29], s[28:29], s[36:37]
.LBB43_127:
	s_branch .LBB43_129
.LBB43_128:
	s_cmp_lg_u32 s13, 0
	s_mov_b64 s[30:31], -1
	s_cselect_b64 s[34:35], -1, 0
.LBB43_129:
	s_andn2_b64 vcc, exec, s[34:35]
	s_cbranch_vccz .LBB43_135
; %bb.130:
	s_andn2_b64 vcc, exec, s[30:31]
	s_cbranch_vccz .LBB43_136
.LBB43_131:
	s_cmp_lt_i32 s13, 1
	s_mov_b64 s[34:35], 0
	s_cbranch_scc1 .LBB43_137
.LBB43_132:
	s_cmp_gt_i32 s13, 1
	s_cbranch_scc0 .LBB43_138
; %bb.133:
	s_cmp_eq_u32 s13, 2
	s_cbranch_scc0 .LBB43_260
; %bb.134:
	s_waitcnt vmcnt(2)
	v_cmp_le_i32_e64 s[30:31], v9, v11
	s_mov_b64 s[36:37], 0
	s_branch .LBB43_140
.LBB43_135:
	s_waitcnt vmcnt(3)
	v_cmp_lt_i32_e32 vcc, v14, v16
	s_andn2_b64 s[28:29], s[28:29], exec
	s_and_b64 s[34:35], vcc, exec
	s_or_b64 s[28:29], s[28:29], s[34:35]
	s_cbranch_execnz .LBB43_131
.LBB43_136:
	s_waitcnt vmcnt(3)
	v_cmp_ge_i32_e32 vcc, v14, v16
	s_andn2_b64 s[28:29], s[28:29], exec
	s_and_b64 s[30:31], vcc, exec
	s_or_b64 s[28:29], s[28:29], s[30:31]
	s_cmp_lt_i32 s13, 1
	s_mov_b64 s[34:35], 0
	s_cbranch_scc0 .LBB43_132
.LBB43_137:
                                        ; implicit-def: $sgpr30_sgpr31
	s_mov_b64 s[36:37], 0
	s_cbranch_execnz .LBB43_141
	s_branch .LBB43_142
.LBB43_138:
	s_mov_b64 s[36:37], 0
                                        ; implicit-def: $sgpr30_sgpr31
	s_cbranch_execz .LBB43_140
; %bb.139:
	s_waitcnt vmcnt(2)
	v_cmp_gt_i32_e32 vcc, v9, v11
	s_andn2_b64 s[30:31], s[30:31], exec
	s_and_b64 s[38:39], vcc, exec
	s_or_b64 s[30:31], s[30:31], s[38:39]
.LBB43_140:
	s_branch .LBB43_142
.LBB43_141:
	s_cmp_lg_u32 s13, 0
	s_mov_b64 s[34:35], -1
	s_cselect_b64 s[36:37], -1, 0
.LBB43_142:
	s_andn2_b64 vcc, exec, s[36:37]
	s_cbranch_vccz .LBB43_148
; %bb.143:
	s_andn2_b64 vcc, exec, s[34:35]
	s_cbranch_vccz .LBB43_149
.LBB43_144:
	s_cmp_lt_i32 s13, 1
	s_mov_b64 s[36:37], 0
	s_cbranch_scc1 .LBB43_150
.LBB43_145:
	s_cmp_gt_i32 s13, 1
	s_cbranch_scc0 .LBB43_151
; %bb.146:
	s_cmp_eq_u32 s13, 2
	s_cbranch_scc0 .LBB43_261
; %bb.147:
	s_waitcnt vmcnt(2)
	v_cmp_le_i32_e64 s[34:35], v10, v12
	s_mov_b64 s[38:39], 0
	s_branch .LBB43_153
.LBB43_148:
	s_waitcnt vmcnt(2)
	v_cmp_lt_i32_e32 vcc, v9, v11
	s_andn2_b64 s[30:31], s[30:31], exec
	s_and_b64 s[36:37], vcc, exec
	s_or_b64 s[30:31], s[30:31], s[36:37]
	s_cbranch_execnz .LBB43_144
.LBB43_149:
	s_waitcnt vmcnt(2)
	v_cmp_ge_i32_e32 vcc, v9, v11
	s_andn2_b64 s[30:31], s[30:31], exec
	s_and_b64 s[34:35], vcc, exec
	s_or_b64 s[30:31], s[30:31], s[34:35]
	s_cmp_lt_i32 s13, 1
	s_mov_b64 s[36:37], 0
	s_cbranch_scc0 .LBB43_145
.LBB43_150:
                                        ; implicit-def: $sgpr34_sgpr35
	s_mov_b64 s[38:39], 0
	s_cbranch_execnz .LBB43_154
	s_branch .LBB43_155
.LBB43_151:
	s_mov_b64 s[38:39], 0
                                        ; implicit-def: $sgpr34_sgpr35
	s_cbranch_execz .LBB43_153
; %bb.152:
	s_waitcnt vmcnt(2)
	v_cmp_gt_i32_e32 vcc, v10, v12
	s_andn2_b64 s[34:35], s[34:35], exec
	s_and_b64 s[40:41], vcc, exec
	s_or_b64 s[34:35], s[34:35], s[40:41]
.LBB43_153:
	s_branch .LBB43_155
.LBB43_154:
	s_cmp_lg_u32 s13, 0
	s_mov_b64 s[36:37], -1
	s_cselect_b64 s[38:39], -1, 0
.LBB43_155:
	s_andn2_b64 vcc, exec, s[38:39]
	s_cbranch_vccz .LBB43_161
; %bb.156:
	s_andn2_b64 vcc, exec, s[36:37]
	s_cbranch_vccz .LBB43_162
.LBB43_157:
	s_cmp_lt_i32 s13, 1
	s_mov_b64 s[38:39], 0
	s_cbranch_scc1 .LBB43_163
.LBB43_158:
	s_cmp_gt_i32 s13, 1
	s_cbranch_scc0 .LBB43_164
; %bb.159:
	s_cmp_eq_u32 s13, 2
	s_cbranch_scc0 .LBB43_262
; %bb.160:
	s_waitcnt vmcnt(1)
	v_cmp_le_i32_e64 s[36:37], v5, v7
	s_mov_b64 s[40:41], 0
	s_branch .LBB43_166
.LBB43_161:
	s_waitcnt vmcnt(2)
	v_cmp_lt_i32_e32 vcc, v10, v12
	s_andn2_b64 s[34:35], s[34:35], exec
	s_and_b64 s[38:39], vcc, exec
	s_or_b64 s[34:35], s[34:35], s[38:39]
	s_cbranch_execnz .LBB43_157
.LBB43_162:
	s_waitcnt vmcnt(2)
	v_cmp_ge_i32_e32 vcc, v10, v12
	s_andn2_b64 s[34:35], s[34:35], exec
	s_and_b64 s[36:37], vcc, exec
	s_or_b64 s[34:35], s[34:35], s[36:37]
	s_cmp_lt_i32 s13, 1
	s_mov_b64 s[38:39], 0
	s_cbranch_scc0 .LBB43_158
.LBB43_163:
                                        ; implicit-def: $sgpr36_sgpr37
	s_mov_b64 s[40:41], 0
	s_cbranch_execnz .LBB43_167
	s_branch .LBB43_168
.LBB43_164:
	s_mov_b64 s[40:41], 0
                                        ; implicit-def: $sgpr36_sgpr37
	s_cbranch_execz .LBB43_166
; %bb.165:
	s_waitcnt vmcnt(1)
	v_cmp_gt_i32_e32 vcc, v5, v7
	s_andn2_b64 s[36:37], s[36:37], exec
	s_and_b64 s[42:43], vcc, exec
	s_or_b64 s[36:37], s[36:37], s[42:43]
.LBB43_166:
	s_branch .LBB43_168
.LBB43_167:
	s_cmp_lg_u32 s13, 0
	s_mov_b64 s[38:39], -1
	s_cselect_b64 s[40:41], -1, 0
.LBB43_168:
	s_andn2_b64 vcc, exec, s[40:41]
	s_cbranch_vccz .LBB43_174
; %bb.169:
	s_andn2_b64 vcc, exec, s[38:39]
	s_cbranch_vccz .LBB43_175
.LBB43_170:
	s_cmp_lt_i32 s13, 1
	s_mov_b64 s[40:41], 0
	s_cbranch_scc1 .LBB43_176
.LBB43_171:
	s_cmp_gt_i32 s13, 1
	s_cbranch_scc0 .LBB43_177
; %bb.172:
	s_cmp_eq_u32 s13, 2
	s_cbranch_scc0 .LBB43_263
; %bb.173:
	s_waitcnt vmcnt(1)
	v_cmp_le_i32_e64 s[38:39], v6, v8
	s_mov_b64 s[42:43], 0
	s_branch .LBB43_179
.LBB43_174:
	s_waitcnt vmcnt(1)
	v_cmp_lt_i32_e32 vcc, v5, v7
	s_andn2_b64 s[36:37], s[36:37], exec
	s_and_b64 s[40:41], vcc, exec
	s_or_b64 s[36:37], s[36:37], s[40:41]
	s_cbranch_execnz .LBB43_170
.LBB43_175:
	s_waitcnt vmcnt(1)
	v_cmp_ge_i32_e32 vcc, v5, v7
	s_andn2_b64 s[36:37], s[36:37], exec
	s_and_b64 s[38:39], vcc, exec
	s_or_b64 s[36:37], s[36:37], s[38:39]
	s_cmp_lt_i32 s13, 1
	s_mov_b64 s[40:41], 0
	s_cbranch_scc0 .LBB43_171
.LBB43_176:
                                        ; implicit-def: $sgpr38_sgpr39
	s_mov_b64 s[42:43], 0
	s_cbranch_execnz .LBB43_180
	s_branch .LBB43_181
.LBB43_177:
	s_mov_b64 s[42:43], 0
                                        ; implicit-def: $sgpr38_sgpr39
	s_cbranch_execz .LBB43_179
; %bb.178:
	s_waitcnt vmcnt(1)
	v_cmp_gt_i32_e32 vcc, v6, v8
	s_andn2_b64 s[38:39], s[38:39], exec
	s_and_b64 s[44:45], vcc, exec
	s_or_b64 s[38:39], s[38:39], s[44:45]
.LBB43_179:
	s_branch .LBB43_181
.LBB43_180:
	s_cmp_lg_u32 s13, 0
	s_mov_b64 s[40:41], -1
	s_cselect_b64 s[42:43], -1, 0
.LBB43_181:
	s_andn2_b64 vcc, exec, s[42:43]
	s_cbranch_vccz .LBB43_187
; %bb.182:
	s_andn2_b64 vcc, exec, s[40:41]
	s_cbranch_vccz .LBB43_188
.LBB43_183:
	s_cmp_lt_i32 s13, 1
	s_mov_b64 s[42:43], 0
	s_cbranch_scc1 .LBB43_189
.LBB43_184:
	s_cmp_gt_i32 s13, 1
	s_cbranch_scc0 .LBB43_190
; %bb.185:
	s_cmp_eq_u32 s13, 2
	s_cbranch_scc0 .LBB43_264
; %bb.186:
	s_waitcnt vmcnt(0)
	v_cmp_le_i32_e64 s[40:41], v1, v3
	s_mov_b64 s[44:45], 0
	s_branch .LBB43_192
.LBB43_187:
	s_waitcnt vmcnt(1)
	v_cmp_lt_i32_e32 vcc, v6, v8
	s_andn2_b64 s[38:39], s[38:39], exec
	s_and_b64 s[42:43], vcc, exec
	s_or_b64 s[38:39], s[38:39], s[42:43]
	s_cbranch_execnz .LBB43_183
.LBB43_188:
	s_waitcnt vmcnt(1)
	v_cmp_ge_i32_e32 vcc, v6, v8
	s_andn2_b64 s[38:39], s[38:39], exec
	s_and_b64 s[40:41], vcc, exec
	s_or_b64 s[38:39], s[38:39], s[40:41]
	s_cmp_lt_i32 s13, 1
	s_mov_b64 s[42:43], 0
	s_cbranch_scc0 .LBB43_184
.LBB43_189:
                                        ; implicit-def: $sgpr40_sgpr41
	s_mov_b64 s[44:45], 0
	s_cbranch_execnz .LBB43_193
	s_branch .LBB43_194
.LBB43_190:
	s_mov_b64 s[44:45], 0
                                        ; implicit-def: $sgpr40_sgpr41
	s_cbranch_execz .LBB43_192
; %bb.191:
	s_waitcnt vmcnt(0)
	v_cmp_gt_i32_e32 vcc, v1, v3
	s_andn2_b64 s[40:41], s[40:41], exec
	s_and_b64 s[46:47], vcc, exec
	s_or_b64 s[40:41], s[40:41], s[46:47]
.LBB43_192:
	s_branch .LBB43_194
.LBB43_193:
	s_cmp_lg_u32 s13, 0
	s_mov_b64 s[42:43], -1
	s_cselect_b64 s[44:45], -1, 0
.LBB43_194:
	s_andn2_b64 vcc, exec, s[44:45]
	s_cbranch_vccz .LBB43_200
; %bb.195:
	s_andn2_b64 vcc, exec, s[42:43]
	s_cbranch_vccz .LBB43_201
.LBB43_196:
	s_cmp_lt_i32 s13, 1
	s_mov_b64 s[44:45], 0
	s_cbranch_scc1 .LBB43_202
.LBB43_197:
	s_cmp_gt_i32 s13, 1
	s_cbranch_scc0 .LBB43_203
; %bb.198:
	s_cmp_eq_u32 s13, 2
	s_cbranch_scc0 .LBB43_265
; %bb.199:
	s_waitcnt vmcnt(0)
	v_cmp_le_i32_e64 s[42:43], v2, v4
	s_mov_b64 s[46:47], 0
	s_branch .LBB43_205
.LBB43_200:
	s_waitcnt vmcnt(0)
	v_cmp_lt_i32_e32 vcc, v1, v3
	s_andn2_b64 s[40:41], s[40:41], exec
	s_and_b64 s[44:45], vcc, exec
	s_or_b64 s[40:41], s[40:41], s[44:45]
	s_cbranch_execnz .LBB43_196
.LBB43_201:
	s_waitcnt vmcnt(0)
	v_cmp_ge_i32_e32 vcc, v1, v3
	s_andn2_b64 s[40:41], s[40:41], exec
	s_and_b64 s[42:43], vcc, exec
	s_or_b64 s[40:41], s[40:41], s[42:43]
	s_cmp_lt_i32 s13, 1
	s_mov_b64 s[44:45], 0
	s_cbranch_scc0 .LBB43_197
.LBB43_202:
                                        ; implicit-def: $sgpr42_sgpr43
	s_mov_b64 s[46:47], 0
	s_cbranch_execnz .LBB43_206
	s_branch .LBB43_207
.LBB43_203:
	s_mov_b64 s[46:47], 0
                                        ; implicit-def: $sgpr42_sgpr43
	s_cbranch_execz .LBB43_205
; %bb.204:
	s_waitcnt vmcnt(0)
	v_cmp_gt_i32_e32 vcc, v2, v4
	s_andn2_b64 s[42:43], s[42:43], exec
	s_and_b64 s[48:49], vcc, exec
	s_or_b64 s[42:43], s[42:43], s[48:49]
.LBB43_205:
	s_branch .LBB43_207
.LBB43_206:
	s_cmp_lg_u32 s13, 0
	s_mov_b64 s[44:45], -1
	s_cselect_b64 s[46:47], -1, 0
.LBB43_207:
	s_andn2_b64 vcc, exec, s[46:47]
	s_cbranch_vccz .LBB43_249
; %bb.208:
	s_andn2_b64 vcc, exec, s[44:45]
	s_cbranch_vccnz .LBB43_210
.LBB43_209:
	s_waitcnt vmcnt(0)
	v_cmp_ge_i32_e32 vcc, v2, v4
	s_andn2_b64 s[42:43], s[42:43], exec
	s_and_b64 s[44:45], vcc, exec
	s_or_b64 s[42:43], s[42:43], s[44:45]
.LBB43_210:
	s_waitcnt vmcnt(0)
	v_mov_b32_e32 v3, 0x100
	v_cndmask_b32_e64 v2, 0, 1, s[36:37]
	v_cndmask_b32_e64 v4, 0, v3, s[38:39]
	v_or_b32_e32 v2, v4, v2
	v_cndmask_b32_e64 v4, 0, 1, s[30:31]
	v_cndmask_b32_e64 v5, 0, v3, s[34:35]
	v_or_b32_e32 v4, v5, v4
	;; [unrolled: 3-line block ×5, first 2 shown]
	v_cndmask_b32_e64 v8, 0, 1, s[6:7]
	v_cndmask_b32_e64 v9, 0, v3, s[16:17]
	v_cndmask_b32_e64 v1, 0, 1, s[40:41]
	v_or_b32_e32 v8, v9, v8
	v_cndmask_b32_e64 v9, 0, 1, s[0:1]
	v_cndmask_b32_e64 v10, 0, v3, s[4:5]
	;; [unrolled: 1-line block ×3, first 2 shown]
	s_add_u32 s0, s8, s2
	v_or_b32_e32 v9, v10, v9
	v_or_b32_e32 v1, v3, v1
	s_addc_u32 s1, s9, s3
	v_lshlrev_b32_e32 v3, 1, v0
	global_store_short v3, v9, s[0:1]
	global_store_short v3, v8, s[0:1] offset:512
	global_store_short v3, v7, s[0:1] offset:1024
	;; [unrolled: 1-line block ×7, first 2 shown]
	s_mov_b64 s[0:1], 0
.LBB43_211:
	s_and_b64 vcc, exec, s[0:1]
	s_cbranch_vccz .LBB43_519
; %bb.212:
	v_cmp_gt_i32_e64 s[0:1], s12, v0
	v_mov_b32_e32 v3, 0
	v_or_b32_e32 v1, s2, v0
	v_mov_b32_e32 v20, 0
	v_mov_b32_e32 v21, 0
	;; [unrolled: 1-line block ×31, first 2 shown]
	s_and_saveexec_b64 s[4:5], s[0:1]
	s_cbranch_execz .LBB43_244
; %bb.213:
	v_mov_b32_e32 v2, 0
	v_lshlrev_b64 v[3:4], 2, v[1:2]
	v_mov_b32_e32 v6, s11
	v_add_co_u32_e32 v5, vcc, s10, v3
	v_addc_co_u32_e32 v6, vcc, v6, v4, vcc
	global_load_dword v36, v[5:6], off
	v_mov_b32_e32 v5, s15
	v_add_co_u32_e32 v3, vcc, s14, v3
	v_addc_co_u32_e32 v4, vcc, v5, v4, vcc
	global_load_dword v37, v[3:4], off
	v_or_b32_e32 v3, 0x100, v0
	v_cmp_gt_u32_e32 vcc, s12, v3
	v_mov_b32_e32 v35, v2
	v_mov_b32_e32 v15, v2
	;; [unrolled: 1-line block ×29, first 2 shown]
	s_and_saveexec_b64 s[6:7], vcc
	s_cbranch_execz .LBB43_243
; %bb.214:
	v_add_u32_e32 v14, s2, v0
	v_mov_b32_e32 v15, 0
	v_lshlrev_b64 v[2:3], 2, v[14:15]
	v_mov_b32_e32 v4, s11
	v_add_co_u32_e32 v16, vcc, s10, v2
	v_addc_co_u32_e32 v17, vcc, v4, v3, vcc
	v_mov_b32_e32 v4, s15
	v_add_co_u32_e32 v18, vcc, s14, v2
	v_addc_co_u32_e32 v19, vcc, v4, v3, vcc
	global_load_dword v35, v[16:17], off offset:1024
	global_load_dword v2, v[18:19], off offset:1024
	v_or_b32_e32 v3, 0x200, v0
	v_cmp_gt_u32_e32 vcc, s12, v3
	v_mov_b32_e32 v34, v15
	v_mov_b32_e32 v32, v15
	;; [unrolled: 1-line block ×27, first 2 shown]
	s_and_saveexec_b64 s[16:17], vcc
	s_cbranch_execz .LBB43_242
; %bb.215:
	global_load_dword v34, v[16:17], off offset:2048
	global_load_dword v15, v[18:19], off offset:2048
	v_or_b32_e32 v3, 0x300, v0
	v_cmp_gt_u32_e32 vcc, s12, v3
	v_mov_b32_e32 v32, 0
	v_mov_b32_e32 v33, 0
	;; [unrolled: 1-line block ×26, first 2 shown]
	s_and_saveexec_b64 s[18:19], vcc
	s_cbranch_execz .LBB43_241
; %bb.216:
	global_load_dword v33, v[16:17], off offset:3072
	global_load_dword v32, v[18:19], off offset:3072
	v_or_b32_e32 v16, 0x400, v0
	v_cmp_gt_u32_e32 vcc, s12, v16
	v_mov_b32_e32 v31, 0
	v_mov_b32_e32 v30, 0
	;; [unrolled: 1-line block ×24, first 2 shown]
	s_and_saveexec_b64 s[20:21], vcc
	s_cbranch_execz .LBB43_240
; %bb.217:
	v_or_b32_e32 v13, s2, v16
	v_mov_b32_e32 v14, 0
	v_lshlrev_b64 v[3:4], 2, v[13:14]
	v_mov_b32_e32 v6, s11
	v_add_co_u32_e32 v5, vcc, s10, v3
	v_addc_co_u32_e32 v6, vcc, v6, v4, vcc
	global_load_dword v30, v[5:6], off
	v_mov_b32_e32 v5, s15
	v_add_co_u32_e32 v3, vcc, s14, v3
	v_addc_co_u32_e32 v4, vcc, v5, v4, vcc
	global_load_dword v31, v[3:4], off
	v_or_b32_e32 v16, 0x500, v0
	v_cmp_gt_u32_e32 vcc, s12, v16
	v_mov_b32_e32 v29, v14
	v_mov_b32_e32 v13, v14
	;; [unrolled: 1-line block ×21, first 2 shown]
	s_and_saveexec_b64 s[22:23], vcc
	s_cbranch_execz .LBB43_239
; %bb.218:
	v_or_b32_e32 v12, s2, v16
	v_mov_b32_e32 v13, 0
	v_lshlrev_b64 v[3:4], 2, v[12:13]
	v_mov_b32_e32 v6, s11
	v_add_co_u32_e32 v5, vcc, s10, v3
	v_addc_co_u32_e32 v6, vcc, v6, v4, vcc
	global_load_dword v29, v[5:6], off
	v_mov_b32_e32 v5, s15
	v_add_co_u32_e32 v3, vcc, s14, v3
	v_addc_co_u32_e32 v4, vcc, v5, v4, vcc
	global_load_dword v14, v[3:4], off
	v_or_b32_e32 v16, 0x600, v0
	v_cmp_gt_u32_e32 vcc, s12, v16
	v_mov_b32_e32 v28, v13
	v_mov_b32_e32 v12, v13
	;; [unrolled: 1-line block ×19, first 2 shown]
	s_and_saveexec_b64 s[24:25], vcc
	s_cbranch_execz .LBB43_238
; %bb.219:
	v_or_b32_e32 v11, s2, v16
	v_mov_b32_e32 v12, 0
	v_lshlrev_b64 v[3:4], 2, v[11:12]
	v_mov_b32_e32 v6, s11
	v_add_co_u32_e32 v5, vcc, s10, v3
	v_addc_co_u32_e32 v6, vcc, v6, v4, vcc
	global_load_dword v28, v[5:6], off
	v_mov_b32_e32 v5, s15
	v_add_co_u32_e32 v3, vcc, s14, v3
	v_addc_co_u32_e32 v4, vcc, v5, v4, vcc
	global_load_dword v13, v[3:4], off
	v_or_b32_e32 v16, 0x700, v0
	v_cmp_gt_u32_e32 vcc, s12, v16
	v_mov_b32_e32 v27, v12
	v_mov_b32_e32 v11, v12
	;; [unrolled: 1-line block ×17, first 2 shown]
	s_and_saveexec_b64 s[26:27], vcc
	s_cbranch_execz .LBB43_237
; %bb.220:
	v_or_b32_e32 v10, s2, v16
	v_mov_b32_e32 v11, 0
	v_lshlrev_b64 v[3:4], 2, v[10:11]
	v_mov_b32_e32 v6, s11
	v_add_co_u32_e32 v5, vcc, s10, v3
	v_addc_co_u32_e32 v6, vcc, v6, v4, vcc
	global_load_dword v27, v[5:6], off
	v_mov_b32_e32 v5, s15
	v_add_co_u32_e32 v3, vcc, s14, v3
	v_addc_co_u32_e32 v4, vcc, v5, v4, vcc
	global_load_dword v12, v[3:4], off
	v_or_b32_e32 v16, 0x800, v0
	v_cmp_gt_u32_e32 vcc, s12, v16
	v_mov_b32_e32 v26, v11
	v_mov_b32_e32 v10, v11
	;; [unrolled: 1-line block ×15, first 2 shown]
	s_and_saveexec_b64 s[28:29], vcc
	s_cbranch_execz .LBB43_236
; %bb.221:
	v_or_b32_e32 v9, s2, v16
	v_mov_b32_e32 v10, 0
	v_lshlrev_b64 v[3:4], 2, v[9:10]
	v_mov_b32_e32 v6, s11
	v_add_co_u32_e32 v5, vcc, s10, v3
	v_addc_co_u32_e32 v6, vcc, v6, v4, vcc
	global_load_dword v26, v[5:6], off
	v_mov_b32_e32 v5, s15
	v_add_co_u32_e32 v3, vcc, s14, v3
	v_addc_co_u32_e32 v4, vcc, v5, v4, vcc
	global_load_dword v11, v[3:4], off
	v_or_b32_e32 v16, 0x900, v0
	v_cmp_gt_u32_e32 vcc, s12, v16
	v_mov_b32_e32 v25, v10
	v_mov_b32_e32 v9, v10
	v_mov_b32_e32 v24, v10
	v_mov_b32_e32 v8, v10
	v_mov_b32_e32 v23, v10
	v_mov_b32_e32 v7, v10
	v_mov_b32_e32 v22, v10
	v_mov_b32_e32 v6, v10
	v_mov_b32_e32 v21, v10
	v_mov_b32_e32 v5, v10
	v_mov_b32_e32 v20, v10
	v_mov_b32_e32 v4, v10
	v_mov_b32_e32 v3, v10
	s_and_saveexec_b64 s[30:31], vcc
	s_cbranch_execz .LBB43_235
; %bb.222:
	v_or_b32_e32 v8, s2, v16
	v_mov_b32_e32 v9, 0
	v_lshlrev_b64 v[3:4], 2, v[8:9]
	v_mov_b32_e32 v6, s11
	v_add_co_u32_e32 v5, vcc, s10, v3
	v_addc_co_u32_e32 v6, vcc, v6, v4, vcc
	global_load_dword v25, v[5:6], off
	v_mov_b32_e32 v5, s15
	v_add_co_u32_e32 v3, vcc, s14, v3
	v_addc_co_u32_e32 v4, vcc, v5, v4, vcc
	global_load_dword v10, v[3:4], off
	v_or_b32_e32 v16, 0xa00, v0
	v_cmp_gt_u32_e32 vcc, s12, v16
	v_mov_b32_e32 v24, v9
	v_mov_b32_e32 v8, v9
	;; [unrolled: 1-line block ×11, first 2 shown]
	s_and_saveexec_b64 s[34:35], vcc
	s_cbranch_execz .LBB43_234
; %bb.223:
	v_or_b32_e32 v7, s2, v16
	v_mov_b32_e32 v8, 0
	v_lshlrev_b64 v[3:4], 2, v[7:8]
	v_mov_b32_e32 v6, s11
	v_add_co_u32_e32 v5, vcc, s10, v3
	v_addc_co_u32_e32 v6, vcc, v6, v4, vcc
	global_load_dword v24, v[5:6], off
	v_mov_b32_e32 v5, s15
	v_add_co_u32_e32 v3, vcc, s14, v3
	v_addc_co_u32_e32 v4, vcc, v5, v4, vcc
	global_load_dword v9, v[3:4], off
	v_or_b32_e32 v16, 0xb00, v0
	v_cmp_gt_u32_e32 vcc, s12, v16
	v_mov_b32_e32 v23, v8
	v_mov_b32_e32 v7, v8
	;; [unrolled: 1-line block ×9, first 2 shown]
	s_and_saveexec_b64 s[36:37], vcc
	s_cbranch_execz .LBB43_233
; %bb.224:
	v_or_b32_e32 v6, s2, v16
	v_mov_b32_e32 v7, 0
	v_lshlrev_b64 v[3:4], 2, v[6:7]
	v_mov_b32_e32 v6, s11
	v_add_co_u32_e32 v5, vcc, s10, v3
	v_addc_co_u32_e32 v6, vcc, v6, v4, vcc
	global_load_dword v23, v[5:6], off
	v_mov_b32_e32 v5, s15
	v_add_co_u32_e32 v3, vcc, s14, v3
	v_addc_co_u32_e32 v4, vcc, v5, v4, vcc
	global_load_dword v8, v[3:4], off
	v_or_b32_e32 v16, 0xc00, v0
	v_cmp_gt_u32_e32 vcc, s12, v16
	v_mov_b32_e32 v22, v7
	v_mov_b32_e32 v6, v7
	;; [unrolled: 1-line block ×7, first 2 shown]
	s_and_saveexec_b64 s[38:39], vcc
	s_cbranch_execz .LBB43_232
; %bb.225:
	v_or_b32_e32 v5, s2, v16
	v_mov_b32_e32 v6, 0
	v_lshlrev_b64 v[3:4], 2, v[5:6]
	v_mov_b32_e32 v5, s11
	v_add_co_u32_e32 v16, vcc, s10, v3
	v_addc_co_u32_e32 v17, vcc, v5, v4, vcc
	v_mov_b32_e32 v5, s15
	v_add_co_u32_e32 v3, vcc, s14, v3
	v_addc_co_u32_e32 v4, vcc, v5, v4, vcc
	global_load_dword v22, v[16:17], off
	global_load_dword v7, v[3:4], off
	v_or_b32_e32 v16, 0xd00, v0
	v_cmp_gt_u32_e32 vcc, s12, v16
	v_mov_b32_e32 v21, v6
	v_mov_b32_e32 v5, v6
	;; [unrolled: 1-line block ×5, first 2 shown]
	s_and_saveexec_b64 s[40:41], vcc
	s_cbranch_execz .LBB43_231
; %bb.226:
	v_add_u32_e32 v4, s2, v16
	v_mov_b32_e32 v5, 0
	v_lshlrev_b64 v[3:4], 2, v[4:5]
	v_mov_b32_e32 v6, s11
	v_add_co_u32_e32 v16, vcc, s10, v3
	v_addc_co_u32_e32 v17, vcc, v6, v4, vcc
	v_mov_b32_e32 v6, s15
	v_add_co_u32_e32 v3, vcc, s14, v3
	v_addc_co_u32_e32 v4, vcc, v6, v4, vcc
	global_load_dword v21, v[16:17], off
	global_load_dword v6, v[3:4], off
	v_or_b32_e32 v16, 0xe00, v0
	v_cmp_gt_u32_e32 vcc, s12, v16
	v_mov_b32_e32 v20, v5
	v_mov_b32_e32 v4, v5
	v_mov_b32_e32 v3, v5
	s_and_saveexec_b64 s[42:43], vcc
	s_cbranch_execz .LBB43_230
; %bb.227:
	v_add_u32_e32 v3, s2, v16
	v_mov_b32_e32 v4, 0
	v_lshlrev_b64 v[16:17], 2, v[3:4]
	v_mov_b32_e32 v3, s11
	v_add_co_u32_e32 v18, vcc, s10, v16
	v_addc_co_u32_e32 v19, vcc, v3, v17, vcc
	v_mov_b32_e32 v3, s15
	v_add_co_u32_e32 v16, vcc, s14, v16
	v_addc_co_u32_e32 v17, vcc, v3, v17, vcc
	global_load_dword v20, v[18:19], off
	global_load_dword v5, v[16:17], off
	v_or_b32_e32 v16, 0xf00, v0
	v_cmp_gt_u32_e32 vcc, s12, v16
	v_mov_b32_e32 v3, v4
	s_and_saveexec_b64 s[44:45], vcc
	s_cbranch_execz .LBB43_229
; %bb.228:
	v_add_u32_e32 v3, s2, v16
	v_mov_b32_e32 v4, 0
	v_lshlrev_b64 v[3:4], 2, v[3:4]
	v_mov_b32_e32 v17, s15
	v_add_co_u32_e32 v16, vcc, s14, v3
	v_addc_co_u32_e32 v17, vcc, v17, v4, vcc
	v_mov_b32_e32 v19, s11
	v_add_co_u32_e32 v18, vcc, s10, v3
	v_addc_co_u32_e32 v19, vcc, v19, v4, vcc
	global_load_dword v3, v[18:19], off
	global_load_dword v4, v[16:17], off
.LBB43_229:
	s_or_b64 exec, exec, s[44:45]
.LBB43_230:
	s_or_b64 exec, exec, s[42:43]
.LBB43_231:
	s_or_b64 exec, exec, s[40:41]
.LBB43_232:
	s_or_b64 exec, exec, s[38:39]
.LBB43_233:
	s_or_b64 exec, exec, s[36:37]
.LBB43_234:
	s_or_b64 exec, exec, s[34:35]
.LBB43_235:
	s_or_b64 exec, exec, s[30:31]
.LBB43_236:
	s_or_b64 exec, exec, s[28:29]
.LBB43_237:
	s_or_b64 exec, exec, s[26:27]
.LBB43_238:
	s_or_b64 exec, exec, s[24:25]
.LBB43_239:
	s_or_b64 exec, exec, s[22:23]
.LBB43_240:
	s_or_b64 exec, exec, s[20:21]
.LBB43_241:
	s_or_b64 exec, exec, s[18:19]
.LBB43_242:
	s_or_b64 exec, exec, s[16:17]
.LBB43_243:
	s_or_b64 exec, exec, s[6:7]
.LBB43_244:
	s_or_b64 exec, exec, s[4:5]
                                        ; implicit-def: $vgpr16
	s_and_saveexec_b64 s[4:5], s[0:1]
	s_cbranch_execz .LBB43_276
; %bb.245:
	s_cmp_lt_i32 s13, 1
	s_mov_b64 s[6:7], 0
	s_cbranch_scc1 .LBB43_250
; %bb.246:
	s_cmp_gt_i32 s13, 1
	s_cbranch_scc0 .LBB43_266
; %bb.247:
	s_cmp_eq_u32 s13, 2
	s_cbranch_scc0 .LBB43_267
; %bb.248:
	s_waitcnt vmcnt(0)
	v_cmp_le_i32_e64 s[10:11], v36, v37
	s_mov_b64 s[14:15], 0
	s_branch .LBB43_268
.LBB43_249:
	s_waitcnt vmcnt(0)
	v_cmp_lt_i32_e32 vcc, v2, v4
	s_andn2_b64 s[42:43], s[42:43], exec
	s_and_b64 s[46:47], vcc, exec
	s_or_b64 s[42:43], s[42:43], s[46:47]
	s_cbranch_execz .LBB43_209
	s_branch .LBB43_210
.LBB43_250:
                                        ; implicit-def: $sgpr10_sgpr11
	s_mov_b64 s[14:15], 0
	s_cbranch_execnz .LBB43_271
	s_branch .LBB43_272
.LBB43_251:
	s_mov_b64 s[16:17], -1
                                        ; implicit-def: $sgpr4_sgpr5
	s_branch .LBB43_23
.LBB43_252:
	s_mov_b64 s[18:19], -1
                                        ; implicit-def: $sgpr6_sgpr7
	s_branch .LBB43_36
.LBB43_253:
	s_mov_b64 s[20:21], -1
                                        ; implicit-def: $sgpr16_sgpr17
	s_branch .LBB43_49
.LBB43_254:
	s_mov_b64 s[22:23], -1
                                        ; implicit-def: $sgpr18_sgpr19
	s_branch .LBB43_62
.LBB43_255:
	s_mov_b64 s[24:25], -1
                                        ; implicit-def: $sgpr20_sgpr21
	s_branch .LBB43_75
.LBB43_256:
	s_mov_b64 s[26:27], -1
                                        ; implicit-def: $sgpr22_sgpr23
	s_branch .LBB43_88
.LBB43_257:
	s_mov_b64 s[28:29], -1
                                        ; implicit-def: $sgpr24_sgpr25
	s_branch .LBB43_101
.LBB43_258:
	s_mov_b64 s[30:31], -1
                                        ; implicit-def: $sgpr26_sgpr27
	s_branch .LBB43_114
.LBB43_259:
	s_mov_b64 s[34:35], -1
                                        ; implicit-def: $sgpr28_sgpr29
	s_branch .LBB43_127
.LBB43_260:
	s_mov_b64 s[36:37], -1
                                        ; implicit-def: $sgpr30_sgpr31
	s_branch .LBB43_140
.LBB43_261:
	s_mov_b64 s[38:39], -1
                                        ; implicit-def: $sgpr34_sgpr35
	s_branch .LBB43_153
.LBB43_262:
	s_mov_b64 s[40:41], -1
                                        ; implicit-def: $sgpr36_sgpr37
	s_branch .LBB43_166
.LBB43_263:
	s_mov_b64 s[42:43], -1
                                        ; implicit-def: $sgpr38_sgpr39
	s_branch .LBB43_179
.LBB43_264:
	s_mov_b64 s[44:45], -1
                                        ; implicit-def: $sgpr40_sgpr41
	s_branch .LBB43_192
.LBB43_265:
	s_mov_b64 s[46:47], -1
                                        ; implicit-def: $sgpr42_sgpr43
	s_branch .LBB43_205
.LBB43_266:
	s_mov_b64 s[14:15], 0
                                        ; implicit-def: $sgpr10_sgpr11
	s_cbranch_execnz .LBB43_269
	s_branch .LBB43_270
.LBB43_267:
	s_mov_b64 s[14:15], -1
                                        ; implicit-def: $sgpr10_sgpr11
.LBB43_268:
	s_branch .LBB43_270
.LBB43_269:
	s_waitcnt vmcnt(0)
	v_cmp_gt_i32_e32 vcc, v36, v37
	s_andn2_b64 s[10:11], s[10:11], exec
	s_and_b64 s[16:17], vcc, exec
	s_or_b64 s[10:11], s[10:11], s[16:17]
.LBB43_270:
	s_branch .LBB43_272
.LBB43_271:
	s_cmp_lg_u32 s13, 0
	s_mov_b64 s[6:7], -1
	s_cselect_b64 s[14:15], -1, 0
.LBB43_272:
	s_andn2_b64 vcc, exec, s[14:15]
	s_cbranch_vccz .LBB43_281
; %bb.273:
	s_andn2_b64 vcc, exec, s[6:7]
	s_cbranch_vccnz .LBB43_275
.LBB43_274:
	s_waitcnt vmcnt(0)
	v_cmp_ge_i32_e32 vcc, v36, v37
	s_andn2_b64 s[6:7], s[10:11], exec
	s_and_b64 s[10:11], vcc, exec
	s_or_b64 s[10:11], s[6:7], s[10:11]
.LBB43_275:
	v_cndmask_b32_e64 v16, 0, 1, s[10:11]
.LBB43_276:
	s_or_b64 exec, exec, s[4:5]
	v_or_b32_e32 v17, 0x100, v0
	v_cmp_gt_i32_e32 vcc, s12, v17
                                        ; implicit-def: $vgpr18
	s_and_saveexec_b64 s[4:5], vcc
	s_cbranch_execz .LBB43_291
; %bb.277:
	s_cmp_lt_i32 s13, 1
	s_mov_b64 s[6:7], 0
	s_cbranch_scc1 .LBB43_282
; %bb.278:
	s_cmp_gt_i32 s13, 1
	s_cbranch_scc0 .LBB43_283
; %bb.279:
	s_cmp_eq_u32 s13, 2
	s_cbranch_scc0 .LBB43_535
; %bb.280:
	s_waitcnt vmcnt(0)
	v_cmp_le_i32_e64 s[10:11], v35, v2
	s_mov_b64 s[14:15], 0
	s_branch .LBB43_285
.LBB43_281:
	s_waitcnt vmcnt(0)
	v_cmp_lt_i32_e32 vcc, v36, v37
	s_andn2_b64 s[10:11], s[10:11], exec
	s_and_b64 s[14:15], vcc, exec
	s_or_b64 s[10:11], s[10:11], s[14:15]
	s_cbranch_execz .LBB43_274
	s_branch .LBB43_275
.LBB43_282:
                                        ; implicit-def: $sgpr10_sgpr11
	s_mov_b64 s[14:15], 0
	s_cbranch_execnz .LBB43_286
	s_branch .LBB43_287
.LBB43_283:
	s_mov_b64 s[14:15], 0
                                        ; implicit-def: $sgpr10_sgpr11
	s_cbranch_execz .LBB43_285
; %bb.284:
	s_waitcnt vmcnt(0)
	v_cmp_gt_i32_e32 vcc, v35, v2
	s_andn2_b64 s[10:11], s[10:11], exec
	s_and_b64 s[16:17], vcc, exec
	s_or_b64 s[10:11], s[10:11], s[16:17]
.LBB43_285:
	s_branch .LBB43_287
.LBB43_286:
	s_cmp_lg_u32 s13, 0
	s_mov_b64 s[6:7], -1
	s_cselect_b64 s[14:15], -1, 0
.LBB43_287:
	s_andn2_b64 vcc, exec, s[14:15]
	s_cbranch_vccz .LBB43_296
; %bb.288:
	s_andn2_b64 vcc, exec, s[6:7]
	s_cbranch_vccnz .LBB43_290
.LBB43_289:
	s_waitcnt vmcnt(0)
	v_cmp_ge_i32_e32 vcc, v35, v2
	s_andn2_b64 s[6:7], s[10:11], exec
	s_and_b64 s[10:11], vcc, exec
	s_or_b64 s[10:11], s[6:7], s[10:11]
.LBB43_290:
	v_cndmask_b32_e64 v18, 0, 1, s[10:11]
.LBB43_291:
	s_or_b64 exec, exec, s[4:5]
	s_waitcnt vmcnt(0)
	v_or_b32_e32 v2, 0x200, v0
	v_cmp_gt_i32_e32 vcc, s12, v2
                                        ; implicit-def: $vgpr2
	s_and_saveexec_b64 s[4:5], vcc
	s_cbranch_execz .LBB43_306
; %bb.292:
	s_cmp_lt_i32 s13, 1
	s_mov_b64 s[6:7], 0
	s_cbranch_scc1 .LBB43_297
; %bb.293:
	s_cmp_gt_i32 s13, 1
	s_cbranch_scc0 .LBB43_298
; %bb.294:
	s_cmp_eq_u32 s13, 2
	s_cbranch_scc0 .LBB43_536
; %bb.295:
	v_cmp_le_i32_e64 s[10:11], v34, v15
	s_mov_b64 s[14:15], 0
	s_branch .LBB43_300
.LBB43_296:
	s_waitcnt vmcnt(0)
	v_cmp_lt_i32_e32 vcc, v35, v2
	s_andn2_b64 s[10:11], s[10:11], exec
	s_and_b64 s[14:15], vcc, exec
	s_or_b64 s[10:11], s[10:11], s[14:15]
	s_cbranch_execz .LBB43_289
	s_branch .LBB43_290
.LBB43_297:
                                        ; implicit-def: $sgpr10_sgpr11
	s_mov_b64 s[14:15], 0
	s_cbranch_execnz .LBB43_301
	s_branch .LBB43_302
.LBB43_298:
	s_mov_b64 s[14:15], 0
                                        ; implicit-def: $sgpr10_sgpr11
	s_cbranch_execz .LBB43_300
; %bb.299:
	v_cmp_gt_i32_e32 vcc, v34, v15
	s_andn2_b64 s[10:11], s[10:11], exec
	s_and_b64 s[16:17], vcc, exec
	s_or_b64 s[10:11], s[10:11], s[16:17]
.LBB43_300:
	s_branch .LBB43_302
.LBB43_301:
	s_cmp_lg_u32 s13, 0
	s_mov_b64 s[6:7], -1
	s_cselect_b64 s[14:15], -1, 0
.LBB43_302:
	s_andn2_b64 vcc, exec, s[14:15]
	s_cbranch_vccz .LBB43_311
; %bb.303:
	s_andn2_b64 vcc, exec, s[6:7]
	s_cbranch_vccnz .LBB43_305
.LBB43_304:
	v_cmp_ge_i32_e32 vcc, v34, v15
	s_andn2_b64 s[6:7], s[10:11], exec
	s_and_b64 s[10:11], vcc, exec
	s_or_b64 s[10:11], s[6:7], s[10:11]
.LBB43_305:
	v_cndmask_b32_e64 v2, 0, 1, s[10:11]
.LBB43_306:
	s_or_b64 exec, exec, s[4:5]
	v_or_b32_e32 v15, 0x300, v0
	v_cmp_gt_i32_e32 vcc, s12, v15
                                        ; implicit-def: $vgpr15
	s_and_saveexec_b64 s[4:5], vcc
	s_cbranch_execz .LBB43_321
; %bb.307:
	s_cmp_lt_i32 s13, 1
	s_mov_b64 s[6:7], 0
	s_cbranch_scc1 .LBB43_312
; %bb.308:
	s_cmp_gt_i32 s13, 1
	s_cbranch_scc0 .LBB43_313
; %bb.309:
	s_cmp_eq_u32 s13, 2
	s_cbranch_scc0 .LBB43_537
; %bb.310:
	v_cmp_le_i32_e64 s[10:11], v33, v32
	s_mov_b64 s[14:15], 0
	s_branch .LBB43_315
.LBB43_311:
	v_cmp_lt_i32_e32 vcc, v34, v15
	s_andn2_b64 s[10:11], s[10:11], exec
	s_and_b64 s[14:15], vcc, exec
	s_or_b64 s[10:11], s[10:11], s[14:15]
	s_cbranch_execz .LBB43_304
	s_branch .LBB43_305
.LBB43_312:
                                        ; implicit-def: $sgpr10_sgpr11
	s_mov_b64 s[14:15], 0
	s_cbranch_execnz .LBB43_316
	s_branch .LBB43_317
.LBB43_313:
	s_mov_b64 s[14:15], 0
                                        ; implicit-def: $sgpr10_sgpr11
	s_cbranch_execz .LBB43_315
; %bb.314:
	v_cmp_gt_i32_e32 vcc, v33, v32
	s_andn2_b64 s[10:11], s[10:11], exec
	s_and_b64 s[16:17], vcc, exec
	s_or_b64 s[10:11], s[10:11], s[16:17]
.LBB43_315:
	s_branch .LBB43_317
.LBB43_316:
	s_cmp_lg_u32 s13, 0
	s_mov_b64 s[6:7], -1
	s_cselect_b64 s[14:15], -1, 0
.LBB43_317:
	s_andn2_b64 vcc, exec, s[14:15]
	s_cbranch_vccz .LBB43_326
; %bb.318:
	s_andn2_b64 vcc, exec, s[6:7]
	s_cbranch_vccnz .LBB43_320
.LBB43_319:
	v_cmp_ge_i32_e32 vcc, v33, v32
	s_andn2_b64 s[6:7], s[10:11], exec
	s_and_b64 s[10:11], vcc, exec
	s_or_b64 s[10:11], s[6:7], s[10:11]
.LBB43_320:
	v_cndmask_b32_e64 v15, 0, 1, s[10:11]
.LBB43_321:
	s_or_b64 exec, exec, s[4:5]
	v_or_b32_e32 v19, 0x400, v0
	v_cmp_gt_i32_e32 vcc, s12, v19
                                        ; implicit-def: $vgpr19
	s_and_saveexec_b64 s[4:5], vcc
	s_cbranch_execz .LBB43_336
; %bb.322:
	s_cmp_lt_i32 s13, 1
	s_mov_b64 s[6:7], 0
	s_cbranch_scc1 .LBB43_327
; %bb.323:
	s_cmp_gt_i32 s13, 1
	s_cbranch_scc0 .LBB43_328
; %bb.324:
	s_cmp_eq_u32 s13, 2
	s_cbranch_scc0 .LBB43_538
; %bb.325:
	v_cmp_le_i32_e64 s[10:11], v30, v31
	s_mov_b64 s[14:15], 0
	s_branch .LBB43_330
.LBB43_326:
	v_cmp_lt_i32_e32 vcc, v33, v32
	s_andn2_b64 s[10:11], s[10:11], exec
	s_and_b64 s[14:15], vcc, exec
	s_or_b64 s[10:11], s[10:11], s[14:15]
	s_cbranch_execz .LBB43_319
	s_branch .LBB43_320
.LBB43_327:
                                        ; implicit-def: $sgpr10_sgpr11
	s_mov_b64 s[14:15], 0
	s_cbranch_execnz .LBB43_331
	s_branch .LBB43_332
.LBB43_328:
	s_mov_b64 s[14:15], 0
                                        ; implicit-def: $sgpr10_sgpr11
	s_cbranch_execz .LBB43_330
; %bb.329:
	v_cmp_gt_i32_e32 vcc, v30, v31
	s_andn2_b64 s[10:11], s[10:11], exec
	s_and_b64 s[16:17], vcc, exec
	s_or_b64 s[10:11], s[10:11], s[16:17]
.LBB43_330:
	s_branch .LBB43_332
.LBB43_331:
	s_cmp_lg_u32 s13, 0
	s_mov_b64 s[6:7], -1
	s_cselect_b64 s[14:15], -1, 0
.LBB43_332:
	s_andn2_b64 vcc, exec, s[14:15]
	s_cbranch_vccz .LBB43_341
; %bb.333:
	s_andn2_b64 vcc, exec, s[6:7]
	s_cbranch_vccnz .LBB43_335
.LBB43_334:
	v_cmp_ge_i32_e32 vcc, v30, v31
	s_andn2_b64 s[6:7], s[10:11], exec
	s_and_b64 s[10:11], vcc, exec
	s_or_b64 s[10:11], s[6:7], s[10:11]
.LBB43_335:
	v_cndmask_b32_e64 v19, 0, 1, s[10:11]
.LBB43_336:
	s_or_b64 exec, exec, s[4:5]
	v_or_b32_e32 v30, 0x500, v0
	v_cmp_gt_i32_e32 vcc, s12, v30
                                        ; implicit-def: $vgpr30
	s_and_saveexec_b64 s[4:5], vcc
	s_cbranch_execz .LBB43_351
; %bb.337:
	s_cmp_lt_i32 s13, 1
	s_mov_b64 s[6:7], 0
	s_cbranch_scc1 .LBB43_342
; %bb.338:
	s_cmp_gt_i32 s13, 1
	s_cbranch_scc0 .LBB43_343
; %bb.339:
	s_cmp_eq_u32 s13, 2
	s_cbranch_scc0 .LBB43_539
; %bb.340:
	v_cmp_le_i32_e64 s[10:11], v29, v14
	s_mov_b64 s[14:15], 0
	s_branch .LBB43_345
.LBB43_341:
	v_cmp_lt_i32_e32 vcc, v30, v31
	s_andn2_b64 s[10:11], s[10:11], exec
	s_and_b64 s[14:15], vcc, exec
	s_or_b64 s[10:11], s[10:11], s[14:15]
	s_cbranch_execz .LBB43_334
	s_branch .LBB43_335
.LBB43_342:
                                        ; implicit-def: $sgpr10_sgpr11
	s_mov_b64 s[14:15], 0
	s_cbranch_execnz .LBB43_346
	s_branch .LBB43_347
.LBB43_343:
	s_mov_b64 s[14:15], 0
                                        ; implicit-def: $sgpr10_sgpr11
	s_cbranch_execz .LBB43_345
; %bb.344:
	v_cmp_gt_i32_e32 vcc, v29, v14
	s_andn2_b64 s[10:11], s[10:11], exec
	s_and_b64 s[16:17], vcc, exec
	s_or_b64 s[10:11], s[10:11], s[16:17]
.LBB43_345:
	s_branch .LBB43_347
.LBB43_346:
	s_cmp_lg_u32 s13, 0
	s_mov_b64 s[6:7], -1
	s_cselect_b64 s[14:15], -1, 0
.LBB43_347:
	s_andn2_b64 vcc, exec, s[14:15]
	s_cbranch_vccz .LBB43_356
; %bb.348:
	s_andn2_b64 vcc, exec, s[6:7]
	s_cbranch_vccnz .LBB43_350
.LBB43_349:
	v_cmp_ge_i32_e32 vcc, v29, v14
	s_andn2_b64 s[6:7], s[10:11], exec
	s_and_b64 s[10:11], vcc, exec
	s_or_b64 s[10:11], s[6:7], s[10:11]
.LBB43_350:
	v_cndmask_b32_e64 v30, 0, 1, s[10:11]
.LBB43_351:
	s_or_b64 exec, exec, s[4:5]
	v_or_b32_e32 v14, 0x600, v0
	v_cmp_gt_i32_e32 vcc, s12, v14
                                        ; implicit-def: $vgpr14
	s_and_saveexec_b64 s[4:5], vcc
	s_cbranch_execz .LBB43_366
; %bb.352:
	s_cmp_lt_i32 s13, 1
	s_mov_b64 s[6:7], 0
	s_cbranch_scc1 .LBB43_357
; %bb.353:
	s_cmp_gt_i32 s13, 1
	s_cbranch_scc0 .LBB43_358
; %bb.354:
	s_cmp_eq_u32 s13, 2
	s_cbranch_scc0 .LBB43_540
; %bb.355:
	v_cmp_le_i32_e64 s[10:11], v28, v13
	s_mov_b64 s[14:15], 0
	s_branch .LBB43_360
.LBB43_356:
	v_cmp_lt_i32_e32 vcc, v29, v14
	s_andn2_b64 s[10:11], s[10:11], exec
	s_and_b64 s[14:15], vcc, exec
	s_or_b64 s[10:11], s[10:11], s[14:15]
	s_cbranch_execz .LBB43_349
	s_branch .LBB43_350
.LBB43_357:
                                        ; implicit-def: $sgpr10_sgpr11
	s_mov_b64 s[14:15], 0
	s_cbranch_execnz .LBB43_361
	s_branch .LBB43_362
.LBB43_358:
	s_mov_b64 s[14:15], 0
                                        ; implicit-def: $sgpr10_sgpr11
	s_cbranch_execz .LBB43_360
; %bb.359:
	v_cmp_gt_i32_e32 vcc, v28, v13
	s_andn2_b64 s[10:11], s[10:11], exec
	s_and_b64 s[16:17], vcc, exec
	s_or_b64 s[10:11], s[10:11], s[16:17]
.LBB43_360:
	s_branch .LBB43_362
.LBB43_361:
	s_cmp_lg_u32 s13, 0
	s_mov_b64 s[6:7], -1
	s_cselect_b64 s[14:15], -1, 0
.LBB43_362:
	s_andn2_b64 vcc, exec, s[14:15]
	s_cbranch_vccz .LBB43_371
; %bb.363:
	s_andn2_b64 vcc, exec, s[6:7]
	s_cbranch_vccnz .LBB43_365
.LBB43_364:
	v_cmp_ge_i32_e32 vcc, v28, v13
	s_andn2_b64 s[6:7], s[10:11], exec
	s_and_b64 s[10:11], vcc, exec
	s_or_b64 s[10:11], s[6:7], s[10:11]
.LBB43_365:
	v_cndmask_b32_e64 v14, 0, 1, s[10:11]
.LBB43_366:
	s_or_b64 exec, exec, s[4:5]
	v_or_b32_e32 v13, 0x700, v0
	v_cmp_gt_i32_e32 vcc, s12, v13
                                        ; implicit-def: $vgpr13
	s_and_saveexec_b64 s[4:5], vcc
	s_cbranch_execz .LBB43_381
; %bb.367:
	s_cmp_lt_i32 s13, 1
	s_mov_b64 s[6:7], 0
	s_cbranch_scc1 .LBB43_372
; %bb.368:
	s_cmp_gt_i32 s13, 1
	s_cbranch_scc0 .LBB43_373
; %bb.369:
	s_cmp_eq_u32 s13, 2
	s_cbranch_scc0 .LBB43_541
; %bb.370:
	v_cmp_le_i32_e64 s[10:11], v27, v12
	s_mov_b64 s[14:15], 0
	s_branch .LBB43_375
.LBB43_371:
	v_cmp_lt_i32_e32 vcc, v28, v13
	s_andn2_b64 s[10:11], s[10:11], exec
	s_and_b64 s[14:15], vcc, exec
	s_or_b64 s[10:11], s[10:11], s[14:15]
	s_cbranch_execz .LBB43_364
	s_branch .LBB43_365
.LBB43_372:
                                        ; implicit-def: $sgpr10_sgpr11
	s_mov_b64 s[14:15], 0
	s_cbranch_execnz .LBB43_376
	s_branch .LBB43_377
.LBB43_373:
	s_mov_b64 s[14:15], 0
                                        ; implicit-def: $sgpr10_sgpr11
	s_cbranch_execz .LBB43_375
; %bb.374:
	v_cmp_gt_i32_e32 vcc, v27, v12
	s_andn2_b64 s[10:11], s[10:11], exec
	s_and_b64 s[16:17], vcc, exec
	s_or_b64 s[10:11], s[10:11], s[16:17]
.LBB43_375:
	s_branch .LBB43_377
.LBB43_376:
	s_cmp_lg_u32 s13, 0
	s_mov_b64 s[6:7], -1
	s_cselect_b64 s[14:15], -1, 0
.LBB43_377:
	s_andn2_b64 vcc, exec, s[14:15]
	s_cbranch_vccz .LBB43_386
; %bb.378:
	s_andn2_b64 vcc, exec, s[6:7]
	s_cbranch_vccnz .LBB43_380
.LBB43_379:
	v_cmp_ge_i32_e32 vcc, v27, v12
	s_andn2_b64 s[6:7], s[10:11], exec
	s_and_b64 s[10:11], vcc, exec
	s_or_b64 s[10:11], s[6:7], s[10:11]
.LBB43_380:
	v_cndmask_b32_e64 v13, 0, 1, s[10:11]
.LBB43_381:
	s_or_b64 exec, exec, s[4:5]
	v_or_b32_e32 v12, 0x800, v0
	v_cmp_gt_i32_e32 vcc, s12, v12
                                        ; implicit-def: $vgpr12
	s_and_saveexec_b64 s[4:5], vcc
	s_cbranch_execz .LBB43_396
; %bb.382:
	s_cmp_lt_i32 s13, 1
	s_mov_b64 s[6:7], 0
	s_cbranch_scc1 .LBB43_387
; %bb.383:
	s_cmp_gt_i32 s13, 1
	s_cbranch_scc0 .LBB43_388
; %bb.384:
	s_cmp_eq_u32 s13, 2
	s_cbranch_scc0 .LBB43_542
; %bb.385:
	v_cmp_le_i32_e64 s[10:11], v26, v11
	s_mov_b64 s[14:15], 0
	s_branch .LBB43_390
.LBB43_386:
	v_cmp_lt_i32_e32 vcc, v27, v12
	s_andn2_b64 s[10:11], s[10:11], exec
	s_and_b64 s[14:15], vcc, exec
	s_or_b64 s[10:11], s[10:11], s[14:15]
	s_cbranch_execz .LBB43_379
	s_branch .LBB43_380
.LBB43_387:
                                        ; implicit-def: $sgpr10_sgpr11
	s_mov_b64 s[14:15], 0
	s_cbranch_execnz .LBB43_391
	s_branch .LBB43_392
.LBB43_388:
	s_mov_b64 s[14:15], 0
                                        ; implicit-def: $sgpr10_sgpr11
	s_cbranch_execz .LBB43_390
; %bb.389:
	v_cmp_gt_i32_e32 vcc, v26, v11
	s_andn2_b64 s[10:11], s[10:11], exec
	s_and_b64 s[16:17], vcc, exec
	s_or_b64 s[10:11], s[10:11], s[16:17]
.LBB43_390:
	s_branch .LBB43_392
.LBB43_391:
	s_cmp_lg_u32 s13, 0
	s_mov_b64 s[6:7], -1
	s_cselect_b64 s[14:15], -1, 0
.LBB43_392:
	s_andn2_b64 vcc, exec, s[14:15]
	s_cbranch_vccz .LBB43_401
; %bb.393:
	s_andn2_b64 vcc, exec, s[6:7]
	s_cbranch_vccnz .LBB43_395
.LBB43_394:
	v_cmp_ge_i32_e32 vcc, v26, v11
	s_andn2_b64 s[6:7], s[10:11], exec
	s_and_b64 s[10:11], vcc, exec
	s_or_b64 s[10:11], s[6:7], s[10:11]
.LBB43_395:
	v_cndmask_b32_e64 v12, 0, 1, s[10:11]
.LBB43_396:
	s_or_b64 exec, exec, s[4:5]
	v_or_b32_e32 v11, 0x900, v0
	v_cmp_gt_i32_e32 vcc, s12, v11
                                        ; implicit-def: $vgpr11
	s_and_saveexec_b64 s[4:5], vcc
	s_cbranch_execz .LBB43_411
; %bb.397:
	s_cmp_lt_i32 s13, 1
	s_mov_b64 s[6:7], 0
	s_cbranch_scc1 .LBB43_402
; %bb.398:
	s_cmp_gt_i32 s13, 1
	s_cbranch_scc0 .LBB43_403
; %bb.399:
	s_cmp_eq_u32 s13, 2
	s_cbranch_scc0 .LBB43_543
; %bb.400:
	v_cmp_le_i32_e64 s[10:11], v25, v10
	s_mov_b64 s[14:15], 0
	s_branch .LBB43_405
.LBB43_401:
	v_cmp_lt_i32_e32 vcc, v26, v11
	s_andn2_b64 s[10:11], s[10:11], exec
	s_and_b64 s[14:15], vcc, exec
	s_or_b64 s[10:11], s[10:11], s[14:15]
	s_cbranch_execz .LBB43_394
	s_branch .LBB43_395
.LBB43_402:
                                        ; implicit-def: $sgpr10_sgpr11
	s_mov_b64 s[14:15], 0
	s_cbranch_execnz .LBB43_406
	s_branch .LBB43_407
.LBB43_403:
	s_mov_b64 s[14:15], 0
                                        ; implicit-def: $sgpr10_sgpr11
	s_cbranch_execz .LBB43_405
; %bb.404:
	v_cmp_gt_i32_e32 vcc, v25, v10
	s_andn2_b64 s[10:11], s[10:11], exec
	s_and_b64 s[16:17], vcc, exec
	s_or_b64 s[10:11], s[10:11], s[16:17]
.LBB43_405:
	s_branch .LBB43_407
.LBB43_406:
	s_cmp_lg_u32 s13, 0
	s_mov_b64 s[6:7], -1
	s_cselect_b64 s[14:15], -1, 0
.LBB43_407:
	s_andn2_b64 vcc, exec, s[14:15]
	s_cbranch_vccz .LBB43_416
; %bb.408:
	s_andn2_b64 vcc, exec, s[6:7]
	s_cbranch_vccnz .LBB43_410
.LBB43_409:
	v_cmp_ge_i32_e32 vcc, v25, v10
	s_andn2_b64 s[6:7], s[10:11], exec
	s_and_b64 s[10:11], vcc, exec
	s_or_b64 s[10:11], s[6:7], s[10:11]
.LBB43_410:
	v_cndmask_b32_e64 v11, 0, 1, s[10:11]
.LBB43_411:
	s_or_b64 exec, exec, s[4:5]
	v_or_b32_e32 v10, 0xa00, v0
	v_cmp_gt_i32_e32 vcc, s12, v10
                                        ; implicit-def: $vgpr10
	s_and_saveexec_b64 s[4:5], vcc
	s_cbranch_execz .LBB43_426
; %bb.412:
	s_cmp_lt_i32 s13, 1
	s_mov_b64 s[6:7], 0
	s_cbranch_scc1 .LBB43_417
; %bb.413:
	s_cmp_gt_i32 s13, 1
	s_cbranch_scc0 .LBB43_418
; %bb.414:
	s_cmp_eq_u32 s13, 2
	s_cbranch_scc0 .LBB43_544
; %bb.415:
	v_cmp_le_i32_e64 s[10:11], v24, v9
	s_mov_b64 s[14:15], 0
	s_branch .LBB43_420
.LBB43_416:
	v_cmp_lt_i32_e32 vcc, v25, v10
	s_andn2_b64 s[10:11], s[10:11], exec
	s_and_b64 s[14:15], vcc, exec
	s_or_b64 s[10:11], s[10:11], s[14:15]
	s_cbranch_execz .LBB43_409
	s_branch .LBB43_410
.LBB43_417:
                                        ; implicit-def: $sgpr10_sgpr11
	s_mov_b64 s[14:15], 0
	s_cbranch_execnz .LBB43_421
	s_branch .LBB43_422
.LBB43_418:
	s_mov_b64 s[14:15], 0
                                        ; implicit-def: $sgpr10_sgpr11
	s_cbranch_execz .LBB43_420
; %bb.419:
	v_cmp_gt_i32_e32 vcc, v24, v9
	s_andn2_b64 s[10:11], s[10:11], exec
	s_and_b64 s[16:17], vcc, exec
	s_or_b64 s[10:11], s[10:11], s[16:17]
.LBB43_420:
	s_branch .LBB43_422
.LBB43_421:
	s_cmp_lg_u32 s13, 0
	s_mov_b64 s[6:7], -1
	s_cselect_b64 s[14:15], -1, 0
.LBB43_422:
	s_andn2_b64 vcc, exec, s[14:15]
	s_cbranch_vccz .LBB43_431
; %bb.423:
	s_andn2_b64 vcc, exec, s[6:7]
	s_cbranch_vccnz .LBB43_425
.LBB43_424:
	v_cmp_ge_i32_e32 vcc, v24, v9
	s_andn2_b64 s[6:7], s[10:11], exec
	s_and_b64 s[10:11], vcc, exec
	s_or_b64 s[10:11], s[6:7], s[10:11]
.LBB43_425:
	v_cndmask_b32_e64 v10, 0, 1, s[10:11]
.LBB43_426:
	s_or_b64 exec, exec, s[4:5]
	v_or_b32_e32 v9, 0xb00, v0
	v_cmp_gt_i32_e32 vcc, s12, v9
                                        ; implicit-def: $vgpr9
	s_and_saveexec_b64 s[4:5], vcc
	s_cbranch_execz .LBB43_441
; %bb.427:
	s_cmp_lt_i32 s13, 1
	s_mov_b64 s[6:7], 0
	s_cbranch_scc1 .LBB43_432
; %bb.428:
	s_cmp_gt_i32 s13, 1
	s_cbranch_scc0 .LBB43_433
; %bb.429:
	s_cmp_eq_u32 s13, 2
	s_cbranch_scc0 .LBB43_545
; %bb.430:
	v_cmp_le_i32_e64 s[10:11], v23, v8
	s_mov_b64 s[14:15], 0
	s_branch .LBB43_435
.LBB43_431:
	v_cmp_lt_i32_e32 vcc, v24, v9
	s_andn2_b64 s[10:11], s[10:11], exec
	s_and_b64 s[14:15], vcc, exec
	s_or_b64 s[10:11], s[10:11], s[14:15]
	s_cbranch_execz .LBB43_424
	s_branch .LBB43_425
.LBB43_432:
                                        ; implicit-def: $sgpr10_sgpr11
	s_mov_b64 s[14:15], 0
	s_cbranch_execnz .LBB43_436
	s_branch .LBB43_437
.LBB43_433:
	s_mov_b64 s[14:15], 0
                                        ; implicit-def: $sgpr10_sgpr11
	s_cbranch_execz .LBB43_435
; %bb.434:
	v_cmp_gt_i32_e32 vcc, v23, v8
	s_andn2_b64 s[10:11], s[10:11], exec
	s_and_b64 s[16:17], vcc, exec
	s_or_b64 s[10:11], s[10:11], s[16:17]
.LBB43_435:
	s_branch .LBB43_437
.LBB43_436:
	s_cmp_lg_u32 s13, 0
	s_mov_b64 s[6:7], -1
	s_cselect_b64 s[14:15], -1, 0
.LBB43_437:
	s_andn2_b64 vcc, exec, s[14:15]
	s_cbranch_vccz .LBB43_446
; %bb.438:
	s_andn2_b64 vcc, exec, s[6:7]
	s_cbranch_vccnz .LBB43_440
.LBB43_439:
	v_cmp_ge_i32_e32 vcc, v23, v8
	s_andn2_b64 s[6:7], s[10:11], exec
	s_and_b64 s[10:11], vcc, exec
	s_or_b64 s[10:11], s[6:7], s[10:11]
.LBB43_440:
	v_cndmask_b32_e64 v9, 0, 1, s[10:11]
.LBB43_441:
	s_or_b64 exec, exec, s[4:5]
	v_or_b32_e32 v8, 0xc00, v0
	v_cmp_gt_i32_e32 vcc, s12, v8
                                        ; implicit-def: $vgpr8
	s_and_saveexec_b64 s[4:5], vcc
	s_cbranch_execz .LBB43_456
; %bb.442:
	s_cmp_lt_i32 s13, 1
	s_mov_b64 s[6:7], 0
	s_cbranch_scc1 .LBB43_447
; %bb.443:
	s_cmp_gt_i32 s13, 1
	s_cbranch_scc0 .LBB43_448
; %bb.444:
	s_cmp_eq_u32 s13, 2
	s_cbranch_scc0 .LBB43_546
; %bb.445:
	v_cmp_le_i32_e64 s[10:11], v22, v7
	s_mov_b64 s[14:15], 0
	s_branch .LBB43_450
.LBB43_446:
	v_cmp_lt_i32_e32 vcc, v23, v8
	s_andn2_b64 s[10:11], s[10:11], exec
	s_and_b64 s[14:15], vcc, exec
	s_or_b64 s[10:11], s[10:11], s[14:15]
	s_cbranch_execz .LBB43_439
	s_branch .LBB43_440
.LBB43_447:
                                        ; implicit-def: $sgpr10_sgpr11
	s_mov_b64 s[14:15], 0
	s_cbranch_execnz .LBB43_451
	s_branch .LBB43_452
.LBB43_448:
	s_mov_b64 s[14:15], 0
                                        ; implicit-def: $sgpr10_sgpr11
	s_cbranch_execz .LBB43_450
; %bb.449:
	v_cmp_gt_i32_e32 vcc, v22, v7
	s_andn2_b64 s[10:11], s[10:11], exec
	s_and_b64 s[16:17], vcc, exec
	s_or_b64 s[10:11], s[10:11], s[16:17]
.LBB43_450:
	s_branch .LBB43_452
.LBB43_451:
	s_cmp_lg_u32 s13, 0
	s_mov_b64 s[6:7], -1
	s_cselect_b64 s[14:15], -1, 0
.LBB43_452:
	s_andn2_b64 vcc, exec, s[14:15]
	s_cbranch_vccz .LBB43_461
; %bb.453:
	s_andn2_b64 vcc, exec, s[6:7]
	s_cbranch_vccnz .LBB43_455
.LBB43_454:
	v_cmp_ge_i32_e32 vcc, v22, v7
	s_andn2_b64 s[6:7], s[10:11], exec
	s_and_b64 s[10:11], vcc, exec
	s_or_b64 s[10:11], s[6:7], s[10:11]
.LBB43_455:
	v_cndmask_b32_e64 v8, 0, 1, s[10:11]
.LBB43_456:
	s_or_b64 exec, exec, s[4:5]
	v_or_b32_e32 v7, 0xd00, v0
	v_cmp_gt_i32_e32 vcc, s12, v7
                                        ; implicit-def: $vgpr7
	s_and_saveexec_b64 s[4:5], vcc
	s_cbranch_execz .LBB43_471
; %bb.457:
	s_cmp_lt_i32 s13, 1
	s_mov_b64 s[6:7], 0
	s_cbranch_scc1 .LBB43_462
; %bb.458:
	s_cmp_gt_i32 s13, 1
	s_cbranch_scc0 .LBB43_463
; %bb.459:
	s_cmp_eq_u32 s13, 2
	s_cbranch_scc0 .LBB43_547
; %bb.460:
	v_cmp_le_i32_e64 s[10:11], v21, v6
	s_mov_b64 s[14:15], 0
	s_branch .LBB43_465
.LBB43_461:
	v_cmp_lt_i32_e32 vcc, v22, v7
	s_andn2_b64 s[10:11], s[10:11], exec
	s_and_b64 s[14:15], vcc, exec
	s_or_b64 s[10:11], s[10:11], s[14:15]
	s_cbranch_execz .LBB43_454
	s_branch .LBB43_455
.LBB43_462:
                                        ; implicit-def: $sgpr10_sgpr11
	s_mov_b64 s[14:15], 0
	s_cbranch_execnz .LBB43_466
	s_branch .LBB43_467
.LBB43_463:
	s_mov_b64 s[14:15], 0
                                        ; implicit-def: $sgpr10_sgpr11
	s_cbranch_execz .LBB43_465
; %bb.464:
	v_cmp_gt_i32_e32 vcc, v21, v6
	s_andn2_b64 s[10:11], s[10:11], exec
	s_and_b64 s[16:17], vcc, exec
	s_or_b64 s[10:11], s[10:11], s[16:17]
.LBB43_465:
	s_branch .LBB43_467
.LBB43_466:
	s_cmp_lg_u32 s13, 0
	s_mov_b64 s[6:7], -1
	s_cselect_b64 s[14:15], -1, 0
.LBB43_467:
	s_andn2_b64 vcc, exec, s[14:15]
	s_cbranch_vccz .LBB43_476
; %bb.468:
	s_andn2_b64 vcc, exec, s[6:7]
	s_cbranch_vccnz .LBB43_470
.LBB43_469:
	v_cmp_ge_i32_e32 vcc, v21, v6
	s_andn2_b64 s[6:7], s[10:11], exec
	s_and_b64 s[10:11], vcc, exec
	s_or_b64 s[10:11], s[6:7], s[10:11]
.LBB43_470:
	v_cndmask_b32_e64 v7, 0, 1, s[10:11]
.LBB43_471:
	s_or_b64 exec, exec, s[4:5]
	v_or_b32_e32 v6, 0xe00, v0
	v_cmp_gt_i32_e32 vcc, s12, v6
                                        ; implicit-def: $vgpr6
	s_and_saveexec_b64 s[4:5], vcc
	s_cbranch_execz .LBB43_486
; %bb.472:
	s_cmp_lt_i32 s13, 1
	s_mov_b64 s[6:7], 0
	s_cbranch_scc1 .LBB43_477
; %bb.473:
	s_cmp_gt_i32 s13, 1
	s_cbranch_scc0 .LBB43_478
; %bb.474:
	s_cmp_eq_u32 s13, 2
	s_cbranch_scc0 .LBB43_548
; %bb.475:
	v_cmp_le_i32_e64 s[10:11], v20, v5
	s_mov_b64 s[14:15], 0
	s_branch .LBB43_480
.LBB43_476:
	v_cmp_lt_i32_e32 vcc, v21, v6
	s_andn2_b64 s[10:11], s[10:11], exec
	s_and_b64 s[14:15], vcc, exec
	s_or_b64 s[10:11], s[10:11], s[14:15]
	s_cbranch_execz .LBB43_469
	s_branch .LBB43_470
.LBB43_477:
                                        ; implicit-def: $sgpr10_sgpr11
	s_mov_b64 s[14:15], 0
	s_cbranch_execnz .LBB43_481
	s_branch .LBB43_482
.LBB43_478:
	s_mov_b64 s[14:15], 0
                                        ; implicit-def: $sgpr10_sgpr11
	s_cbranch_execz .LBB43_480
; %bb.479:
	v_cmp_gt_i32_e32 vcc, v20, v5
	s_andn2_b64 s[10:11], s[10:11], exec
	s_and_b64 s[16:17], vcc, exec
	s_or_b64 s[10:11], s[10:11], s[16:17]
.LBB43_480:
	s_branch .LBB43_482
.LBB43_481:
	s_cmp_lg_u32 s13, 0
	s_mov_b64 s[6:7], -1
	s_cselect_b64 s[14:15], -1, 0
.LBB43_482:
	s_andn2_b64 vcc, exec, s[14:15]
	s_cbranch_vccz .LBB43_491
; %bb.483:
	s_andn2_b64 vcc, exec, s[6:7]
	s_cbranch_vccnz .LBB43_485
.LBB43_484:
	v_cmp_ge_i32_e32 vcc, v20, v5
	s_andn2_b64 s[6:7], s[10:11], exec
	s_and_b64 s[10:11], vcc, exec
	s_or_b64 s[10:11], s[6:7], s[10:11]
.LBB43_485:
	v_cndmask_b32_e64 v6, 0, 1, s[10:11]
.LBB43_486:
	s_or_b64 exec, exec, s[4:5]
	v_or_b32_e32 v5, 0xf00, v0
	v_cmp_gt_i32_e32 vcc, s12, v5
                                        ; implicit-def: $vgpr5
	s_and_saveexec_b64 s[4:5], vcc
	s_cbranch_execz .LBB43_501
; %bb.487:
	s_cmp_lt_i32 s13, 1
	s_mov_b64 s[6:7], 0
	s_cbranch_scc1 .LBB43_492
; %bb.488:
	s_cmp_gt_i32 s13, 1
	s_cbranch_scc0 .LBB43_493
; %bb.489:
	s_cmp_eq_u32 s13, 2
	s_cbranch_scc0 .LBB43_549
; %bb.490:
	v_cmp_le_i32_e64 s[10:11], v3, v4
	s_mov_b64 s[14:15], 0
	s_branch .LBB43_495
.LBB43_491:
	v_cmp_lt_i32_e32 vcc, v20, v5
	s_andn2_b64 s[10:11], s[10:11], exec
	s_and_b64 s[14:15], vcc, exec
	s_or_b64 s[10:11], s[10:11], s[14:15]
	s_cbranch_execz .LBB43_484
	s_branch .LBB43_485
.LBB43_492:
                                        ; implicit-def: $sgpr10_sgpr11
	s_mov_b64 s[14:15], 0
	s_cbranch_execnz .LBB43_496
	s_branch .LBB43_497
.LBB43_493:
	s_mov_b64 s[14:15], 0
                                        ; implicit-def: $sgpr10_sgpr11
	s_cbranch_execz .LBB43_495
; %bb.494:
	v_cmp_gt_i32_e32 vcc, v3, v4
	s_andn2_b64 s[10:11], s[10:11], exec
	s_and_b64 s[16:17], vcc, exec
	s_or_b64 s[10:11], s[10:11], s[16:17]
.LBB43_495:
	s_branch .LBB43_497
.LBB43_496:
	s_cmp_lg_u32 s13, 0
	s_mov_b64 s[6:7], -1
	s_cselect_b64 s[14:15], -1, 0
.LBB43_497:
	s_andn2_b64 vcc, exec, s[14:15]
	s_cbranch_vccz .LBB43_534
; %bb.498:
	s_andn2_b64 vcc, exec, s[6:7]
	s_cbranch_vccnz .LBB43_500
.LBB43_499:
	v_cmp_ge_i32_e32 vcc, v3, v4
	s_andn2_b64 s[6:7], s[10:11], exec
	s_and_b64 s[10:11], vcc, exec
	s_or_b64 s[10:11], s[6:7], s[10:11]
.LBB43_500:
	v_cndmask_b32_e64 v5, 0, 1, s[10:11]
.LBB43_501:
	s_or_b64 exec, exec, s[4:5]
	s_and_saveexec_b64 s[4:5], s[0:1]
	s_xor_b64 s[0:1], exec, s[4:5]
	s_cbranch_execz .LBB43_503
; %bb.502:
	v_mov_b32_e32 v0, v17
	global_store_byte v1, v16, s[8:9]
.LBB43_503:
	s_or_b64 exec, exec, s[0:1]
	v_cmp_gt_i32_e32 vcc, s12, v0
	s_and_saveexec_b64 s[0:1], vcc
	s_cbranch_execnz .LBB43_520
; %bb.504:
	s_or_b64 exec, exec, s[0:1]
	v_cmp_gt_i32_e32 vcc, s12, v0
	s_and_saveexec_b64 s[0:1], vcc
	s_cbranch_execnz .LBB43_521
.LBB43_505:
	s_or_b64 exec, exec, s[0:1]
	v_cmp_gt_i32_e32 vcc, s12, v0
	s_and_saveexec_b64 s[0:1], vcc
	s_cbranch_execnz .LBB43_522
.LBB43_506:
	s_or_b64 exec, exec, s[0:1]
	v_cmp_gt_i32_e32 vcc, s12, v0
	s_and_saveexec_b64 s[0:1], vcc
	s_cbranch_execnz .LBB43_523
.LBB43_507:
	s_or_b64 exec, exec, s[0:1]
	v_cmp_gt_i32_e32 vcc, s12, v0
	s_and_saveexec_b64 s[0:1], vcc
	s_cbranch_execnz .LBB43_524
.LBB43_508:
	s_or_b64 exec, exec, s[0:1]
	v_cmp_gt_i32_e32 vcc, s12, v0
	s_and_saveexec_b64 s[0:1], vcc
	s_cbranch_execnz .LBB43_525
.LBB43_509:
	s_or_b64 exec, exec, s[0:1]
	v_cmp_gt_i32_e32 vcc, s12, v0
	s_and_saveexec_b64 s[0:1], vcc
	s_cbranch_execnz .LBB43_526
.LBB43_510:
	s_or_b64 exec, exec, s[0:1]
	v_cmp_gt_i32_e32 vcc, s12, v0
	s_and_saveexec_b64 s[0:1], vcc
	s_cbranch_execnz .LBB43_527
.LBB43_511:
	s_or_b64 exec, exec, s[0:1]
	v_cmp_gt_i32_e32 vcc, s12, v0
	s_and_saveexec_b64 s[0:1], vcc
	s_cbranch_execnz .LBB43_528
.LBB43_512:
	s_or_b64 exec, exec, s[0:1]
	v_cmp_gt_i32_e32 vcc, s12, v0
	s_and_saveexec_b64 s[0:1], vcc
	s_cbranch_execnz .LBB43_529
.LBB43_513:
	s_or_b64 exec, exec, s[0:1]
	v_cmp_gt_i32_e32 vcc, s12, v0
	s_and_saveexec_b64 s[0:1], vcc
	s_cbranch_execnz .LBB43_530
.LBB43_514:
	s_or_b64 exec, exec, s[0:1]
	v_cmp_gt_i32_e32 vcc, s12, v0
	s_and_saveexec_b64 s[0:1], vcc
	s_cbranch_execnz .LBB43_531
.LBB43_515:
	s_or_b64 exec, exec, s[0:1]
	v_cmp_gt_i32_e32 vcc, s12, v0
	s_and_saveexec_b64 s[0:1], vcc
	s_cbranch_execnz .LBB43_532
.LBB43_516:
	s_or_b64 exec, exec, s[0:1]
	v_cmp_gt_i32_e32 vcc, s12, v0
	s_and_saveexec_b64 s[0:1], vcc
	s_cbranch_execnz .LBB43_533
.LBB43_517:
	s_or_b64 exec, exec, s[0:1]
	v_cmp_gt_i32_e32 vcc, s12, v0
	s_and_saveexec_b64 s[0:1], vcc
	s_cbranch_execz .LBB43_519
.LBB43_518:
	v_add_u32_e32 v0, s2, v0
	global_store_byte v0, v5, s[8:9]
.LBB43_519:
	s_endpgm
.LBB43_520:
	v_add_u32_e32 v1, s2, v0
	v_add_u32_e32 v0, 0x100, v0
	global_store_byte v1, v18, s[8:9]
	s_or_b64 exec, exec, s[0:1]
	v_cmp_gt_i32_e32 vcc, s12, v0
	s_and_saveexec_b64 s[0:1], vcc
	s_cbranch_execz .LBB43_505
.LBB43_521:
	v_add_u32_e32 v1, s2, v0
	v_add_u32_e32 v0, 0x100, v0
	global_store_byte v1, v2, s[8:9]
	s_or_b64 exec, exec, s[0:1]
	v_cmp_gt_i32_e32 vcc, s12, v0
	s_and_saveexec_b64 s[0:1], vcc
	s_cbranch_execz .LBB43_506
.LBB43_522:
	v_add_u32_e32 v1, s2, v0
	v_add_u32_e32 v0, 0x100, v0
	global_store_byte v1, v15, s[8:9]
	s_or_b64 exec, exec, s[0:1]
	v_cmp_gt_i32_e32 vcc, s12, v0
	s_and_saveexec_b64 s[0:1], vcc
	s_cbranch_execz .LBB43_507
.LBB43_523:
	v_add_u32_e32 v1, s2, v0
	v_add_u32_e32 v0, 0x100, v0
	global_store_byte v1, v19, s[8:9]
	s_or_b64 exec, exec, s[0:1]
	v_cmp_gt_i32_e32 vcc, s12, v0
	s_and_saveexec_b64 s[0:1], vcc
	s_cbranch_execz .LBB43_508
.LBB43_524:
	v_add_u32_e32 v1, s2, v0
	v_add_u32_e32 v0, 0x100, v0
	global_store_byte v1, v30, s[8:9]
	s_or_b64 exec, exec, s[0:1]
	v_cmp_gt_i32_e32 vcc, s12, v0
	s_and_saveexec_b64 s[0:1], vcc
	s_cbranch_execz .LBB43_509
.LBB43_525:
	v_add_u32_e32 v1, s2, v0
	v_add_u32_e32 v0, 0x100, v0
	global_store_byte v1, v14, s[8:9]
	s_or_b64 exec, exec, s[0:1]
	v_cmp_gt_i32_e32 vcc, s12, v0
	s_and_saveexec_b64 s[0:1], vcc
	s_cbranch_execz .LBB43_510
.LBB43_526:
	v_add_u32_e32 v1, s2, v0
	v_add_u32_e32 v0, 0x100, v0
	global_store_byte v1, v13, s[8:9]
	s_or_b64 exec, exec, s[0:1]
	v_cmp_gt_i32_e32 vcc, s12, v0
	s_and_saveexec_b64 s[0:1], vcc
	s_cbranch_execz .LBB43_511
.LBB43_527:
	v_add_u32_e32 v1, s2, v0
	v_add_u32_e32 v0, 0x100, v0
	global_store_byte v1, v12, s[8:9]
	s_or_b64 exec, exec, s[0:1]
	v_cmp_gt_i32_e32 vcc, s12, v0
	s_and_saveexec_b64 s[0:1], vcc
	s_cbranch_execz .LBB43_512
.LBB43_528:
	v_add_u32_e32 v1, s2, v0
	v_add_u32_e32 v0, 0x100, v0
	global_store_byte v1, v11, s[8:9]
	s_or_b64 exec, exec, s[0:1]
	v_cmp_gt_i32_e32 vcc, s12, v0
	s_and_saveexec_b64 s[0:1], vcc
	s_cbranch_execz .LBB43_513
.LBB43_529:
	v_add_u32_e32 v1, s2, v0
	v_add_u32_e32 v0, 0x100, v0
	global_store_byte v1, v10, s[8:9]
	s_or_b64 exec, exec, s[0:1]
	v_cmp_gt_i32_e32 vcc, s12, v0
	s_and_saveexec_b64 s[0:1], vcc
	s_cbranch_execz .LBB43_514
.LBB43_530:
	v_add_u32_e32 v1, s2, v0
	v_add_u32_e32 v0, 0x100, v0
	global_store_byte v1, v9, s[8:9]
	s_or_b64 exec, exec, s[0:1]
	v_cmp_gt_i32_e32 vcc, s12, v0
	s_and_saveexec_b64 s[0:1], vcc
	s_cbranch_execz .LBB43_515
.LBB43_531:
	v_add_u32_e32 v1, s2, v0
	v_add_u32_e32 v0, 0x100, v0
	global_store_byte v1, v8, s[8:9]
	s_or_b64 exec, exec, s[0:1]
	v_cmp_gt_i32_e32 vcc, s12, v0
	s_and_saveexec_b64 s[0:1], vcc
	s_cbranch_execz .LBB43_516
.LBB43_532:
	v_add_u32_e32 v1, s2, v0
	v_add_u32_e32 v0, 0x100, v0
	global_store_byte v1, v7, s[8:9]
	s_or_b64 exec, exec, s[0:1]
	v_cmp_gt_i32_e32 vcc, s12, v0
	s_and_saveexec_b64 s[0:1], vcc
	s_cbranch_execz .LBB43_517
.LBB43_533:
	v_add_u32_e32 v1, s2, v0
	v_add_u32_e32 v0, 0x100, v0
	global_store_byte v1, v6, s[8:9]
	s_or_b64 exec, exec, s[0:1]
	v_cmp_gt_i32_e32 vcc, s12, v0
	s_and_saveexec_b64 s[0:1], vcc
	s_cbranch_execnz .LBB43_518
	s_branch .LBB43_519
.LBB43_534:
	v_cmp_lt_i32_e32 vcc, v3, v4
	s_andn2_b64 s[10:11], s[10:11], exec
	s_and_b64 s[14:15], vcc, exec
	s_or_b64 s[10:11], s[10:11], s[14:15]
	s_cbranch_execz .LBB43_499
	s_branch .LBB43_500
.LBB43_535:
	s_mov_b64 s[14:15], -1
                                        ; implicit-def: $sgpr10_sgpr11
	s_branch .LBB43_285
.LBB43_536:
	s_mov_b64 s[14:15], -1
                                        ; implicit-def: $sgpr10_sgpr11
	s_branch .LBB43_300
.LBB43_537:
	s_mov_b64 s[14:15], -1
                                        ; implicit-def: $sgpr10_sgpr11
	s_branch .LBB43_315
.LBB43_538:
	s_mov_b64 s[14:15], -1
                                        ; implicit-def: $sgpr10_sgpr11
	s_branch .LBB43_330
.LBB43_539:
	s_mov_b64 s[14:15], -1
                                        ; implicit-def: $sgpr10_sgpr11
	s_branch .LBB43_345
.LBB43_540:
	s_mov_b64 s[14:15], -1
                                        ; implicit-def: $sgpr10_sgpr11
	s_branch .LBB43_360
.LBB43_541:
	s_mov_b64 s[14:15], -1
                                        ; implicit-def: $sgpr10_sgpr11
	s_branch .LBB43_375
.LBB43_542:
	s_mov_b64 s[14:15], -1
                                        ; implicit-def: $sgpr10_sgpr11
	s_branch .LBB43_390
.LBB43_543:
	s_mov_b64 s[14:15], -1
                                        ; implicit-def: $sgpr10_sgpr11
	s_branch .LBB43_405
.LBB43_544:
	s_mov_b64 s[14:15], -1
                                        ; implicit-def: $sgpr10_sgpr11
	s_branch .LBB43_420
.LBB43_545:
	s_mov_b64 s[14:15], -1
                                        ; implicit-def: $sgpr10_sgpr11
	s_branch .LBB43_435
.LBB43_546:
	s_mov_b64 s[14:15], -1
                                        ; implicit-def: $sgpr10_sgpr11
	s_branch .LBB43_450
.LBB43_547:
	s_mov_b64 s[14:15], -1
                                        ; implicit-def: $sgpr10_sgpr11
	s_branch .LBB43_465
.LBB43_548:
	s_mov_b64 s[14:15], -1
                                        ; implicit-def: $sgpr10_sgpr11
	s_branch .LBB43_480
.LBB43_549:
	s_mov_b64 s[14:15], -1
                                        ; implicit-def: $sgpr10_sgpr11
	s_branch .LBB43_495
	.section	.rodata,"a",@progbits
	.p2align	6, 0x0
	.amdhsa_kernel _ZN2at6native29vectorized_elementwise_kernelILi2ENS0_12_GLOBAL__N_114CompareFunctorIiEESt5arrayIPcLm3EEEEviT0_T1_
		.amdhsa_group_segment_fixed_size 0
		.amdhsa_private_segment_fixed_size 0
		.amdhsa_kernarg_size 32
		.amdhsa_user_sgpr_count 6
		.amdhsa_user_sgpr_private_segment_buffer 1
		.amdhsa_user_sgpr_dispatch_ptr 0
		.amdhsa_user_sgpr_queue_ptr 0
		.amdhsa_user_sgpr_kernarg_segment_ptr 1
		.amdhsa_user_sgpr_dispatch_id 0
		.amdhsa_user_sgpr_flat_scratch_init 0
		.amdhsa_user_sgpr_private_segment_size 0
		.amdhsa_uses_dynamic_stack 0
		.amdhsa_system_sgpr_private_segment_wavefront_offset 0
		.amdhsa_system_sgpr_workgroup_id_x 1
		.amdhsa_system_sgpr_workgroup_id_y 0
		.amdhsa_system_sgpr_workgroup_id_z 0
		.amdhsa_system_sgpr_workgroup_info 0
		.amdhsa_system_vgpr_workitem_id 0
		.amdhsa_next_free_vgpr 38
		.amdhsa_next_free_sgpr 50
		.amdhsa_reserve_vcc 1
		.amdhsa_reserve_flat_scratch 0
		.amdhsa_float_round_mode_32 0
		.amdhsa_float_round_mode_16_64 0
		.amdhsa_float_denorm_mode_32 3
		.amdhsa_float_denorm_mode_16_64 3
		.amdhsa_dx10_clamp 1
		.amdhsa_ieee_mode 1
		.amdhsa_fp16_overflow 0
		.amdhsa_exception_fp_ieee_invalid_op 0
		.amdhsa_exception_fp_denorm_src 0
		.amdhsa_exception_fp_ieee_div_zero 0
		.amdhsa_exception_fp_ieee_overflow 0
		.amdhsa_exception_fp_ieee_underflow 0
		.amdhsa_exception_fp_ieee_inexact 0
		.amdhsa_exception_int_div_zero 0
	.end_amdhsa_kernel
	.section	.text._ZN2at6native29vectorized_elementwise_kernelILi2ENS0_12_GLOBAL__N_114CompareFunctorIiEESt5arrayIPcLm3EEEEviT0_T1_,"axG",@progbits,_ZN2at6native29vectorized_elementwise_kernelILi2ENS0_12_GLOBAL__N_114CompareFunctorIiEESt5arrayIPcLm3EEEEviT0_T1_,comdat
.Lfunc_end43:
	.size	_ZN2at6native29vectorized_elementwise_kernelILi2ENS0_12_GLOBAL__N_114CompareFunctorIiEESt5arrayIPcLm3EEEEviT0_T1_, .Lfunc_end43-_ZN2at6native29vectorized_elementwise_kernelILi2ENS0_12_GLOBAL__N_114CompareFunctorIiEESt5arrayIPcLm3EEEEviT0_T1_
                                        ; -- End function
	.set _ZN2at6native29vectorized_elementwise_kernelILi2ENS0_12_GLOBAL__N_114CompareFunctorIiEESt5arrayIPcLm3EEEEviT0_T1_.num_vgpr, 38
	.set _ZN2at6native29vectorized_elementwise_kernelILi2ENS0_12_GLOBAL__N_114CompareFunctorIiEESt5arrayIPcLm3EEEEviT0_T1_.num_agpr, 0
	.set _ZN2at6native29vectorized_elementwise_kernelILi2ENS0_12_GLOBAL__N_114CompareFunctorIiEESt5arrayIPcLm3EEEEviT0_T1_.numbered_sgpr, 50
	.set _ZN2at6native29vectorized_elementwise_kernelILi2ENS0_12_GLOBAL__N_114CompareFunctorIiEESt5arrayIPcLm3EEEEviT0_T1_.num_named_barrier, 0
	.set _ZN2at6native29vectorized_elementwise_kernelILi2ENS0_12_GLOBAL__N_114CompareFunctorIiEESt5arrayIPcLm3EEEEviT0_T1_.private_seg_size, 0
	.set _ZN2at6native29vectorized_elementwise_kernelILi2ENS0_12_GLOBAL__N_114CompareFunctorIiEESt5arrayIPcLm3EEEEviT0_T1_.uses_vcc, 1
	.set _ZN2at6native29vectorized_elementwise_kernelILi2ENS0_12_GLOBAL__N_114CompareFunctorIiEESt5arrayIPcLm3EEEEviT0_T1_.uses_flat_scratch, 0
	.set _ZN2at6native29vectorized_elementwise_kernelILi2ENS0_12_GLOBAL__N_114CompareFunctorIiEESt5arrayIPcLm3EEEEviT0_T1_.has_dyn_sized_stack, 0
	.set _ZN2at6native29vectorized_elementwise_kernelILi2ENS0_12_GLOBAL__N_114CompareFunctorIiEESt5arrayIPcLm3EEEEviT0_T1_.has_recursion, 0
	.set _ZN2at6native29vectorized_elementwise_kernelILi2ENS0_12_GLOBAL__N_114CompareFunctorIiEESt5arrayIPcLm3EEEEviT0_T1_.has_indirect_call, 0
	.section	.AMDGPU.csdata,"",@progbits
; Kernel info:
; codeLenInByte = 9620
; TotalNumSgprs: 54
; NumVgprs: 38
; ScratchSize: 0
; MemoryBound: 0
; FloatMode: 240
; IeeeMode: 1
; LDSByteSize: 0 bytes/workgroup (compile time only)
; SGPRBlocks: 6
; VGPRBlocks: 9
; NumSGPRsForWavesPerEU: 54
; NumVGPRsForWavesPerEU: 38
; Occupancy: 6
; WaveLimiterHint : 1
; COMPUTE_PGM_RSRC2:SCRATCH_EN: 0
; COMPUTE_PGM_RSRC2:USER_SGPR: 6
; COMPUTE_PGM_RSRC2:TRAP_HANDLER: 0
; COMPUTE_PGM_RSRC2:TGID_X_EN: 1
; COMPUTE_PGM_RSRC2:TGID_Y_EN: 0
; COMPUTE_PGM_RSRC2:TGID_Z_EN: 0
; COMPUTE_PGM_RSRC2:TIDIG_COMP_CNT: 0
	.section	.text._ZN2at6native27unrolled_elementwise_kernelINS0_12_GLOBAL__N_114CompareFunctorIiEESt5arrayIPcLm3EELi4E23TrivialOffsetCalculatorILi2EjES8_ILi1EjENS0_6memory15LoadWithoutCastENSB_16StoreWithoutCastEEEviT_T0_T2_T3_T4_T5_,"axG",@progbits,_ZN2at6native27unrolled_elementwise_kernelINS0_12_GLOBAL__N_114CompareFunctorIiEESt5arrayIPcLm3EELi4E23TrivialOffsetCalculatorILi2EjES8_ILi1EjENS0_6memory15LoadWithoutCastENSB_16StoreWithoutCastEEEviT_T0_T2_T3_T4_T5_,comdat
	.globl	_ZN2at6native27unrolled_elementwise_kernelINS0_12_GLOBAL__N_114CompareFunctorIiEESt5arrayIPcLm3EELi4E23TrivialOffsetCalculatorILi2EjES8_ILi1EjENS0_6memory15LoadWithoutCastENSB_16StoreWithoutCastEEEviT_T0_T2_T3_T4_T5_ ; -- Begin function _ZN2at6native27unrolled_elementwise_kernelINS0_12_GLOBAL__N_114CompareFunctorIiEESt5arrayIPcLm3EELi4E23TrivialOffsetCalculatorILi2EjES8_ILi1EjENS0_6memory15LoadWithoutCastENSB_16StoreWithoutCastEEEviT_T0_T2_T3_T4_T5_
	.p2align	8
	.type	_ZN2at6native27unrolled_elementwise_kernelINS0_12_GLOBAL__N_114CompareFunctorIiEESt5arrayIPcLm3EELi4E23TrivialOffsetCalculatorILi2EjES8_ILi1EjENS0_6memory15LoadWithoutCastENSB_16StoreWithoutCastEEEviT_T0_T2_T3_T4_T5_,@function
_ZN2at6native27unrolled_elementwise_kernelINS0_12_GLOBAL__N_114CompareFunctorIiEESt5arrayIPcLm3EELi4E23TrivialOffsetCalculatorILi2EjES8_ILi1EjENS0_6memory15LoadWithoutCastENSB_16StoreWithoutCastEEEviT_T0_T2_T3_T4_T5_: ; @_ZN2at6native27unrolled_elementwise_kernelINS0_12_GLOBAL__N_114CompareFunctorIiEESt5arrayIPcLm3EELi4E23TrivialOffsetCalculatorILi2EjES8_ILi1EjENS0_6memory15LoadWithoutCastENSB_16StoreWithoutCastEEEviT_T0_T2_T3_T4_T5_
; %bb.0:
	s_load_dwordx2 s[2:3], s[4:5], 0x0
	s_load_dwordx4 s[8:11], s[4:5], 0x8
	s_load_dwordx2 s[12:13], s[4:5], 0x18
	s_lshl_b32 s18, s6, 10
	v_mov_b32_e32 v5, 0
	s_waitcnt lgkmcnt(0)
	s_sub_i32 s2, s2, s18
	v_cmp_gt_i32_e64 s[0:1], s2, v0
	v_or_b32_e32 v1, s18, v0
	v_mov_b32_e32 v6, 0
	v_mov_b32_e32 v4, 0
	;; [unrolled: 1-line block ×8, first 2 shown]
	s_and_saveexec_b64 s[4:5], s[0:1]
	s_cbranch_execz .LBB44_8
; %bb.1:
	v_mov_b32_e32 v2, 0
	v_lshlrev_b64 v[3:4], 2, v[1:2]
	v_mov_b32_e32 v7, s11
	v_add_co_u32_e32 v6, vcc, s10, v3
	v_addc_co_u32_e32 v7, vcc, v7, v4, vcc
	global_load_dword v8, v[6:7], off
	v_mov_b32_e32 v6, s13
	v_add_co_u32_e32 v3, vcc, s12, v3
	v_addc_co_u32_e32 v4, vcc, v6, v4, vcc
	global_load_dword v10, v[3:4], off
	v_or_b32_e32 v11, 0x100, v0
	v_cmp_gt_u32_e32 vcc, s2, v11
	v_mov_b32_e32 v9, v2
	v_mov_b32_e32 v3, v2
	;; [unrolled: 1-line block ×5, first 2 shown]
	s_and_saveexec_b64 s[6:7], vcc
	s_cbranch_execz .LBB44_7
; %bb.2:
	v_add_u32_e32 v2, s18, v11
	v_mov_b32_e32 v3, 0
	v_lshlrev_b64 v[6:7], 2, v[2:3]
	v_mov_b32_e32 v2, s11
	v_add_co_u32_e32 v11, vcc, s10, v6
	v_addc_co_u32_e32 v12, vcc, v2, v7, vcc
	v_mov_b32_e32 v2, s13
	v_add_co_u32_e32 v6, vcc, s12, v6
	v_addc_co_u32_e32 v7, vcc, v2, v7, vcc
	global_load_dword v9, v[11:12], off
	global_load_dword v2, v[6:7], off
	v_or_b32_e32 v11, 0x200, v0
	v_cmp_gt_u32_e32 vcc, s2, v11
	v_mov_b32_e32 v7, v3
	v_mov_b32_e32 v4, v3
	;; [unrolled: 1-line block ×3, first 2 shown]
	s_and_saveexec_b64 s[14:15], vcc
	s_cbranch_execz .LBB44_6
; %bb.3:
	v_add_u32_e32 v3, s18, v11
	v_mov_b32_e32 v4, 0
	v_lshlrev_b64 v[11:12], 2, v[3:4]
	v_mov_b32_e32 v3, s11
	v_add_co_u32_e32 v6, vcc, s10, v11
	v_addc_co_u32_e32 v7, vcc, v3, v12, vcc
	v_mov_b32_e32 v3, s13
	v_add_co_u32_e32 v11, vcc, s12, v11
	v_addc_co_u32_e32 v12, vcc, v3, v12, vcc
	global_load_dword v7, v[6:7], off
	v_mov_b32_e32 v6, v4
	global_load_dword v3, v[11:12], off
	v_or_b32_e32 v11, 0x300, v0
	v_cmp_gt_u32_e32 vcc, s2, v11
	s_and_saveexec_b64 s[16:17], vcc
	s_cbranch_execz .LBB44_5
; %bb.4:
	v_add_u32_e32 v11, s18, v11
	v_mov_b32_e32 v12, 0
	v_lshlrev_b64 v[11:12], 2, v[11:12]
	v_mov_b32_e32 v4, s11
	v_add_co_u32_e32 v13, vcc, s10, v11
	v_addc_co_u32_e32 v14, vcc, v4, v12, vcc
	v_mov_b32_e32 v4, s13
	v_add_co_u32_e32 v11, vcc, s12, v11
	v_addc_co_u32_e32 v12, vcc, v4, v12, vcc
	global_load_dword v6, v[13:14], off
	global_load_dword v4, v[11:12], off
.LBB44_5:
	s_or_b64 exec, exec, s[16:17]
.LBB44_6:
	s_or_b64 exec, exec, s[14:15]
.LBB44_7:
	s_or_b64 exec, exec, s[6:7]
.LBB44_8:
	s_or_b64 exec, exec, s[4:5]
	s_and_saveexec_b64 s[4:5], s[0:1]
	s_cbranch_execz .LBB44_24
; %bb.9:
	s_cmp_lt_i32 s3, 1
	s_mov_b64 s[6:7], 0
	s_cbranch_scc1 .LBB44_13
; %bb.10:
	s_cmp_gt_i32 s3, 1
	s_cbranch_scc0 .LBB44_14
; %bb.11:
	s_cmp_eq_u32 s3, 2
	s_cbranch_scc0 .LBB44_15
; %bb.12:
	s_waitcnt vmcnt(0)
	v_cmp_le_i32_e64 s[10:11], v8, v10
	s_mov_b64 s[12:13], 0
	s_branch .LBB44_16
.LBB44_13:
                                        ; implicit-def: $sgpr10_sgpr11
	s_mov_b64 s[12:13], 0
	s_cbranch_execnz .LBB44_19
	s_branch .LBB44_20
.LBB44_14:
	s_mov_b64 s[12:13], 0
                                        ; implicit-def: $sgpr10_sgpr11
	s_cbranch_execnz .LBB44_17
	s_branch .LBB44_18
.LBB44_15:
	s_mov_b64 s[12:13], -1
                                        ; implicit-def: $sgpr10_sgpr11
.LBB44_16:
	s_branch .LBB44_18
.LBB44_17:
	s_waitcnt vmcnt(0)
	v_cmp_gt_i32_e32 vcc, v8, v10
	s_andn2_b64 s[10:11], s[10:11], exec
	s_and_b64 s[14:15], vcc, exec
	s_or_b64 s[10:11], s[10:11], s[14:15]
.LBB44_18:
	s_branch .LBB44_20
.LBB44_19:
	s_cmp_lg_u32 s3, 0
	s_mov_b64 s[6:7], -1
	s_cselect_b64 s[12:13], -1, 0
.LBB44_20:
	s_andn2_b64 vcc, exec, s[12:13]
	s_cbranch_vccz .LBB44_29
; %bb.21:
	s_andn2_b64 vcc, exec, s[6:7]
	s_cbranch_vccnz .LBB44_23
.LBB44_22:
	s_waitcnt vmcnt(0)
	v_cmp_ge_i32_e32 vcc, v8, v10
	s_andn2_b64 s[6:7], s[10:11], exec
	s_and_b64 s[10:11], vcc, exec
	s_or_b64 s[10:11], s[6:7], s[10:11]
.LBB44_23:
	v_cndmask_b32_e64 v5, 0, 1, s[10:11]
.LBB44_24:
	s_or_b64 exec, exec, s[4:5]
	s_waitcnt vmcnt(1)
	v_or_b32_e32 v8, 0x100, v0
	v_cmp_gt_i32_e32 vcc, s2, v8
	s_and_saveexec_b64 s[4:5], vcc
	s_cbranch_execz .LBB44_39
; %bb.25:
	s_cmp_lt_i32 s3, 1
	s_mov_b64 s[6:7], 0
	s_cbranch_scc1 .LBB44_30
; %bb.26:
	s_cmp_gt_i32 s3, 1
	s_cbranch_scc0 .LBB44_31
; %bb.27:
	s_cmp_eq_u32 s3, 2
	s_cbranch_scc0 .LBB44_79
; %bb.28:
	s_waitcnt vmcnt(0)
	v_cmp_le_i32_e64 s[10:11], v9, v2
	s_mov_b64 s[12:13], 0
	s_branch .LBB44_33
.LBB44_29:
	s_waitcnt vmcnt(0)
	v_cmp_lt_i32_e32 vcc, v8, v10
	s_andn2_b64 s[10:11], s[10:11], exec
	s_and_b64 s[12:13], vcc, exec
	s_or_b64 s[10:11], s[10:11], s[12:13]
	s_cbranch_execz .LBB44_22
	s_branch .LBB44_23
.LBB44_30:
                                        ; implicit-def: $sgpr10_sgpr11
	s_mov_b64 s[12:13], 0
	s_cbranch_execnz .LBB44_34
	s_branch .LBB44_35
.LBB44_31:
	s_mov_b64 s[12:13], 0
                                        ; implicit-def: $sgpr10_sgpr11
	s_cbranch_execz .LBB44_33
; %bb.32:
	s_waitcnt vmcnt(0)
	v_cmp_gt_i32_e32 vcc, v9, v2
	s_andn2_b64 s[10:11], s[10:11], exec
	s_and_b64 s[14:15], vcc, exec
	s_or_b64 s[10:11], s[10:11], s[14:15]
.LBB44_33:
	s_branch .LBB44_35
.LBB44_34:
	s_cmp_lg_u32 s3, 0
	s_mov_b64 s[6:7], -1
	s_cselect_b64 s[12:13], -1, 0
.LBB44_35:
	s_andn2_b64 vcc, exec, s[12:13]
	s_cbranch_vccz .LBB44_44
; %bb.36:
	s_andn2_b64 vcc, exec, s[6:7]
	s_cbranch_vccnz .LBB44_38
.LBB44_37:
	s_waitcnt vmcnt(0)
	v_cmp_ge_i32_e32 vcc, v9, v2
	s_andn2_b64 s[6:7], s[10:11], exec
	s_and_b64 s[10:11], vcc, exec
	s_or_b64 s[10:11], s[6:7], s[10:11]
.LBB44_38:
	s_waitcnt vmcnt(0)
	v_cndmask_b32_e64 v2, 0, 1, s[10:11]
	v_lshlrev_b16_e32 v2, 8, v2
	v_or_b32_e32 v2, v5, v2
	v_and_b32_e32 v5, 0xffff, v2
.LBB44_39:
	s_or_b64 exec, exec, s[4:5]
	s_waitcnt vmcnt(0)
	v_or_b32_e32 v2, 0x200, v0
	v_cmp_gt_i32_e32 vcc, s2, v2
	s_and_saveexec_b64 s[4:5], vcc
	s_cbranch_execz .LBB44_54
; %bb.40:
	s_cmp_lt_i32 s3, 1
	s_mov_b64 s[6:7], 0
	s_cbranch_scc1 .LBB44_45
; %bb.41:
	s_cmp_gt_i32 s3, 1
	s_cbranch_scc0 .LBB44_46
; %bb.42:
	s_cmp_eq_u32 s3, 2
	s_cbranch_scc0 .LBB44_80
; %bb.43:
	v_cmp_le_i32_e64 s[10:11], v7, v3
	s_mov_b64 s[12:13], 0
	s_branch .LBB44_48
.LBB44_44:
	s_waitcnt vmcnt(0)
	v_cmp_lt_i32_e32 vcc, v9, v2
	s_andn2_b64 s[10:11], s[10:11], exec
	s_and_b64 s[12:13], vcc, exec
	s_or_b64 s[10:11], s[10:11], s[12:13]
	s_cbranch_execz .LBB44_37
	s_branch .LBB44_38
.LBB44_45:
                                        ; implicit-def: $sgpr10_sgpr11
	s_mov_b64 s[12:13], 0
	s_cbranch_execnz .LBB44_49
	s_branch .LBB44_50
.LBB44_46:
	s_mov_b64 s[12:13], 0
                                        ; implicit-def: $sgpr10_sgpr11
	s_cbranch_execz .LBB44_48
; %bb.47:
	v_cmp_gt_i32_e32 vcc, v7, v3
	s_andn2_b64 s[10:11], s[10:11], exec
	s_and_b64 s[14:15], vcc, exec
	s_or_b64 s[10:11], s[10:11], s[14:15]
.LBB44_48:
	s_branch .LBB44_50
.LBB44_49:
	s_cmp_lg_u32 s3, 0
	s_mov_b64 s[6:7], -1
	s_cselect_b64 s[12:13], -1, 0
.LBB44_50:
	s_andn2_b64 vcc, exec, s[12:13]
	s_cbranch_vccz .LBB44_59
; %bb.51:
	s_andn2_b64 vcc, exec, s[6:7]
	s_cbranch_vccnz .LBB44_53
.LBB44_52:
	v_cmp_ge_i32_e32 vcc, v7, v3
	s_andn2_b64 s[6:7], s[10:11], exec
	s_and_b64 s[10:11], vcc, exec
	s_or_b64 s[10:11], s[6:7], s[10:11]
.LBB44_53:
	v_cndmask_b32_e64 v2, 0, 1, s[10:11]
	v_lshl_or_b32 v5, v2, 16, v5
.LBB44_54:
	s_or_b64 exec, exec, s[4:5]
	v_or_b32_e32 v2, 0x300, v0
	v_cmp_gt_i32_e32 vcc, s2, v2
	s_and_saveexec_b64 s[4:5], vcc
	s_cbranch_execz .LBB44_69
; %bb.55:
	s_cmp_lt_i32 s3, 1
	s_mov_b64 s[6:7], 0
	s_cbranch_scc1 .LBB44_60
; %bb.56:
	s_cmp_gt_i32 s3, 1
	s_cbranch_scc0 .LBB44_61
; %bb.57:
	s_cmp_eq_u32 s3, 2
	s_cbranch_scc0 .LBB44_81
; %bb.58:
	v_cmp_le_i32_e64 s[10:11], v6, v4
	s_mov_b64 s[12:13], 0
	s_branch .LBB44_63
.LBB44_59:
	v_cmp_lt_i32_e32 vcc, v7, v3
	s_andn2_b64 s[10:11], s[10:11], exec
	s_and_b64 s[12:13], vcc, exec
	s_or_b64 s[10:11], s[10:11], s[12:13]
	s_cbranch_execz .LBB44_52
	s_branch .LBB44_53
.LBB44_60:
                                        ; implicit-def: $sgpr10_sgpr11
	s_mov_b64 s[12:13], 0
	s_cbranch_execnz .LBB44_64
	s_branch .LBB44_65
.LBB44_61:
	s_mov_b64 s[12:13], 0
                                        ; implicit-def: $sgpr10_sgpr11
	s_cbranch_execz .LBB44_63
; %bb.62:
	v_cmp_gt_i32_e32 vcc, v6, v4
	s_andn2_b64 s[10:11], s[10:11], exec
	s_and_b64 s[14:15], vcc, exec
	s_or_b64 s[10:11], s[10:11], s[14:15]
.LBB44_63:
	s_branch .LBB44_65
.LBB44_64:
	s_cmp_lg_u32 s3, 0
	s_mov_b64 s[6:7], -1
	s_cselect_b64 s[12:13], -1, 0
.LBB44_65:
	s_andn2_b64 vcc, exec, s[12:13]
	s_cbranch_vccz .LBB44_78
; %bb.66:
	s_andn2_b64 vcc, exec, s[6:7]
	s_cbranch_vccnz .LBB44_68
.LBB44_67:
	v_cmp_ge_i32_e32 vcc, v6, v4
	s_andn2_b64 s[6:7], s[10:11], exec
	s_and_b64 s[10:11], vcc, exec
	s_or_b64 s[10:11], s[6:7], s[10:11]
.LBB44_68:
	v_cndmask_b32_e64 v2, 0, 1, s[10:11]
	v_lshlrev_b16_e32 v2, 8, v2
	v_or_b32_sdwa v2, v5, v2 dst_sel:WORD_1 dst_unused:UNUSED_PAD src0_sel:WORD_1 src1_sel:DWORD
	s_mov_b32 s3, 0xffff
	v_and_or_b32 v5, v5, s3, v2
.LBB44_69:
	s_or_b64 exec, exec, s[4:5]
	s_and_saveexec_b64 s[4:5], s[0:1]
	s_xor_b64 s[0:1], exec, s[4:5]
	s_cbranch_execz .LBB44_71
; %bb.70:
	v_mov_b32_e32 v0, v8
	global_store_byte v1, v5, s[8:9]
.LBB44_71:
	s_or_b64 exec, exec, s[0:1]
	v_cmp_gt_i32_e32 vcc, s2, v0
	s_and_saveexec_b64 s[0:1], vcc
	s_cbranch_execnz .LBB44_75
; %bb.72:
	s_or_b64 exec, exec, s[0:1]
	v_cmp_gt_i32_e32 vcc, s2, v0
	s_and_saveexec_b64 s[0:1], vcc
	s_cbranch_execnz .LBB44_76
.LBB44_73:
	s_or_b64 exec, exec, s[0:1]
	v_cmp_gt_i32_e32 vcc, s2, v0
	s_and_saveexec_b64 s[0:1], vcc
	s_cbranch_execnz .LBB44_77
.LBB44_74:
	s_endpgm
.LBB44_75:
	v_add_u32_e32 v1, 0x100, v0
	v_add_u32_e32 v0, s18, v0
	v_lshrrev_b32_e32 v2, 8, v5
	global_store_byte v0, v2, s[8:9]
	v_mov_b32_e32 v0, v1
	s_or_b64 exec, exec, s[0:1]
	v_cmp_gt_i32_e32 vcc, s2, v0
	s_and_saveexec_b64 s[0:1], vcc
	s_cbranch_execz .LBB44_73
.LBB44_76:
	v_add_u32_e32 v1, 0x100, v0
	v_add_u32_e32 v0, s18, v0
	global_store_byte_d16_hi v0, v5, s[8:9]
	v_mov_b32_e32 v0, v1
	s_or_b64 exec, exec, s[0:1]
	v_cmp_gt_i32_e32 vcc, s2, v0
	s_and_saveexec_b64 s[0:1], vcc
	s_cbranch_execz .LBB44_74
.LBB44_77:
	v_add_u32_e32 v0, s18, v0
	v_lshrrev_b32_e32 v1, 24, v5
	global_store_byte v0, v1, s[8:9]
	s_endpgm
.LBB44_78:
	v_cmp_lt_i32_e32 vcc, v6, v4
	s_andn2_b64 s[10:11], s[10:11], exec
	s_and_b64 s[12:13], vcc, exec
	s_or_b64 s[10:11], s[10:11], s[12:13]
	s_cbranch_execz .LBB44_67
	s_branch .LBB44_68
.LBB44_79:
	s_mov_b64 s[12:13], -1
                                        ; implicit-def: $sgpr10_sgpr11
	s_branch .LBB44_33
.LBB44_80:
	s_mov_b64 s[12:13], -1
                                        ; implicit-def: $sgpr10_sgpr11
	s_branch .LBB44_48
.LBB44_81:
	s_mov_b64 s[12:13], -1
                                        ; implicit-def: $sgpr10_sgpr11
	s_branch .LBB44_63
	.section	.rodata,"a",@progbits
	.p2align	6, 0x0
	.amdhsa_kernel _ZN2at6native27unrolled_elementwise_kernelINS0_12_GLOBAL__N_114CompareFunctorIiEESt5arrayIPcLm3EELi4E23TrivialOffsetCalculatorILi2EjES8_ILi1EjENS0_6memory15LoadWithoutCastENSB_16StoreWithoutCastEEEviT_T0_T2_T3_T4_T5_
		.amdhsa_group_segment_fixed_size 0
		.amdhsa_private_segment_fixed_size 0
		.amdhsa_kernarg_size 36
		.amdhsa_user_sgpr_count 6
		.amdhsa_user_sgpr_private_segment_buffer 1
		.amdhsa_user_sgpr_dispatch_ptr 0
		.amdhsa_user_sgpr_queue_ptr 0
		.amdhsa_user_sgpr_kernarg_segment_ptr 1
		.amdhsa_user_sgpr_dispatch_id 0
		.amdhsa_user_sgpr_flat_scratch_init 0
		.amdhsa_user_sgpr_private_segment_size 0
		.amdhsa_uses_dynamic_stack 0
		.amdhsa_system_sgpr_private_segment_wavefront_offset 0
		.amdhsa_system_sgpr_workgroup_id_x 1
		.amdhsa_system_sgpr_workgroup_id_y 0
		.amdhsa_system_sgpr_workgroup_id_z 0
		.amdhsa_system_sgpr_workgroup_info 0
		.amdhsa_system_vgpr_workitem_id 0
		.amdhsa_next_free_vgpr 15
		.amdhsa_next_free_sgpr 19
		.amdhsa_reserve_vcc 1
		.amdhsa_reserve_flat_scratch 0
		.amdhsa_float_round_mode_32 0
		.amdhsa_float_round_mode_16_64 0
		.amdhsa_float_denorm_mode_32 3
		.amdhsa_float_denorm_mode_16_64 3
		.amdhsa_dx10_clamp 1
		.amdhsa_ieee_mode 1
		.amdhsa_fp16_overflow 0
		.amdhsa_exception_fp_ieee_invalid_op 0
		.amdhsa_exception_fp_denorm_src 0
		.amdhsa_exception_fp_ieee_div_zero 0
		.amdhsa_exception_fp_ieee_overflow 0
		.amdhsa_exception_fp_ieee_underflow 0
		.amdhsa_exception_fp_ieee_inexact 0
		.amdhsa_exception_int_div_zero 0
	.end_amdhsa_kernel
	.section	.text._ZN2at6native27unrolled_elementwise_kernelINS0_12_GLOBAL__N_114CompareFunctorIiEESt5arrayIPcLm3EELi4E23TrivialOffsetCalculatorILi2EjES8_ILi1EjENS0_6memory15LoadWithoutCastENSB_16StoreWithoutCastEEEviT_T0_T2_T3_T4_T5_,"axG",@progbits,_ZN2at6native27unrolled_elementwise_kernelINS0_12_GLOBAL__N_114CompareFunctorIiEESt5arrayIPcLm3EELi4E23TrivialOffsetCalculatorILi2EjES8_ILi1EjENS0_6memory15LoadWithoutCastENSB_16StoreWithoutCastEEEviT_T0_T2_T3_T4_T5_,comdat
.Lfunc_end44:
	.size	_ZN2at6native27unrolled_elementwise_kernelINS0_12_GLOBAL__N_114CompareFunctorIiEESt5arrayIPcLm3EELi4E23TrivialOffsetCalculatorILi2EjES8_ILi1EjENS0_6memory15LoadWithoutCastENSB_16StoreWithoutCastEEEviT_T0_T2_T3_T4_T5_, .Lfunc_end44-_ZN2at6native27unrolled_elementwise_kernelINS0_12_GLOBAL__N_114CompareFunctorIiEESt5arrayIPcLm3EELi4E23TrivialOffsetCalculatorILi2EjES8_ILi1EjENS0_6memory15LoadWithoutCastENSB_16StoreWithoutCastEEEviT_T0_T2_T3_T4_T5_
                                        ; -- End function
	.set _ZN2at6native27unrolled_elementwise_kernelINS0_12_GLOBAL__N_114CompareFunctorIiEESt5arrayIPcLm3EELi4E23TrivialOffsetCalculatorILi2EjES8_ILi1EjENS0_6memory15LoadWithoutCastENSB_16StoreWithoutCastEEEviT_T0_T2_T3_T4_T5_.num_vgpr, 15
	.set _ZN2at6native27unrolled_elementwise_kernelINS0_12_GLOBAL__N_114CompareFunctorIiEESt5arrayIPcLm3EELi4E23TrivialOffsetCalculatorILi2EjES8_ILi1EjENS0_6memory15LoadWithoutCastENSB_16StoreWithoutCastEEEviT_T0_T2_T3_T4_T5_.num_agpr, 0
	.set _ZN2at6native27unrolled_elementwise_kernelINS0_12_GLOBAL__N_114CompareFunctorIiEESt5arrayIPcLm3EELi4E23TrivialOffsetCalculatorILi2EjES8_ILi1EjENS0_6memory15LoadWithoutCastENSB_16StoreWithoutCastEEEviT_T0_T2_T3_T4_T5_.numbered_sgpr, 19
	.set _ZN2at6native27unrolled_elementwise_kernelINS0_12_GLOBAL__N_114CompareFunctorIiEESt5arrayIPcLm3EELi4E23TrivialOffsetCalculatorILi2EjES8_ILi1EjENS0_6memory15LoadWithoutCastENSB_16StoreWithoutCastEEEviT_T0_T2_T3_T4_T5_.num_named_barrier, 0
	.set _ZN2at6native27unrolled_elementwise_kernelINS0_12_GLOBAL__N_114CompareFunctorIiEESt5arrayIPcLm3EELi4E23TrivialOffsetCalculatorILi2EjES8_ILi1EjENS0_6memory15LoadWithoutCastENSB_16StoreWithoutCastEEEviT_T0_T2_T3_T4_T5_.private_seg_size, 0
	.set _ZN2at6native27unrolled_elementwise_kernelINS0_12_GLOBAL__N_114CompareFunctorIiEESt5arrayIPcLm3EELi4E23TrivialOffsetCalculatorILi2EjES8_ILi1EjENS0_6memory15LoadWithoutCastENSB_16StoreWithoutCastEEEviT_T0_T2_T3_T4_T5_.uses_vcc, 1
	.set _ZN2at6native27unrolled_elementwise_kernelINS0_12_GLOBAL__N_114CompareFunctorIiEESt5arrayIPcLm3EELi4E23TrivialOffsetCalculatorILi2EjES8_ILi1EjENS0_6memory15LoadWithoutCastENSB_16StoreWithoutCastEEEviT_T0_T2_T3_T4_T5_.uses_flat_scratch, 0
	.set _ZN2at6native27unrolled_elementwise_kernelINS0_12_GLOBAL__N_114CompareFunctorIiEESt5arrayIPcLm3EELi4E23TrivialOffsetCalculatorILi2EjES8_ILi1EjENS0_6memory15LoadWithoutCastENSB_16StoreWithoutCastEEEviT_T0_T2_T3_T4_T5_.has_dyn_sized_stack, 0
	.set _ZN2at6native27unrolled_elementwise_kernelINS0_12_GLOBAL__N_114CompareFunctorIiEESt5arrayIPcLm3EELi4E23TrivialOffsetCalculatorILi2EjES8_ILi1EjENS0_6memory15LoadWithoutCastENSB_16StoreWithoutCastEEEviT_T0_T2_T3_T4_T5_.has_recursion, 0
	.set _ZN2at6native27unrolled_elementwise_kernelINS0_12_GLOBAL__N_114CompareFunctorIiEESt5arrayIPcLm3EELi4E23TrivialOffsetCalculatorILi2EjES8_ILi1EjENS0_6memory15LoadWithoutCastENSB_16StoreWithoutCastEEEviT_T0_T2_T3_T4_T5_.has_indirect_call, 0
	.section	.AMDGPU.csdata,"",@progbits
; Kernel info:
; codeLenInByte = 1460
; TotalNumSgprs: 23
; NumVgprs: 15
; ScratchSize: 0
; MemoryBound: 0
; FloatMode: 240
; IeeeMode: 1
; LDSByteSize: 0 bytes/workgroup (compile time only)
; SGPRBlocks: 2
; VGPRBlocks: 3
; NumSGPRsForWavesPerEU: 23
; NumVGPRsForWavesPerEU: 15
; Occupancy: 10
; WaveLimiterHint : 0
; COMPUTE_PGM_RSRC2:SCRATCH_EN: 0
; COMPUTE_PGM_RSRC2:USER_SGPR: 6
; COMPUTE_PGM_RSRC2:TRAP_HANDLER: 0
; COMPUTE_PGM_RSRC2:TGID_X_EN: 1
; COMPUTE_PGM_RSRC2:TGID_Y_EN: 0
; COMPUTE_PGM_RSRC2:TGID_Z_EN: 0
; COMPUTE_PGM_RSRC2:TIDIG_COMP_CNT: 0
	.section	.text._ZN2at6native32elementwise_kernel_manual_unrollILi128ELi8EZNS0_22gpu_kernel_impl_nocastINS0_12_GLOBAL__N_114CompareFunctorIiEEEEvRNS_18TensorIteratorBaseERKT_EUlibE_EEviT1_,"axG",@progbits,_ZN2at6native32elementwise_kernel_manual_unrollILi128ELi8EZNS0_22gpu_kernel_impl_nocastINS0_12_GLOBAL__N_114CompareFunctorIiEEEEvRNS_18TensorIteratorBaseERKT_EUlibE_EEviT1_,comdat
	.globl	_ZN2at6native32elementwise_kernel_manual_unrollILi128ELi8EZNS0_22gpu_kernel_impl_nocastINS0_12_GLOBAL__N_114CompareFunctorIiEEEEvRNS_18TensorIteratorBaseERKT_EUlibE_EEviT1_ ; -- Begin function _ZN2at6native32elementwise_kernel_manual_unrollILi128ELi8EZNS0_22gpu_kernel_impl_nocastINS0_12_GLOBAL__N_114CompareFunctorIiEEEEvRNS_18TensorIteratorBaseERKT_EUlibE_EEviT1_
	.p2align	8
	.type	_ZN2at6native32elementwise_kernel_manual_unrollILi128ELi8EZNS0_22gpu_kernel_impl_nocastINS0_12_GLOBAL__N_114CompareFunctorIiEEEEvRNS_18TensorIteratorBaseERKT_EUlibE_EEviT1_,@function
_ZN2at6native32elementwise_kernel_manual_unrollILi128ELi8EZNS0_22gpu_kernel_impl_nocastINS0_12_GLOBAL__N_114CompareFunctorIiEEEEvRNS_18TensorIteratorBaseERKT_EUlibE_EEviT1_: ; @_ZN2at6native32elementwise_kernel_manual_unrollILi128ELi8EZNS0_22gpu_kernel_impl_nocastINS0_12_GLOBAL__N_114CompareFunctorIiEEEEvRNS_18TensorIteratorBaseERKT_EUlibE_EEviT1_
; %bb.0:
	s_load_dword s43, s[4:5], 0x0
	s_load_dword s33, s[4:5], 0x8
	s_add_u32 s12, s4, 8
	s_addc_u32 s13, s5, 0
	v_lshl_or_b32 v21, s6, 10, v0
	v_or_b32_e32 v37, 0x380, v21
	s_waitcnt lgkmcnt(0)
	s_add_i32 s40, s33, -1
	s_cmp_gt_u32 s40, 1
	v_cmp_le_i32_e32 vcc, s43, v37
	s_cselect_b64 s[14:15], -1, 0
	s_and_saveexec_b64 s[0:1], vcc
	s_xor_b64 s[16:17], exec, s[0:1]
	s_cbranch_execz .LBB45_211
; %bb.1:
	s_load_dwordx4 s[8:11], s[12:13], 0x4
	s_load_dwordx2 s[22:23], s[12:13], 0x14
	s_load_dwordx4 s[4:7], s[12:13], 0xc4
	s_load_dwordx2 s[20:21], s[12:13], 0xd4
	s_load_dwordx2 s[18:19], s[12:13], 0x198
	s_load_dwordx4 s[0:3], s[12:13], 0x188
	s_load_dword s41, s[12:13], 0x1a0
	s_cmp_lg_u32 s33, 0
	s_cselect_b64 s[26:27], -1, 0
	s_min_u32 s42, s40, 15
	s_cmp_gt_u32 s33, 1
	s_cselect_b64 s[24:25], -1, 0
	v_cmp_gt_i32_e32 vcc, s43, v21
	s_and_saveexec_b64 s[28:29], vcc
	s_cbranch_execnz .LBB45_9
; %bb.2:
	s_or_b64 exec, exec, s[28:29]
	v_cmp_gt_i32_e32 vcc, s43, v21
	s_and_saveexec_b64 s[28:29], vcc
	s_cbranch_execnz .LBB45_35
.LBB45_3:
	s_or_b64 exec, exec, s[28:29]
	v_cmp_gt_i32_e32 vcc, s43, v21
	s_and_saveexec_b64 s[28:29], vcc
	s_cbranch_execnz .LBB45_60
.LBB45_4:
	s_or_b64 exec, exec, s[28:29]
	v_cmp_gt_i32_e32 vcc, s43, v21
	s_and_saveexec_b64 s[28:29], vcc
	s_cbranch_execnz .LBB45_85
.LBB45_5:
	s_or_b64 exec, exec, s[28:29]
	v_cmp_gt_i32_e32 vcc, s43, v21
	s_and_saveexec_b64 s[28:29], vcc
	s_cbranch_execnz .LBB45_110
.LBB45_6:
	s_or_b64 exec, exec, s[28:29]
	v_cmp_gt_i32_e32 vcc, s43, v21
	s_and_saveexec_b64 s[28:29], vcc
	s_cbranch_execnz .LBB45_135
.LBB45_7:
	s_or_b64 exec, exec, s[28:29]
	v_cmp_gt_i32_e32 vcc, s43, v21
	s_and_saveexec_b64 s[28:29], vcc
	s_cbranch_execnz .LBB45_160
.LBB45_8:
	s_or_b64 exec, exec, s[28:29]
	v_cmp_gt_i32_e32 vcc, s43, v21
	s_and_saveexec_b64 s[28:29], vcc
	s_cbranch_execnz .LBB45_185
	s_branch .LBB45_210
.LBB45_9:
	s_andn2_b64 vcc, exec, s[14:15]
	s_cbranch_vccnz .LBB45_15
; %bb.10:
	s_andn2_b64 vcc, exec, s[26:27]
	s_cbranch_vccnz .LBB45_16
; %bb.11:
	s_add_i32 s30, s42, 1
	s_and_b32 s34, s30, 30
	s_add_u32 s30, s12, 0xffffffe8
	s_addc_u32 s31, s13, -1
	v_mov_b32_e32 v2, 0
	v_mov_b32_e32 v4, 0
	;; [unrolled: 1-line block ×4, first 2 shown]
.LBB45_12:                              ; =>This Inner Loop Header: Depth=1
	s_load_dwordx4 s[36:39], s[30:31], 0x1c
	s_load_dwordx2 s[48:49], s[30:31], 0x2c
	s_load_dwordx2 s[50:51], s[30:31], 0xec
	s_load_dwordx4 s[44:47], s[30:31], 0xdc
	s_add_u32 s30, s30, 24
	s_waitcnt lgkmcnt(0)
	v_mul_hi_u32 v3, s37, v1
	s_addc_u32 s31, s31, 0
	s_add_i32 s34, s34, -2
	s_cmp_lg_u32 s34, 0
	v_add_u32_e32 v3, v1, v3
	v_lshrrev_b32_e32 v3, s38, v3
	v_mul_lo_u32 v5, v3, s36
	v_mul_hi_u32 v6, s48, v3
	v_sub_u32_e32 v5, v1, v5
	v_add_u32_e32 v1, v3, v6
	v_lshrrev_b32_e32 v1, s49, v1
	v_mul_lo_u32 v8, v1, s39
	v_mul_lo_u32 v6, v5, s44
	;; [unrolled: 1-line block ×4, first 2 shown]
	v_sub_u32_e32 v3, v3, v8
	v_mul_lo_u32 v8, v3, s47
	v_mul_lo_u32 v9, v3, s50
	;; [unrolled: 1-line block ×3, first 2 shown]
	v_add3_u32 v0, v6, v0, v8
	v_add3_u32 v4, v7, v4, v9
	v_add3_u32 v2, v5, v2, v3
	s_cbranch_scc1 .LBB45_12
; %bb.13:
	s_bitcmp1_b32 s42, 0
	s_cselect_b64 s[34:35], -1, 0
	s_and_b64 vcc, exec, s[34:35]
	s_cbranch_vccnz .LBB45_17
; %bb.14:
	s_load_dwordx2 s[34:35], s[30:31], 0x1c
	s_load_dword s38, s[30:31], 0x24
	s_load_dwordx2 s[36:37], s[30:31], 0xdc
	s_waitcnt lgkmcnt(0)
	v_mul_hi_u32 v3, s35, v1
	v_add_u32_e32 v3, v1, v3
	v_lshrrev_b32_e32 v3, s38, v3
	v_mul_lo_u32 v3, v3, s34
	s_load_dword s34, s[30:31], 0xe4
	v_sub_u32_e32 v3, v1, v3
	v_mad_u64_u32 v[0:1], s[30:31], v3, s36, v[0:1]
	v_mad_u64_u32 v[4:5], s[30:31], v3, s37, v[4:5]
	s_waitcnt lgkmcnt(0)
	v_mad_u64_u32 v[2:3], s[30:31], v3, s34, v[2:3]
	s_cbranch_execz .LBB45_18
	s_branch .LBB45_20
.LBB45_15:
                                        ; implicit-def: $vgpr0
                                        ; implicit-def: $vgpr4
                                        ; implicit-def: $vgpr2
	s_branch .LBB45_18
.LBB45_16:
	v_mov_b32_e32 v0, 0
	v_mov_b32_e32 v4, 0
	;; [unrolled: 1-line block ×3, first 2 shown]
.LBB45_17:
	s_cbranch_execnz .LBB45_20
.LBB45_18:
	s_waitcnt lgkmcnt(0)
	v_mul_hi_u32 v0, s9, v21
	s_andn2_b64 vcc, exec, s[24:25]
	v_add_u32_e32 v0, v21, v0
	v_lshrrev_b32_e32 v1, s10, v0
	v_mul_lo_u32 v0, v1, s8
	v_sub_u32_e32 v2, v21, v0
	v_mul_lo_u32 v0, v2, s4
	v_mul_lo_u32 v4, v2, s5
	;; [unrolled: 1-line block ×3, first 2 shown]
	s_cbranch_vccnz .LBB45_20
; %bb.19:
	v_mul_hi_u32 v3, s22, v1
	v_add_u32_e32 v3, v1, v3
	v_lshrrev_b32_e32 v3, s23, v3
	v_mul_lo_u32 v3, v3, s11
	v_sub_u32_e32 v3, v1, v3
	v_mad_u64_u32 v[0:1], s[30:31], v3, s7, v[0:1]
	v_mad_u64_u32 v[4:5], s[30:31], v3, s20, v[4:5]
	;; [unrolled: 1-line block ×3, first 2 shown]
.LBB45_20:
	s_waitcnt lgkmcnt(0)
	global_load_dword v1, v4, s[2:3]
	global_load_dword v3, v2, s[18:19]
	s_cmp_lt_i32 s41, 1
	s_mov_b64 s[30:31], 0
	s_cbranch_scc1 .LBB45_24
; %bb.21:
	s_cmp_gt_i32 s41, 1
	s_cbranch_scc0 .LBB45_25
; %bb.22:
	s_cmp_eq_u32 s41, 2
	s_cbranch_scc0 .LBB45_26
; %bb.23:
	s_waitcnt vmcnt(0)
	v_cmp_le_i32_e64 s[34:35], v1, v3
	s_mov_b64 s[36:37], 0
	s_branch .LBB45_27
.LBB45_24:
                                        ; implicit-def: $sgpr34_sgpr35
	s_mov_b64 s[36:37], 0
	s_cbranch_execnz .LBB45_30
	s_branch .LBB45_31
.LBB45_25:
	s_mov_b64 s[36:37], 0
                                        ; implicit-def: $sgpr34_sgpr35
	s_cbranch_execnz .LBB45_28
	s_branch .LBB45_29
.LBB45_26:
	s_mov_b64 s[36:37], -1
                                        ; implicit-def: $sgpr34_sgpr35
.LBB45_27:
	s_branch .LBB45_29
.LBB45_28:
	s_waitcnt vmcnt(0)
	v_cmp_gt_i32_e32 vcc, v1, v3
	s_andn2_b64 s[34:35], s[34:35], exec
	s_and_b64 s[38:39], vcc, exec
	s_or_b64 s[34:35], s[34:35], s[38:39]
.LBB45_29:
	s_branch .LBB45_31
.LBB45_30:
	s_cmp_lg_u32 s41, 0
	s_mov_b64 s[30:31], -1
	s_cselect_b64 s[36:37], -1, 0
.LBB45_31:
	s_andn2_b64 vcc, exec, s[36:37]
	s_cbranch_vccz .LBB45_41
; %bb.32:
	s_andn2_b64 vcc, exec, s[30:31]
	s_cbranch_vccnz .LBB45_34
.LBB45_33:
	s_waitcnt vmcnt(0)
	v_cmp_ge_i32_e32 vcc, v1, v3
	s_andn2_b64 s[30:31], s[34:35], exec
	s_and_b64 s[34:35], vcc, exec
	s_or_b64 s[34:35], s[30:31], s[34:35]
.LBB45_34:
	s_waitcnt vmcnt(1)
	v_cndmask_b32_e64 v1, 0, 1, s[34:35]
	v_add_u32_e32 v21, 0x80, v21
	global_store_byte v0, v1, s[0:1]
	s_or_b64 exec, exec, s[28:29]
	v_cmp_gt_i32_e32 vcc, s43, v21
	s_and_saveexec_b64 s[28:29], vcc
	s_cbranch_execz .LBB45_3
.LBB45_35:
	s_andn2_b64 vcc, exec, s[14:15]
	s_cbranch_vccnz .LBB45_42
; %bb.36:
	s_andn2_b64 vcc, exec, s[26:27]
	s_cbranch_vccnz .LBB45_43
; %bb.37:
	s_add_i32 s30, s42, 1
	s_and_b32 s34, s30, 30
	s_add_u32 s30, s12, 0xffffffe8
	s_addc_u32 s31, s13, -1
	v_mov_b32_e32 v2, 0
	v_mov_b32_e32 v4, 0
	;; [unrolled: 1-line block ×4, first 2 shown]
.LBB45_38:                              ; =>This Inner Loop Header: Depth=1
	s_load_dwordx4 s[36:39], s[30:31], 0x1c
	s_load_dwordx2 s[48:49], s[30:31], 0x2c
	s_load_dwordx2 s[50:51], s[30:31], 0xec
	s_load_dwordx4 s[44:47], s[30:31], 0xdc
	s_add_u32 s30, s30, 24
	s_waitcnt vmcnt(1) lgkmcnt(0)
	v_mul_hi_u32 v3, s37, v1
	s_addc_u32 s31, s31, 0
	s_add_i32 s34, s34, -2
	s_cmp_eq_u32 s34, 0
	v_add_u32_e32 v3, v1, v3
	v_lshrrev_b32_e32 v3, s38, v3
	v_mul_lo_u32 v5, v3, s36
	v_mul_hi_u32 v6, s48, v3
	v_sub_u32_e32 v5, v1, v5
	v_add_u32_e32 v1, v3, v6
	v_lshrrev_b32_e32 v1, s49, v1
	v_mul_lo_u32 v8, v1, s39
	v_mul_lo_u32 v6, v5, s44
	;; [unrolled: 1-line block ×4, first 2 shown]
	v_sub_u32_e32 v3, v3, v8
	v_mul_lo_u32 v8, v3, s47
	v_mul_lo_u32 v9, v3, s50
	v_mul_lo_u32 v3, v3, s51
	v_add3_u32 v0, v6, v0, v8
	v_add3_u32 v4, v7, v4, v9
	;; [unrolled: 1-line block ×3, first 2 shown]
	s_cbranch_scc0 .LBB45_38
; %bb.39:
	s_bitcmp1_b32 s42, 0
	s_cselect_b64 s[34:35], -1, 0
	s_and_b64 vcc, exec, s[34:35]
	s_cbranch_vccnz .LBB45_44
; %bb.40:
	s_load_dwordx2 s[34:35], s[30:31], 0x1c
	s_load_dword s38, s[30:31], 0x24
	s_load_dwordx2 s[36:37], s[30:31], 0xdc
	s_waitcnt lgkmcnt(0)
	v_mul_hi_u32 v3, s35, v1
	v_add_u32_e32 v3, v1, v3
	v_lshrrev_b32_e32 v3, s38, v3
	v_mul_lo_u32 v3, v3, s34
	s_load_dword s34, s[30:31], 0xe4
	v_sub_u32_e32 v3, v1, v3
	v_mad_u64_u32 v[0:1], s[30:31], v3, s36, v[0:1]
	v_mad_u64_u32 v[4:5], s[30:31], v3, s37, v[4:5]
	s_waitcnt lgkmcnt(0)
	v_mad_u64_u32 v[2:3], s[30:31], v3, s34, v[2:3]
	s_branch .LBB45_44
.LBB45_41:
	s_waitcnt vmcnt(0)
	v_cmp_lt_i32_e32 vcc, v1, v3
	s_andn2_b64 s[34:35], s[34:35], exec
	s_and_b64 s[36:37], vcc, exec
	s_or_b64 s[34:35], s[34:35], s[36:37]
	s_cbranch_execz .LBB45_33
	s_branch .LBB45_34
.LBB45_42:
                                        ; implicit-def: $vgpr0
                                        ; implicit-def: $vgpr4
                                        ; implicit-def: $vgpr2
	s_branch .LBB45_45
.LBB45_43:
	v_mov_b32_e32 v0, 0
	v_mov_b32_e32 v4, 0
	;; [unrolled: 1-line block ×3, first 2 shown]
.LBB45_44:
	s_cbranch_execnz .LBB45_47
.LBB45_45:
	s_waitcnt lgkmcnt(0)
	v_mul_hi_u32 v0, s9, v21
	s_andn2_b64 vcc, exec, s[24:25]
	v_add_u32_e32 v0, v21, v0
	v_lshrrev_b32_e32 v1, s10, v0
	v_mul_lo_u32 v0, v1, s8
	v_sub_u32_e32 v2, v21, v0
	v_mul_lo_u32 v0, v2, s4
	v_mul_lo_u32 v4, v2, s5
	;; [unrolled: 1-line block ×3, first 2 shown]
	s_cbranch_vccnz .LBB45_47
; %bb.46:
	s_waitcnt vmcnt(1)
	v_mul_hi_u32 v3, s22, v1
	v_add_u32_e32 v3, v1, v3
	v_lshrrev_b32_e32 v3, s23, v3
	v_mul_lo_u32 v3, v3, s11
	v_sub_u32_e32 v3, v1, v3
	v_mad_u64_u32 v[0:1], s[30:31], v3, s7, v[0:1]
	v_mad_u64_u32 v[4:5], s[30:31], v3, s20, v[4:5]
	;; [unrolled: 1-line block ×3, first 2 shown]
.LBB45_47:
	s_waitcnt lgkmcnt(0)
	global_load_dword v1, v4, s[2:3]
	global_load_dword v3, v2, s[18:19]
	s_cmp_lt_i32 s41, 1
	s_mov_b64 s[30:31], 0
	s_cbranch_scc1 .LBB45_51
; %bb.48:
	s_cmp_gt_i32 s41, 1
	s_cbranch_scc0 .LBB45_52
; %bb.49:
	s_cmp_eq_u32 s41, 2
	s_cbranch_scc0 .LBB45_423
; %bb.50:
	s_waitcnt vmcnt(0)
	v_cmp_le_i32_e64 s[34:35], v1, v3
	s_mov_b64 s[36:37], 0
	s_branch .LBB45_54
.LBB45_51:
                                        ; implicit-def: $sgpr34_sgpr35
	s_mov_b64 s[36:37], 0
	s_cbranch_execnz .LBB45_55
	s_branch .LBB45_56
.LBB45_52:
	s_mov_b64 s[36:37], 0
                                        ; implicit-def: $sgpr34_sgpr35
	s_cbranch_execz .LBB45_54
; %bb.53:
	s_waitcnt vmcnt(0)
	v_cmp_gt_i32_e32 vcc, v1, v3
	s_andn2_b64 s[34:35], s[34:35], exec
	s_and_b64 s[38:39], vcc, exec
	s_or_b64 s[34:35], s[34:35], s[38:39]
.LBB45_54:
	s_branch .LBB45_56
.LBB45_55:
	s_cmp_lg_u32 s41, 0
	s_mov_b64 s[30:31], -1
	s_cselect_b64 s[36:37], -1, 0
.LBB45_56:
	s_andn2_b64 vcc, exec, s[36:37]
	s_cbranch_vccz .LBB45_66
; %bb.57:
	s_andn2_b64 vcc, exec, s[30:31]
	s_cbranch_vccnz .LBB45_59
.LBB45_58:
	s_waitcnt vmcnt(0)
	v_cmp_ge_i32_e32 vcc, v1, v3
	s_andn2_b64 s[30:31], s[34:35], exec
	s_and_b64 s[34:35], vcc, exec
	s_or_b64 s[34:35], s[30:31], s[34:35]
.LBB45_59:
	s_waitcnt vmcnt(1)
	v_cndmask_b32_e64 v1, 0, 1, s[34:35]
	v_add_u32_e32 v21, 0x80, v21
	global_store_byte v0, v1, s[0:1]
	s_or_b64 exec, exec, s[28:29]
	v_cmp_gt_i32_e32 vcc, s43, v21
	s_and_saveexec_b64 s[28:29], vcc
	s_cbranch_execz .LBB45_4
.LBB45_60:
	s_andn2_b64 vcc, exec, s[14:15]
	s_cbranch_vccnz .LBB45_67
; %bb.61:
	s_andn2_b64 vcc, exec, s[26:27]
	s_cbranch_vccnz .LBB45_68
; %bb.62:
	s_add_i32 s30, s42, 1
	s_and_b32 s34, s30, 30
	s_add_u32 s30, s12, 0xffffffe8
	s_addc_u32 s31, s13, -1
	v_mov_b32_e32 v2, 0
	v_mov_b32_e32 v4, 0
	;; [unrolled: 1-line block ×4, first 2 shown]
.LBB45_63:                              ; =>This Inner Loop Header: Depth=1
	s_load_dwordx4 s[36:39], s[30:31], 0x1c
	s_load_dwordx2 s[48:49], s[30:31], 0x2c
	s_load_dwordx2 s[50:51], s[30:31], 0xec
	s_load_dwordx4 s[44:47], s[30:31], 0xdc
	s_add_u32 s30, s30, 24
	s_waitcnt vmcnt(1) lgkmcnt(0)
	v_mul_hi_u32 v3, s37, v1
	s_addc_u32 s31, s31, 0
	s_add_i32 s34, s34, -2
	s_cmp_eq_u32 s34, 0
	v_add_u32_e32 v3, v1, v3
	v_lshrrev_b32_e32 v3, s38, v3
	v_mul_lo_u32 v5, v3, s36
	v_mul_hi_u32 v6, s48, v3
	v_sub_u32_e32 v5, v1, v5
	v_add_u32_e32 v1, v3, v6
	v_lshrrev_b32_e32 v1, s49, v1
	v_mul_lo_u32 v8, v1, s39
	v_mul_lo_u32 v6, v5, s44
	v_mul_lo_u32 v7, v5, s45
	v_mul_lo_u32 v5, v5, s46
	v_sub_u32_e32 v3, v3, v8
	v_mul_lo_u32 v8, v3, s47
	v_mul_lo_u32 v9, v3, s50
	;; [unrolled: 1-line block ×3, first 2 shown]
	v_add3_u32 v0, v6, v0, v8
	v_add3_u32 v4, v7, v4, v9
	;; [unrolled: 1-line block ×3, first 2 shown]
	s_cbranch_scc0 .LBB45_63
; %bb.64:
	s_bitcmp1_b32 s42, 0
	s_cselect_b64 s[34:35], -1, 0
	s_and_b64 vcc, exec, s[34:35]
	s_cbranch_vccnz .LBB45_69
; %bb.65:
	s_load_dwordx2 s[34:35], s[30:31], 0x1c
	s_load_dword s38, s[30:31], 0x24
	s_load_dwordx2 s[36:37], s[30:31], 0xdc
	s_waitcnt lgkmcnt(0)
	v_mul_hi_u32 v3, s35, v1
	v_add_u32_e32 v3, v1, v3
	v_lshrrev_b32_e32 v3, s38, v3
	v_mul_lo_u32 v3, v3, s34
	s_load_dword s34, s[30:31], 0xe4
	v_sub_u32_e32 v3, v1, v3
	v_mad_u64_u32 v[0:1], s[30:31], v3, s36, v[0:1]
	v_mad_u64_u32 v[4:5], s[30:31], v3, s37, v[4:5]
	s_waitcnt lgkmcnt(0)
	v_mad_u64_u32 v[2:3], s[30:31], v3, s34, v[2:3]
	s_branch .LBB45_69
.LBB45_66:
	s_waitcnt vmcnt(0)
	v_cmp_lt_i32_e32 vcc, v1, v3
	s_andn2_b64 s[34:35], s[34:35], exec
	s_and_b64 s[36:37], vcc, exec
	s_or_b64 s[34:35], s[34:35], s[36:37]
	s_cbranch_execz .LBB45_58
	s_branch .LBB45_59
.LBB45_67:
                                        ; implicit-def: $vgpr0
                                        ; implicit-def: $vgpr4
                                        ; implicit-def: $vgpr2
	s_branch .LBB45_70
.LBB45_68:
	v_mov_b32_e32 v0, 0
	v_mov_b32_e32 v4, 0
	;; [unrolled: 1-line block ×3, first 2 shown]
.LBB45_69:
	s_cbranch_execnz .LBB45_72
.LBB45_70:
	s_waitcnt lgkmcnt(0)
	v_mul_hi_u32 v0, s9, v21
	s_andn2_b64 vcc, exec, s[24:25]
	v_add_u32_e32 v0, v21, v0
	v_lshrrev_b32_e32 v1, s10, v0
	v_mul_lo_u32 v0, v1, s8
	v_sub_u32_e32 v2, v21, v0
	v_mul_lo_u32 v0, v2, s4
	v_mul_lo_u32 v4, v2, s5
	;; [unrolled: 1-line block ×3, first 2 shown]
	s_cbranch_vccnz .LBB45_72
; %bb.71:
	s_waitcnt vmcnt(1)
	v_mul_hi_u32 v3, s22, v1
	v_add_u32_e32 v3, v1, v3
	v_lshrrev_b32_e32 v3, s23, v3
	v_mul_lo_u32 v3, v3, s11
	v_sub_u32_e32 v3, v1, v3
	v_mad_u64_u32 v[0:1], s[30:31], v3, s7, v[0:1]
	v_mad_u64_u32 v[4:5], s[30:31], v3, s20, v[4:5]
	;; [unrolled: 1-line block ×3, first 2 shown]
.LBB45_72:
	s_waitcnt lgkmcnt(0)
	global_load_dword v1, v4, s[2:3]
	global_load_dword v3, v2, s[18:19]
	s_cmp_lt_i32 s41, 1
	s_mov_b64 s[30:31], 0
	s_cbranch_scc1 .LBB45_76
; %bb.73:
	s_cmp_gt_i32 s41, 1
	s_cbranch_scc0 .LBB45_77
; %bb.74:
	s_cmp_eq_u32 s41, 2
	s_cbranch_scc0 .LBB45_424
; %bb.75:
	s_waitcnt vmcnt(0)
	v_cmp_le_i32_e64 s[34:35], v1, v3
	s_mov_b64 s[36:37], 0
	s_branch .LBB45_79
.LBB45_76:
                                        ; implicit-def: $sgpr34_sgpr35
	s_mov_b64 s[36:37], 0
	s_cbranch_execnz .LBB45_80
	s_branch .LBB45_81
.LBB45_77:
	s_mov_b64 s[36:37], 0
                                        ; implicit-def: $sgpr34_sgpr35
	s_cbranch_execz .LBB45_79
; %bb.78:
	s_waitcnt vmcnt(0)
	v_cmp_gt_i32_e32 vcc, v1, v3
	s_andn2_b64 s[34:35], s[34:35], exec
	s_and_b64 s[38:39], vcc, exec
	s_or_b64 s[34:35], s[34:35], s[38:39]
.LBB45_79:
	s_branch .LBB45_81
.LBB45_80:
	s_cmp_lg_u32 s41, 0
	s_mov_b64 s[30:31], -1
	s_cselect_b64 s[36:37], -1, 0
.LBB45_81:
	s_andn2_b64 vcc, exec, s[36:37]
	s_cbranch_vccz .LBB45_91
; %bb.82:
	s_andn2_b64 vcc, exec, s[30:31]
	s_cbranch_vccnz .LBB45_84
.LBB45_83:
	s_waitcnt vmcnt(0)
	v_cmp_ge_i32_e32 vcc, v1, v3
	s_andn2_b64 s[30:31], s[34:35], exec
	s_and_b64 s[34:35], vcc, exec
	s_or_b64 s[34:35], s[30:31], s[34:35]
.LBB45_84:
	s_waitcnt vmcnt(1)
	v_cndmask_b32_e64 v1, 0, 1, s[34:35]
	v_add_u32_e32 v21, 0x80, v21
	global_store_byte v0, v1, s[0:1]
	s_or_b64 exec, exec, s[28:29]
	v_cmp_gt_i32_e32 vcc, s43, v21
	s_and_saveexec_b64 s[28:29], vcc
	s_cbranch_execz .LBB45_5
.LBB45_85:
	s_andn2_b64 vcc, exec, s[14:15]
	s_cbranch_vccnz .LBB45_92
; %bb.86:
	s_andn2_b64 vcc, exec, s[26:27]
	s_cbranch_vccnz .LBB45_93
; %bb.87:
	s_add_i32 s30, s42, 1
	s_and_b32 s34, s30, 30
	s_add_u32 s30, s12, 0xffffffe8
	s_addc_u32 s31, s13, -1
	v_mov_b32_e32 v2, 0
	v_mov_b32_e32 v4, 0
	;; [unrolled: 1-line block ×4, first 2 shown]
.LBB45_88:                              ; =>This Inner Loop Header: Depth=1
	s_load_dwordx4 s[36:39], s[30:31], 0x1c
	s_load_dwordx2 s[48:49], s[30:31], 0x2c
	s_load_dwordx2 s[50:51], s[30:31], 0xec
	s_load_dwordx4 s[44:47], s[30:31], 0xdc
	s_add_u32 s30, s30, 24
	s_waitcnt vmcnt(1) lgkmcnt(0)
	v_mul_hi_u32 v3, s37, v1
	s_addc_u32 s31, s31, 0
	s_add_i32 s34, s34, -2
	s_cmp_eq_u32 s34, 0
	v_add_u32_e32 v3, v1, v3
	v_lshrrev_b32_e32 v3, s38, v3
	v_mul_lo_u32 v5, v3, s36
	v_mul_hi_u32 v6, s48, v3
	v_sub_u32_e32 v5, v1, v5
	v_add_u32_e32 v1, v3, v6
	v_lshrrev_b32_e32 v1, s49, v1
	v_mul_lo_u32 v8, v1, s39
	v_mul_lo_u32 v6, v5, s44
	;; [unrolled: 1-line block ×4, first 2 shown]
	v_sub_u32_e32 v3, v3, v8
	v_mul_lo_u32 v8, v3, s47
	v_mul_lo_u32 v9, v3, s50
	;; [unrolled: 1-line block ×3, first 2 shown]
	v_add3_u32 v0, v6, v0, v8
	v_add3_u32 v4, v7, v4, v9
	;; [unrolled: 1-line block ×3, first 2 shown]
	s_cbranch_scc0 .LBB45_88
; %bb.89:
	s_bitcmp1_b32 s42, 0
	s_cselect_b64 s[34:35], -1, 0
	s_and_b64 vcc, exec, s[34:35]
	s_cbranch_vccnz .LBB45_94
; %bb.90:
	s_load_dwordx2 s[34:35], s[30:31], 0x1c
	s_load_dword s38, s[30:31], 0x24
	s_load_dwordx2 s[36:37], s[30:31], 0xdc
	s_waitcnt lgkmcnt(0)
	v_mul_hi_u32 v3, s35, v1
	v_add_u32_e32 v3, v1, v3
	v_lshrrev_b32_e32 v3, s38, v3
	v_mul_lo_u32 v3, v3, s34
	s_load_dword s34, s[30:31], 0xe4
	v_sub_u32_e32 v3, v1, v3
	v_mad_u64_u32 v[0:1], s[30:31], v3, s36, v[0:1]
	v_mad_u64_u32 v[4:5], s[30:31], v3, s37, v[4:5]
	s_waitcnt lgkmcnt(0)
	v_mad_u64_u32 v[2:3], s[30:31], v3, s34, v[2:3]
	s_branch .LBB45_94
.LBB45_91:
	s_waitcnt vmcnt(0)
	v_cmp_lt_i32_e32 vcc, v1, v3
	s_andn2_b64 s[34:35], s[34:35], exec
	s_and_b64 s[36:37], vcc, exec
	s_or_b64 s[34:35], s[34:35], s[36:37]
	s_cbranch_execz .LBB45_83
	s_branch .LBB45_84
.LBB45_92:
                                        ; implicit-def: $vgpr0
                                        ; implicit-def: $vgpr4
                                        ; implicit-def: $vgpr2
	s_branch .LBB45_95
.LBB45_93:
	v_mov_b32_e32 v0, 0
	v_mov_b32_e32 v4, 0
	;; [unrolled: 1-line block ×3, first 2 shown]
.LBB45_94:
	s_cbranch_execnz .LBB45_97
.LBB45_95:
	s_waitcnt lgkmcnt(0)
	v_mul_hi_u32 v0, s9, v21
	s_andn2_b64 vcc, exec, s[24:25]
	v_add_u32_e32 v0, v21, v0
	v_lshrrev_b32_e32 v1, s10, v0
	v_mul_lo_u32 v0, v1, s8
	v_sub_u32_e32 v2, v21, v0
	v_mul_lo_u32 v0, v2, s4
	v_mul_lo_u32 v4, v2, s5
	;; [unrolled: 1-line block ×3, first 2 shown]
	s_cbranch_vccnz .LBB45_97
; %bb.96:
	s_waitcnt vmcnt(1)
	v_mul_hi_u32 v3, s22, v1
	v_add_u32_e32 v3, v1, v3
	v_lshrrev_b32_e32 v3, s23, v3
	v_mul_lo_u32 v3, v3, s11
	v_sub_u32_e32 v3, v1, v3
	v_mad_u64_u32 v[0:1], s[30:31], v3, s7, v[0:1]
	v_mad_u64_u32 v[4:5], s[30:31], v3, s20, v[4:5]
	;; [unrolled: 1-line block ×3, first 2 shown]
.LBB45_97:
	s_waitcnt lgkmcnt(0)
	global_load_dword v1, v4, s[2:3]
	global_load_dword v3, v2, s[18:19]
	s_cmp_lt_i32 s41, 1
	s_mov_b64 s[30:31], 0
	s_cbranch_scc1 .LBB45_101
; %bb.98:
	s_cmp_gt_i32 s41, 1
	s_cbranch_scc0 .LBB45_102
; %bb.99:
	s_cmp_eq_u32 s41, 2
	s_cbranch_scc0 .LBB45_425
; %bb.100:
	s_waitcnt vmcnt(0)
	v_cmp_le_i32_e64 s[34:35], v1, v3
	s_mov_b64 s[36:37], 0
	s_branch .LBB45_104
.LBB45_101:
                                        ; implicit-def: $sgpr34_sgpr35
	s_mov_b64 s[36:37], 0
	s_cbranch_execnz .LBB45_105
	s_branch .LBB45_106
.LBB45_102:
	s_mov_b64 s[36:37], 0
                                        ; implicit-def: $sgpr34_sgpr35
	s_cbranch_execz .LBB45_104
; %bb.103:
	s_waitcnt vmcnt(0)
	v_cmp_gt_i32_e32 vcc, v1, v3
	s_andn2_b64 s[34:35], s[34:35], exec
	s_and_b64 s[38:39], vcc, exec
	s_or_b64 s[34:35], s[34:35], s[38:39]
.LBB45_104:
	s_branch .LBB45_106
.LBB45_105:
	s_cmp_lg_u32 s41, 0
	s_mov_b64 s[30:31], -1
	s_cselect_b64 s[36:37], -1, 0
.LBB45_106:
	s_andn2_b64 vcc, exec, s[36:37]
	s_cbranch_vccz .LBB45_116
; %bb.107:
	s_andn2_b64 vcc, exec, s[30:31]
	s_cbranch_vccnz .LBB45_109
.LBB45_108:
	s_waitcnt vmcnt(0)
	v_cmp_ge_i32_e32 vcc, v1, v3
	s_andn2_b64 s[30:31], s[34:35], exec
	s_and_b64 s[34:35], vcc, exec
	s_or_b64 s[34:35], s[30:31], s[34:35]
.LBB45_109:
	s_waitcnt vmcnt(1)
	v_cndmask_b32_e64 v1, 0, 1, s[34:35]
	v_add_u32_e32 v21, 0x80, v21
	global_store_byte v0, v1, s[0:1]
	s_or_b64 exec, exec, s[28:29]
	v_cmp_gt_i32_e32 vcc, s43, v21
	s_and_saveexec_b64 s[28:29], vcc
	s_cbranch_execz .LBB45_6
.LBB45_110:
	s_andn2_b64 vcc, exec, s[14:15]
	s_cbranch_vccnz .LBB45_117
; %bb.111:
	s_andn2_b64 vcc, exec, s[26:27]
	s_cbranch_vccnz .LBB45_118
; %bb.112:
	s_add_i32 s30, s42, 1
	s_and_b32 s34, s30, 30
	s_add_u32 s30, s12, 0xffffffe8
	s_addc_u32 s31, s13, -1
	v_mov_b32_e32 v2, 0
	v_mov_b32_e32 v4, 0
	;; [unrolled: 1-line block ×4, first 2 shown]
.LBB45_113:                             ; =>This Inner Loop Header: Depth=1
	s_load_dwordx4 s[36:39], s[30:31], 0x1c
	s_load_dwordx2 s[48:49], s[30:31], 0x2c
	s_load_dwordx2 s[50:51], s[30:31], 0xec
	s_load_dwordx4 s[44:47], s[30:31], 0xdc
	s_add_u32 s30, s30, 24
	s_waitcnt vmcnt(1) lgkmcnt(0)
	v_mul_hi_u32 v3, s37, v1
	s_addc_u32 s31, s31, 0
	s_add_i32 s34, s34, -2
	s_cmp_eq_u32 s34, 0
	v_add_u32_e32 v3, v1, v3
	v_lshrrev_b32_e32 v3, s38, v3
	v_mul_lo_u32 v5, v3, s36
	v_mul_hi_u32 v6, s48, v3
	v_sub_u32_e32 v5, v1, v5
	v_add_u32_e32 v1, v3, v6
	v_lshrrev_b32_e32 v1, s49, v1
	v_mul_lo_u32 v8, v1, s39
	v_mul_lo_u32 v6, v5, s44
	;; [unrolled: 1-line block ×4, first 2 shown]
	v_sub_u32_e32 v3, v3, v8
	v_mul_lo_u32 v8, v3, s47
	v_mul_lo_u32 v9, v3, s50
	;; [unrolled: 1-line block ×3, first 2 shown]
	v_add3_u32 v0, v6, v0, v8
	v_add3_u32 v4, v7, v4, v9
	;; [unrolled: 1-line block ×3, first 2 shown]
	s_cbranch_scc0 .LBB45_113
; %bb.114:
	s_bitcmp1_b32 s42, 0
	s_cselect_b64 s[34:35], -1, 0
	s_and_b64 vcc, exec, s[34:35]
	s_cbranch_vccnz .LBB45_119
; %bb.115:
	s_load_dwordx2 s[34:35], s[30:31], 0x1c
	s_load_dword s38, s[30:31], 0x24
	s_load_dwordx2 s[36:37], s[30:31], 0xdc
	s_waitcnt lgkmcnt(0)
	v_mul_hi_u32 v3, s35, v1
	v_add_u32_e32 v3, v1, v3
	v_lshrrev_b32_e32 v3, s38, v3
	v_mul_lo_u32 v3, v3, s34
	s_load_dword s34, s[30:31], 0xe4
	v_sub_u32_e32 v3, v1, v3
	v_mad_u64_u32 v[0:1], s[30:31], v3, s36, v[0:1]
	v_mad_u64_u32 v[4:5], s[30:31], v3, s37, v[4:5]
	s_waitcnt lgkmcnt(0)
	v_mad_u64_u32 v[2:3], s[30:31], v3, s34, v[2:3]
	s_branch .LBB45_119
.LBB45_116:
	s_waitcnt vmcnt(0)
	v_cmp_lt_i32_e32 vcc, v1, v3
	s_andn2_b64 s[34:35], s[34:35], exec
	s_and_b64 s[36:37], vcc, exec
	s_or_b64 s[34:35], s[34:35], s[36:37]
	s_cbranch_execz .LBB45_108
	s_branch .LBB45_109
.LBB45_117:
                                        ; implicit-def: $vgpr0
                                        ; implicit-def: $vgpr4
                                        ; implicit-def: $vgpr2
	s_branch .LBB45_120
.LBB45_118:
	v_mov_b32_e32 v0, 0
	v_mov_b32_e32 v4, 0
	;; [unrolled: 1-line block ×3, first 2 shown]
.LBB45_119:
	s_cbranch_execnz .LBB45_122
.LBB45_120:
	s_waitcnt lgkmcnt(0)
	v_mul_hi_u32 v0, s9, v21
	s_andn2_b64 vcc, exec, s[24:25]
	v_add_u32_e32 v0, v21, v0
	v_lshrrev_b32_e32 v1, s10, v0
	v_mul_lo_u32 v0, v1, s8
	v_sub_u32_e32 v2, v21, v0
	v_mul_lo_u32 v0, v2, s4
	v_mul_lo_u32 v4, v2, s5
	;; [unrolled: 1-line block ×3, first 2 shown]
	s_cbranch_vccnz .LBB45_122
; %bb.121:
	s_waitcnt vmcnt(1)
	v_mul_hi_u32 v3, s22, v1
	v_add_u32_e32 v3, v1, v3
	v_lshrrev_b32_e32 v3, s23, v3
	v_mul_lo_u32 v3, v3, s11
	v_sub_u32_e32 v3, v1, v3
	v_mad_u64_u32 v[0:1], s[30:31], v3, s7, v[0:1]
	v_mad_u64_u32 v[4:5], s[30:31], v3, s20, v[4:5]
	;; [unrolled: 1-line block ×3, first 2 shown]
.LBB45_122:
	s_waitcnt lgkmcnt(0)
	global_load_dword v1, v4, s[2:3]
	global_load_dword v3, v2, s[18:19]
	s_cmp_lt_i32 s41, 1
	s_mov_b64 s[30:31], 0
	s_cbranch_scc1 .LBB45_126
; %bb.123:
	s_cmp_gt_i32 s41, 1
	s_cbranch_scc0 .LBB45_127
; %bb.124:
	s_cmp_eq_u32 s41, 2
	s_cbranch_scc0 .LBB45_426
; %bb.125:
	s_waitcnt vmcnt(0)
	v_cmp_le_i32_e64 s[34:35], v1, v3
	s_mov_b64 s[36:37], 0
	s_branch .LBB45_129
.LBB45_126:
                                        ; implicit-def: $sgpr34_sgpr35
	s_mov_b64 s[36:37], 0
	s_cbranch_execnz .LBB45_130
	s_branch .LBB45_131
.LBB45_127:
	s_mov_b64 s[36:37], 0
                                        ; implicit-def: $sgpr34_sgpr35
	s_cbranch_execz .LBB45_129
; %bb.128:
	s_waitcnt vmcnt(0)
	v_cmp_gt_i32_e32 vcc, v1, v3
	s_andn2_b64 s[34:35], s[34:35], exec
	s_and_b64 s[38:39], vcc, exec
	s_or_b64 s[34:35], s[34:35], s[38:39]
.LBB45_129:
	s_branch .LBB45_131
.LBB45_130:
	s_cmp_lg_u32 s41, 0
	s_mov_b64 s[30:31], -1
	s_cselect_b64 s[36:37], -1, 0
.LBB45_131:
	s_andn2_b64 vcc, exec, s[36:37]
	s_cbranch_vccz .LBB45_141
; %bb.132:
	s_andn2_b64 vcc, exec, s[30:31]
	s_cbranch_vccnz .LBB45_134
.LBB45_133:
	s_waitcnt vmcnt(0)
	v_cmp_ge_i32_e32 vcc, v1, v3
	s_andn2_b64 s[30:31], s[34:35], exec
	s_and_b64 s[34:35], vcc, exec
	s_or_b64 s[34:35], s[30:31], s[34:35]
.LBB45_134:
	s_waitcnt vmcnt(1)
	v_cndmask_b32_e64 v1, 0, 1, s[34:35]
	v_add_u32_e32 v21, 0x80, v21
	global_store_byte v0, v1, s[0:1]
	s_or_b64 exec, exec, s[28:29]
	v_cmp_gt_i32_e32 vcc, s43, v21
	s_and_saveexec_b64 s[28:29], vcc
	s_cbranch_execz .LBB45_7
.LBB45_135:
	s_andn2_b64 vcc, exec, s[14:15]
	s_cbranch_vccnz .LBB45_142
; %bb.136:
	s_andn2_b64 vcc, exec, s[26:27]
	s_cbranch_vccnz .LBB45_143
; %bb.137:
	s_add_i32 s30, s42, 1
	s_and_b32 s34, s30, 30
	s_add_u32 s30, s12, 0xffffffe8
	s_addc_u32 s31, s13, -1
	v_mov_b32_e32 v2, 0
	v_mov_b32_e32 v4, 0
	;; [unrolled: 1-line block ×4, first 2 shown]
.LBB45_138:                             ; =>This Inner Loop Header: Depth=1
	s_load_dwordx4 s[36:39], s[30:31], 0x1c
	s_load_dwordx2 s[48:49], s[30:31], 0x2c
	s_load_dwordx2 s[50:51], s[30:31], 0xec
	s_load_dwordx4 s[44:47], s[30:31], 0xdc
	s_add_u32 s30, s30, 24
	s_waitcnt vmcnt(1) lgkmcnt(0)
	v_mul_hi_u32 v3, s37, v1
	s_addc_u32 s31, s31, 0
	s_add_i32 s34, s34, -2
	s_cmp_eq_u32 s34, 0
	v_add_u32_e32 v3, v1, v3
	v_lshrrev_b32_e32 v3, s38, v3
	v_mul_lo_u32 v5, v3, s36
	v_mul_hi_u32 v6, s48, v3
	v_sub_u32_e32 v5, v1, v5
	v_add_u32_e32 v1, v3, v6
	v_lshrrev_b32_e32 v1, s49, v1
	v_mul_lo_u32 v8, v1, s39
	v_mul_lo_u32 v6, v5, s44
	;; [unrolled: 1-line block ×4, first 2 shown]
	v_sub_u32_e32 v3, v3, v8
	v_mul_lo_u32 v8, v3, s47
	v_mul_lo_u32 v9, v3, s50
	;; [unrolled: 1-line block ×3, first 2 shown]
	v_add3_u32 v0, v6, v0, v8
	v_add3_u32 v4, v7, v4, v9
	;; [unrolled: 1-line block ×3, first 2 shown]
	s_cbranch_scc0 .LBB45_138
; %bb.139:
	s_bitcmp1_b32 s42, 0
	s_cselect_b64 s[34:35], -1, 0
	s_and_b64 vcc, exec, s[34:35]
	s_cbranch_vccnz .LBB45_144
; %bb.140:
	s_load_dwordx2 s[34:35], s[30:31], 0x1c
	s_load_dword s38, s[30:31], 0x24
	s_load_dwordx2 s[36:37], s[30:31], 0xdc
	s_waitcnt lgkmcnt(0)
	v_mul_hi_u32 v3, s35, v1
	v_add_u32_e32 v3, v1, v3
	v_lshrrev_b32_e32 v3, s38, v3
	v_mul_lo_u32 v3, v3, s34
	s_load_dword s34, s[30:31], 0xe4
	v_sub_u32_e32 v3, v1, v3
	v_mad_u64_u32 v[0:1], s[30:31], v3, s36, v[0:1]
	v_mad_u64_u32 v[4:5], s[30:31], v3, s37, v[4:5]
	s_waitcnt lgkmcnt(0)
	v_mad_u64_u32 v[2:3], s[30:31], v3, s34, v[2:3]
	s_branch .LBB45_144
.LBB45_141:
	s_waitcnt vmcnt(0)
	v_cmp_lt_i32_e32 vcc, v1, v3
	s_andn2_b64 s[34:35], s[34:35], exec
	s_and_b64 s[36:37], vcc, exec
	s_or_b64 s[34:35], s[34:35], s[36:37]
	s_cbranch_execz .LBB45_133
	s_branch .LBB45_134
.LBB45_142:
                                        ; implicit-def: $vgpr0
                                        ; implicit-def: $vgpr4
                                        ; implicit-def: $vgpr2
	s_branch .LBB45_145
.LBB45_143:
	v_mov_b32_e32 v0, 0
	v_mov_b32_e32 v4, 0
	;; [unrolled: 1-line block ×3, first 2 shown]
.LBB45_144:
	s_cbranch_execnz .LBB45_147
.LBB45_145:
	s_waitcnt lgkmcnt(0)
	v_mul_hi_u32 v0, s9, v21
	s_andn2_b64 vcc, exec, s[24:25]
	v_add_u32_e32 v0, v21, v0
	v_lshrrev_b32_e32 v1, s10, v0
	v_mul_lo_u32 v0, v1, s8
	v_sub_u32_e32 v2, v21, v0
	v_mul_lo_u32 v0, v2, s4
	v_mul_lo_u32 v4, v2, s5
	;; [unrolled: 1-line block ×3, first 2 shown]
	s_cbranch_vccnz .LBB45_147
; %bb.146:
	s_waitcnt vmcnt(1)
	v_mul_hi_u32 v3, s22, v1
	v_add_u32_e32 v3, v1, v3
	v_lshrrev_b32_e32 v3, s23, v3
	v_mul_lo_u32 v3, v3, s11
	v_sub_u32_e32 v3, v1, v3
	v_mad_u64_u32 v[0:1], s[30:31], v3, s7, v[0:1]
	v_mad_u64_u32 v[4:5], s[30:31], v3, s20, v[4:5]
	;; [unrolled: 1-line block ×3, first 2 shown]
.LBB45_147:
	s_waitcnt lgkmcnt(0)
	global_load_dword v1, v4, s[2:3]
	global_load_dword v3, v2, s[18:19]
	s_cmp_lt_i32 s41, 1
	s_mov_b64 s[30:31], 0
	s_cbranch_scc1 .LBB45_151
; %bb.148:
	s_cmp_gt_i32 s41, 1
	s_cbranch_scc0 .LBB45_152
; %bb.149:
	s_cmp_eq_u32 s41, 2
	s_cbranch_scc0 .LBB45_427
; %bb.150:
	s_waitcnt vmcnt(0)
	v_cmp_le_i32_e64 s[34:35], v1, v3
	s_mov_b64 s[36:37], 0
	s_branch .LBB45_154
.LBB45_151:
                                        ; implicit-def: $sgpr34_sgpr35
	s_mov_b64 s[36:37], 0
	s_cbranch_execnz .LBB45_155
	s_branch .LBB45_156
.LBB45_152:
	s_mov_b64 s[36:37], 0
                                        ; implicit-def: $sgpr34_sgpr35
	s_cbranch_execz .LBB45_154
; %bb.153:
	s_waitcnt vmcnt(0)
	v_cmp_gt_i32_e32 vcc, v1, v3
	s_andn2_b64 s[34:35], s[34:35], exec
	s_and_b64 s[38:39], vcc, exec
	s_or_b64 s[34:35], s[34:35], s[38:39]
.LBB45_154:
	s_branch .LBB45_156
.LBB45_155:
	s_cmp_lg_u32 s41, 0
	s_mov_b64 s[30:31], -1
	s_cselect_b64 s[36:37], -1, 0
.LBB45_156:
	s_andn2_b64 vcc, exec, s[36:37]
	s_cbranch_vccz .LBB45_166
; %bb.157:
	s_andn2_b64 vcc, exec, s[30:31]
	s_cbranch_vccnz .LBB45_159
.LBB45_158:
	s_waitcnt vmcnt(0)
	v_cmp_ge_i32_e32 vcc, v1, v3
	s_andn2_b64 s[30:31], s[34:35], exec
	s_and_b64 s[34:35], vcc, exec
	s_or_b64 s[34:35], s[30:31], s[34:35]
.LBB45_159:
	s_waitcnt vmcnt(1)
	v_cndmask_b32_e64 v1, 0, 1, s[34:35]
	v_add_u32_e32 v21, 0x80, v21
	global_store_byte v0, v1, s[0:1]
	s_or_b64 exec, exec, s[28:29]
	v_cmp_gt_i32_e32 vcc, s43, v21
	s_and_saveexec_b64 s[28:29], vcc
	s_cbranch_execz .LBB45_8
.LBB45_160:
	s_andn2_b64 vcc, exec, s[14:15]
	s_cbranch_vccnz .LBB45_167
; %bb.161:
	s_andn2_b64 vcc, exec, s[26:27]
	s_cbranch_vccnz .LBB45_168
; %bb.162:
	s_add_i32 s30, s42, 1
	s_and_b32 s34, s30, 30
	s_add_u32 s30, s12, 0xffffffe8
	s_addc_u32 s31, s13, -1
	v_mov_b32_e32 v2, 0
	v_mov_b32_e32 v4, 0
	;; [unrolled: 1-line block ×4, first 2 shown]
.LBB45_163:                             ; =>This Inner Loop Header: Depth=1
	s_load_dwordx4 s[36:39], s[30:31], 0x1c
	s_load_dwordx2 s[48:49], s[30:31], 0x2c
	s_load_dwordx2 s[50:51], s[30:31], 0xec
	s_load_dwordx4 s[44:47], s[30:31], 0xdc
	s_add_u32 s30, s30, 24
	s_waitcnt vmcnt(1) lgkmcnt(0)
	v_mul_hi_u32 v3, s37, v1
	s_addc_u32 s31, s31, 0
	s_add_i32 s34, s34, -2
	s_cmp_eq_u32 s34, 0
	v_add_u32_e32 v3, v1, v3
	v_lshrrev_b32_e32 v3, s38, v3
	v_mul_lo_u32 v5, v3, s36
	v_mul_hi_u32 v6, s48, v3
	v_sub_u32_e32 v5, v1, v5
	v_add_u32_e32 v1, v3, v6
	v_lshrrev_b32_e32 v1, s49, v1
	v_mul_lo_u32 v8, v1, s39
	v_mul_lo_u32 v6, v5, s44
	;; [unrolled: 1-line block ×4, first 2 shown]
	v_sub_u32_e32 v3, v3, v8
	v_mul_lo_u32 v8, v3, s47
	v_mul_lo_u32 v9, v3, s50
	;; [unrolled: 1-line block ×3, first 2 shown]
	v_add3_u32 v0, v6, v0, v8
	v_add3_u32 v4, v7, v4, v9
	;; [unrolled: 1-line block ×3, first 2 shown]
	s_cbranch_scc0 .LBB45_163
; %bb.164:
	s_bitcmp1_b32 s42, 0
	s_cselect_b64 s[34:35], -1, 0
	s_and_b64 vcc, exec, s[34:35]
	s_cbranch_vccnz .LBB45_169
; %bb.165:
	s_load_dwordx2 s[34:35], s[30:31], 0x1c
	s_load_dword s38, s[30:31], 0x24
	s_load_dwordx2 s[36:37], s[30:31], 0xdc
	s_waitcnt lgkmcnt(0)
	v_mul_hi_u32 v3, s35, v1
	v_add_u32_e32 v3, v1, v3
	v_lshrrev_b32_e32 v3, s38, v3
	v_mul_lo_u32 v3, v3, s34
	s_load_dword s34, s[30:31], 0xe4
	v_sub_u32_e32 v3, v1, v3
	v_mad_u64_u32 v[0:1], s[30:31], v3, s36, v[0:1]
	v_mad_u64_u32 v[4:5], s[30:31], v3, s37, v[4:5]
	s_waitcnt lgkmcnt(0)
	v_mad_u64_u32 v[2:3], s[30:31], v3, s34, v[2:3]
	s_branch .LBB45_169
.LBB45_166:
	s_waitcnt vmcnt(0)
	v_cmp_lt_i32_e32 vcc, v1, v3
	s_andn2_b64 s[34:35], s[34:35], exec
	s_and_b64 s[36:37], vcc, exec
	s_or_b64 s[34:35], s[34:35], s[36:37]
	s_cbranch_execz .LBB45_158
	s_branch .LBB45_159
.LBB45_167:
                                        ; implicit-def: $vgpr0
                                        ; implicit-def: $vgpr4
                                        ; implicit-def: $vgpr2
	s_branch .LBB45_170
.LBB45_168:
	v_mov_b32_e32 v0, 0
	v_mov_b32_e32 v4, 0
	;; [unrolled: 1-line block ×3, first 2 shown]
.LBB45_169:
	s_cbranch_execnz .LBB45_172
.LBB45_170:
	s_waitcnt lgkmcnt(0)
	v_mul_hi_u32 v0, s9, v21
	s_andn2_b64 vcc, exec, s[24:25]
	v_add_u32_e32 v0, v21, v0
	v_lshrrev_b32_e32 v1, s10, v0
	v_mul_lo_u32 v0, v1, s8
	v_sub_u32_e32 v2, v21, v0
	v_mul_lo_u32 v0, v2, s4
	v_mul_lo_u32 v4, v2, s5
	;; [unrolled: 1-line block ×3, first 2 shown]
	s_cbranch_vccnz .LBB45_172
; %bb.171:
	s_waitcnt vmcnt(1)
	v_mul_hi_u32 v3, s22, v1
	v_add_u32_e32 v3, v1, v3
	v_lshrrev_b32_e32 v3, s23, v3
	v_mul_lo_u32 v3, v3, s11
	v_sub_u32_e32 v3, v1, v3
	v_mad_u64_u32 v[0:1], s[30:31], v3, s7, v[0:1]
	v_mad_u64_u32 v[4:5], s[30:31], v3, s20, v[4:5]
	;; [unrolled: 1-line block ×3, first 2 shown]
.LBB45_172:
	s_waitcnt lgkmcnt(0)
	global_load_dword v1, v4, s[2:3]
	global_load_dword v3, v2, s[18:19]
	s_cmp_lt_i32 s41, 1
	s_mov_b64 s[30:31], 0
	s_cbranch_scc1 .LBB45_176
; %bb.173:
	s_cmp_gt_i32 s41, 1
	s_cbranch_scc0 .LBB45_177
; %bb.174:
	s_cmp_eq_u32 s41, 2
	s_cbranch_scc0 .LBB45_428
; %bb.175:
	s_waitcnt vmcnt(0)
	v_cmp_le_i32_e64 s[34:35], v1, v3
	s_mov_b64 s[36:37], 0
	s_branch .LBB45_179
.LBB45_176:
                                        ; implicit-def: $sgpr34_sgpr35
	s_mov_b64 s[36:37], 0
	s_cbranch_execnz .LBB45_180
	s_branch .LBB45_181
.LBB45_177:
	s_mov_b64 s[36:37], 0
                                        ; implicit-def: $sgpr34_sgpr35
	s_cbranch_execz .LBB45_179
; %bb.178:
	s_waitcnt vmcnt(0)
	v_cmp_gt_i32_e32 vcc, v1, v3
	s_andn2_b64 s[34:35], s[34:35], exec
	s_and_b64 s[38:39], vcc, exec
	s_or_b64 s[34:35], s[34:35], s[38:39]
.LBB45_179:
	s_branch .LBB45_181
.LBB45_180:
	s_cmp_lg_u32 s41, 0
	s_mov_b64 s[30:31], -1
	s_cselect_b64 s[36:37], -1, 0
.LBB45_181:
	s_andn2_b64 vcc, exec, s[36:37]
	s_cbranch_vccz .LBB45_191
; %bb.182:
	s_andn2_b64 vcc, exec, s[30:31]
	s_cbranch_vccnz .LBB45_184
.LBB45_183:
	s_waitcnt vmcnt(0)
	v_cmp_ge_i32_e32 vcc, v1, v3
	s_andn2_b64 s[30:31], s[34:35], exec
	s_and_b64 s[34:35], vcc, exec
	s_or_b64 s[34:35], s[30:31], s[34:35]
.LBB45_184:
	s_waitcnt vmcnt(1)
	v_cndmask_b32_e64 v1, 0, 1, s[34:35]
	v_add_u32_e32 v21, 0x80, v21
	global_store_byte v0, v1, s[0:1]
	s_or_b64 exec, exec, s[28:29]
	v_cmp_gt_i32_e32 vcc, s43, v21
	s_and_saveexec_b64 s[28:29], vcc
	s_cbranch_execz .LBB45_210
.LBB45_185:
	s_andn2_b64 vcc, exec, s[14:15]
	s_cbranch_vccnz .LBB45_192
; %bb.186:
	s_andn2_b64 vcc, exec, s[26:27]
	s_cbranch_vccnz .LBB45_193
; %bb.187:
	s_add_i32 s26, s42, 1
	s_and_b32 s30, s26, 30
	s_add_u32 s26, s12, 0xffffffe8
	s_addc_u32 s27, s13, -1
	v_mov_b32_e32 v2, 0
	v_mov_b32_e32 v4, 0
	;; [unrolled: 1-line block ×4, first 2 shown]
.LBB45_188:                             ; =>This Inner Loop Header: Depth=1
	s_load_dwordx4 s[36:39], s[26:27], 0x1c
	s_load_dwordx2 s[34:35], s[26:27], 0x2c
	s_load_dwordx2 s[48:49], s[26:27], 0xec
	s_load_dwordx4 s[44:47], s[26:27], 0xdc
	s_add_u32 s26, s26, 24
	s_waitcnt vmcnt(1) lgkmcnt(0)
	v_mul_hi_u32 v3, s37, v1
	s_addc_u32 s27, s27, 0
	s_add_i32 s30, s30, -2
	s_cmp_eq_u32 s30, 0
	v_add_u32_e32 v3, v1, v3
	v_lshrrev_b32_e32 v3, s38, v3
	v_mul_lo_u32 v5, v3, s36
	v_mul_hi_u32 v6, s34, v3
	v_sub_u32_e32 v5, v1, v5
	v_add_u32_e32 v1, v3, v6
	v_lshrrev_b32_e32 v1, s35, v1
	v_mul_lo_u32 v8, v1, s39
	v_mul_lo_u32 v6, v5, s44
	;; [unrolled: 1-line block ×4, first 2 shown]
	v_sub_u32_e32 v3, v3, v8
	v_mul_lo_u32 v8, v3, s47
	v_mul_lo_u32 v9, v3, s48
	;; [unrolled: 1-line block ×3, first 2 shown]
	v_add3_u32 v0, v6, v0, v8
	v_add3_u32 v4, v7, v4, v9
	;; [unrolled: 1-line block ×3, first 2 shown]
	s_cbranch_scc0 .LBB45_188
; %bb.189:
	s_bitcmp1_b32 s42, 0
	s_cselect_b64 s[30:31], -1, 0
	s_and_b64 vcc, exec, s[30:31]
	s_cbranch_vccnz .LBB45_194
; %bb.190:
	s_load_dwordx2 s[30:31], s[26:27], 0x1c
	s_load_dword s36, s[26:27], 0x24
	s_load_dwordx2 s[34:35], s[26:27], 0xdc
	s_waitcnt lgkmcnt(0)
	v_mul_hi_u32 v3, s31, v1
	v_add_u32_e32 v3, v1, v3
	v_lshrrev_b32_e32 v3, s36, v3
	v_mul_lo_u32 v3, v3, s30
	s_load_dword s30, s[26:27], 0xe4
	v_sub_u32_e32 v3, v1, v3
	v_mad_u64_u32 v[0:1], s[26:27], v3, s34, v[0:1]
	v_mad_u64_u32 v[4:5], s[26:27], v3, s35, v[4:5]
	s_waitcnt lgkmcnt(0)
	v_mad_u64_u32 v[2:3], s[26:27], v3, s30, v[2:3]
	s_branch .LBB45_194
.LBB45_191:
	s_waitcnt vmcnt(0)
	v_cmp_lt_i32_e32 vcc, v1, v3
	s_andn2_b64 s[34:35], s[34:35], exec
	s_and_b64 s[36:37], vcc, exec
	s_or_b64 s[34:35], s[34:35], s[36:37]
	s_cbranch_execz .LBB45_183
	s_branch .LBB45_184
.LBB45_192:
                                        ; implicit-def: $vgpr0
                                        ; implicit-def: $vgpr4
                                        ; implicit-def: $vgpr2
	s_branch .LBB45_195
.LBB45_193:
	v_mov_b32_e32 v0, 0
	v_mov_b32_e32 v4, 0
	;; [unrolled: 1-line block ×3, first 2 shown]
.LBB45_194:
	s_cbranch_execnz .LBB45_197
.LBB45_195:
	s_waitcnt lgkmcnt(0)
	v_mul_hi_u32 v0, s9, v21
	s_andn2_b64 vcc, exec, s[24:25]
	v_add_u32_e32 v0, v21, v0
	v_lshrrev_b32_e32 v1, s10, v0
	v_mul_lo_u32 v0, v1, s8
	v_sub_u32_e32 v2, v21, v0
	v_mul_lo_u32 v0, v2, s4
	v_mul_lo_u32 v4, v2, s5
	;; [unrolled: 1-line block ×3, first 2 shown]
	s_cbranch_vccnz .LBB45_197
; %bb.196:
	s_waitcnt vmcnt(1)
	v_mul_hi_u32 v3, s22, v1
	v_add_u32_e32 v3, v1, v3
	v_lshrrev_b32_e32 v3, s23, v3
	v_mul_lo_u32 v3, v3, s11
	v_sub_u32_e32 v3, v1, v3
	v_mad_u64_u32 v[0:1], s[4:5], v3, s7, v[0:1]
	v_mad_u64_u32 v[4:5], s[4:5], v3, s20, v[4:5]
	;; [unrolled: 1-line block ×3, first 2 shown]
.LBB45_197:
	s_waitcnt lgkmcnt(0)
	global_load_dword v1, v4, s[2:3]
	global_load_dword v3, v2, s[18:19]
	s_cmp_lt_i32 s41, 1
	s_mov_b64 s[2:3], 0
	s_cbranch_scc1 .LBB45_201
; %bb.198:
	s_cmp_gt_i32 s41, 1
	s_cbranch_scc0 .LBB45_202
; %bb.199:
	s_cmp_eq_u32 s41, 2
	s_cbranch_scc0 .LBB45_429
; %bb.200:
	s_waitcnt vmcnt(0)
	v_cmp_le_i32_e64 s[4:5], v1, v3
	s_mov_b64 s[6:7], 0
	s_branch .LBB45_204
.LBB45_201:
                                        ; implicit-def: $sgpr4_sgpr5
	s_mov_b64 s[6:7], 0
	s_cbranch_execnz .LBB45_205
	s_branch .LBB45_206
.LBB45_202:
	s_mov_b64 s[6:7], 0
                                        ; implicit-def: $sgpr4_sgpr5
	s_cbranch_execz .LBB45_204
; %bb.203:
	s_waitcnt vmcnt(0)
	v_cmp_gt_i32_e32 vcc, v1, v3
	s_andn2_b64 s[4:5], s[4:5], exec
	s_and_b64 s[8:9], vcc, exec
	s_or_b64 s[4:5], s[4:5], s[8:9]
.LBB45_204:
	s_branch .LBB45_206
.LBB45_205:
	s_cmp_lg_u32 s41, 0
	s_mov_b64 s[2:3], -1
	s_cselect_b64 s[6:7], -1, 0
.LBB45_206:
	s_andn2_b64 vcc, exec, s[6:7]
	s_cbranch_vccz .LBB45_220
; %bb.207:
	s_andn2_b64 vcc, exec, s[2:3]
	s_cbranch_vccnz .LBB45_209
.LBB45_208:
	s_waitcnt vmcnt(0)
	v_cmp_ge_i32_e32 vcc, v1, v3
	s_andn2_b64 s[2:3], s[4:5], exec
	s_and_b64 s[4:5], vcc, exec
	s_or_b64 s[4:5], s[2:3], s[4:5]
.LBB45_209:
	s_waitcnt vmcnt(1)
	v_cndmask_b32_e64 v1, 0, 1, s[4:5]
	global_store_byte v0, v1, s[0:1]
.LBB45_210:
	s_or_b64 exec, exec, s[28:29]
                                        ; implicit-def: $vgpr37
                                        ; implicit-def: $vgpr21
.LBB45_211:
	s_waitcnt lgkmcnt(0)
	s_andn2_saveexec_b64 s[0:1], s[16:17]
	s_cbranch_execz .LBB45_218
; %bb.212:
	v_cndmask_b32_e64 v0, 0, 1, s[14:15]
	v_cmp_ne_u32_e64 s[0:1], 1, v0
	s_andn2_b64 vcc, exec, s[14:15]
	s_cbranch_vccnz .LBB45_219
; %bb.213:
	s_cmp_lg_u32 s33, 0
	s_cbranch_scc0 .LBB45_221
; %bb.214:
	s_min_u32 s4, s40, 15
	s_add_i32 s2, s4, 1
	s_and_b32 s5, s2, 30
	s_add_u32 s2, s12, 0xffffffe8
	s_addc_u32 s3, s13, -1
	v_mov_b32_e32 v6, 0
	v_mov_b32_e32 v8, 0
	;; [unrolled: 1-line block ×4, first 2 shown]
.LBB45_215:                             ; =>This Inner Loop Header: Depth=1
	s_load_dwordx4 s[8:11], s[2:3], 0x1c
	s_load_dwordx2 s[6:7], s[2:3], 0x2c
	s_load_dwordx2 s[14:15], s[2:3], 0xec
	s_load_dwordx4 s[16:19], s[2:3], 0xdc
	s_add_u32 s2, s2, 24
	s_waitcnt lgkmcnt(0)
	v_mul_hi_u32 v2, s9, v1
	s_addc_u32 s3, s3, 0
	s_add_i32 s5, s5, -2
	s_cmp_lg_u32 s5, 0
	v_add_u32_e32 v2, v1, v2
	v_lshrrev_b32_e32 v2, s10, v2
	s_waitcnt vmcnt(1)
	v_mul_lo_u32 v3, v2, s8
	v_mul_hi_u32 v4, s6, v2
	v_sub_u32_e32 v3, v1, v3
	v_add_u32_e32 v1, v2, v4
	v_lshrrev_b32_e32 v1, s7, v1
	v_mul_lo_u32 v7, v1, s11
	v_mul_lo_u32 v4, v3, s16
	v_mul_lo_u32 v5, v3, s17
	v_mul_lo_u32 v3, v3, s18
	v_sub_u32_e32 v2, v2, v7
	v_mul_lo_u32 v7, v2, s19
	v_mul_lo_u32 v9, v2, s14
	;; [unrolled: 1-line block ×3, first 2 shown]
	v_add3_u32 v0, v4, v0, v7
	v_add3_u32 v8, v5, v8, v9
	v_add3_u32 v6, v3, v6, v2
	s_cbranch_scc1 .LBB45_215
; %bb.216:
	s_bitcmp1_b32 s4, 0
	s_cselect_b64 s[4:5], -1, 0
	s_and_b64 vcc, exec, s[4:5]
	s_cbranch_vccnz .LBB45_222
; %bb.217:
	s_load_dwordx2 s[4:5], s[2:3], 0x1c
	s_load_dword s8, s[2:3], 0x24
	s_load_dwordx2 s[6:7], s[2:3], 0xdc
	s_waitcnt lgkmcnt(0)
	v_mul_hi_u32 v2, s5, v1
	v_add_u32_e32 v2, v1, v2
	v_lshrrev_b32_e32 v2, s8, v2
	v_mul_lo_u32 v2, v2, s4
	s_load_dword s4, s[2:3], 0xe4
	v_sub_u32_e32 v2, v1, v2
	v_mad_u64_u32 v[0:1], s[2:3], v2, s6, v[0:1]
	v_mad_u64_u32 v[8:9], s[2:3], v2, s7, v[8:9]
	s_waitcnt lgkmcnt(0)
	v_mad_u64_u32 v[6:7], s[2:3], v2, s4, v[6:7]
	s_cbranch_execz .LBB45_223
	s_branch .LBB45_225
.LBB45_218:
	s_endpgm
.LBB45_219:
                                        ; implicit-def: $vgpr0
                                        ; implicit-def: $vgpr8
                                        ; implicit-def: $vgpr6
	s_branch .LBB45_223
.LBB45_220:
	s_waitcnt vmcnt(0)
	v_cmp_lt_i32_e32 vcc, v1, v3
	s_andn2_b64 s[4:5], s[4:5], exec
	s_and_b64 s[6:7], vcc, exec
	s_or_b64 s[4:5], s[4:5], s[6:7]
	s_cbranch_execz .LBB45_208
	s_branch .LBB45_209
.LBB45_221:
	v_mov_b32_e32 v0, 0
	v_mov_b32_e32 v8, 0
	;; [unrolled: 1-line block ×3, first 2 shown]
.LBB45_222:
	s_cbranch_execnz .LBB45_225
.LBB45_223:
	s_load_dwordx4 s[4:7], s[12:13], 0x4
	s_load_dwordx4 s[8:11], s[12:13], 0xc4
	s_cmp_lt_u32 s33, 2
	s_waitcnt lgkmcnt(0)
	v_mul_hi_u32 v0, s5, v21
	v_add_u32_e32 v0, v21, v0
	v_lshrrev_b32_e32 v1, s6, v0
	v_mul_lo_u32 v0, v1, s4
	v_sub_u32_e32 v2, v21, v0
	v_mul_lo_u32 v0, v2, s8
	v_mul_lo_u32 v8, v2, s9
	;; [unrolled: 1-line block ×3, first 2 shown]
	s_cbranch_scc1 .LBB45_225
; %bb.224:
	s_load_dwordx4 s[4:7], s[12:13], 0x10
	s_load_dwordx4 s[8:11], s[12:13], 0xd0
	s_waitcnt lgkmcnt(0)
	v_mul_hi_u32 v2, s5, v1
	v_add_u32_e32 v2, v1, v2
	v_lshrrev_b32_e32 v2, s6, v2
	v_mul_lo_u32 v2, v2, s4
	v_sub_u32_e32 v2, v1, v2
	v_mad_u64_u32 v[0:1], s[2:3], v2, s8, v[0:1]
	v_mad_u64_u32 v[8:9], s[2:3], v2, s9, v[8:9]
	;; [unrolled: 1-line block ×3, first 2 shown]
.LBB45_225:
	s_and_b64 vcc, exec, s[0:1]
	s_waitcnt vmcnt(1)
	v_add_u32_e32 v3, 0x80, v21
	s_cbranch_vccnz .LBB45_231
; %bb.226:
	s_cmp_lg_u32 s33, 0
	s_cbranch_scc0 .LBB45_232
; %bb.227:
	s_min_u32 s4, s40, 15
	s_add_i32 s2, s4, 1
	s_and_b32 s5, s2, 30
	s_add_u32 s2, s12, 0xffffffe8
	s_addc_u32 s3, s13, -1
	v_mov_b32_e32 v9, 0
	v_mov_b32_e32 v11, 0
	;; [unrolled: 1-line block ×4, first 2 shown]
.LBB45_228:                             ; =>This Inner Loop Header: Depth=1
	s_load_dwordx4 s[8:11], s[2:3], 0x1c
	s_load_dwordx2 s[6:7], s[2:3], 0x2c
	s_load_dwordx2 s[14:15], s[2:3], 0xec
	s_load_dwordx4 s[16:19], s[2:3], 0xdc
	s_add_u32 s2, s2, 24
	s_waitcnt lgkmcnt(0)
	v_mul_hi_u32 v4, s9, v2
	s_addc_u32 s3, s3, 0
	s_add_i32 s5, s5, -2
	s_cmp_lg_u32 s5, 0
	v_add_u32_e32 v4, v2, v4
	v_lshrrev_b32_e32 v4, s10, v4
	v_mul_lo_u32 v5, v4, s8
	v_mul_hi_u32 v7, s6, v4
	v_sub_u32_e32 v5, v2, v5
	v_add_u32_e32 v2, v4, v7
	v_lshrrev_b32_e32 v2, s7, v2
	v_mul_lo_u32 v12, v2, s11
	v_mul_lo_u32 v7, v5, s16
	;; [unrolled: 1-line block ×4, first 2 shown]
	v_sub_u32_e32 v4, v4, v12
	v_mul_lo_u32 v12, v4, s19
	v_mul_lo_u32 v13, v4, s14
	;; [unrolled: 1-line block ×3, first 2 shown]
	v_add3_u32 v1, v7, v1, v12
	v_add3_u32 v11, v10, v11, v13
	;; [unrolled: 1-line block ×3, first 2 shown]
	s_cbranch_scc1 .LBB45_228
; %bb.229:
	s_bitcmp1_b32 s4, 0
	s_cselect_b64 s[4:5], -1, 0
	s_and_b64 vcc, exec, s[4:5]
	s_cbranch_vccnz .LBB45_233
; %bb.230:
	s_load_dwordx2 s[4:5], s[2:3], 0x1c
	s_load_dword s8, s[2:3], 0x24
	s_load_dwordx2 s[6:7], s[2:3], 0xdc
	s_waitcnt lgkmcnt(0)
	v_mul_hi_u32 v4, s5, v2
	v_add_u32_e32 v4, v2, v4
	v_lshrrev_b32_e32 v4, s8, v4
	v_mul_lo_u32 v4, v4, s4
	s_load_dword s4, s[2:3], 0xe4
	v_sub_u32_e32 v4, v2, v4
	v_mad_u64_u32 v[1:2], s[2:3], v4, s6, v[1:2]
	v_mad_u64_u32 v[11:12], s[2:3], v4, s7, v[11:12]
	s_waitcnt lgkmcnt(0)
	v_mad_u64_u32 v[9:10], s[2:3], v4, s4, v[9:10]
	s_cbranch_execz .LBB45_234
	s_branch .LBB45_236
.LBB45_231:
                                        ; implicit-def: $vgpr1
                                        ; implicit-def: $vgpr11
                                        ; implicit-def: $vgpr9
	s_branch .LBB45_234
.LBB45_232:
	v_mov_b32_e32 v1, 0
	v_mov_b32_e32 v11, 0
	;; [unrolled: 1-line block ×3, first 2 shown]
.LBB45_233:
	s_cbranch_execnz .LBB45_236
.LBB45_234:
	s_load_dwordx4 s[4:7], s[12:13], 0x4
	s_load_dwordx4 s[8:11], s[12:13], 0xc4
	s_cmp_lt_u32 s33, 2
	s_waitcnt lgkmcnt(0)
	v_mul_hi_u32 v1, s5, v3
	v_add_u32_e32 v1, v3, v1
	v_lshrrev_b32_e32 v2, s6, v1
	v_mul_lo_u32 v1, v2, s4
	v_sub_u32_e32 v3, v3, v1
	v_mul_lo_u32 v1, v3, s8
	v_mul_lo_u32 v11, v3, s9
	;; [unrolled: 1-line block ×3, first 2 shown]
	s_cbranch_scc1 .LBB45_236
; %bb.235:
	s_load_dwordx4 s[4:7], s[12:13], 0x10
	s_load_dwordx4 s[8:11], s[12:13], 0xd0
	s_waitcnt lgkmcnt(0)
	v_mul_hi_u32 v3, s5, v2
	v_add_u32_e32 v3, v2, v3
	v_lshrrev_b32_e32 v3, s6, v3
	v_mul_lo_u32 v3, v3, s4
	v_sub_u32_e32 v3, v2, v3
	v_mad_u64_u32 v[1:2], s[2:3], v3, s8, v[1:2]
	v_mad_u64_u32 v[11:12], s[2:3], v3, s9, v[11:12]
	;; [unrolled: 1-line block ×3, first 2 shown]
.LBB45_236:
	s_and_b64 vcc, exec, s[0:1]
	v_add_u32_e32 v4, 0x100, v21
	s_cbranch_vccnz .LBB45_242
; %bb.237:
	s_cmp_lg_u32 s33, 0
	s_cbranch_scc0 .LBB45_243
; %bb.238:
	s_min_u32 s4, s40, 15
	s_add_i32 s2, s4, 1
	s_and_b32 s5, s2, 30
	s_add_u32 s2, s12, 0xffffffe8
	s_addc_u32 s3, s13, -1
	v_mov_b32_e32 v14, 0
	v_mov_b32_e32 v16, 0
	v_mov_b32_e32 v2, 0
	v_mov_b32_e32 v3, v4
.LBB45_239:                             ; =>This Inner Loop Header: Depth=1
	s_load_dwordx4 s[8:11], s[2:3], 0x1c
	s_load_dwordx2 s[6:7], s[2:3], 0x2c
	s_load_dwordx2 s[14:15], s[2:3], 0xec
	s_load_dwordx4 s[16:19], s[2:3], 0xdc
	s_add_u32 s2, s2, 24
	s_waitcnt lgkmcnt(0)
	v_mul_hi_u32 v5, s9, v3
	s_addc_u32 s3, s3, 0
	s_add_i32 s5, s5, -2
	s_cmp_lg_u32 s5, 0
	v_add_u32_e32 v5, v3, v5
	v_lshrrev_b32_e32 v5, s10, v5
	v_mul_lo_u32 v7, v5, s8
	v_mul_hi_u32 v10, s6, v5
	v_sub_u32_e32 v7, v3, v7
	v_add_u32_e32 v3, v5, v10
	v_lshrrev_b32_e32 v3, s7, v3
	v_mul_lo_u32 v13, v3, s11
	v_mul_lo_u32 v10, v7, s16
	;; [unrolled: 1-line block ×4, first 2 shown]
	v_sub_u32_e32 v5, v5, v13
	v_mul_lo_u32 v13, v5, s19
	v_mul_lo_u32 v15, v5, s14
	;; [unrolled: 1-line block ×3, first 2 shown]
	v_add3_u32 v2, v10, v2, v13
	v_add3_u32 v16, v12, v16, v15
	;; [unrolled: 1-line block ×3, first 2 shown]
	s_cbranch_scc1 .LBB45_239
; %bb.240:
	s_bitcmp1_b32 s4, 0
	s_cselect_b64 s[4:5], -1, 0
	s_and_b64 vcc, exec, s[4:5]
	s_cbranch_vccnz .LBB45_244
; %bb.241:
	s_load_dwordx2 s[4:5], s[2:3], 0x1c
	s_load_dword s8, s[2:3], 0x24
	s_load_dwordx2 s[6:7], s[2:3], 0xdc
	s_waitcnt lgkmcnt(0)
	v_mul_hi_u32 v5, s5, v3
	v_add_u32_e32 v5, v3, v5
	v_lshrrev_b32_e32 v5, s8, v5
	v_mul_lo_u32 v5, v5, s4
	s_load_dword s4, s[2:3], 0xe4
	v_sub_u32_e32 v5, v3, v5
	v_mad_u64_u32 v[2:3], s[2:3], v5, s6, v[2:3]
	v_mad_u64_u32 v[16:17], s[2:3], v5, s7, v[16:17]
	s_waitcnt lgkmcnt(0)
	v_mad_u64_u32 v[14:15], s[2:3], v5, s4, v[14:15]
	s_cbranch_execz .LBB45_245
	s_branch .LBB45_247
.LBB45_242:
                                        ; implicit-def: $vgpr2
                                        ; implicit-def: $vgpr16
                                        ; implicit-def: $vgpr14
	s_branch .LBB45_245
.LBB45_243:
	v_mov_b32_e32 v2, 0
	v_mov_b32_e32 v16, 0
	;; [unrolled: 1-line block ×3, first 2 shown]
.LBB45_244:
	s_cbranch_execnz .LBB45_247
.LBB45_245:
	s_load_dwordx4 s[4:7], s[12:13], 0x4
	s_load_dwordx4 s[8:11], s[12:13], 0xc4
	s_cmp_lt_u32 s33, 2
	s_waitcnt lgkmcnt(0)
	v_mul_hi_u32 v2, s5, v4
	v_add_u32_e32 v2, v4, v2
	v_lshrrev_b32_e32 v3, s6, v2
	v_mul_lo_u32 v2, v3, s4
	v_sub_u32_e32 v4, v4, v2
	v_mul_lo_u32 v2, v4, s8
	v_mul_lo_u32 v16, v4, s9
	;; [unrolled: 1-line block ×3, first 2 shown]
	s_cbranch_scc1 .LBB45_247
; %bb.246:
	s_load_dwordx4 s[4:7], s[12:13], 0x10
	s_load_dwordx4 s[8:11], s[12:13], 0xd0
	s_waitcnt lgkmcnt(0)
	v_mul_hi_u32 v4, s5, v3
	v_add_u32_e32 v4, v3, v4
	v_lshrrev_b32_e32 v4, s6, v4
	v_mul_lo_u32 v4, v4, s4
	v_sub_u32_e32 v4, v3, v4
	v_mad_u64_u32 v[2:3], s[2:3], v4, s8, v[2:3]
	v_mad_u64_u32 v[16:17], s[2:3], v4, s9, v[16:17]
	;; [unrolled: 1-line block ×3, first 2 shown]
.LBB45_247:
	s_and_b64 vcc, exec, s[0:1]
	v_add_u32_e32 v5, 0x180, v21
	s_cbranch_vccnz .LBB45_253
; %bb.248:
	s_cmp_lg_u32 s33, 0
	s_cbranch_scc0 .LBB45_254
; %bb.249:
	s_min_u32 s4, s40, 15
	s_add_i32 s2, s4, 1
	s_and_b32 s5, s2, 30
	s_add_u32 s2, s12, 0xffffffe8
	s_addc_u32 s3, s13, -1
	v_mov_b32_e32 v17, 0
	v_mov_b32_e32 v19, 0
	;; [unrolled: 1-line block ×4, first 2 shown]
.LBB45_250:                             ; =>This Inner Loop Header: Depth=1
	s_load_dwordx4 s[8:11], s[2:3], 0x1c
	s_load_dwordx2 s[6:7], s[2:3], 0x2c
	s_load_dwordx2 s[14:15], s[2:3], 0xec
	s_load_dwordx4 s[16:19], s[2:3], 0xdc
	s_add_u32 s2, s2, 24
	s_waitcnt lgkmcnt(0)
	v_mul_hi_u32 v7, s9, v4
	s_addc_u32 s3, s3, 0
	s_add_i32 s5, s5, -2
	s_cmp_lg_u32 s5, 0
	v_add_u32_e32 v7, v4, v7
	v_lshrrev_b32_e32 v7, s10, v7
	v_mul_lo_u32 v10, v7, s8
	v_mul_hi_u32 v12, s6, v7
	v_sub_u32_e32 v10, v4, v10
	v_add_u32_e32 v4, v7, v12
	v_lshrrev_b32_e32 v4, s7, v4
	v_mul_lo_u32 v15, v4, s11
	v_mul_lo_u32 v12, v10, s16
	;; [unrolled: 1-line block ×4, first 2 shown]
	v_sub_u32_e32 v7, v7, v15
	v_mul_lo_u32 v15, v7, s19
	v_mul_lo_u32 v18, v7, s14
	;; [unrolled: 1-line block ×3, first 2 shown]
	v_add3_u32 v3, v12, v3, v15
	v_add3_u32 v19, v13, v19, v18
	;; [unrolled: 1-line block ×3, first 2 shown]
	s_cbranch_scc1 .LBB45_250
; %bb.251:
	s_bitcmp1_b32 s4, 0
	s_cselect_b64 s[4:5], -1, 0
	s_and_b64 vcc, exec, s[4:5]
	s_cbranch_vccnz .LBB45_255
; %bb.252:
	s_load_dwordx2 s[4:5], s[2:3], 0x1c
	s_load_dword s8, s[2:3], 0x24
	s_load_dwordx2 s[6:7], s[2:3], 0xdc
	s_waitcnt lgkmcnt(0)
	v_mul_hi_u32 v7, s5, v4
	v_add_u32_e32 v7, v4, v7
	v_lshrrev_b32_e32 v7, s8, v7
	v_mul_lo_u32 v7, v7, s4
	s_load_dword s4, s[2:3], 0xe4
	v_sub_u32_e32 v7, v4, v7
	v_mad_u64_u32 v[3:4], s[2:3], v7, s6, v[3:4]
	v_mad_u64_u32 v[19:20], s[2:3], v7, s7, v[19:20]
	s_waitcnt lgkmcnt(0)
	v_mad_u64_u32 v[17:18], s[2:3], v7, s4, v[17:18]
	s_cbranch_execz .LBB45_256
	s_branch .LBB45_258
.LBB45_253:
                                        ; implicit-def: $vgpr3
                                        ; implicit-def: $vgpr19
                                        ; implicit-def: $vgpr17
	s_branch .LBB45_256
.LBB45_254:
	v_mov_b32_e32 v3, 0
	v_mov_b32_e32 v19, 0
	v_mov_b32_e32 v17, 0
.LBB45_255:
	s_cbranch_execnz .LBB45_258
.LBB45_256:
	s_load_dwordx4 s[4:7], s[12:13], 0x4
	s_load_dwordx4 s[8:11], s[12:13], 0xc4
	s_cmp_lt_u32 s33, 2
	s_waitcnt lgkmcnt(0)
	v_mul_hi_u32 v3, s5, v5
	v_add_u32_e32 v3, v5, v3
	v_lshrrev_b32_e32 v4, s6, v3
	v_mul_lo_u32 v3, v4, s4
	v_sub_u32_e32 v5, v5, v3
	v_mul_lo_u32 v3, v5, s8
	v_mul_lo_u32 v19, v5, s9
	;; [unrolled: 1-line block ×3, first 2 shown]
	s_cbranch_scc1 .LBB45_258
; %bb.257:
	s_load_dwordx4 s[4:7], s[12:13], 0x10
	s_load_dwordx4 s[8:11], s[12:13], 0xd0
	s_waitcnt lgkmcnt(0)
	v_mul_hi_u32 v5, s5, v4
	v_add_u32_e32 v5, v4, v5
	v_lshrrev_b32_e32 v5, s6, v5
	v_mul_lo_u32 v5, v5, s4
	v_sub_u32_e32 v5, v4, v5
	v_mad_u64_u32 v[3:4], s[2:3], v5, s8, v[3:4]
	v_mad_u64_u32 v[19:20], s[2:3], v5, s9, v[19:20]
	;; [unrolled: 1-line block ×3, first 2 shown]
.LBB45_258:
	s_and_b64 vcc, exec, s[0:1]
	v_add_u32_e32 v7, 0x200, v21
	s_cbranch_vccnz .LBB45_264
; %bb.259:
	s_cmp_lg_u32 s33, 0
	s_cbranch_scc0 .LBB45_265
; %bb.260:
	s_min_u32 s4, s40, 15
	s_add_i32 s2, s4, 1
	s_and_b32 s5, s2, 30
	s_add_u32 s2, s12, 0xffffffe8
	s_addc_u32 s3, s13, -1
	v_mov_b32_e32 v22, 0
	v_mov_b32_e32 v24, 0
	;; [unrolled: 1-line block ×4, first 2 shown]
.LBB45_261:                             ; =>This Inner Loop Header: Depth=1
	s_load_dwordx4 s[8:11], s[2:3], 0x1c
	s_load_dwordx2 s[6:7], s[2:3], 0x2c
	s_load_dwordx2 s[14:15], s[2:3], 0xec
	s_load_dwordx4 s[16:19], s[2:3], 0xdc
	s_add_u32 s2, s2, 24
	s_waitcnt lgkmcnt(0)
	v_mul_hi_u32 v10, s9, v5
	s_addc_u32 s3, s3, 0
	s_add_i32 s5, s5, -2
	s_cmp_lg_u32 s5, 0
	v_add_u32_e32 v10, v5, v10
	v_lshrrev_b32_e32 v10, s10, v10
	v_mul_lo_u32 v12, v10, s8
	v_mul_hi_u32 v13, s6, v10
	v_sub_u32_e32 v12, v5, v12
	v_add_u32_e32 v5, v10, v13
	v_lshrrev_b32_e32 v5, s7, v5
	v_mul_lo_u32 v18, v5, s11
	v_mul_lo_u32 v13, v12, s16
	;; [unrolled: 1-line block ×4, first 2 shown]
	v_sub_u32_e32 v10, v10, v18
	v_mul_lo_u32 v18, v10, s19
	v_mul_lo_u32 v20, v10, s14
	;; [unrolled: 1-line block ×3, first 2 shown]
	v_add3_u32 v4, v13, v4, v18
	v_add3_u32 v24, v15, v24, v20
	;; [unrolled: 1-line block ×3, first 2 shown]
	s_cbranch_scc1 .LBB45_261
; %bb.262:
	s_bitcmp1_b32 s4, 0
	s_cselect_b64 s[4:5], -1, 0
	s_and_b64 vcc, exec, s[4:5]
	s_cbranch_vccnz .LBB45_266
; %bb.263:
	s_load_dwordx2 s[4:5], s[2:3], 0x1c
	s_load_dword s8, s[2:3], 0x24
	s_load_dwordx2 s[6:7], s[2:3], 0xdc
	s_waitcnt lgkmcnt(0)
	v_mul_hi_u32 v10, s5, v5
	v_add_u32_e32 v10, v5, v10
	v_lshrrev_b32_e32 v10, s8, v10
	v_mul_lo_u32 v10, v10, s4
	s_load_dword s4, s[2:3], 0xe4
	v_sub_u32_e32 v10, v5, v10
	v_mad_u64_u32 v[4:5], s[2:3], v10, s6, v[4:5]
	v_mad_u64_u32 v[24:25], s[2:3], v10, s7, v[24:25]
	s_waitcnt lgkmcnt(0)
	v_mad_u64_u32 v[22:23], s[2:3], v10, s4, v[22:23]
	s_cbranch_execz .LBB45_267
	s_branch .LBB45_269
.LBB45_264:
                                        ; implicit-def: $vgpr4
                                        ; implicit-def: $vgpr24
                                        ; implicit-def: $vgpr22
	s_branch .LBB45_267
.LBB45_265:
	v_mov_b32_e32 v4, 0
	v_mov_b32_e32 v24, 0
	;; [unrolled: 1-line block ×3, first 2 shown]
.LBB45_266:
	s_cbranch_execnz .LBB45_269
.LBB45_267:
	s_load_dwordx4 s[4:7], s[12:13], 0x4
	s_load_dwordx4 s[8:11], s[12:13], 0xc4
	s_cmp_lt_u32 s33, 2
	s_waitcnt lgkmcnt(0)
	v_mul_hi_u32 v4, s5, v7
	v_add_u32_e32 v4, v7, v4
	v_lshrrev_b32_e32 v5, s6, v4
	v_mul_lo_u32 v4, v5, s4
	v_sub_u32_e32 v7, v7, v4
	v_mul_lo_u32 v4, v7, s8
	v_mul_lo_u32 v24, v7, s9
	v_mul_lo_u32 v22, v7, s10
	s_cbranch_scc1 .LBB45_269
; %bb.268:
	s_load_dwordx4 s[4:7], s[12:13], 0x10
	s_load_dwordx4 s[8:11], s[12:13], 0xd0
	s_waitcnt lgkmcnt(0)
	v_mul_hi_u32 v7, s5, v5
	v_add_u32_e32 v7, v5, v7
	v_lshrrev_b32_e32 v7, s6, v7
	v_mul_lo_u32 v7, v7, s4
	v_sub_u32_e32 v7, v5, v7
	v_mad_u64_u32 v[4:5], s[2:3], v7, s8, v[4:5]
	v_mad_u64_u32 v[24:25], s[2:3], v7, s9, v[24:25]
	;; [unrolled: 1-line block ×3, first 2 shown]
.LBB45_269:
	s_and_b64 vcc, exec, s[0:1]
	v_add_u32_e32 v5, 0x280, v21
	s_cbranch_vccnz .LBB45_275
; %bb.270:
	s_cmp_lg_u32 s33, 0
	s_cbranch_scc0 .LBB45_276
; %bb.271:
	s_min_u32 s4, s40, 15
	s_add_i32 s2, s4, 1
	s_and_b32 s5, s2, 30
	s_add_u32 s2, s12, 0xffffffe8
	s_addc_u32 s3, s13, -1
	v_mov_b32_e32 v25, 0
	v_mov_b32_e32 v27, 0
	;; [unrolled: 1-line block ×4, first 2 shown]
.LBB45_272:                             ; =>This Inner Loop Header: Depth=1
	s_load_dwordx4 s[8:11], s[2:3], 0x1c
	s_load_dwordx2 s[6:7], s[2:3], 0x2c
	s_load_dwordx2 s[14:15], s[2:3], 0xec
	s_load_dwordx4 s[16:19], s[2:3], 0xdc
	s_add_u32 s2, s2, 24
	s_waitcnt lgkmcnt(0)
	v_mul_hi_u32 v10, s9, v7
	s_addc_u32 s3, s3, 0
	s_add_i32 s5, s5, -2
	s_cmp_lg_u32 s5, 0
	v_add_u32_e32 v10, v7, v10
	v_lshrrev_b32_e32 v10, s10, v10
	v_mul_lo_u32 v13, v10, s8
	v_mul_hi_u32 v15, s6, v10
	v_sub_u32_e32 v13, v7, v13
	v_add_u32_e32 v7, v10, v15
	v_lshrrev_b32_e32 v7, s7, v7
	v_mul_lo_u32 v20, v7, s11
	v_mul_lo_u32 v15, v13, s16
	;; [unrolled: 1-line block ×4, first 2 shown]
	v_sub_u32_e32 v10, v10, v20
	v_mul_lo_u32 v20, v10, s19
	v_mul_lo_u32 v23, v10, s14
	;; [unrolled: 1-line block ×3, first 2 shown]
	v_add3_u32 v12, v15, v12, v20
	v_add3_u32 v27, v18, v27, v23
	;; [unrolled: 1-line block ×3, first 2 shown]
	s_cbranch_scc1 .LBB45_272
; %bb.273:
	s_bitcmp1_b32 s4, 0
	s_cselect_b64 s[4:5], -1, 0
	s_and_b64 vcc, exec, s[4:5]
	s_cbranch_vccnz .LBB45_277
; %bb.274:
	s_load_dwordx2 s[4:5], s[2:3], 0x1c
	s_load_dword s8, s[2:3], 0x24
	s_load_dwordx2 s[6:7], s[2:3], 0xdc
	s_waitcnt lgkmcnt(0)
	v_mul_hi_u32 v10, s5, v7
	v_add_u32_e32 v10, v7, v10
	v_lshrrev_b32_e32 v10, s8, v10
	v_mul_lo_u32 v10, v10, s4
	s_load_dword s4, s[2:3], 0xe4
	v_sub_u32_e32 v7, v7, v10
	v_mad_u64_u32 v[12:13], s[2:3], v7, s6, v[12:13]
	v_mad_u64_u32 v[27:28], s[2:3], v7, s7, v[27:28]
	s_waitcnt lgkmcnt(0)
	v_mad_u64_u32 v[25:26], s[2:3], v7, s4, v[25:26]
	s_cbranch_execz .LBB45_278
	s_branch .LBB45_280
.LBB45_275:
                                        ; implicit-def: $vgpr12
                                        ; implicit-def: $vgpr27
                                        ; implicit-def: $vgpr25
	s_branch .LBB45_278
.LBB45_276:
	v_mov_b32_e32 v12, 0
	v_mov_b32_e32 v27, 0
	;; [unrolled: 1-line block ×3, first 2 shown]
.LBB45_277:
	s_cbranch_execnz .LBB45_280
.LBB45_278:
	s_load_dwordx4 s[4:7], s[12:13], 0x4
	s_load_dwordx4 s[8:11], s[12:13], 0xc4
	s_cmp_lt_u32 s33, 2
	s_waitcnt lgkmcnt(0)
	v_mul_hi_u32 v7, s5, v5
	v_add_u32_e32 v7, v5, v7
	v_lshrrev_b32_e32 v7, s6, v7
	v_mul_lo_u32 v10, v7, s4
	v_sub_u32_e32 v5, v5, v10
	v_mul_lo_u32 v12, v5, s8
	v_mul_lo_u32 v27, v5, s9
	;; [unrolled: 1-line block ×3, first 2 shown]
	s_cbranch_scc1 .LBB45_280
; %bb.279:
	s_load_dwordx4 s[4:7], s[12:13], 0x10
	s_load_dwordx4 s[8:11], s[12:13], 0xd0
	s_waitcnt lgkmcnt(0)
	v_mul_hi_u32 v5, s5, v7
	v_add_u32_e32 v5, v7, v5
	v_lshrrev_b32_e32 v5, s6, v5
	v_mul_lo_u32 v5, v5, s4
	v_sub_u32_e32 v5, v7, v5
	v_mad_u64_u32 v[12:13], s[2:3], v5, s8, v[12:13]
	v_mad_u64_u32 v[27:28], s[2:3], v5, s9, v[27:28]
	;; [unrolled: 1-line block ×3, first 2 shown]
.LBB45_280:
	s_and_b64 vcc, exec, s[0:1]
	v_add_u32_e32 v5, 0x300, v21
	s_cbranch_vccnz .LBB45_286
; %bb.281:
	s_cmp_lg_u32 s33, 0
	s_cbranch_scc0 .LBB45_287
; %bb.282:
	s_min_u32 s4, s40, 15
	s_add_i32 s2, s4, 1
	s_and_b32 s5, s2, 30
	s_add_u32 s2, s12, 0xffffffe8
	s_addc_u32 s3, s13, -1
	v_mov_b32_e32 v30, 0
	v_mov_b32_e32 v32, 0
	;; [unrolled: 1-line block ×4, first 2 shown]
.LBB45_283:                             ; =>This Inner Loop Header: Depth=1
	s_load_dwordx4 s[8:11], s[2:3], 0x1c
	s_load_dwordx2 s[6:7], s[2:3], 0x2c
	s_load_dwordx2 s[14:15], s[2:3], 0xec
	s_load_dwordx4 s[16:19], s[2:3], 0xdc
	s_add_u32 s2, s2, 24
	s_waitcnt lgkmcnt(0)
	v_mul_hi_u32 v10, s9, v7
	s_addc_u32 s3, s3, 0
	s_add_i32 s5, s5, -2
	s_cmp_lg_u32 s5, 0
	v_add_u32_e32 v10, v7, v10
	v_lshrrev_b32_e32 v10, s10, v10
	v_mul_lo_u32 v13, v10, s8
	v_mul_hi_u32 v15, s6, v10
	v_sub_u32_e32 v13, v7, v13
	v_add_u32_e32 v7, v10, v15
	v_lshrrev_b32_e32 v7, s7, v7
	v_mul_lo_u32 v21, v7, s11
	v_mul_lo_u32 v15, v13, s16
	;; [unrolled: 1-line block ×4, first 2 shown]
	v_sub_u32_e32 v10, v10, v21
	v_mul_lo_u32 v21, v10, s19
	v_mul_lo_u32 v23, v10, s14
	;; [unrolled: 1-line block ×3, first 2 shown]
	v_add3_u32 v20, v15, v20, v21
	v_add3_u32 v32, v18, v32, v23
	;; [unrolled: 1-line block ×3, first 2 shown]
	s_cbranch_scc1 .LBB45_283
; %bb.284:
	s_bitcmp1_b32 s4, 0
	s_cselect_b64 s[4:5], -1, 0
	s_and_b64 vcc, exec, s[4:5]
	s_cbranch_vccnz .LBB45_288
; %bb.285:
	s_load_dwordx2 s[4:5], s[2:3], 0x1c
	s_load_dword s8, s[2:3], 0x24
	s_load_dwordx2 s[6:7], s[2:3], 0xdc
	s_waitcnt lgkmcnt(0)
	v_mul_hi_u32 v10, s5, v7
	v_add_u32_e32 v10, v7, v10
	v_lshrrev_b32_e32 v10, s8, v10
	v_mul_lo_u32 v10, v10, s4
	s_load_dword s4, s[2:3], 0xe4
	v_sub_u32_e32 v7, v7, v10
	v_mad_u64_u32 v[20:21], s[2:3], v7, s6, v[20:21]
	v_mad_u64_u32 v[32:33], s[2:3], v7, s7, v[32:33]
	s_waitcnt lgkmcnt(0)
	v_mad_u64_u32 v[30:31], s[2:3], v7, s4, v[30:31]
	s_cbranch_execz .LBB45_289
	s_branch .LBB45_291
.LBB45_286:
                                        ; implicit-def: $vgpr20
                                        ; implicit-def: $vgpr32
                                        ; implicit-def: $vgpr30
	s_branch .LBB45_289
.LBB45_287:
	v_mov_b32_e32 v20, 0
	v_mov_b32_e32 v32, 0
	;; [unrolled: 1-line block ×3, first 2 shown]
.LBB45_288:
	s_cbranch_execnz .LBB45_291
.LBB45_289:
	s_load_dwordx4 s[4:7], s[12:13], 0x4
	s_load_dwordx4 s[8:11], s[12:13], 0xc4
	s_cmp_lt_u32 s33, 2
	s_waitcnt lgkmcnt(0)
	v_mul_hi_u32 v7, s5, v5
	v_add_u32_e32 v7, v5, v7
	v_lshrrev_b32_e32 v7, s6, v7
	v_mul_lo_u32 v10, v7, s4
	v_sub_u32_e32 v5, v5, v10
	v_mul_lo_u32 v20, v5, s8
	v_mul_lo_u32 v32, v5, s9
	;; [unrolled: 1-line block ×3, first 2 shown]
	s_cbranch_scc1 .LBB45_291
; %bb.290:
	s_load_dwordx4 s[4:7], s[12:13], 0x10
	s_load_dwordx4 s[8:11], s[12:13], 0xd0
	s_waitcnt lgkmcnt(0)
	v_mul_hi_u32 v5, s5, v7
	v_add_u32_e32 v5, v7, v5
	v_lshrrev_b32_e32 v5, s6, v5
	v_mul_lo_u32 v5, v5, s4
	v_sub_u32_e32 v5, v7, v5
	v_mad_u64_u32 v[20:21], s[2:3], v5, s8, v[20:21]
	v_mad_u64_u32 v[32:33], s[2:3], v5, s9, v[32:33]
	;; [unrolled: 1-line block ×3, first 2 shown]
.LBB45_291:
	s_and_b64 vcc, exec, s[0:1]
	s_cbranch_vccnz .LBB45_297
; %bb.292:
	s_cmp_lg_u32 s33, 0
	s_cbranch_scc0 .LBB45_298
; %bb.293:
	s_min_u32 s2, s40, 15
	s_add_i32 s0, s2, 1
	s_and_b32 s3, s0, 30
	s_add_u32 s0, s12, 0xffffffe8
	s_addc_u32 s1, s13, -1
	v_mov_b32_e32 v35, 0
	v_mov_b32_e32 v33, 0
	v_mov_b32_e32 v28, 0
	v_mov_b32_e32 v5, v37
.LBB45_294:                             ; =>This Inner Loop Header: Depth=1
	s_load_dwordx4 s[4:7], s[0:1], 0x1c
	s_load_dwordx2 s[14:15], s[0:1], 0x2c
	s_load_dwordx2 s[16:17], s[0:1], 0xec
	s_load_dwordx4 s[8:11], s[0:1], 0xdc
	s_add_u32 s0, s0, 24
	s_waitcnt lgkmcnt(0)
	v_mul_hi_u32 v7, s5, v5
	s_addc_u32 s1, s1, 0
	s_add_i32 s3, s3, -2
	s_cmp_lg_u32 s3, 0
	v_add_u32_e32 v7, v5, v7
	v_lshrrev_b32_e32 v7, s6, v7
	v_mul_lo_u32 v10, v7, s4
	v_mul_hi_u32 v13, s14, v7
	v_sub_u32_e32 v10, v5, v10
	v_add_u32_e32 v5, v7, v13
	v_lshrrev_b32_e32 v5, s15, v5
	v_mul_lo_u32 v18, v5, s7
	v_mul_lo_u32 v13, v10, s8
	;; [unrolled: 1-line block ×4, first 2 shown]
	v_sub_u32_e32 v7, v7, v18
	v_mul_lo_u32 v18, v7, s11
	v_mul_lo_u32 v21, v7, s16
	;; [unrolled: 1-line block ×3, first 2 shown]
	v_add3_u32 v28, v13, v28, v18
	v_add3_u32 v33, v15, v33, v21
	;; [unrolled: 1-line block ×3, first 2 shown]
	s_cbranch_scc1 .LBB45_294
; %bb.295:
	s_bitcmp1_b32 s2, 0
	s_cselect_b64 s[2:3], -1, 0
	s_and_b64 vcc, exec, s[2:3]
	s_cbranch_vccnz .LBB45_299
; %bb.296:
	s_load_dwordx2 s[2:3], s[0:1], 0x1c
	s_load_dword s6, s[0:1], 0x24
	s_load_dwordx2 s[4:5], s[0:1], 0xdc
	s_waitcnt lgkmcnt(0)
	v_mul_hi_u32 v7, s3, v5
	v_add_u32_e32 v7, v5, v7
	v_lshrrev_b32_e32 v7, s6, v7
	v_mul_lo_u32 v7, v7, s2
	s_load_dword s2, s[0:1], 0xe4
	v_sub_u32_e32 v5, v5, v7
	v_mad_u64_u32 v[28:29], s[0:1], v5, s4, v[28:29]
	v_mad_u64_u32 v[33:34], s[0:1], v5, s5, v[33:34]
	s_waitcnt lgkmcnt(0)
	v_mad_u64_u32 v[35:36], s[0:1], v5, s2, v[35:36]
	s_cbranch_execz .LBB45_300
	s_branch .LBB45_302
.LBB45_297:
                                        ; implicit-def: $vgpr28
                                        ; implicit-def: $vgpr33
                                        ; implicit-def: $vgpr35
	s_branch .LBB45_300
.LBB45_298:
	v_mov_b32_e32 v28, 0
	v_mov_b32_e32 v33, 0
	;; [unrolled: 1-line block ×3, first 2 shown]
.LBB45_299:
	s_cbranch_execnz .LBB45_302
.LBB45_300:
	s_load_dwordx4 s[0:3], s[12:13], 0x4
	s_load_dwordx4 s[4:7], s[12:13], 0xc4
	s_cmp_lt_u32 s33, 2
	s_waitcnt lgkmcnt(0)
	v_mul_hi_u32 v5, s1, v37
	v_add_u32_e32 v5, v37, v5
	v_lshrrev_b32_e32 v5, s2, v5
	v_mul_lo_u32 v7, v5, s0
	v_sub_u32_e32 v7, v37, v7
	v_mul_lo_u32 v28, v7, s4
	v_mul_lo_u32 v33, v7, s5
	;; [unrolled: 1-line block ×3, first 2 shown]
	s_cbranch_scc1 .LBB45_302
; %bb.301:
	s_load_dwordx4 s[0:3], s[12:13], 0x10
	s_load_dwordx4 s[4:7], s[12:13], 0xd0
	s_waitcnt lgkmcnt(0)
	v_mul_hi_u32 v7, s1, v5
	v_add_u32_e32 v7, v5, v7
	v_lshrrev_b32_e32 v7, s2, v7
	v_mul_lo_u32 v7, v7, s0
	v_sub_u32_e32 v5, v5, v7
	v_mad_u64_u32 v[28:29], s[0:1], v5, s4, v[28:29]
	v_mad_u64_u32 v[33:34], s[0:1], v5, s5, v[33:34]
	v_mad_u64_u32 v[35:36], s[0:1], v5, s6, v[35:36]
.LBB45_302:
	s_load_dwordx4 s[0:3], s[12:13], 0x188
	s_load_dwordx2 s[6:7], s[12:13], 0x198
	s_load_dword s26, s[12:13], 0x1a0
	s_mov_b64 s[8:9], 0
	s_waitcnt lgkmcnt(0)
	global_load_dword v5, v8, s[2:3]
	global_load_dword v7, v6, s[6:7]
	s_cmp_lt_i32 s26, 1
	s_cbranch_scc1 .LBB45_306
; %bb.303:
	s_cmp_gt_i32 s26, 1
	s_cbranch_scc0 .LBB45_307
; %bb.304:
	s_cmp_eq_u32 s26, 2
	s_cbranch_scc0 .LBB45_308
; %bb.305:
	s_waitcnt vmcnt(0)
	v_cmp_le_i32_e64 s[4:5], v5, v7
	s_mov_b64 s[10:11], 0
	s_branch .LBB45_309
.LBB45_306:
                                        ; implicit-def: $sgpr4_sgpr5
	s_mov_b64 s[10:11], 0
	s_cbranch_execnz .LBB45_312
	s_branch .LBB45_313
.LBB45_307:
	s_mov_b64 s[10:11], 0
                                        ; implicit-def: $sgpr4_sgpr5
	s_cbranch_execnz .LBB45_310
	s_branch .LBB45_311
.LBB45_308:
	s_mov_b64 s[10:11], -1
                                        ; implicit-def: $sgpr4_sgpr5
.LBB45_309:
	s_branch .LBB45_311
.LBB45_310:
	s_waitcnt vmcnt(0)
	v_cmp_gt_i32_e32 vcc, v5, v7
	s_andn2_b64 s[4:5], s[4:5], exec
	s_and_b64 s[12:13], vcc, exec
	s_or_b64 s[4:5], s[4:5], s[12:13]
.LBB45_311:
	s_branch .LBB45_313
.LBB45_312:
	s_cmp_lg_u32 s26, 0
	s_mov_b64 s[8:9], -1
	s_cselect_b64 s[10:11], -1, 0
.LBB45_313:
	s_andn2_b64 vcc, exec, s[10:11]
	s_cbranch_vccz .LBB45_320
; %bb.314:
	s_andn2_b64 vcc, exec, s[8:9]
	s_cbranch_vccnz .LBB45_316
.LBB45_315:
	s_waitcnt vmcnt(0)
	v_cmp_ge_i32_e32 vcc, v5, v7
	s_andn2_b64 s[4:5], s[4:5], exec
	s_and_b64 s[8:9], vcc, exec
	s_or_b64 s[4:5], s[4:5], s[8:9]
.LBB45_316:
	global_load_dword v5, v11, s[2:3]
	global_load_dword v6, v9, s[6:7]
	s_cmp_lt_i32 s26, 1
	s_mov_b64 s[10:11], 0
	s_cbranch_scc1 .LBB45_321
; %bb.317:
	s_cmp_gt_i32 s26, 1
	s_cbranch_scc0 .LBB45_322
; %bb.318:
	s_cmp_eq_u32 s26, 2
	s_cbranch_scc0 .LBB45_323
; %bb.319:
	s_waitcnt vmcnt(0)
	v_cmp_le_i32_e64 s[8:9], v5, v6
	s_mov_b64 s[12:13], 0
	s_branch .LBB45_324
.LBB45_320:
	s_waitcnt vmcnt(0)
	v_cmp_lt_i32_e32 vcc, v5, v7
	s_andn2_b64 s[4:5], s[4:5], exec
	s_and_b64 s[10:11], vcc, exec
	s_or_b64 s[4:5], s[4:5], s[10:11]
	s_cbranch_execz .LBB45_315
	s_branch .LBB45_316
.LBB45_321:
                                        ; implicit-def: $sgpr8_sgpr9
	s_mov_b64 s[12:13], 0
	s_cbranch_execnz .LBB45_327
	s_branch .LBB45_328
.LBB45_322:
	s_mov_b64 s[12:13], 0
                                        ; implicit-def: $sgpr8_sgpr9
	s_cbranch_execnz .LBB45_325
	s_branch .LBB45_326
.LBB45_323:
	s_mov_b64 s[12:13], -1
                                        ; implicit-def: $sgpr8_sgpr9
.LBB45_324:
	s_branch .LBB45_326
.LBB45_325:
	s_waitcnt vmcnt(0)
	v_cmp_gt_i32_e32 vcc, v5, v6
	s_andn2_b64 s[8:9], s[8:9], exec
	s_and_b64 s[14:15], vcc, exec
	s_or_b64 s[8:9], s[8:9], s[14:15]
.LBB45_326:
	s_branch .LBB45_328
.LBB45_327:
	s_cmp_lg_u32 s26, 0
	s_mov_b64 s[10:11], -1
	s_cselect_b64 s[12:13], -1, 0
.LBB45_328:
	s_andn2_b64 vcc, exec, s[12:13]
	s_cbranch_vccz .LBB45_335
; %bb.329:
	s_andn2_b64 vcc, exec, s[10:11]
	s_cbranch_vccnz .LBB45_331
.LBB45_330:
	s_waitcnt vmcnt(0)
	v_cmp_ge_i32_e32 vcc, v5, v6
	s_andn2_b64 s[8:9], s[8:9], exec
	s_and_b64 s[10:11], vcc, exec
	s_or_b64 s[8:9], s[8:9], s[10:11]
.LBB45_331:
	global_load_dword v5, v16, s[2:3]
	global_load_dword v6, v14, s[6:7]
	s_cmp_lt_i32 s26, 1
	s_mov_b64 s[12:13], 0
	s_cbranch_scc1 .LBB45_336
; %bb.332:
	s_cmp_gt_i32 s26, 1
	s_cbranch_scc0 .LBB45_337
; %bb.333:
	s_cmp_eq_u32 s26, 2
	s_cbranch_scc0 .LBB45_338
; %bb.334:
	s_waitcnt vmcnt(0)
	v_cmp_le_i32_e64 s[10:11], v5, v6
	s_mov_b64 s[14:15], 0
	s_branch .LBB45_339
.LBB45_335:
	s_waitcnt vmcnt(0)
	v_cmp_lt_i32_e32 vcc, v5, v6
	s_andn2_b64 s[8:9], s[8:9], exec
	s_and_b64 s[12:13], vcc, exec
	s_or_b64 s[8:9], s[8:9], s[12:13]
	s_cbranch_execz .LBB45_330
	s_branch .LBB45_331
.LBB45_336:
                                        ; implicit-def: $sgpr10_sgpr11
	s_mov_b64 s[14:15], 0
	s_cbranch_execnz .LBB45_342
	s_branch .LBB45_343
.LBB45_337:
	s_mov_b64 s[14:15], 0
                                        ; implicit-def: $sgpr10_sgpr11
	s_cbranch_execnz .LBB45_340
	s_branch .LBB45_341
.LBB45_338:
	s_mov_b64 s[14:15], -1
                                        ; implicit-def: $sgpr10_sgpr11
.LBB45_339:
	s_branch .LBB45_341
.LBB45_340:
	s_waitcnt vmcnt(0)
	v_cmp_gt_i32_e32 vcc, v5, v6
	s_andn2_b64 s[10:11], s[10:11], exec
	s_and_b64 s[16:17], vcc, exec
	s_or_b64 s[10:11], s[10:11], s[16:17]
.LBB45_341:
	s_branch .LBB45_343
.LBB45_342:
	s_cmp_lg_u32 s26, 0
	s_mov_b64 s[12:13], -1
	s_cselect_b64 s[14:15], -1, 0
.LBB45_343:
	s_andn2_b64 vcc, exec, s[14:15]
	s_cbranch_vccz .LBB45_350
; %bb.344:
	s_andn2_b64 vcc, exec, s[12:13]
	s_cbranch_vccnz .LBB45_346
.LBB45_345:
	s_waitcnt vmcnt(0)
	v_cmp_ge_i32_e32 vcc, v5, v6
	s_andn2_b64 s[10:11], s[10:11], exec
	s_and_b64 s[12:13], vcc, exec
	s_or_b64 s[10:11], s[10:11], s[12:13]
.LBB45_346:
	global_load_dword v5, v19, s[2:3]
	global_load_dword v6, v17, s[6:7]
	s_cmp_lt_i32 s26, 1
	s_mov_b64 s[14:15], 0
	s_cbranch_scc1 .LBB45_351
; %bb.347:
	s_cmp_gt_i32 s26, 1
	s_cbranch_scc0 .LBB45_352
; %bb.348:
	s_cmp_eq_u32 s26, 2
	s_cbranch_scc0 .LBB45_353
; %bb.349:
	s_waitcnt vmcnt(0)
	v_cmp_le_i32_e64 s[12:13], v5, v6
	s_mov_b64 s[16:17], 0
	s_branch .LBB45_354
.LBB45_350:
	s_waitcnt vmcnt(0)
	v_cmp_lt_i32_e32 vcc, v5, v6
	s_andn2_b64 s[10:11], s[10:11], exec
	s_and_b64 s[14:15], vcc, exec
	s_or_b64 s[10:11], s[10:11], s[14:15]
	s_cbranch_execz .LBB45_345
	s_branch .LBB45_346
.LBB45_351:
                                        ; implicit-def: $sgpr12_sgpr13
	s_mov_b64 s[16:17], 0
	s_cbranch_execnz .LBB45_357
	s_branch .LBB45_358
.LBB45_352:
	s_mov_b64 s[16:17], 0
                                        ; implicit-def: $sgpr12_sgpr13
	s_cbranch_execnz .LBB45_355
	s_branch .LBB45_356
.LBB45_353:
	s_mov_b64 s[16:17], -1
                                        ; implicit-def: $sgpr12_sgpr13
.LBB45_354:
	s_branch .LBB45_356
.LBB45_355:
	s_waitcnt vmcnt(0)
	v_cmp_gt_i32_e32 vcc, v5, v6
	s_andn2_b64 s[12:13], s[12:13], exec
	s_and_b64 s[18:19], vcc, exec
	s_or_b64 s[12:13], s[12:13], s[18:19]
.LBB45_356:
	s_branch .LBB45_358
.LBB45_357:
	s_cmp_lg_u32 s26, 0
	s_mov_b64 s[14:15], -1
	s_cselect_b64 s[16:17], -1, 0
.LBB45_358:
	s_andn2_b64 vcc, exec, s[16:17]
	s_cbranch_vccz .LBB45_365
; %bb.359:
	s_andn2_b64 vcc, exec, s[14:15]
	s_cbranch_vccnz .LBB45_361
.LBB45_360:
	s_waitcnt vmcnt(0)
	v_cmp_ge_i32_e32 vcc, v5, v6
	s_andn2_b64 s[12:13], s[12:13], exec
	s_and_b64 s[14:15], vcc, exec
	s_or_b64 s[12:13], s[12:13], s[14:15]
.LBB45_361:
	global_load_dword v5, v24, s[2:3]
	global_load_dword v6, v22, s[6:7]
	s_cmp_lt_i32 s26, 1
	s_mov_b64 s[16:17], 0
	s_cbranch_scc1 .LBB45_366
; %bb.362:
	s_cmp_gt_i32 s26, 1
	s_cbranch_scc0 .LBB45_367
; %bb.363:
	s_cmp_eq_u32 s26, 2
	s_cbranch_scc0 .LBB45_368
; %bb.364:
	s_waitcnt vmcnt(0)
	v_cmp_le_i32_e64 s[14:15], v5, v6
	s_mov_b64 s[18:19], 0
	s_branch .LBB45_369
.LBB45_365:
	s_waitcnt vmcnt(0)
	v_cmp_lt_i32_e32 vcc, v5, v6
	s_andn2_b64 s[12:13], s[12:13], exec
	s_and_b64 s[16:17], vcc, exec
	s_or_b64 s[12:13], s[12:13], s[16:17]
	s_cbranch_execz .LBB45_360
	s_branch .LBB45_361
.LBB45_366:
                                        ; implicit-def: $sgpr14_sgpr15
	s_mov_b64 s[18:19], 0
	s_cbranch_execnz .LBB45_372
	s_branch .LBB45_373
.LBB45_367:
	s_mov_b64 s[18:19], 0
                                        ; implicit-def: $sgpr14_sgpr15
	s_cbranch_execnz .LBB45_370
	s_branch .LBB45_371
.LBB45_368:
	s_mov_b64 s[18:19], -1
                                        ; implicit-def: $sgpr14_sgpr15
.LBB45_369:
	s_branch .LBB45_371
.LBB45_370:
	s_waitcnt vmcnt(0)
	v_cmp_gt_i32_e32 vcc, v5, v6
	s_andn2_b64 s[14:15], s[14:15], exec
	s_and_b64 s[20:21], vcc, exec
	s_or_b64 s[14:15], s[14:15], s[20:21]
.LBB45_371:
	s_branch .LBB45_373
.LBB45_372:
	s_cmp_lg_u32 s26, 0
	s_mov_b64 s[16:17], -1
	s_cselect_b64 s[18:19], -1, 0
.LBB45_373:
	s_andn2_b64 vcc, exec, s[18:19]
	s_cbranch_vccz .LBB45_380
; %bb.374:
	s_andn2_b64 vcc, exec, s[16:17]
	s_cbranch_vccnz .LBB45_376
.LBB45_375:
	s_waitcnt vmcnt(0)
	v_cmp_ge_i32_e32 vcc, v5, v6
	s_andn2_b64 s[14:15], s[14:15], exec
	s_and_b64 s[16:17], vcc, exec
	s_or_b64 s[14:15], s[14:15], s[16:17]
.LBB45_376:
	global_load_dword v5, v27, s[2:3]
	global_load_dword v6, v25, s[6:7]
	s_cmp_lt_i32 s26, 1
	s_mov_b64 s[18:19], 0
	s_cbranch_scc1 .LBB45_381
; %bb.377:
	s_cmp_gt_i32 s26, 1
	s_cbranch_scc0 .LBB45_382
; %bb.378:
	s_cmp_eq_u32 s26, 2
	s_cbranch_scc0 .LBB45_383
; %bb.379:
	s_waitcnt vmcnt(0)
	v_cmp_le_i32_e64 s[16:17], v5, v6
	s_mov_b64 s[20:21], 0
	s_branch .LBB45_384
.LBB45_380:
	s_waitcnt vmcnt(0)
	v_cmp_lt_i32_e32 vcc, v5, v6
	s_andn2_b64 s[14:15], s[14:15], exec
	s_and_b64 s[18:19], vcc, exec
	s_or_b64 s[14:15], s[14:15], s[18:19]
	s_cbranch_execz .LBB45_375
	s_branch .LBB45_376
.LBB45_381:
                                        ; implicit-def: $sgpr16_sgpr17
	s_mov_b64 s[20:21], 0
	s_cbranch_execnz .LBB45_387
	s_branch .LBB45_388
.LBB45_382:
	s_mov_b64 s[20:21], 0
                                        ; implicit-def: $sgpr16_sgpr17
	s_cbranch_execnz .LBB45_385
	s_branch .LBB45_386
.LBB45_383:
	s_mov_b64 s[20:21], -1
                                        ; implicit-def: $sgpr16_sgpr17
.LBB45_384:
	s_branch .LBB45_386
.LBB45_385:
	s_waitcnt vmcnt(0)
	v_cmp_gt_i32_e32 vcc, v5, v6
	s_andn2_b64 s[16:17], s[16:17], exec
	s_and_b64 s[22:23], vcc, exec
	s_or_b64 s[16:17], s[16:17], s[22:23]
.LBB45_386:
	s_branch .LBB45_388
.LBB45_387:
	s_cmp_lg_u32 s26, 0
	s_mov_b64 s[18:19], -1
	s_cselect_b64 s[20:21], -1, 0
.LBB45_388:
	s_andn2_b64 vcc, exec, s[20:21]
	s_cbranch_vccz .LBB45_395
; %bb.389:
	s_andn2_b64 vcc, exec, s[18:19]
	s_cbranch_vccnz .LBB45_391
.LBB45_390:
	s_waitcnt vmcnt(0)
	v_cmp_ge_i32_e32 vcc, v5, v6
	s_andn2_b64 s[16:17], s[16:17], exec
	s_and_b64 s[18:19], vcc, exec
	s_or_b64 s[16:17], s[16:17], s[18:19]
.LBB45_391:
	global_load_dword v5, v32, s[2:3]
	global_load_dword v6, v30, s[6:7]
	s_cmp_lt_i32 s26, 1
	s_mov_b64 s[20:21], 0
	s_cbranch_scc1 .LBB45_396
; %bb.392:
	s_cmp_gt_i32 s26, 1
	s_cbranch_scc0 .LBB45_397
; %bb.393:
	s_cmp_eq_u32 s26, 2
	s_cbranch_scc0 .LBB45_398
; %bb.394:
	s_waitcnt vmcnt(0)
	v_cmp_le_i32_e64 s[18:19], v5, v6
	s_mov_b64 s[22:23], 0
	s_branch .LBB45_399
.LBB45_395:
	s_waitcnt vmcnt(0)
	v_cmp_lt_i32_e32 vcc, v5, v6
	s_andn2_b64 s[16:17], s[16:17], exec
	s_and_b64 s[20:21], vcc, exec
	s_or_b64 s[16:17], s[16:17], s[20:21]
	s_cbranch_execz .LBB45_390
	s_branch .LBB45_391
.LBB45_396:
                                        ; implicit-def: $sgpr18_sgpr19
	s_mov_b64 s[22:23], 0
	s_cbranch_execnz .LBB45_402
	s_branch .LBB45_403
.LBB45_397:
	s_mov_b64 s[22:23], 0
                                        ; implicit-def: $sgpr18_sgpr19
	s_cbranch_execnz .LBB45_400
	s_branch .LBB45_401
.LBB45_398:
	s_mov_b64 s[22:23], -1
                                        ; implicit-def: $sgpr18_sgpr19
.LBB45_399:
	s_branch .LBB45_401
.LBB45_400:
	s_waitcnt vmcnt(0)
	v_cmp_gt_i32_e32 vcc, v5, v6
	s_andn2_b64 s[18:19], s[18:19], exec
	s_and_b64 s[24:25], vcc, exec
	s_or_b64 s[18:19], s[18:19], s[24:25]
.LBB45_401:
	s_branch .LBB45_403
.LBB45_402:
	s_cmp_lg_u32 s26, 0
	s_mov_b64 s[20:21], -1
	s_cselect_b64 s[22:23], -1, 0
.LBB45_403:
	s_andn2_b64 vcc, exec, s[22:23]
	s_cbranch_vccz .LBB45_410
; %bb.404:
	s_andn2_b64 vcc, exec, s[20:21]
	s_cbranch_vccnz .LBB45_406
.LBB45_405:
	s_waitcnt vmcnt(0)
	v_cmp_ge_i32_e32 vcc, v5, v6
	s_andn2_b64 s[18:19], s[18:19], exec
	s_and_b64 s[20:21], vcc, exec
	s_or_b64 s[18:19], s[18:19], s[20:21]
.LBB45_406:
	global_load_dword v5, v33, s[2:3]
	global_load_dword v6, v35, s[6:7]
	s_cmp_lt_i32 s26, 1
	s_mov_b64 s[6:7], 0
	s_cbranch_scc1 .LBB45_411
; %bb.407:
	s_cmp_gt_i32 s26, 1
	s_cbranch_scc0 .LBB45_412
; %bb.408:
	s_cmp_eq_u32 s26, 2
	s_cbranch_scc0 .LBB45_413
; %bb.409:
	s_waitcnt vmcnt(0)
	v_cmp_le_i32_e64 s[2:3], v5, v6
	s_mov_b64 s[20:21], 0
	s_branch .LBB45_414
.LBB45_410:
	s_waitcnt vmcnt(0)
	v_cmp_lt_i32_e32 vcc, v5, v6
	s_andn2_b64 s[18:19], s[18:19], exec
	s_and_b64 s[22:23], vcc, exec
	s_or_b64 s[18:19], s[18:19], s[22:23]
	s_cbranch_execz .LBB45_405
	s_branch .LBB45_406
.LBB45_411:
                                        ; implicit-def: $sgpr2_sgpr3
	s_mov_b64 s[20:21], 0
	s_cbranch_execnz .LBB45_417
	s_branch .LBB45_418
.LBB45_412:
	s_mov_b64 s[20:21], 0
                                        ; implicit-def: $sgpr2_sgpr3
	s_cbranch_execnz .LBB45_415
	s_branch .LBB45_416
.LBB45_413:
	s_mov_b64 s[20:21], -1
                                        ; implicit-def: $sgpr2_sgpr3
.LBB45_414:
	s_branch .LBB45_416
.LBB45_415:
	s_waitcnt vmcnt(0)
	v_cmp_gt_i32_e32 vcc, v5, v6
	s_andn2_b64 s[2:3], s[2:3], exec
	s_and_b64 s[22:23], vcc, exec
	s_or_b64 s[2:3], s[2:3], s[22:23]
.LBB45_416:
	s_branch .LBB45_418
.LBB45_417:
	s_cmp_lg_u32 s26, 0
	s_mov_b64 s[6:7], -1
	s_cselect_b64 s[20:21], -1, 0
.LBB45_418:
	s_andn2_b64 vcc, exec, s[20:21]
	s_cbranch_vccz .LBB45_422
; %bb.419:
	s_andn2_b64 vcc, exec, s[6:7]
	s_cbranch_vccnz .LBB45_421
.LBB45_420:
	s_waitcnt vmcnt(0)
	v_cmp_ge_i32_e32 vcc, v5, v6
	s_andn2_b64 s[2:3], s[2:3], exec
	s_and_b64 s[6:7], vcc, exec
	s_or_b64 s[2:3], s[2:3], s[6:7]
.LBB45_421:
	v_cndmask_b32_e64 v11, 0, 1, s[4:5]
	s_waitcnt vmcnt(1)
	v_cndmask_b32_e64 v5, 0, 1, s[18:19]
	s_waitcnt vmcnt(0)
	v_cndmask_b32_e64 v6, 0, 1, s[16:17]
	v_cndmask_b32_e64 v7, 0, 1, s[14:15]
	;; [unrolled: 1-line block ×6, first 2 shown]
	global_store_byte v0, v11, s[0:1]
	global_store_byte v1, v10, s[0:1]
	;; [unrolled: 1-line block ×8, first 2 shown]
	s_endpgm
.LBB45_422:
	s_waitcnt vmcnt(0)
	v_cmp_lt_i32_e32 vcc, v5, v6
	s_andn2_b64 s[2:3], s[2:3], exec
	s_and_b64 s[20:21], vcc, exec
	s_or_b64 s[2:3], s[2:3], s[20:21]
	s_cbranch_execz .LBB45_420
	s_branch .LBB45_421
.LBB45_423:
	s_mov_b64 s[36:37], -1
                                        ; implicit-def: $sgpr34_sgpr35
	s_branch .LBB45_54
.LBB45_424:
	s_mov_b64 s[36:37], -1
                                        ; implicit-def: $sgpr34_sgpr35
	s_branch .LBB45_79
.LBB45_425:
	s_mov_b64 s[36:37], -1
                                        ; implicit-def: $sgpr34_sgpr35
	s_branch .LBB45_104
.LBB45_426:
	s_mov_b64 s[36:37], -1
                                        ; implicit-def: $sgpr34_sgpr35
	s_branch .LBB45_129
.LBB45_427:
	s_mov_b64 s[36:37], -1
                                        ; implicit-def: $sgpr34_sgpr35
	s_branch .LBB45_154
.LBB45_428:
	s_mov_b64 s[36:37], -1
                                        ; implicit-def: $sgpr34_sgpr35
	s_branch .LBB45_179
.LBB45_429:
	s_mov_b64 s[6:7], -1
                                        ; implicit-def: $sgpr4_sgpr5
	s_branch .LBB45_204
	.section	.rodata,"a",@progbits
	.p2align	6, 0x0
	.amdhsa_kernel _ZN2at6native32elementwise_kernel_manual_unrollILi128ELi8EZNS0_22gpu_kernel_impl_nocastINS0_12_GLOBAL__N_114CompareFunctorIiEEEEvRNS_18TensorIteratorBaseERKT_EUlibE_EEviT1_
		.amdhsa_group_segment_fixed_size 0
		.amdhsa_private_segment_fixed_size 0
		.amdhsa_kernarg_size 432
		.amdhsa_user_sgpr_count 6
		.amdhsa_user_sgpr_private_segment_buffer 1
		.amdhsa_user_sgpr_dispatch_ptr 0
		.amdhsa_user_sgpr_queue_ptr 0
		.amdhsa_user_sgpr_kernarg_segment_ptr 1
		.amdhsa_user_sgpr_dispatch_id 0
		.amdhsa_user_sgpr_flat_scratch_init 0
		.amdhsa_user_sgpr_private_segment_size 0
		.amdhsa_uses_dynamic_stack 0
		.amdhsa_system_sgpr_private_segment_wavefront_offset 0
		.amdhsa_system_sgpr_workgroup_id_x 1
		.amdhsa_system_sgpr_workgroup_id_y 0
		.amdhsa_system_sgpr_workgroup_id_z 0
		.amdhsa_system_sgpr_workgroup_info 0
		.amdhsa_system_vgpr_workitem_id 0
		.amdhsa_next_free_vgpr 38
		.amdhsa_next_free_sgpr 52
		.amdhsa_reserve_vcc 1
		.amdhsa_reserve_flat_scratch 0
		.amdhsa_float_round_mode_32 0
		.amdhsa_float_round_mode_16_64 0
		.amdhsa_float_denorm_mode_32 3
		.amdhsa_float_denorm_mode_16_64 3
		.amdhsa_dx10_clamp 1
		.amdhsa_ieee_mode 1
		.amdhsa_fp16_overflow 0
		.amdhsa_exception_fp_ieee_invalid_op 0
		.amdhsa_exception_fp_denorm_src 0
		.amdhsa_exception_fp_ieee_div_zero 0
		.amdhsa_exception_fp_ieee_overflow 0
		.amdhsa_exception_fp_ieee_underflow 0
		.amdhsa_exception_fp_ieee_inexact 0
		.amdhsa_exception_int_div_zero 0
	.end_amdhsa_kernel
	.section	.text._ZN2at6native32elementwise_kernel_manual_unrollILi128ELi8EZNS0_22gpu_kernel_impl_nocastINS0_12_GLOBAL__N_114CompareFunctorIiEEEEvRNS_18TensorIteratorBaseERKT_EUlibE_EEviT1_,"axG",@progbits,_ZN2at6native32elementwise_kernel_manual_unrollILi128ELi8EZNS0_22gpu_kernel_impl_nocastINS0_12_GLOBAL__N_114CompareFunctorIiEEEEvRNS_18TensorIteratorBaseERKT_EUlibE_EEviT1_,comdat
.Lfunc_end45:
	.size	_ZN2at6native32elementwise_kernel_manual_unrollILi128ELi8EZNS0_22gpu_kernel_impl_nocastINS0_12_GLOBAL__N_114CompareFunctorIiEEEEvRNS_18TensorIteratorBaseERKT_EUlibE_EEviT1_, .Lfunc_end45-_ZN2at6native32elementwise_kernel_manual_unrollILi128ELi8EZNS0_22gpu_kernel_impl_nocastINS0_12_GLOBAL__N_114CompareFunctorIiEEEEvRNS_18TensorIteratorBaseERKT_EUlibE_EEviT1_
                                        ; -- End function
	.set _ZN2at6native32elementwise_kernel_manual_unrollILi128ELi8EZNS0_22gpu_kernel_impl_nocastINS0_12_GLOBAL__N_114CompareFunctorIiEEEEvRNS_18TensorIteratorBaseERKT_EUlibE_EEviT1_.num_vgpr, 38
	.set _ZN2at6native32elementwise_kernel_manual_unrollILi128ELi8EZNS0_22gpu_kernel_impl_nocastINS0_12_GLOBAL__N_114CompareFunctorIiEEEEvRNS_18TensorIteratorBaseERKT_EUlibE_EEviT1_.num_agpr, 0
	.set _ZN2at6native32elementwise_kernel_manual_unrollILi128ELi8EZNS0_22gpu_kernel_impl_nocastINS0_12_GLOBAL__N_114CompareFunctorIiEEEEvRNS_18TensorIteratorBaseERKT_EUlibE_EEviT1_.numbered_sgpr, 52
	.set _ZN2at6native32elementwise_kernel_manual_unrollILi128ELi8EZNS0_22gpu_kernel_impl_nocastINS0_12_GLOBAL__N_114CompareFunctorIiEEEEvRNS_18TensorIteratorBaseERKT_EUlibE_EEviT1_.num_named_barrier, 0
	.set _ZN2at6native32elementwise_kernel_manual_unrollILi128ELi8EZNS0_22gpu_kernel_impl_nocastINS0_12_GLOBAL__N_114CompareFunctorIiEEEEvRNS_18TensorIteratorBaseERKT_EUlibE_EEviT1_.private_seg_size, 0
	.set _ZN2at6native32elementwise_kernel_manual_unrollILi128ELi8EZNS0_22gpu_kernel_impl_nocastINS0_12_GLOBAL__N_114CompareFunctorIiEEEEvRNS_18TensorIteratorBaseERKT_EUlibE_EEviT1_.uses_vcc, 1
	.set _ZN2at6native32elementwise_kernel_manual_unrollILi128ELi8EZNS0_22gpu_kernel_impl_nocastINS0_12_GLOBAL__N_114CompareFunctorIiEEEEvRNS_18TensorIteratorBaseERKT_EUlibE_EEviT1_.uses_flat_scratch, 0
	.set _ZN2at6native32elementwise_kernel_manual_unrollILi128ELi8EZNS0_22gpu_kernel_impl_nocastINS0_12_GLOBAL__N_114CompareFunctorIiEEEEvRNS_18TensorIteratorBaseERKT_EUlibE_EEviT1_.has_dyn_sized_stack, 0
	.set _ZN2at6native32elementwise_kernel_manual_unrollILi128ELi8EZNS0_22gpu_kernel_impl_nocastINS0_12_GLOBAL__N_114CompareFunctorIiEEEEvRNS_18TensorIteratorBaseERKT_EUlibE_EEviT1_.has_recursion, 0
	.set _ZN2at6native32elementwise_kernel_manual_unrollILi128ELi8EZNS0_22gpu_kernel_impl_nocastINS0_12_GLOBAL__N_114CompareFunctorIiEEEEvRNS_18TensorIteratorBaseERKT_EUlibE_EEviT1_.has_indirect_call, 0
	.section	.AMDGPU.csdata,"",@progbits
; Kernel info:
; codeLenInByte = 12132
; TotalNumSgprs: 56
; NumVgprs: 38
; ScratchSize: 0
; MemoryBound: 0
; FloatMode: 240
; IeeeMode: 1
; LDSByteSize: 0 bytes/workgroup (compile time only)
; SGPRBlocks: 6
; VGPRBlocks: 9
; NumSGPRsForWavesPerEU: 56
; NumVGPRsForWavesPerEU: 38
; Occupancy: 6
; WaveLimiterHint : 1
; COMPUTE_PGM_RSRC2:SCRATCH_EN: 0
; COMPUTE_PGM_RSRC2:USER_SGPR: 6
; COMPUTE_PGM_RSRC2:TRAP_HANDLER: 0
; COMPUTE_PGM_RSRC2:TGID_X_EN: 1
; COMPUTE_PGM_RSRC2:TGID_Y_EN: 0
; COMPUTE_PGM_RSRC2:TGID_Z_EN: 0
; COMPUTE_PGM_RSRC2:TIDIG_COMP_CNT: 0
	.section	.text._ZN2at6native32elementwise_kernel_manual_unrollILi128ELi4EZNS0_15gpu_kernel_implINS0_12_GLOBAL__N_114CompareFunctorIiEEEEvRNS_18TensorIteratorBaseERKT_EUlibE_EEviT1_,"axG",@progbits,_ZN2at6native32elementwise_kernel_manual_unrollILi128ELi4EZNS0_15gpu_kernel_implINS0_12_GLOBAL__N_114CompareFunctorIiEEEEvRNS_18TensorIteratorBaseERKT_EUlibE_EEviT1_,comdat
	.globl	_ZN2at6native32elementwise_kernel_manual_unrollILi128ELi4EZNS0_15gpu_kernel_implINS0_12_GLOBAL__N_114CompareFunctorIiEEEEvRNS_18TensorIteratorBaseERKT_EUlibE_EEviT1_ ; -- Begin function _ZN2at6native32elementwise_kernel_manual_unrollILi128ELi4EZNS0_15gpu_kernel_implINS0_12_GLOBAL__N_114CompareFunctorIiEEEEvRNS_18TensorIteratorBaseERKT_EUlibE_EEviT1_
	.p2align	8
	.type	_ZN2at6native32elementwise_kernel_manual_unrollILi128ELi4EZNS0_15gpu_kernel_implINS0_12_GLOBAL__N_114CompareFunctorIiEEEEvRNS_18TensorIteratorBaseERKT_EUlibE_EEviT1_,@function
_ZN2at6native32elementwise_kernel_manual_unrollILi128ELi4EZNS0_15gpu_kernel_implINS0_12_GLOBAL__N_114CompareFunctorIiEEEEvRNS_18TensorIteratorBaseERKT_EUlibE_EEviT1_: ; @_ZN2at6native32elementwise_kernel_manual_unrollILi128ELi4EZNS0_15gpu_kernel_implINS0_12_GLOBAL__N_114CompareFunctorIiEEEEvRNS_18TensorIteratorBaseERKT_EUlibE_EEviT1_
; %bb.0:
	s_load_dword s33, s[4:5], 0x30
	s_load_dword s48, s[4:5], 0x0
	s_load_dwordx4 s[8:11], s[4:5], 0x8
	s_load_dwordx2 s[2:3], s[4:5], 0x18
	s_load_dwordx4 s[12:15], s[4:5], 0x20
	v_lshl_or_b32 v2, s6, 9, v0
	v_or_b32_e32 v0, 0x180, v2
	s_waitcnt lgkmcnt(0)
	s_lshr_b32 s55, s33, 8
	s_lshr_b32 s54, s33, 16
	v_cmp_le_i32_e32 vcc, s48, v0
	s_mov_b64 s[4:5], 0
	s_mov_b64 s[16:17], 0
	s_and_saveexec_b64 s[0:1], vcc
	s_xor_b64 s[6:7], exec, s[0:1]
	s_cbranch_execz .LBB46_1578
; %bb.1:
	v_cmp_gt_i32_e32 vcc, s48, v2
	s_mov_b64 s[0:1], -1
	s_mov_b64 s[26:27], 0
	s_mov_b64 s[20:21], 0
	;; [unrolled: 1-line block ×3, first 2 shown]
	s_and_saveexec_b64 s[22:23], vcc
	s_cbranch_execz .LBB46_391
; %bb.2:
	v_mul_lo_u32 v0, v2, s13
	v_mov_b32_e32 v1, s11
	s_and_b32 s18, s55, 0xff
	s_cmp_lt_i32 s18, 11
	v_ashrrev_i32_e32 v3, 31, v0
	v_add_co_u32_e32 v0, vcc, s10, v0
	v_addc_co_u32_e32 v1, vcc, v1, v3, vcc
	s_cbranch_scc1 .LBB46_9
; %bb.3:
	s_and_b32 s19, 0xffff, s18
	s_cmp_gt_i32 s19, 25
	s_cbranch_scc0 .LBB46_18
; %bb.4:
	s_cmp_gt_i32 s19, 28
	s_cbranch_scc0 .LBB46_25
; %bb.5:
	;; [unrolled: 3-line block ×4, first 2 shown]
	s_cmp_eq_u32 s19, 46
	s_cbranch_scc0 .LBB46_53
; %bb.8:
	global_load_dword v3, v[0:1], off
	s_waitcnt vmcnt(0)
	v_lshlrev_b32_e32 v3, 16, v3
	v_cvt_i32_f32_e32 v3, v3
	s_branch .LBB46_55
.LBB46_9:
                                        ; implicit-def: $vgpr3
	s_mov_b64 s[0:1], 0
	s_cbranch_execnz .LBB46_117
.LBB46_10:
	s_andn2_b64 vcc, exec, s[0:1]
	s_cbranch_vccnz .LBB46_164
.LBB46_11:
	v_mul_lo_u32 v0, v2, s14
	v_mov_b32_e32 v1, s3
	s_and_b32 s24, s54, 0xff
	s_cmp_lt_i32 s24, 11
	v_ashrrev_i32_e32 v4, 31, v0
	v_add_co_u32_e32 v0, vcc, s2, v0
	v_addc_co_u32_e32 v1, vcc, v1, v4, vcc
	s_cbranch_scc1 .LBB46_19
; %bb.12:
	s_and_b32 s25, 0xffff, s24
	s_cmp_gt_i32 s25, 25
	s_cbranch_scc0 .LBB46_26
; %bb.13:
	s_cmp_gt_i32 s25, 28
	s_cbranch_scc0 .LBB46_31
; %bb.14:
	;; [unrolled: 3-line block ×4, first 2 shown]
	s_cmp_eq_u32 s25, 46
	s_mov_b64 s[16:17], 0
	s_cbranch_scc0 .LBB46_165
; %bb.17:
	global_load_dword v4, v[0:1], off
	s_mov_b64 s[0:1], -1
	s_mov_b64 s[18:19], 0
	s_waitcnt vmcnt(0)
	v_lshlrev_b32_e32 v4, 16, v4
	v_cvt_i32_f32_e32 v4, v4
	s_branch .LBB46_167
.LBB46_18:
	s_mov_b64 s[0:1], 0
                                        ; implicit-def: $vgpr3
	s_cbranch_execnz .LBB46_84
	s_branch .LBB46_116
.LBB46_19:
	s_mov_b64 s[18:19], 0
                                        ; implicit-def: $vgpr4
	s_mov_b64 s[0:1], 0
	s_cbranch_execnz .LBB46_340
.LBB46_20:
	s_andn2_b64 vcc, exec, s[0:1]
	s_cbranch_vccnz .LBB46_388
.LBB46_21:
	s_cmp_lt_i32 s15, 1
	s_mov_b64 s[0:1], 0
	s_cbranch_scc1 .LBB46_27
; %bb.22:
	s_cmp_gt_i32 s15, 1
	s_cbranch_scc0 .LBB46_32
; %bb.23:
	s_cmp_eq_u32 s15, 2
	s_cbranch_scc0 .LBB46_35
; %bb.24:
	s_waitcnt vmcnt(0)
	v_cmp_le_i32_e64 s[16:17], v3, v4
	s_mov_b64 s[24:25], 0
	s_branch .LBB46_36
.LBB46_25:
	s_mov_b64 s[16:17], -1
	s_mov_b64 s[0:1], 0
                                        ; implicit-def: $vgpr3
	s_branch .LBB46_67
.LBB46_26:
	s_mov_b64 s[16:17], -1
	s_mov_b64 s[18:19], 0
	s_mov_b64 s[0:1], 0
                                        ; implicit-def: $vgpr4
	s_branch .LBB46_306
.LBB46_27:
                                        ; implicit-def: $sgpr16_sgpr17
	s_mov_b64 s[24:25], 0
	s_cbranch_execnz .LBB46_40
.LBB46_28:
	s_andn2_b64 vcc, exec, s[24:25]
	s_cbranch_vccnz .LBB46_41
.LBB46_29:
	s_waitcnt vmcnt(0)
	v_cmp_lt_i32_e32 vcc, v3, v4
	s_andn2_b64 s[16:17], s[16:17], exec
	s_and_b64 s[24:25], vcc, exec
	s_or_b64 s[16:17], s[16:17], s[24:25]
	s_cbranch_execz .LBB46_42
	s_branch .LBB46_43
.LBB46_30:
	s_mov_b64 s[16:17], -1
	s_mov_b64 s[0:1], 0
                                        ; implicit-def: $vgpr3
	s_branch .LBB46_62
.LBB46_31:
	s_mov_b64 s[16:17], -1
	s_mov_b64 s[18:19], 0
	s_mov_b64 s[0:1], 0
                                        ; implicit-def: $vgpr4
	s_branch .LBB46_289
.LBB46_32:
	s_mov_b64 s[28:29], -1
	s_mov_b64 s[24:25], 0
                                        ; implicit-def: $sgpr16_sgpr17
	s_branch .LBB46_37
.LBB46_33:
	s_mov_b64 s[16:17], -1
	s_branch .LBB46_54
.LBB46_34:
	s_mov_b64 s[16:17], -1
	s_mov_b64 s[18:19], 0
	s_mov_b64 s[0:1], 0
                                        ; implicit-def: $vgpr4
	s_branch .LBB46_284
.LBB46_35:
	s_mov_b64 s[24:25], -1
                                        ; implicit-def: $sgpr16_sgpr17
.LBB46_36:
	s_mov_b64 s[28:29], 0
.LBB46_37:
	s_and_b64 vcc, exec, s[28:29]
	s_cbranch_vccz .LBB46_39
; %bb.38:
	s_waitcnt vmcnt(0)
	v_cmp_gt_i32_e32 vcc, v3, v4
	s_andn2_b64 s[16:17], s[16:17], exec
	s_and_b64 s[28:29], vcc, exec
	s_or_b64 s[16:17], s[16:17], s[28:29]
.LBB46_39:
	s_branch .LBB46_28
.LBB46_40:
	s_cmp_lg_u32 s15, 0
	s_mov_b64 s[0:1], -1
	s_cselect_b64 s[24:25], -1, 0
	s_andn2_b64 vcc, exec, s[24:25]
	s_cbranch_vccz .LBB46_29
.LBB46_41:
	s_andn2_b64 vcc, exec, s[0:1]
	s_cbranch_vccnz .LBB46_43
.LBB46_42:
	s_waitcnt vmcnt(0)
	v_cmp_ge_i32_e32 vcc, v3, v4
	s_andn2_b64 s[0:1], s[16:17], exec
	s_and_b64 s[16:17], vcc, exec
	s_or_b64 s[16:17], s[0:1], s[16:17]
.LBB46_43:
	v_mul_lo_u32 v0, v2, s12
	v_mov_b32_e32 v1, s9
	s_and_b32 s34, s33, 0xff
	s_cmp_lt_i32 s34, 11
	s_waitcnt vmcnt(0)
	v_ashrrev_i32_e32 v3, 31, v0
	v_add_co_u32_e32 v0, vcc, s8, v0
	v_addc_co_u32_e32 v1, vcc, v1, v3, vcc
	s_cbranch_scc1 .LBB46_50
; %bb.44:
	s_and_b32 s35, 0xffff, s34
	s_cmp_gt_i32 s35, 25
	s_cbranch_scc0 .LBB46_51
; %bb.45:
	s_cmp_gt_i32 s35, 28
	s_cbranch_scc0 .LBB46_52
; %bb.46:
	;; [unrolled: 3-line block ×4, first 2 shown]
	s_mov_b64 s[28:29], 0
	s_mov_b64 s[0:1], -1
	s_cmp_eq_u32 s35, 46
	s_mov_b64 s[24:25], 0
	s_cbranch_scc0 .LBB46_171
; %bb.49:
	v_cndmask_b32_e64 v3, 0, 1.0, s[16:17]
	v_bfe_u32 v4, v3, 16, 1
	s_movk_i32 s0, 0x7fff
	v_add3_u32 v3, v3, v4, s0
	v_lshrrev_b32_e32 v3, 16, v3
	global_store_dword v[0:1], v3, off
	s_mov_b64 s[24:25], -1
	s_mov_b64 s[0:1], 0
	s_branch .LBB46_171
.LBB46_50:
	s_mov_b64 s[28:29], -1
	s_mov_b64 s[0:1], 0
	s_mov_b64 s[24:25], 0
	s_branch .LBB46_240
.LBB46_51:
	s_mov_b64 s[28:29], -1
	s_mov_b64 s[0:1], 0
	s_mov_b64 s[24:25], 0
	s_branch .LBB46_198
.LBB46_52:
	s_mov_b64 s[28:29], -1
	s_mov_b64 s[0:1], 0
	s_mov_b64 s[24:25], 0
	s_branch .LBB46_181
.LBB46_53:
	s_mov_b64 s[20:21], -1
.LBB46_54:
	s_mov_b64 s[0:1], 0
                                        ; implicit-def: $vgpr3
.LBB46_55:
	s_and_b64 vcc, exec, s[16:17]
	s_cbranch_vccz .LBB46_61
; %bb.56:
	s_cmp_eq_u32 s19, 44
	s_cbranch_scc0 .LBB46_60
; %bb.57:
	global_load_ubyte v3, v[0:1], off
	s_mov_b64 s[0:1], -1
	s_mov_b64 s[20:21], 0
	s_waitcnt vmcnt(0)
	v_lshlrev_b32_e32 v4, 23, v3
	v_cvt_i32_f32_e32 v4, v4
	v_cmp_ne_u32_e32 vcc, 0, v3
	v_cndmask_b32_e32 v3, 0, v4, vcc
	s_branch .LBB46_61
.LBB46_58:
	s_mov_b64 s[16:17], -1
	s_mov_b64 s[18:19], 0
	s_branch .LBB46_166
.LBB46_59:
	s_mov_b64 s[28:29], -1
	s_mov_b64 s[0:1], 0
	s_mov_b64 s[24:25], 0
	s_branch .LBB46_177
.LBB46_60:
	s_mov_b64 s[20:21], -1
                                        ; implicit-def: $vgpr3
.LBB46_61:
	s_mov_b64 s[16:17], 0
.LBB46_62:
	s_and_b64 vcc, exec, s[16:17]
	s_cbranch_vccz .LBB46_66
; %bb.63:
	s_cmp_eq_u32 s19, 29
	s_cbranch_scc0 .LBB46_65
; %bb.64:
	global_load_dword v3, v[0:1], off
	s_mov_b64 s[0:1], -1
	s_mov_b64 s[20:21], 0
	s_branch .LBB46_66
.LBB46_65:
	s_mov_b64 s[20:21], -1
                                        ; implicit-def: $vgpr3
.LBB46_66:
	s_mov_b64 s[16:17], 0
.LBB46_67:
	s_and_b64 vcc, exec, s[16:17]
	s_cbranch_vccz .LBB46_83
; %bb.68:
	s_cmp_lt_i32 s19, 27
	s_cbranch_scc1 .LBB46_71
; %bb.69:
	s_cmp_gt_i32 s19, 27
	s_cbranch_scc0 .LBB46_72
; %bb.70:
	global_load_dword v3, v[0:1], off
	s_mov_b64 s[0:1], 0
	s_branch .LBB46_73
.LBB46_71:
	s_mov_b64 s[0:1], -1
                                        ; implicit-def: $vgpr3
	s_branch .LBB46_76
.LBB46_72:
	s_mov_b64 s[0:1], -1
                                        ; implicit-def: $vgpr3
.LBB46_73:
	s_andn2_b64 vcc, exec, s[0:1]
	s_cbranch_vccnz .LBB46_75
; %bb.74:
	global_load_ushort v3, v[0:1], off
.LBB46_75:
	s_mov_b64 s[0:1], 0
.LBB46_76:
	s_andn2_b64 vcc, exec, s[0:1]
	s_cbranch_vccnz .LBB46_82
; %bb.77:
	global_load_ubyte v4, v[0:1], off
	s_movk_i32 s0, 0x7f
	s_mov_b64 s[16:17], 0
	s_waitcnt vmcnt(0)
	v_cmp_lt_i16_e32 vcc, s0, v4
	s_and_saveexec_b64 s[0:1], vcc
	s_xor_b64 s[0:1], exec, s[0:1]
	s_cbranch_execz .LBB46_93
; %bb.78:
	s_movk_i32 s16, 0x80
	v_cmp_ne_u16_e32 vcc, s16, v4
	s_and_b64 s[16:17], vcc, exec
	s_andn2_saveexec_b64 s[0:1], s[0:1]
	s_cbranch_execnz .LBB46_94
.LBB46_79:
	s_or_b64 exec, exec, s[0:1]
	v_mov_b32_e32 v3, 0
	s_and_saveexec_b64 s[0:1], s[16:17]
	s_cbranch_execz .LBB46_81
.LBB46_80:
	v_lshlrev_b32_e32 v3, 24, v4
	v_and_b32_e32 v4, 0xffff, v4
	v_and_b32_e32 v5, 7, v4
	v_ffbh_u32_e32 v7, v5
	v_min_u32_e32 v7, 32, v7
	v_subrev_u32_e32 v8, 28, v7
	v_bfe_u32 v6, v4, 3, 4
	v_lshlrev_b32_e32 v4, v8, v4
	v_sub_u32_e32 v7, 29, v7
	v_and_b32_e32 v4, 7, v4
	v_cmp_eq_u32_e32 vcc, 0, v6
	v_cndmask_b32_e32 v6, v6, v7, vcc
	v_cndmask_b32_e32 v4, v5, v4, vcc
	v_mov_b32_e32 v5, 0x3b800000
	v_lshlrev_b32_e32 v4, 20, v4
	v_and_b32_e32 v3, 0x80000000, v3
	v_lshl_add_u32 v5, v6, 23, v5
	v_or3_b32 v3, v3, v5, v4
	v_cvt_i32_f32_e32 v3, v3
.LBB46_81:
	s_or_b64 exec, exec, s[0:1]
.LBB46_82:
	s_mov_b64 s[0:1], -1
.LBB46_83:
	s_branch .LBB46_116
.LBB46_84:
	s_cmp_gt_i32 s19, 22
	s_cbranch_scc0 .LBB46_92
; %bb.85:
	s_cmp_lt_i32 s19, 24
	s_cbranch_scc1 .LBB46_95
; %bb.86:
	s_cmp_gt_i32 s19, 24
	s_cbranch_scc0 .LBB46_96
; %bb.87:
	global_load_ubyte v4, v[0:1], off
	s_movk_i32 s0, 0x7f
	s_mov_b64 s[16:17], 0
	s_waitcnt vmcnt(0)
	v_cmp_lt_i16_e32 vcc, s0, v4
	s_and_saveexec_b64 s[0:1], vcc
	s_xor_b64 s[0:1], exec, s[0:1]
	s_cbranch_execz .LBB46_108
; %bb.88:
	s_movk_i32 s16, 0x80
	v_cmp_ne_u16_e32 vcc, s16, v4
	s_and_b64 s[16:17], vcc, exec
	s_andn2_saveexec_b64 s[0:1], s[0:1]
	s_cbranch_execnz .LBB46_109
.LBB46_89:
	s_or_b64 exec, exec, s[0:1]
	v_mov_b32_e32 v3, 0
	s_and_saveexec_b64 s[0:1], s[16:17]
	s_cbranch_execz .LBB46_91
.LBB46_90:
	v_lshlrev_b32_e32 v3, 24, v4
	v_and_b32_e32 v4, 0xffff, v4
	v_and_b32_e32 v5, 3, v4
	v_ffbh_u32_e32 v7, v5
	v_min_u32_e32 v7, 32, v7
	v_subrev_u32_e32 v8, 29, v7
	v_bfe_u32 v6, v4, 2, 5
	v_lshlrev_b32_e32 v4, v8, v4
	v_sub_u32_e32 v7, 30, v7
	v_and_b32_e32 v4, 3, v4
	v_cmp_eq_u32_e32 vcc, 0, v6
	v_cndmask_b32_e32 v6, v6, v7, vcc
	v_cndmask_b32_e32 v4, v5, v4, vcc
	v_mov_b32_e32 v5, 0x37800000
	v_lshlrev_b32_e32 v4, 21, v4
	v_and_b32_e32 v3, 0x80000000, v3
	v_lshl_add_u32 v5, v6, 23, v5
	v_or3_b32 v3, v3, v5, v4
	v_cvt_i32_f32_e32 v3, v3
.LBB46_91:
	s_or_b64 exec, exec, s[0:1]
	s_mov_b64 s[0:1], 0
	s_branch .LBB46_97
.LBB46_92:
	s_mov_b64 s[16:17], -1
                                        ; implicit-def: $vgpr3
	s_branch .LBB46_103
.LBB46_93:
	s_andn2_saveexec_b64 s[0:1], s[0:1]
	s_cbranch_execz .LBB46_79
.LBB46_94:
	v_cmp_ne_u16_e32 vcc, 0, v4
	s_andn2_b64 s[16:17], s[16:17], exec
	s_and_b64 s[24:25], vcc, exec
	s_or_b64 s[16:17], s[16:17], s[24:25]
	s_or_b64 exec, exec, s[0:1]
	v_mov_b32_e32 v3, 0
	s_and_saveexec_b64 s[0:1], s[16:17]
	s_cbranch_execnz .LBB46_80
	s_branch .LBB46_81
.LBB46_95:
	s_mov_b64 s[0:1], -1
                                        ; implicit-def: $vgpr3
	s_branch .LBB46_100
.LBB46_96:
	s_mov_b64 s[0:1], -1
                                        ; implicit-def: $vgpr3
.LBB46_97:
	s_and_b64 vcc, exec, s[0:1]
	s_cbranch_vccz .LBB46_99
; %bb.98:
	global_load_ubyte v3, v[0:1], off
	s_mov_b32 s0, 0x7f800000
	s_waitcnt vmcnt(0)
	v_lshlrev_b32_e32 v3, 24, v3
	v_and_b32_e32 v4, 0x7f000000, v3
	v_ffbh_u32_e32 v5, v4
	v_min_u32_e32 v5, 32, v5
	v_sub_u32_e64 v5, v5, 4 clamp
	v_lshlrev_b32_e32 v7, v5, v4
	v_lshlrev_b32_e32 v5, 23, v5
	v_lshrrev_b32_e32 v7, 4, v7
	v_add_u32_e32 v6, 0x1000000, v4
	v_sub_u32_e32 v5, v7, v5
	v_ashrrev_i32_e32 v6, 8, v6
	v_add_u32_e32 v5, 0x3c000000, v5
	v_and_or_b32 v5, v6, s0, v5
	v_cmp_ne_u32_e32 vcc, 0, v4
	v_cndmask_b32_e32 v4, 0, v5, vcc
	s_brev_b32 s0, 1
	v_and_or_b32 v3, v3, s0, v4
	v_cvt_i32_f32_e32 v3, v3
.LBB46_99:
	s_mov_b64 s[0:1], 0
.LBB46_100:
	s_andn2_b64 vcc, exec, s[0:1]
	s_cbranch_vccnz .LBB46_102
; %bb.101:
	global_load_ubyte v3, v[0:1], off
	s_movk_i32 s0, 0x7f00
	s_brev_b32 s1, 16
	s_waitcnt vmcnt(0)
	v_lshlrev_b16_e32 v4, 8, v3
	v_lshlrev_b32_e32 v3, 25, v3
	v_lshrrev_b32_e32 v5, 4, v3
	v_and_or_b32 v6, v4, s0, 0.5
	v_or_b32_e32 v5, 0x70000000, v5
	v_add_f32_e32 v6, -0.5, v6
	v_mul_f32_e32 v5, 0x7800000, v5
	v_cmp_gt_u32_e32 vcc, s1, v3
	v_bfe_i32 v4, v4, 0, 16
	v_cndmask_b32_e32 v3, v5, v6, vcc
	s_brev_b32 s0, 1
	v_and_or_b32 v3, v4, s0, v3
	v_cvt_i32_f32_e32 v3, v3
.LBB46_102:
	s_mov_b64 s[16:17], 0
	s_mov_b64 s[0:1], -1
.LBB46_103:
	s_andn2_b64 vcc, exec, s[16:17]
	s_cbranch_vccnz .LBB46_116
; %bb.104:
	s_cmp_gt_i32 s19, 14
	s_cbranch_scc0 .LBB46_107
; %bb.105:
	s_cmp_eq_u32 s19, 15
	s_cbranch_scc0 .LBB46_110
; %bb.106:
	global_load_ushort v3, v[0:1], off
	s_mov_b64 s[0:1], -1
	s_mov_b64 s[20:21], 0
	s_waitcnt vmcnt(0)
	v_lshlrev_b32_e32 v3, 16, v3
	v_cvt_i32_f32_e32 v3, v3
	s_branch .LBB46_111
.LBB46_107:
	s_mov_b64 s[16:17], -1
                                        ; implicit-def: $vgpr3
	s_branch .LBB46_112
.LBB46_108:
	s_andn2_saveexec_b64 s[0:1], s[0:1]
	s_cbranch_execz .LBB46_89
.LBB46_109:
	v_cmp_ne_u16_e32 vcc, 0, v4
	s_andn2_b64 s[16:17], s[16:17], exec
	s_and_b64 s[24:25], vcc, exec
	s_or_b64 s[16:17], s[16:17], s[24:25]
	s_or_b64 exec, exec, s[0:1]
	v_mov_b32_e32 v3, 0
	s_and_saveexec_b64 s[0:1], s[16:17]
	s_cbranch_execnz .LBB46_90
	s_branch .LBB46_91
.LBB46_110:
	s_mov_b64 s[20:21], -1
                                        ; implicit-def: $vgpr3
.LBB46_111:
	s_mov_b64 s[16:17], 0
.LBB46_112:
	s_and_b64 vcc, exec, s[16:17]
	s_cbranch_vccz .LBB46_116
; %bb.113:
	s_cmp_eq_u32 s19, 11
	s_cbranch_scc0 .LBB46_115
; %bb.114:
	global_load_ubyte v3, v[0:1], off
	s_mov_b64 s[0:1], -1
	s_mov_b64 s[20:21], 0
	s_waitcnt vmcnt(0)
	v_cmp_ne_u16_e32 vcc, 0, v3
	v_cndmask_b32_e64 v3, 0, 1, vcc
	s_branch .LBB46_116
.LBB46_115:
	s_mov_b64 s[20:21], -1
                                        ; implicit-def: $vgpr3
.LBB46_116:
	s_branch .LBB46_10
.LBB46_117:
	s_and_b32 s16, 0xffff, s18
	s_cmp_lt_i32 s16, 5
	s_cbranch_scc1 .LBB46_122
; %bb.118:
	s_cmp_lt_i32 s16, 8
	s_cbranch_scc1 .LBB46_123
; %bb.119:
	;; [unrolled: 3-line block ×3, first 2 shown]
	s_cmp_gt_i32 s16, 9
	s_cbranch_scc0 .LBB46_125
; %bb.121:
	global_load_dwordx2 v[3:4], v[0:1], off
	s_mov_b64 s[0:1], 0
	s_waitcnt vmcnt(0)
	v_cvt_i32_f64_e32 v3, v[3:4]
	s_branch .LBB46_126
.LBB46_122:
                                        ; implicit-def: $vgpr3
	s_branch .LBB46_144
.LBB46_123:
	s_mov_b64 s[0:1], -1
                                        ; implicit-def: $vgpr3
	s_branch .LBB46_132
.LBB46_124:
	s_mov_b64 s[0:1], -1
                                        ; implicit-def: $vgpr3
	s_branch .LBB46_129
.LBB46_125:
	s_mov_b64 s[0:1], -1
                                        ; implicit-def: $vgpr3
.LBB46_126:
	s_andn2_b64 vcc, exec, s[0:1]
	s_cbranch_vccnz .LBB46_128
; %bb.127:
	global_load_dword v3, v[0:1], off
	s_waitcnt vmcnt(0)
	v_cvt_i32_f32_e32 v3, v3
.LBB46_128:
	s_mov_b64 s[0:1], 0
.LBB46_129:
	s_andn2_b64 vcc, exec, s[0:1]
	s_cbranch_vccnz .LBB46_131
; %bb.130:
	global_load_dword v3, v[0:1], off
	s_waitcnt vmcnt(0)
	v_cvt_f32_f16_e32 v3, v3
	v_cvt_i32_f32_e32 v3, v3
.LBB46_131:
	s_mov_b64 s[0:1], 0
.LBB46_132:
	s_andn2_b64 vcc, exec, s[0:1]
	s_cbranch_vccnz .LBB46_143
; %bb.133:
	s_cmp_lt_i32 s16, 6
	s_cbranch_scc1 .LBB46_136
; %bb.134:
	s_cmp_gt_i32 s16, 6
	s_cbranch_scc0 .LBB46_137
; %bb.135:
	global_load_dwordx2 v[3:4], v[0:1], off
	s_mov_b64 s[0:1], 0
	s_waitcnt vmcnt(0)
	v_cvt_i32_f64_e32 v3, v[3:4]
	s_branch .LBB46_138
.LBB46_136:
	s_mov_b64 s[0:1], -1
                                        ; implicit-def: $vgpr3
	s_branch .LBB46_141
.LBB46_137:
	s_mov_b64 s[0:1], -1
                                        ; implicit-def: $vgpr3
.LBB46_138:
	s_andn2_b64 vcc, exec, s[0:1]
	s_cbranch_vccnz .LBB46_140
; %bb.139:
	global_load_dword v3, v[0:1], off
	s_waitcnt vmcnt(0)
	v_cvt_i32_f32_e32 v3, v3
.LBB46_140:
	s_mov_b64 s[0:1], 0
.LBB46_141:
	s_andn2_b64 vcc, exec, s[0:1]
	s_cbranch_vccnz .LBB46_143
; %bb.142:
	global_load_ushort v3, v[0:1], off
	s_waitcnt vmcnt(0)
	v_cvt_f32_f16_e32 v3, v3
	v_cvt_i32_f32_e32 v3, v3
.LBB46_143:
	s_cbranch_execnz .LBB46_163
.LBB46_144:
	s_cmp_lt_i32 s16, 2
	s_cbranch_scc1 .LBB46_148
; %bb.145:
	s_cmp_lt_i32 s16, 3
	s_cbranch_scc1 .LBB46_149
; %bb.146:
	s_cmp_gt_i32 s16, 3
	s_cbranch_scc0 .LBB46_150
; %bb.147:
	global_load_dword v3, v[0:1], off
	s_mov_b64 s[0:1], 0
	s_branch .LBB46_151
.LBB46_148:
	s_mov_b64 s[0:1], -1
                                        ; implicit-def: $vgpr3
	s_branch .LBB46_157
.LBB46_149:
	s_mov_b64 s[0:1], -1
                                        ; implicit-def: $vgpr3
	s_branch .LBB46_154
.LBB46_150:
	s_mov_b64 s[0:1], -1
                                        ; implicit-def: $vgpr3
.LBB46_151:
	s_andn2_b64 vcc, exec, s[0:1]
	s_cbranch_vccnz .LBB46_153
; %bb.152:
	global_load_dword v3, v[0:1], off
.LBB46_153:
	s_mov_b64 s[0:1], 0
.LBB46_154:
	s_andn2_b64 vcc, exec, s[0:1]
	s_cbranch_vccnz .LBB46_156
; %bb.155:
	global_load_sshort v3, v[0:1], off
.LBB46_156:
	s_mov_b64 s[0:1], 0
.LBB46_157:
	s_andn2_b64 vcc, exec, s[0:1]
	s_cbranch_vccnz .LBB46_163
; %bb.158:
	s_cmp_gt_i32 s16, 0
	s_cbranch_scc0 .LBB46_160
; %bb.159:
	global_load_sbyte v3, v[0:1], off
	s_mov_b64 s[0:1], 0
	s_branch .LBB46_161
.LBB46_160:
	s_mov_b64 s[0:1], -1
                                        ; implicit-def: $vgpr3
.LBB46_161:
	s_andn2_b64 vcc, exec, s[0:1]
	s_cbranch_vccnz .LBB46_163
; %bb.162:
	global_load_ubyte v3, v[0:1], off
.LBB46_163:
	s_branch .LBB46_11
.LBB46_164:
	s_mov_b64 s[0:1], 0
	s_mov_b64 s[18:19], 0
	s_branch .LBB46_389
.LBB46_165:
	s_mov_b64 s[18:19], -1
.LBB46_166:
	s_mov_b64 s[0:1], 0
                                        ; implicit-def: $vgpr4
.LBB46_167:
	s_and_b64 vcc, exec, s[16:17]
	s_cbranch_vccz .LBB46_283
; %bb.168:
	s_cmp_eq_u32 s25, 44
	s_cbranch_scc0 .LBB46_282
; %bb.169:
	global_load_ubyte v4, v[0:1], off
	s_mov_b64 s[0:1], -1
	s_mov_b64 s[18:19], 0
	s_waitcnt vmcnt(0)
	v_lshlrev_b32_e32 v5, 23, v4
	v_cvt_i32_f32_e32 v5, v5
	v_cmp_ne_u32_e32 vcc, 0, v4
	v_cndmask_b32_e32 v4, 0, v5, vcc
	s_branch .LBB46_283
.LBB46_170:
	s_mov_b64 s[28:29], -1
	s_mov_b64 s[0:1], 0
	s_mov_b64 s[24:25], 0
.LBB46_171:
	s_and_b64 vcc, exec, s[28:29]
	s_cbranch_vccz .LBB46_176
; %bb.172:
	s_cmp_eq_u32 s35, 44
	s_mov_b64 s[0:1], -1
	s_cbranch_scc0 .LBB46_176
; %bb.173:
	v_cndmask_b32_e64 v4, 0, 1.0, s[16:17]
	v_lshrrev_b32_e32 v3, 23, v4
	s_movk_i32 s0, 0xff
	v_cmp_ne_u32_e32 vcc, s0, v3
	v_mov_b32_e32 v5, 0xff
	s_and_saveexec_b64 s[24:25], vcc
; %bb.174:
	s_mov_b32 s0, 0x3fffff
	v_and_b32_e32 v5, 0x400000, v4
	v_and_or_b32 v4, v4, s0, v3
	v_cmp_ne_u32_e32 vcc, 0, v5
	v_cmp_ne_u32_e64 s[0:1], 0, v4
	s_and_b64 s[0:1], vcc, s[0:1]
	v_cndmask_b32_e64 v4, 0, 1, s[0:1]
	v_add_u32_e32 v5, v3, v4
; %bb.175:
	s_or_b64 exec, exec, s[24:25]
	s_mov_b64 s[24:25], -1
	s_mov_b64 s[0:1], 0
	global_store_byte v[0:1], v5, off
.LBB46_176:
	s_mov_b64 s[28:29], 0
.LBB46_177:
	s_and_b64 vcc, exec, s[28:29]
	s_cbranch_vccz .LBB46_180
; %bb.178:
	s_cmp_eq_u32 s35, 29
	s_mov_b64 s[0:1], -1
	s_cbranch_scc0 .LBB46_180
; %bb.179:
	s_mov_b32 s0, 0
	v_cndmask_b32_e64 v3, 0, 1, s[16:17]
	v_mov_b32_e32 v4, s0
	global_store_dwordx2 v[0:1], v[3:4], off
	s_mov_b64 s[24:25], -1
	s_mov_b64 s[0:1], 0
.LBB46_180:
	s_mov_b64 s[28:29], 0
.LBB46_181:
	s_and_b64 vcc, exec, s[28:29]
	s_cbranch_vccz .LBB46_197
; %bb.182:
	s_cmp_lt_i32 s35, 27
	s_mov_b64 s[24:25], -1
	s_cbranch_scc1 .LBB46_188
; %bb.183:
	s_cmp_gt_i32 s35, 27
	s_cbranch_scc0 .LBB46_185
; %bb.184:
	v_cndmask_b32_e64 v3, 0, 1, s[16:17]
	s_mov_b64 s[24:25], 0
	global_store_dword v[0:1], v3, off
.LBB46_185:
	s_andn2_b64 vcc, exec, s[24:25]
	s_cbranch_vccnz .LBB46_187
; %bb.186:
	v_cndmask_b32_e64 v3, 0, 1, s[16:17]
	global_store_short v[0:1], v3, off
.LBB46_187:
	s_mov_b64 s[24:25], 0
.LBB46_188:
	s_andn2_b64 vcc, exec, s[24:25]
	s_cbranch_vccnz .LBB46_196
; %bb.189:
	v_cndmask_b32_e64 v4, 0, 1.0, s[16:17]
	s_mov_b32 s24, 0x43800000
	v_cmp_gt_u32_e32 vcc, s24, v4
	v_mov_b32_e32 v5, 0x80
	s_and_saveexec_b64 s[24:25], vcc
	s_cbranch_execz .LBB46_195
; %bb.190:
	s_mov_b32 s28, 0x3bffffff
	v_cmp_lt_u32_e32 vcc, s28, v4
	s_mov_b64 s[28:29], 0
                                        ; implicit-def: $vgpr3
	s_and_saveexec_b64 s[30:31], vcc
	s_xor_b64 s[30:31], exec, s[30:31]
	s_cbranch_execz .LBB46_420
; %bb.191:
	v_bfe_u32 v3, v4, 20, 1
	s_mov_b32 s36, 0x487ffff
	v_add3_u32 v3, v4, v3, s36
	s_mov_b64 s[28:29], exec
	v_lshrrev_b32_e32 v3, 20, v3
                                        ; implicit-def: $vgpr4
	s_andn2_saveexec_b64 s[30:31], s[30:31]
	s_cbranch_execnz .LBB46_421
.LBB46_192:
	s_or_b64 exec, exec, s[30:31]
	v_mov_b32_e32 v5, 0
	s_and_saveexec_b64 s[30:31], s[28:29]
.LBB46_193:
	v_mov_b32_e32 v5, v3
.LBB46_194:
	s_or_b64 exec, exec, s[30:31]
.LBB46_195:
	s_or_b64 exec, exec, s[24:25]
	global_store_byte v[0:1], v5, off
.LBB46_196:
	s_mov_b64 s[24:25], -1
.LBB46_197:
	s_mov_b64 s[28:29], 0
.LBB46_198:
	s_and_b64 vcc, exec, s[28:29]
	s_cbranch_vccz .LBB46_239
; %bb.199:
	s_cmp_gt_i32 s35, 22
	s_mov_b64 s[28:29], -1
	s_cbranch_scc0 .LBB46_231
; %bb.200:
	s_cmp_lt_i32 s35, 24
	s_mov_b64 s[24:25], -1
	s_cbranch_scc1 .LBB46_220
; %bb.201:
	s_cmp_gt_i32 s35, 24
	s_cbranch_scc0 .LBB46_209
; %bb.202:
	v_cndmask_b32_e64 v4, 0, 1.0, s[16:17]
	s_mov_b32 s24, 0x47800000
	v_cmp_gt_u32_e32 vcc, s24, v4
	v_mov_b32_e32 v5, 0x80
	s_and_saveexec_b64 s[24:25], vcc
	s_cbranch_execz .LBB46_208
; %bb.203:
	s_mov_b32 s28, 0x37ffffff
	v_cmp_lt_u32_e32 vcc, s28, v4
	s_mov_b64 s[28:29], 0
                                        ; implicit-def: $vgpr3
	s_and_saveexec_b64 s[30:31], vcc
	s_xor_b64 s[30:31], exec, s[30:31]
	s_cbranch_execz .LBB46_535
; %bb.204:
	v_bfe_u32 v3, v4, 21, 1
	s_mov_b32 s36, 0x88fffff
	v_add3_u32 v3, v4, v3, s36
	s_mov_b64 s[28:29], exec
	v_lshrrev_b32_e32 v3, 21, v3
                                        ; implicit-def: $vgpr4
	s_andn2_saveexec_b64 s[30:31], s[30:31]
	s_cbranch_execnz .LBB46_536
.LBB46_205:
	s_or_b64 exec, exec, s[30:31]
	v_mov_b32_e32 v5, 0
	s_and_saveexec_b64 s[30:31], s[28:29]
.LBB46_206:
	v_mov_b32_e32 v5, v3
.LBB46_207:
	s_or_b64 exec, exec, s[30:31]
.LBB46_208:
	s_or_b64 exec, exec, s[24:25]
	s_mov_b64 s[24:25], 0
	global_store_byte v[0:1], v5, off
.LBB46_209:
	s_and_b64 vcc, exec, s[24:25]
	s_cbranch_vccz .LBB46_219
; %bb.210:
	v_cndmask_b32_e64 v3, 0, 1.0, s[16:17]
	s_mov_b32 s24, 0x43f00000
	v_cmp_gt_u32_e32 vcc, s24, v3
                                        ; implicit-def: $vgpr4
	s_and_saveexec_b64 s[24:25], vcc
	s_xor_b64 s[24:25], exec, s[24:25]
	s_cbranch_execz .LBB46_216
; %bb.211:
	s_mov_b32 s28, 0x3c7fffff
	v_cmp_lt_u32_e32 vcc, s28, v3
                                        ; implicit-def: $vgpr4
	s_and_saveexec_b64 s[28:29], vcc
	s_xor_b64 s[28:29], exec, s[28:29]
; %bb.212:
	v_bfe_u32 v4, v3, 20, 1
	s_mov_b32 s30, 0x407ffff
	v_add3_u32 v3, v3, v4, s30
	v_lshrrev_b32_e32 v4, 20, v3
	v_and_b32_e32 v3, 0xff00000, v3
	s_mov_b32 s30, 0x7f00000
	v_mov_b32_e32 v5, 0x7e
	v_cmp_ne_u32_e32 vcc, s30, v3
	v_cndmask_b32_e32 v4, v5, v4, vcc
                                        ; implicit-def: $vgpr3
; %bb.213:
	s_andn2_saveexec_b64 s[28:29], s[28:29]
; %bb.214:
	v_add_f32_e32 v4, 0x46800000, v3
; %bb.215:
	s_or_b64 exec, exec, s[28:29]
                                        ; implicit-def: $vgpr3
.LBB46_216:
	s_andn2_saveexec_b64 s[24:25], s[24:25]
; %bb.217:
	s_mov_b32 s28, 0x7f800000
	v_mov_b32_e32 v4, 0x7e
	v_mov_b32_e32 v5, 0x7f
	v_cmp_lt_u32_e32 vcc, s28, v3
	v_cndmask_b32_e32 v4, v4, v5, vcc
; %bb.218:
	s_or_b64 exec, exec, s[24:25]
	global_store_byte v[0:1], v4, off
.LBB46_219:
	s_mov_b64 s[24:25], 0
.LBB46_220:
	s_andn2_b64 vcc, exec, s[24:25]
	s_cbranch_vccnz .LBB46_230
; %bb.221:
	v_cndmask_b32_e64 v3, 0, 1.0, s[16:17]
	s_mov_b32 s24, 0x47800000
	v_cmp_gt_u32_e32 vcc, s24, v3
                                        ; implicit-def: $vgpr4
	s_and_saveexec_b64 s[24:25], vcc
	s_xor_b64 s[24:25], exec, s[24:25]
	s_cbranch_execz .LBB46_227
; %bb.222:
	s_mov_b32 s28, 0x387fffff
	v_cmp_lt_u32_e32 vcc, s28, v3
                                        ; implicit-def: $vgpr4
	s_and_saveexec_b64 s[28:29], vcc
	s_xor_b64 s[28:29], exec, s[28:29]
; %bb.223:
	v_bfe_u32 v4, v3, 21, 1
	s_mov_b32 s30, 0x80fffff
	v_add3_u32 v3, v3, v4, s30
	v_lshrrev_b32_e32 v4, 21, v3
                                        ; implicit-def: $vgpr3
; %bb.224:
	s_andn2_saveexec_b64 s[28:29], s[28:29]
; %bb.225:
	v_add_f32_e32 v4, 0x43000000, v3
; %bb.226:
	s_or_b64 exec, exec, s[28:29]
                                        ; implicit-def: $vgpr3
.LBB46_227:
	s_andn2_saveexec_b64 s[24:25], s[24:25]
; %bb.228:
	s_mov_b32 s28, 0x7f800000
	v_mov_b32_e32 v4, 0x7c
	v_mov_b32_e32 v5, 0x7f
	v_cmp_lt_u32_e32 vcc, s28, v3
	v_cndmask_b32_e32 v4, v4, v5, vcc
; %bb.229:
	s_or_b64 exec, exec, s[24:25]
	global_store_byte v[0:1], v4, off
.LBB46_230:
	s_mov_b64 s[28:29], 0
	s_mov_b64 s[24:25], -1
.LBB46_231:
	s_andn2_b64 vcc, exec, s[28:29]
	s_cbranch_vccnz .LBB46_239
; %bb.232:
	s_cmp_gt_i32 s35, 14
	s_mov_b64 s[28:29], -1
	s_cbranch_scc0 .LBB46_236
; %bb.233:
	s_cmp_eq_u32 s35, 15
	s_mov_b64 s[0:1], -1
	s_cbranch_scc0 .LBB46_235
; %bb.234:
	v_cndmask_b32_e64 v3, 0, 1.0, s[16:17]
	v_bfe_u32 v4, v3, 16, 1
	s_movk_i32 s0, 0x7fff
	v_add3_u32 v3, v3, v4, s0
	global_store_short_d16_hi v[0:1], v3, off
	s_mov_b64 s[24:25], -1
	s_mov_b64 s[0:1], 0
.LBB46_235:
	s_mov_b64 s[28:29], 0
.LBB46_236:
	s_and_b64 vcc, exec, s[28:29]
	s_cbranch_vccz .LBB46_239
; %bb.237:
	s_cmp_eq_u32 s35, 11
	s_mov_b64 s[0:1], -1
	s_cbranch_scc0 .LBB46_239
; %bb.238:
	v_cndmask_b32_e64 v3, 0, 1, s[16:17]
	s_mov_b64 s[24:25], -1
	s_mov_b64 s[0:1], 0
	global_store_byte v[0:1], v3, off
.LBB46_239:
	s_mov_b64 s[28:29], 0
.LBB46_240:
	s_and_b64 vcc, exec, s[28:29]
	s_cbranch_vccz .LBB46_279
; %bb.241:
	s_and_b32 s28, 0xffff, s34
	s_cmp_lt_i32 s28, 5
	s_mov_b64 s[24:25], -1
	s_cbranch_scc1 .LBB46_262
; %bb.242:
	s_cmp_lt_i32 s28, 8
	s_cbranch_scc1 .LBB46_252
; %bb.243:
	s_cmp_lt_i32 s28, 9
	s_cbranch_scc1 .LBB46_249
; %bb.244:
	s_cmp_gt_i32 s28, 9
	s_cbranch_scc0 .LBB46_246
; %bb.245:
	v_cndmask_b32_e64 v3, 0, 1, s[16:17]
	v_cvt_f64_u32_e32 v[3:4], v3
	v_mov_b32_e32 v5, 0
	v_mov_b32_e32 v6, v5
	s_mov_b64 s[24:25], 0
	global_store_dwordx4 v[0:1], v[3:6], off
.LBB46_246:
	s_andn2_b64 vcc, exec, s[24:25]
	s_cbranch_vccnz .LBB46_248
; %bb.247:
	v_cndmask_b32_e64 v3, 0, 1.0, s[16:17]
	v_mov_b32_e32 v4, 0
	global_store_dwordx2 v[0:1], v[3:4], off
.LBB46_248:
	s_mov_b64 s[24:25], 0
.LBB46_249:
	s_andn2_b64 vcc, exec, s[24:25]
	s_cbranch_vccnz .LBB46_251
; %bb.250:
	v_cndmask_b32_e64 v3, 0, 1.0, s[16:17]
	v_cvt_f16_f32_e32 v3, v3
	global_store_dword v[0:1], v3, off
.LBB46_251:
	s_mov_b64 s[24:25], 0
.LBB46_252:
	s_andn2_b64 vcc, exec, s[24:25]
	s_cbranch_vccnz .LBB46_261
; %bb.253:
	s_cmp_lt_i32 s28, 6
	s_mov_b64 s[24:25], -1
	s_cbranch_scc1 .LBB46_259
; %bb.254:
	s_cmp_gt_i32 s28, 6
	s_cbranch_scc0 .LBB46_256
; %bb.255:
	v_cndmask_b32_e64 v3, 0, 1, s[16:17]
	v_cvt_f64_u32_e32 v[3:4], v3
	s_mov_b64 s[24:25], 0
	global_store_dwordx2 v[0:1], v[3:4], off
.LBB46_256:
	s_andn2_b64 vcc, exec, s[24:25]
	s_cbranch_vccnz .LBB46_258
; %bb.257:
	v_cndmask_b32_e64 v3, 0, 1.0, s[16:17]
	global_store_dword v[0:1], v3, off
.LBB46_258:
	s_mov_b64 s[24:25], 0
.LBB46_259:
	s_andn2_b64 vcc, exec, s[24:25]
	s_cbranch_vccnz .LBB46_261
; %bb.260:
	v_cndmask_b32_e64 v3, 0, 1.0, s[16:17]
	v_cvt_f16_f32_e32 v3, v3
	global_store_short v[0:1], v3, off
.LBB46_261:
	s_mov_b64 s[24:25], 0
.LBB46_262:
	s_andn2_b64 vcc, exec, s[24:25]
	s_cbranch_vccnz .LBB46_278
; %bb.263:
	s_cmp_lt_i32 s28, 2
	s_mov_b64 s[24:25], -1
	s_cbranch_scc1 .LBB46_273
; %bb.264:
	s_cmp_lt_i32 s28, 3
	s_cbranch_scc1 .LBB46_270
; %bb.265:
	s_cmp_gt_i32 s28, 3
	s_cbranch_scc0 .LBB46_267
; %bb.266:
	s_mov_b32 s24, 0
	v_cndmask_b32_e64 v3, 0, 1, s[16:17]
	v_mov_b32_e32 v4, s24
	global_store_dwordx2 v[0:1], v[3:4], off
	s_mov_b64 s[24:25], 0
.LBB46_267:
	s_andn2_b64 vcc, exec, s[24:25]
	s_cbranch_vccnz .LBB46_269
; %bb.268:
	v_cndmask_b32_e64 v3, 0, 1, s[16:17]
	global_store_dword v[0:1], v3, off
.LBB46_269:
	s_mov_b64 s[24:25], 0
.LBB46_270:
	s_andn2_b64 vcc, exec, s[24:25]
	s_cbranch_vccnz .LBB46_272
; %bb.271:
	v_cndmask_b32_e64 v3, 0, 1, s[16:17]
	global_store_short v[0:1], v3, off
.LBB46_272:
	s_mov_b64 s[24:25], 0
.LBB46_273:
	s_andn2_b64 vcc, exec, s[24:25]
	s_cbranch_vccnz .LBB46_278
; %bb.274:
	s_mov_b64 s[24:25], -1
	s_cmp_gt_i32 s28, 0
	v_cndmask_b32_e64 v3, 0, 1, s[16:17]
	s_cbranch_scc0 .LBB46_276
; %bb.275:
	global_store_byte v[0:1], v3, off
	s_mov_b64 s[24:25], 0
.LBB46_276:
	s_andn2_b64 vcc, exec, s[24:25]
	s_cbranch_vccnz .LBB46_278
; %bb.277:
	global_store_byte v[0:1], v3, off
.LBB46_278:
	s_mov_b64 s[24:25], -1
.LBB46_279:
	s_andn2_b64 vcc, exec, s[24:25]
	s_cbranch_vccnz .LBB46_281
; %bb.280:
	v_add_u32_e32 v2, 0x80, v2
	s_mov_b64 s[24:25], -1
	s_branch .LBB46_390
.LBB46_281:
	s_mov_b64 s[24:25], 0
                                        ; implicit-def: $vgpr2
	s_branch .LBB46_390
.LBB46_282:
	s_mov_b64 s[18:19], -1
                                        ; implicit-def: $vgpr4
.LBB46_283:
	s_mov_b64 s[16:17], 0
.LBB46_284:
	s_and_b64 vcc, exec, s[16:17]
	s_cbranch_vccz .LBB46_288
; %bb.285:
	s_cmp_eq_u32 s25, 29
	s_cbranch_scc0 .LBB46_287
; %bb.286:
	global_load_dword v4, v[0:1], off
	s_mov_b64 s[0:1], -1
	s_mov_b64 s[18:19], 0
	s_branch .LBB46_288
.LBB46_287:
	s_mov_b64 s[18:19], -1
                                        ; implicit-def: $vgpr4
.LBB46_288:
	s_mov_b64 s[16:17], 0
.LBB46_289:
	s_and_b64 vcc, exec, s[16:17]
	s_cbranch_vccz .LBB46_305
; %bb.290:
	s_cmp_lt_i32 s25, 27
	s_cbranch_scc1 .LBB46_293
; %bb.291:
	s_cmp_gt_i32 s25, 27
	s_cbranch_scc0 .LBB46_294
; %bb.292:
	global_load_dword v4, v[0:1], off
	s_mov_b64 s[0:1], 0
	s_branch .LBB46_295
.LBB46_293:
	s_mov_b64 s[0:1], -1
                                        ; implicit-def: $vgpr4
	s_branch .LBB46_298
.LBB46_294:
	s_mov_b64 s[0:1], -1
                                        ; implicit-def: $vgpr4
.LBB46_295:
	s_andn2_b64 vcc, exec, s[0:1]
	s_cbranch_vccnz .LBB46_297
; %bb.296:
	global_load_ushort v4, v[0:1], off
.LBB46_297:
	s_mov_b64 s[0:1], 0
.LBB46_298:
	s_andn2_b64 vcc, exec, s[0:1]
	s_cbranch_vccnz .LBB46_304
; %bb.299:
	global_load_ubyte v5, v[0:1], off
	s_movk_i32 s0, 0x7f
	s_mov_b64 s[16:17], 0
	s_waitcnt vmcnt(0)
	v_cmp_lt_i16_e32 vcc, s0, v5
	s_and_saveexec_b64 s[0:1], vcc
	s_xor_b64 s[0:1], exec, s[0:1]
	s_cbranch_execz .LBB46_316
; %bb.300:
	s_movk_i32 s16, 0x80
	v_cmp_ne_u16_e32 vcc, s16, v5
	s_and_b64 s[16:17], vcc, exec
	s_andn2_saveexec_b64 s[0:1], s[0:1]
	s_cbranch_execnz .LBB46_317
.LBB46_301:
	s_or_b64 exec, exec, s[0:1]
	v_mov_b32_e32 v4, 0
	s_and_saveexec_b64 s[0:1], s[16:17]
	s_cbranch_execz .LBB46_303
.LBB46_302:
	v_lshlrev_b32_e32 v4, 24, v5
	v_and_b32_e32 v5, 0xffff, v5
	v_and_b32_e32 v6, 7, v5
	v_ffbh_u32_e32 v8, v6
	v_min_u32_e32 v8, 32, v8
	v_subrev_u32_e32 v9, 28, v8
	v_bfe_u32 v7, v5, 3, 4
	v_lshlrev_b32_e32 v5, v9, v5
	v_sub_u32_e32 v8, 29, v8
	v_and_b32_e32 v5, 7, v5
	v_cmp_eq_u32_e32 vcc, 0, v7
	v_cndmask_b32_e32 v7, v7, v8, vcc
	v_cndmask_b32_e32 v5, v6, v5, vcc
	v_mov_b32_e32 v6, 0x3b800000
	v_lshlrev_b32_e32 v5, 20, v5
	v_and_b32_e32 v4, 0x80000000, v4
	v_lshl_add_u32 v6, v7, 23, v6
	v_or3_b32 v4, v4, v6, v5
	v_cvt_i32_f32_e32 v4, v4
.LBB46_303:
	s_or_b64 exec, exec, s[0:1]
.LBB46_304:
	s_mov_b64 s[0:1], -1
.LBB46_305:
	s_mov_b64 s[16:17], 0
.LBB46_306:
	s_and_b64 vcc, exec, s[16:17]
	s_cbranch_vccz .LBB46_339
; %bb.307:
	s_cmp_gt_i32 s25, 22
	s_cbranch_scc0 .LBB46_315
; %bb.308:
	s_cmp_lt_i32 s25, 24
	s_cbranch_scc1 .LBB46_318
; %bb.309:
	s_cmp_gt_i32 s25, 24
	s_cbranch_scc0 .LBB46_319
; %bb.310:
	global_load_ubyte v5, v[0:1], off
	s_movk_i32 s0, 0x7f
	s_mov_b64 s[16:17], 0
	s_waitcnt vmcnt(0)
	v_cmp_lt_i16_e32 vcc, s0, v5
	s_and_saveexec_b64 s[0:1], vcc
	s_xor_b64 s[0:1], exec, s[0:1]
	s_cbranch_execz .LBB46_331
; %bb.311:
	s_movk_i32 s16, 0x80
	v_cmp_ne_u16_e32 vcc, s16, v5
	s_and_b64 s[16:17], vcc, exec
	s_andn2_saveexec_b64 s[0:1], s[0:1]
	s_cbranch_execnz .LBB46_332
.LBB46_312:
	s_or_b64 exec, exec, s[0:1]
	v_mov_b32_e32 v4, 0
	s_and_saveexec_b64 s[0:1], s[16:17]
	s_cbranch_execz .LBB46_314
.LBB46_313:
	v_lshlrev_b32_e32 v4, 24, v5
	v_and_b32_e32 v5, 0xffff, v5
	v_and_b32_e32 v6, 3, v5
	v_ffbh_u32_e32 v8, v6
	v_min_u32_e32 v8, 32, v8
	v_subrev_u32_e32 v9, 29, v8
	v_bfe_u32 v7, v5, 2, 5
	v_lshlrev_b32_e32 v5, v9, v5
	v_sub_u32_e32 v8, 30, v8
	v_and_b32_e32 v5, 3, v5
	v_cmp_eq_u32_e32 vcc, 0, v7
	v_cndmask_b32_e32 v7, v7, v8, vcc
	v_cndmask_b32_e32 v5, v6, v5, vcc
	v_mov_b32_e32 v6, 0x37800000
	v_lshlrev_b32_e32 v5, 21, v5
	v_and_b32_e32 v4, 0x80000000, v4
	v_lshl_add_u32 v6, v7, 23, v6
	v_or3_b32 v4, v4, v6, v5
	v_cvt_i32_f32_e32 v4, v4
.LBB46_314:
	s_or_b64 exec, exec, s[0:1]
	s_mov_b64 s[0:1], 0
	s_branch .LBB46_320
.LBB46_315:
	s_mov_b64 s[16:17], -1
                                        ; implicit-def: $vgpr4
	s_branch .LBB46_326
.LBB46_316:
	s_andn2_saveexec_b64 s[0:1], s[0:1]
	s_cbranch_execz .LBB46_301
.LBB46_317:
	v_cmp_ne_u16_e32 vcc, 0, v5
	s_andn2_b64 s[16:17], s[16:17], exec
	s_and_b64 s[28:29], vcc, exec
	s_or_b64 s[16:17], s[16:17], s[28:29]
	s_or_b64 exec, exec, s[0:1]
	v_mov_b32_e32 v4, 0
	s_and_saveexec_b64 s[0:1], s[16:17]
	s_cbranch_execnz .LBB46_302
	s_branch .LBB46_303
.LBB46_318:
	s_mov_b64 s[0:1], -1
                                        ; implicit-def: $vgpr4
	s_branch .LBB46_323
.LBB46_319:
	s_mov_b64 s[0:1], -1
                                        ; implicit-def: $vgpr4
.LBB46_320:
	s_and_b64 vcc, exec, s[0:1]
	s_cbranch_vccz .LBB46_322
; %bb.321:
	global_load_ubyte v4, v[0:1], off
	s_mov_b32 s0, 0x7f800000
	s_waitcnt vmcnt(0)
	v_lshlrev_b32_e32 v4, 24, v4
	v_and_b32_e32 v5, 0x7f000000, v4
	v_ffbh_u32_e32 v6, v5
	v_min_u32_e32 v6, 32, v6
	v_sub_u32_e64 v6, v6, 4 clamp
	v_lshlrev_b32_e32 v8, v6, v5
	v_lshlrev_b32_e32 v6, 23, v6
	v_lshrrev_b32_e32 v8, 4, v8
	v_add_u32_e32 v7, 0x1000000, v5
	v_sub_u32_e32 v6, v8, v6
	v_ashrrev_i32_e32 v7, 8, v7
	v_add_u32_e32 v6, 0x3c000000, v6
	v_and_or_b32 v6, v7, s0, v6
	v_cmp_ne_u32_e32 vcc, 0, v5
	v_cndmask_b32_e32 v5, 0, v6, vcc
	s_brev_b32 s0, 1
	v_and_or_b32 v4, v4, s0, v5
	v_cvt_i32_f32_e32 v4, v4
.LBB46_322:
	s_mov_b64 s[0:1], 0
.LBB46_323:
	s_andn2_b64 vcc, exec, s[0:1]
	s_cbranch_vccnz .LBB46_325
; %bb.324:
	global_load_ubyte v4, v[0:1], off
	s_movk_i32 s0, 0x7f00
	s_brev_b32 s1, 16
	s_waitcnt vmcnt(0)
	v_lshlrev_b16_e32 v5, 8, v4
	v_lshlrev_b32_e32 v4, 25, v4
	v_lshrrev_b32_e32 v6, 4, v4
	v_and_or_b32 v7, v5, s0, 0.5
	v_or_b32_e32 v6, 0x70000000, v6
	v_add_f32_e32 v7, -0.5, v7
	v_mul_f32_e32 v6, 0x7800000, v6
	v_cmp_gt_u32_e32 vcc, s1, v4
	v_bfe_i32 v5, v5, 0, 16
	v_cndmask_b32_e32 v4, v6, v7, vcc
	s_brev_b32 s0, 1
	v_and_or_b32 v4, v5, s0, v4
	v_cvt_i32_f32_e32 v4, v4
.LBB46_325:
	s_mov_b64 s[16:17], 0
	s_mov_b64 s[0:1], -1
.LBB46_326:
	s_andn2_b64 vcc, exec, s[16:17]
	s_cbranch_vccnz .LBB46_339
; %bb.327:
	s_cmp_gt_i32 s25, 14
	s_cbranch_scc0 .LBB46_330
; %bb.328:
	s_cmp_eq_u32 s25, 15
	s_cbranch_scc0 .LBB46_333
; %bb.329:
	global_load_ushort v4, v[0:1], off
	s_mov_b64 s[0:1], -1
	s_mov_b64 s[18:19], 0
	s_waitcnt vmcnt(0)
	v_lshlrev_b32_e32 v4, 16, v4
	v_cvt_i32_f32_e32 v4, v4
	s_branch .LBB46_334
.LBB46_330:
	s_mov_b64 s[16:17], -1
                                        ; implicit-def: $vgpr4
	s_branch .LBB46_335
.LBB46_331:
	s_andn2_saveexec_b64 s[0:1], s[0:1]
	s_cbranch_execz .LBB46_312
.LBB46_332:
	v_cmp_ne_u16_e32 vcc, 0, v5
	s_andn2_b64 s[16:17], s[16:17], exec
	s_and_b64 s[28:29], vcc, exec
	s_or_b64 s[16:17], s[16:17], s[28:29]
	s_or_b64 exec, exec, s[0:1]
	v_mov_b32_e32 v4, 0
	s_and_saveexec_b64 s[0:1], s[16:17]
	s_cbranch_execnz .LBB46_313
	s_branch .LBB46_314
.LBB46_333:
	s_mov_b64 s[18:19], -1
                                        ; implicit-def: $vgpr4
.LBB46_334:
	s_mov_b64 s[16:17], 0
.LBB46_335:
	s_and_b64 vcc, exec, s[16:17]
	s_cbranch_vccz .LBB46_339
; %bb.336:
	s_cmp_eq_u32 s25, 11
	s_cbranch_scc0 .LBB46_338
; %bb.337:
	global_load_ubyte v4, v[0:1], off
	s_mov_b64 s[0:1], -1
	s_mov_b64 s[18:19], 0
	s_waitcnt vmcnt(0)
	v_cmp_ne_u16_e32 vcc, 0, v4
	v_cndmask_b32_e64 v4, 0, 1, vcc
	s_branch .LBB46_339
.LBB46_338:
	s_mov_b64 s[18:19], -1
                                        ; implicit-def: $vgpr4
.LBB46_339:
	s_branch .LBB46_20
.LBB46_340:
	s_and_b32 s16, 0xffff, s24
	s_cmp_lt_i32 s16, 5
	s_cbranch_scc1 .LBB46_345
; %bb.341:
	s_cmp_lt_i32 s16, 8
	s_cbranch_scc1 .LBB46_346
; %bb.342:
	;; [unrolled: 3-line block ×3, first 2 shown]
	s_cmp_gt_i32 s16, 9
	s_cbranch_scc0 .LBB46_348
; %bb.344:
	global_load_dwordx2 v[4:5], v[0:1], off
	s_mov_b64 s[0:1], 0
	s_waitcnt vmcnt(0)
	v_cvt_i32_f64_e32 v4, v[4:5]
	s_branch .LBB46_349
.LBB46_345:
	s_mov_b64 s[0:1], -1
                                        ; implicit-def: $vgpr4
	s_branch .LBB46_367
.LBB46_346:
	s_mov_b64 s[0:1], -1
                                        ; implicit-def: $vgpr4
	s_branch .LBB46_355
.LBB46_347:
	s_mov_b64 s[0:1], -1
                                        ; implicit-def: $vgpr4
	s_branch .LBB46_352
.LBB46_348:
	s_mov_b64 s[0:1], -1
                                        ; implicit-def: $vgpr4
.LBB46_349:
	s_andn2_b64 vcc, exec, s[0:1]
	s_cbranch_vccnz .LBB46_351
; %bb.350:
	global_load_dword v4, v[0:1], off
	s_waitcnt vmcnt(0)
	v_cvt_i32_f32_e32 v4, v4
.LBB46_351:
	s_mov_b64 s[0:1], 0
.LBB46_352:
	s_andn2_b64 vcc, exec, s[0:1]
	s_cbranch_vccnz .LBB46_354
; %bb.353:
	global_load_dword v4, v[0:1], off
	s_waitcnt vmcnt(0)
	v_cvt_f32_f16_e32 v4, v4
	v_cvt_i32_f32_e32 v4, v4
.LBB46_354:
	s_mov_b64 s[0:1], 0
.LBB46_355:
	s_andn2_b64 vcc, exec, s[0:1]
	s_cbranch_vccnz .LBB46_366
; %bb.356:
	s_cmp_lt_i32 s16, 6
	s_cbranch_scc1 .LBB46_359
; %bb.357:
	s_cmp_gt_i32 s16, 6
	s_cbranch_scc0 .LBB46_360
; %bb.358:
	global_load_dwordx2 v[4:5], v[0:1], off
	s_mov_b64 s[0:1], 0
	s_waitcnt vmcnt(0)
	v_cvt_i32_f64_e32 v4, v[4:5]
	s_branch .LBB46_361
.LBB46_359:
	s_mov_b64 s[0:1], -1
                                        ; implicit-def: $vgpr4
	s_branch .LBB46_364
.LBB46_360:
	s_mov_b64 s[0:1], -1
                                        ; implicit-def: $vgpr4
.LBB46_361:
	s_andn2_b64 vcc, exec, s[0:1]
	s_cbranch_vccnz .LBB46_363
; %bb.362:
	global_load_dword v4, v[0:1], off
	s_waitcnt vmcnt(0)
	v_cvt_i32_f32_e32 v4, v4
.LBB46_363:
	s_mov_b64 s[0:1], 0
.LBB46_364:
	s_andn2_b64 vcc, exec, s[0:1]
	s_cbranch_vccnz .LBB46_366
; %bb.365:
	global_load_ushort v4, v[0:1], off
	s_waitcnt vmcnt(0)
	v_cvt_f32_f16_e32 v4, v4
	v_cvt_i32_f32_e32 v4, v4
.LBB46_366:
	s_mov_b64 s[0:1], 0
.LBB46_367:
	s_andn2_b64 vcc, exec, s[0:1]
	s_cbranch_vccnz .LBB46_387
; %bb.368:
	s_cmp_lt_i32 s16, 2
	s_cbranch_scc1 .LBB46_372
; %bb.369:
	s_cmp_lt_i32 s16, 3
	s_cbranch_scc1 .LBB46_373
; %bb.370:
	s_cmp_gt_i32 s16, 3
	s_cbranch_scc0 .LBB46_374
; %bb.371:
	global_load_dword v4, v[0:1], off
	s_mov_b64 s[0:1], 0
	s_branch .LBB46_375
.LBB46_372:
	s_mov_b64 s[0:1], -1
                                        ; implicit-def: $vgpr4
	s_branch .LBB46_381
.LBB46_373:
	s_mov_b64 s[0:1], -1
                                        ; implicit-def: $vgpr4
	s_branch .LBB46_378
.LBB46_374:
	s_mov_b64 s[0:1], -1
                                        ; implicit-def: $vgpr4
.LBB46_375:
	s_andn2_b64 vcc, exec, s[0:1]
	s_cbranch_vccnz .LBB46_377
; %bb.376:
	global_load_dword v4, v[0:1], off
.LBB46_377:
	s_mov_b64 s[0:1], 0
.LBB46_378:
	s_andn2_b64 vcc, exec, s[0:1]
	s_cbranch_vccnz .LBB46_380
; %bb.379:
	global_load_sshort v4, v[0:1], off
.LBB46_380:
	s_mov_b64 s[0:1], 0
.LBB46_381:
	s_andn2_b64 vcc, exec, s[0:1]
	s_cbranch_vccnz .LBB46_387
; %bb.382:
	s_cmp_gt_i32 s16, 0
	s_cbranch_scc0 .LBB46_384
; %bb.383:
	global_load_sbyte v4, v[0:1], off
	s_mov_b64 s[0:1], 0
	s_branch .LBB46_385
.LBB46_384:
	s_mov_b64 s[0:1], -1
                                        ; implicit-def: $vgpr4
.LBB46_385:
	s_andn2_b64 vcc, exec, s[0:1]
	s_cbranch_vccnz .LBB46_387
; %bb.386:
	global_load_ubyte v4, v[0:1], off
.LBB46_387:
	s_branch .LBB46_21
.LBB46_388:
	s_mov_b64 s[0:1], 0
.LBB46_389:
                                        ; implicit-def: $vgpr2
	s_mov_b64 s[24:25], 0
.LBB46_390:
	s_and_b64 s[16:17], s[0:1], exec
	s_and_b64 s[18:19], s[18:19], exec
	;; [unrolled: 1-line block ×3, first 2 shown]
	s_orn2_b64 s[0:1], s[24:25], exec
.LBB46_391:
	s_or_b64 exec, exec, s[22:23]
	s_mov_b64 s[30:31], 0
	s_mov_b64 s[28:29], 0
                                        ; implicit-def: $sgpr56
                                        ; implicit-def: $vgpr0_vgpr1
                                        ; implicit-def: $vgpr3
	s_and_saveexec_b64 s[22:23], s[0:1]
	s_cbranch_execz .LBB46_400
; %bb.392:
	v_cmp_gt_i32_e32 vcc, s48, v2
	s_mov_b64 s[0:1], -1
	s_mov_b64 s[24:25], s[20:21]
	s_mov_b64 s[26:27], s[18:19]
	s_mov_b64 s[28:29], s[16:17]
	s_and_saveexec_b64 s[30:31], vcc
	s_cbranch_execz .LBB46_790
; %bb.393:
	v_mul_lo_u32 v0, v2, s13
	v_mov_b32_e32 v1, s11
	s_and_b32 s28, s55, 0xff
	s_cmp_lt_i32 s28, 11
	s_waitcnt vmcnt(0)
	v_ashrrev_i32_e32 v3, 31, v0
	v_add_co_u32_e32 v0, vcc, s10, v0
	v_addc_co_u32_e32 v1, vcc, v1, v3, vcc
	s_cbranch_scc1 .LBB46_403
; %bb.394:
	s_and_b32 s29, 0xffff, s28
	s_cmp_gt_i32 s29, 25
	s_cbranch_scc0 .LBB46_412
; %bb.395:
	s_cmp_gt_i32 s29, 28
	s_cbranch_scc0 .LBB46_414
; %bb.396:
	;; [unrolled: 3-line block ×4, first 2 shown]
	s_cmp_eq_u32 s29, 46
	s_mov_b64 s[26:27], 0
	s_cbranch_scc0 .LBB46_422
; %bb.399:
	global_load_dword v3, v[0:1], off
	s_mov_b64 s[24:25], 0
	s_waitcnt vmcnt(0)
	v_lshlrev_b32_e32 v3, 16, v3
	v_cvt_i32_f32_e32 v3, v3
	s_branch .LBB46_423
.LBB46_400:
	s_or_b64 exec, exec, s[22:23]
	s_mov_b64 s[22:23], 0
	s_and_saveexec_b64 s[0:1], s[20:21]
	s_cbranch_execnz .LBB46_1270
.LBB46_401:
	s_or_b64 exec, exec, s[0:1]
	s_and_saveexec_b64 s[0:1], s[26:27]
	s_xor_b64 s[0:1], exec, s[0:1]
	s_cbranch_execz .LBB46_1271
.LBB46_402:
	global_load_ubyte v3, v[0:1], off
	s_or_b64 s[28:29], s[28:29], exec
	s_waitcnt vmcnt(0)
	v_cmp_ne_u16_e32 vcc, 0, v3
	v_cndmask_b32_e64 v3, 0, 1, vcc
	s_or_b64 exec, exec, s[0:1]
	s_and_saveexec_b64 s[0:1], s[30:31]
	s_cbranch_execz .LBB46_1317
	s_branch .LBB46_1272
.LBB46_403:
	s_mov_b64 s[0:1], 0
                                        ; implicit-def: $vgpr3
	s_mov_b64 s[24:25], s[20:21]
	s_cbranch_execnz .LBB46_485
.LBB46_404:
	s_andn2_b64 vcc, exec, s[0:1]
	s_cbranch_vccnz .LBB46_533
.LBB46_405:
	v_mul_lo_u32 v0, v2, s14
	v_mov_b32_e32 v1, s3
	s_and_b32 s34, s54, 0xff
	s_cmp_lt_i32 s34, 11
	v_ashrrev_i32_e32 v4, 31, v0
	v_add_co_u32_e32 v0, vcc, s2, v0
	v_addc_co_u32_e32 v1, vcc, v1, v4, vcc
	s_cbranch_scc1 .LBB46_413
; %bb.406:
	s_and_b32 s35, 0xffff, s34
	s_cmp_gt_i32 s35, 25
	s_cbranch_scc0 .LBB46_415
; %bb.407:
	s_cmp_gt_i32 s35, 28
	s_cbranch_scc0 .LBB46_417
; %bb.408:
	;; [unrolled: 3-line block ×4, first 2 shown]
	s_cmp_eq_u32 s35, 46
	s_mov_b64 s[28:29], 0
	s_cbranch_scc0 .LBB46_537
; %bb.411:
	global_load_dword v4, v[0:1], off
	s_mov_b64 s[0:1], -1
	s_mov_b64 s[26:27], 0
	s_waitcnt vmcnt(0)
	v_lshlrev_b32_e32 v4, 16, v4
	v_cvt_i32_f32_e32 v4, v4
	s_branch .LBB46_538
.LBB46_412:
	s_mov_b64 s[26:27], -1
	s_mov_b64 s[0:1], 0
	s_mov_b64 s[24:25], s[20:21]
                                        ; implicit-def: $vgpr3
	s_branch .LBB46_451
.LBB46_413:
	s_mov_b64 s[28:29], -1
	s_mov_b64 s[0:1], 0
                                        ; implicit-def: $vgpr4
	s_mov_b64 s[26:27], s[18:19]
	s_branch .LBB46_599
.LBB46_414:
	s_mov_b64 s[26:27], -1
	s_mov_b64 s[0:1], 0
	s_mov_b64 s[24:25], s[20:21]
                                        ; implicit-def: $vgpr3
	s_branch .LBB46_434
.LBB46_415:
	s_mov_b64 s[28:29], -1
	s_mov_b64 s[0:1], 0
	s_mov_b64 s[26:27], s[18:19]
                                        ; implicit-def: $vgpr4
	s_branch .LBB46_565
.LBB46_416:
	s_mov_b64 s[26:27], -1
	s_mov_b64 s[0:1], 0
	s_mov_b64 s[24:25], s[20:21]
                                        ; implicit-def: $vgpr3
	s_branch .LBB46_429
.LBB46_417:
	s_mov_b64 s[28:29], -1
	s_mov_b64 s[0:1], 0
	s_mov_b64 s[26:27], s[18:19]
                                        ; implicit-def: $vgpr4
	s_branch .LBB46_548
.LBB46_418:
	s_mov_b64 s[26:27], -1
	s_mov_b64 s[0:1], 0
	s_mov_b64 s[24:25], s[20:21]
                                        ; implicit-def: $vgpr3
	s_branch .LBB46_423
.LBB46_419:
	s_mov_b64 s[28:29], -1
	s_mov_b64 s[0:1], 0
	s_mov_b64 s[26:27], s[18:19]
                                        ; implicit-def: $vgpr4
	s_branch .LBB46_543
.LBB46_420:
	s_andn2_saveexec_b64 s[30:31], s[30:31]
	s_cbranch_execz .LBB46_192
.LBB46_421:
	v_add_f32_e32 v3, 0x46000000, v4
	v_and_b32_e32 v3, 0xff, v3
	v_cmp_ne_u32_e32 vcc, 0, v3
	s_andn2_b64 s[28:29], s[28:29], exec
	s_and_b64 s[36:37], vcc, exec
	s_or_b64 s[28:29], s[28:29], s[36:37]
	s_or_b64 exec, exec, s[30:31]
	v_mov_b32_e32 v5, 0
	s_and_saveexec_b64 s[30:31], s[28:29]
	s_cbranch_execnz .LBB46_193
	s_branch .LBB46_194
.LBB46_422:
	s_mov_b64 s[24:25], -1
                                        ; implicit-def: $vgpr3
	s_mov_b64 s[0:1], 0
.LBB46_423:
	s_and_b64 vcc, exec, s[26:27]
	s_cbranch_vccz .LBB46_428
; %bb.424:
	s_cmp_eq_u32 s29, 44
	s_cbranch_scc0 .LBB46_427
; %bb.425:
	global_load_ubyte v3, v[0:1], off
	s_mov_b64 s[0:1], -1
	s_mov_b64 s[24:25], 0
	s_waitcnt vmcnt(0)
	v_lshlrev_b32_e32 v4, 23, v3
	v_cvt_i32_f32_e32 v4, v4
	v_cmp_ne_u32_e32 vcc, 0, v3
	v_cndmask_b32_e32 v3, 0, v4, vcc
	s_branch .LBB46_428
.LBB46_426:
	s_mov_b64 s[28:29], -1
	s_mov_b64 s[0:1], 0
	s_mov_b64 s[26:27], s[18:19]
                                        ; implicit-def: $vgpr4
	s_branch .LBB46_538
.LBB46_427:
	s_mov_b64 s[24:25], -1
                                        ; implicit-def: $vgpr3
.LBB46_428:
	s_mov_b64 s[26:27], 0
.LBB46_429:
	s_and_b64 vcc, exec, s[26:27]
	s_cbranch_vccz .LBB46_433
; %bb.430:
	s_cmp_eq_u32 s29, 29
	s_cbranch_scc0 .LBB46_432
; %bb.431:
	global_load_dword v3, v[0:1], off
	s_mov_b64 s[0:1], -1
	s_mov_b64 s[24:25], 0
	s_branch .LBB46_433
.LBB46_432:
	s_mov_b64 s[24:25], -1
                                        ; implicit-def: $vgpr3
.LBB46_433:
	s_mov_b64 s[26:27], 0
.LBB46_434:
	s_and_b64 vcc, exec, s[26:27]
	s_cbranch_vccz .LBB46_450
; %bb.435:
	s_cmp_lt_i32 s29, 27
	s_cbranch_scc1 .LBB46_438
; %bb.436:
	s_cmp_gt_i32 s29, 27
	s_cbranch_scc0 .LBB46_439
; %bb.437:
	global_load_dword v3, v[0:1], off
	s_mov_b64 s[0:1], 0
	s_branch .LBB46_440
.LBB46_438:
	s_mov_b64 s[0:1], -1
                                        ; implicit-def: $vgpr3
	s_branch .LBB46_443
.LBB46_439:
	s_mov_b64 s[0:1], -1
                                        ; implicit-def: $vgpr3
.LBB46_440:
	s_andn2_b64 vcc, exec, s[0:1]
	s_cbranch_vccnz .LBB46_442
; %bb.441:
	global_load_ushort v3, v[0:1], off
.LBB46_442:
	s_mov_b64 s[0:1], 0
.LBB46_443:
	s_andn2_b64 vcc, exec, s[0:1]
	s_cbranch_vccnz .LBB46_449
; %bb.444:
	global_load_ubyte v4, v[0:1], off
	s_movk_i32 s0, 0x7f
	s_mov_b64 s[26:27], 0
	s_waitcnt vmcnt(0)
	v_cmp_lt_i16_e32 vcc, s0, v4
	s_and_saveexec_b64 s[0:1], vcc
	s_xor_b64 s[0:1], exec, s[0:1]
	s_cbranch_execz .LBB46_461
; %bb.445:
	s_movk_i32 s26, 0x80
	v_cmp_ne_u16_e32 vcc, s26, v4
	s_and_b64 s[26:27], vcc, exec
	s_andn2_saveexec_b64 s[0:1], s[0:1]
	s_cbranch_execnz .LBB46_462
.LBB46_446:
	s_or_b64 exec, exec, s[0:1]
	v_mov_b32_e32 v3, 0
	s_and_saveexec_b64 s[0:1], s[26:27]
	s_cbranch_execz .LBB46_448
.LBB46_447:
	v_lshlrev_b32_e32 v3, 24, v4
	v_and_b32_e32 v4, 0xffff, v4
	v_and_b32_e32 v5, 7, v4
	v_ffbh_u32_e32 v7, v5
	v_min_u32_e32 v7, 32, v7
	v_subrev_u32_e32 v8, 28, v7
	v_bfe_u32 v6, v4, 3, 4
	v_lshlrev_b32_e32 v4, v8, v4
	v_sub_u32_e32 v7, 29, v7
	v_and_b32_e32 v4, 7, v4
	v_cmp_eq_u32_e32 vcc, 0, v6
	v_cndmask_b32_e32 v6, v6, v7, vcc
	v_cndmask_b32_e32 v4, v5, v4, vcc
	v_mov_b32_e32 v5, 0x3b800000
	v_lshlrev_b32_e32 v4, 20, v4
	v_and_b32_e32 v3, 0x80000000, v3
	v_lshl_add_u32 v5, v6, 23, v5
	v_or3_b32 v3, v3, v5, v4
	v_cvt_i32_f32_e32 v3, v3
.LBB46_448:
	s_or_b64 exec, exec, s[0:1]
.LBB46_449:
	s_mov_b64 s[0:1], -1
.LBB46_450:
	s_mov_b64 s[26:27], 0
.LBB46_451:
	s_and_b64 vcc, exec, s[26:27]
	s_cbranch_vccz .LBB46_484
; %bb.452:
	s_cmp_gt_i32 s29, 22
	s_cbranch_scc0 .LBB46_460
; %bb.453:
	s_cmp_lt_i32 s29, 24
	s_cbranch_scc1 .LBB46_463
; %bb.454:
	s_cmp_gt_i32 s29, 24
	s_cbranch_scc0 .LBB46_464
; %bb.455:
	global_load_ubyte v4, v[0:1], off
	s_movk_i32 s0, 0x7f
	s_mov_b64 s[26:27], 0
	s_waitcnt vmcnt(0)
	v_cmp_lt_i16_e32 vcc, s0, v4
	s_and_saveexec_b64 s[0:1], vcc
	s_xor_b64 s[0:1], exec, s[0:1]
	s_cbranch_execz .LBB46_476
; %bb.456:
	s_movk_i32 s26, 0x80
	v_cmp_ne_u16_e32 vcc, s26, v4
	s_and_b64 s[26:27], vcc, exec
	s_andn2_saveexec_b64 s[0:1], s[0:1]
	s_cbranch_execnz .LBB46_477
.LBB46_457:
	s_or_b64 exec, exec, s[0:1]
	v_mov_b32_e32 v3, 0
	s_and_saveexec_b64 s[0:1], s[26:27]
	s_cbranch_execz .LBB46_459
.LBB46_458:
	v_lshlrev_b32_e32 v3, 24, v4
	v_and_b32_e32 v4, 0xffff, v4
	v_and_b32_e32 v5, 3, v4
	v_ffbh_u32_e32 v7, v5
	v_min_u32_e32 v7, 32, v7
	v_subrev_u32_e32 v8, 29, v7
	v_bfe_u32 v6, v4, 2, 5
	v_lshlrev_b32_e32 v4, v8, v4
	v_sub_u32_e32 v7, 30, v7
	v_and_b32_e32 v4, 3, v4
	v_cmp_eq_u32_e32 vcc, 0, v6
	v_cndmask_b32_e32 v6, v6, v7, vcc
	v_cndmask_b32_e32 v4, v5, v4, vcc
	v_mov_b32_e32 v5, 0x37800000
	v_lshlrev_b32_e32 v4, 21, v4
	v_and_b32_e32 v3, 0x80000000, v3
	v_lshl_add_u32 v5, v6, 23, v5
	v_or3_b32 v3, v3, v5, v4
	v_cvt_i32_f32_e32 v3, v3
.LBB46_459:
	s_or_b64 exec, exec, s[0:1]
	s_mov_b64 s[0:1], 0
	s_branch .LBB46_465
.LBB46_460:
	s_mov_b64 s[26:27], -1
                                        ; implicit-def: $vgpr3
	s_branch .LBB46_471
.LBB46_461:
	s_andn2_saveexec_b64 s[0:1], s[0:1]
	s_cbranch_execz .LBB46_446
.LBB46_462:
	v_cmp_ne_u16_e32 vcc, 0, v4
	s_andn2_b64 s[26:27], s[26:27], exec
	s_and_b64 s[34:35], vcc, exec
	s_or_b64 s[26:27], s[26:27], s[34:35]
	s_or_b64 exec, exec, s[0:1]
	v_mov_b32_e32 v3, 0
	s_and_saveexec_b64 s[0:1], s[26:27]
	s_cbranch_execnz .LBB46_447
	s_branch .LBB46_448
.LBB46_463:
	s_mov_b64 s[0:1], -1
                                        ; implicit-def: $vgpr3
	s_branch .LBB46_468
.LBB46_464:
	s_mov_b64 s[0:1], -1
                                        ; implicit-def: $vgpr3
.LBB46_465:
	s_and_b64 vcc, exec, s[0:1]
	s_cbranch_vccz .LBB46_467
; %bb.466:
	global_load_ubyte v3, v[0:1], off
	s_mov_b32 s0, 0x7f800000
	s_waitcnt vmcnt(0)
	v_lshlrev_b32_e32 v3, 24, v3
	v_and_b32_e32 v4, 0x7f000000, v3
	v_ffbh_u32_e32 v5, v4
	v_min_u32_e32 v5, 32, v5
	v_sub_u32_e64 v5, v5, 4 clamp
	v_lshlrev_b32_e32 v7, v5, v4
	v_lshlrev_b32_e32 v5, 23, v5
	v_lshrrev_b32_e32 v7, 4, v7
	v_add_u32_e32 v6, 0x1000000, v4
	v_sub_u32_e32 v5, v7, v5
	v_ashrrev_i32_e32 v6, 8, v6
	v_add_u32_e32 v5, 0x3c000000, v5
	v_and_or_b32 v5, v6, s0, v5
	v_cmp_ne_u32_e32 vcc, 0, v4
	v_cndmask_b32_e32 v4, 0, v5, vcc
	s_brev_b32 s0, 1
	v_and_or_b32 v3, v3, s0, v4
	v_cvt_i32_f32_e32 v3, v3
.LBB46_467:
	s_mov_b64 s[0:1], 0
.LBB46_468:
	s_andn2_b64 vcc, exec, s[0:1]
	s_cbranch_vccnz .LBB46_470
; %bb.469:
	global_load_ubyte v3, v[0:1], off
	s_movk_i32 s0, 0x7f00
	s_brev_b32 s1, 16
	s_waitcnt vmcnt(0)
	v_lshlrev_b16_e32 v4, 8, v3
	v_lshlrev_b32_e32 v3, 25, v3
	v_lshrrev_b32_e32 v5, 4, v3
	v_and_or_b32 v6, v4, s0, 0.5
	v_or_b32_e32 v5, 0x70000000, v5
	v_add_f32_e32 v6, -0.5, v6
	v_mul_f32_e32 v5, 0x7800000, v5
	v_cmp_gt_u32_e32 vcc, s1, v3
	v_bfe_i32 v4, v4, 0, 16
	v_cndmask_b32_e32 v3, v5, v6, vcc
	s_brev_b32 s0, 1
	v_and_or_b32 v3, v4, s0, v3
	v_cvt_i32_f32_e32 v3, v3
.LBB46_470:
	s_mov_b64 s[26:27], 0
	s_mov_b64 s[0:1], -1
.LBB46_471:
	s_andn2_b64 vcc, exec, s[26:27]
	s_cbranch_vccnz .LBB46_484
; %bb.472:
	s_cmp_gt_i32 s29, 14
	s_cbranch_scc0 .LBB46_475
; %bb.473:
	s_cmp_eq_u32 s29, 15
	s_cbranch_scc0 .LBB46_478
; %bb.474:
	global_load_ushort v3, v[0:1], off
	s_mov_b64 s[0:1], -1
	s_mov_b64 s[24:25], 0
	s_waitcnt vmcnt(0)
	v_lshlrev_b32_e32 v3, 16, v3
	v_cvt_i32_f32_e32 v3, v3
	s_branch .LBB46_479
.LBB46_475:
	s_mov_b64 s[26:27], -1
                                        ; implicit-def: $vgpr3
	s_branch .LBB46_480
.LBB46_476:
	s_andn2_saveexec_b64 s[0:1], s[0:1]
	s_cbranch_execz .LBB46_457
.LBB46_477:
	v_cmp_ne_u16_e32 vcc, 0, v4
	s_andn2_b64 s[26:27], s[26:27], exec
	s_and_b64 s[34:35], vcc, exec
	s_or_b64 s[26:27], s[26:27], s[34:35]
	s_or_b64 exec, exec, s[0:1]
	v_mov_b32_e32 v3, 0
	s_and_saveexec_b64 s[0:1], s[26:27]
	s_cbranch_execnz .LBB46_458
	s_branch .LBB46_459
.LBB46_478:
	s_mov_b64 s[24:25], -1
                                        ; implicit-def: $vgpr3
.LBB46_479:
	s_mov_b64 s[26:27], 0
.LBB46_480:
	s_and_b64 vcc, exec, s[26:27]
	s_cbranch_vccz .LBB46_484
; %bb.481:
	s_cmp_eq_u32 s29, 11
	s_cbranch_scc0 .LBB46_483
; %bb.482:
	global_load_ubyte v3, v[0:1], off
	s_mov_b64 s[0:1], -1
	s_mov_b64 s[24:25], 0
	s_waitcnt vmcnt(0)
	v_cmp_ne_u16_e32 vcc, 0, v3
	v_cndmask_b32_e64 v3, 0, 1, vcc
	s_branch .LBB46_484
.LBB46_483:
	s_mov_b64 s[24:25], -1
                                        ; implicit-def: $vgpr3
.LBB46_484:
	s_branch .LBB46_404
.LBB46_485:
	s_and_b32 s26, 0xffff, s28
	s_cmp_lt_i32 s26, 5
	s_cbranch_scc1 .LBB46_490
; %bb.486:
	s_cmp_lt_i32 s26, 8
	s_cbranch_scc1 .LBB46_491
; %bb.487:
	;; [unrolled: 3-line block ×3, first 2 shown]
	s_cmp_gt_i32 s26, 9
	s_cbranch_scc0 .LBB46_493
; %bb.489:
	global_load_dwordx2 v[3:4], v[0:1], off
	s_mov_b64 s[0:1], 0
	s_waitcnt vmcnt(0)
	v_cvt_i32_f64_e32 v3, v[3:4]
	s_branch .LBB46_494
.LBB46_490:
	s_mov_b64 s[0:1], -1
                                        ; implicit-def: $vgpr3
	s_branch .LBB46_512
.LBB46_491:
	s_mov_b64 s[0:1], -1
                                        ; implicit-def: $vgpr3
	s_branch .LBB46_500
.LBB46_492:
	s_mov_b64 s[0:1], -1
                                        ; implicit-def: $vgpr3
	s_branch .LBB46_497
.LBB46_493:
	s_mov_b64 s[0:1], -1
                                        ; implicit-def: $vgpr3
.LBB46_494:
	s_andn2_b64 vcc, exec, s[0:1]
	s_cbranch_vccnz .LBB46_496
; %bb.495:
	global_load_dword v3, v[0:1], off
	s_waitcnt vmcnt(0)
	v_cvt_i32_f32_e32 v3, v3
.LBB46_496:
	s_mov_b64 s[0:1], 0
.LBB46_497:
	s_andn2_b64 vcc, exec, s[0:1]
	s_cbranch_vccnz .LBB46_499
; %bb.498:
	global_load_dword v3, v[0:1], off
	s_waitcnt vmcnt(0)
	v_cvt_f32_f16_e32 v3, v3
	v_cvt_i32_f32_e32 v3, v3
.LBB46_499:
	s_mov_b64 s[0:1], 0
.LBB46_500:
	s_andn2_b64 vcc, exec, s[0:1]
	s_cbranch_vccnz .LBB46_511
; %bb.501:
	s_cmp_lt_i32 s26, 6
	s_cbranch_scc1 .LBB46_504
; %bb.502:
	s_cmp_gt_i32 s26, 6
	s_cbranch_scc0 .LBB46_505
; %bb.503:
	global_load_dwordx2 v[3:4], v[0:1], off
	s_mov_b64 s[0:1], 0
	s_waitcnt vmcnt(0)
	v_cvt_i32_f64_e32 v3, v[3:4]
	s_branch .LBB46_506
.LBB46_504:
	s_mov_b64 s[0:1], -1
                                        ; implicit-def: $vgpr3
	s_branch .LBB46_509
.LBB46_505:
	s_mov_b64 s[0:1], -1
                                        ; implicit-def: $vgpr3
.LBB46_506:
	s_andn2_b64 vcc, exec, s[0:1]
	s_cbranch_vccnz .LBB46_508
; %bb.507:
	global_load_dword v3, v[0:1], off
	s_waitcnt vmcnt(0)
	v_cvt_i32_f32_e32 v3, v3
.LBB46_508:
	s_mov_b64 s[0:1], 0
.LBB46_509:
	s_andn2_b64 vcc, exec, s[0:1]
	s_cbranch_vccnz .LBB46_511
; %bb.510:
	global_load_ushort v3, v[0:1], off
	s_waitcnt vmcnt(0)
	v_cvt_f32_f16_e32 v3, v3
	v_cvt_i32_f32_e32 v3, v3
.LBB46_511:
	s_mov_b64 s[0:1], 0
.LBB46_512:
	s_andn2_b64 vcc, exec, s[0:1]
	s_cbranch_vccnz .LBB46_532
; %bb.513:
	s_cmp_lt_i32 s26, 2
	s_cbranch_scc1 .LBB46_517
; %bb.514:
	s_cmp_lt_i32 s26, 3
	s_cbranch_scc1 .LBB46_518
; %bb.515:
	s_cmp_gt_i32 s26, 3
	s_cbranch_scc0 .LBB46_519
; %bb.516:
	global_load_dword v3, v[0:1], off
	s_mov_b64 s[0:1], 0
	s_branch .LBB46_520
.LBB46_517:
	s_mov_b64 s[0:1], -1
                                        ; implicit-def: $vgpr3
	s_branch .LBB46_526
.LBB46_518:
	s_mov_b64 s[0:1], -1
                                        ; implicit-def: $vgpr3
	s_branch .LBB46_523
.LBB46_519:
	s_mov_b64 s[0:1], -1
                                        ; implicit-def: $vgpr3
.LBB46_520:
	s_andn2_b64 vcc, exec, s[0:1]
	s_cbranch_vccnz .LBB46_522
; %bb.521:
	global_load_dword v3, v[0:1], off
.LBB46_522:
	s_mov_b64 s[0:1], 0
.LBB46_523:
	s_andn2_b64 vcc, exec, s[0:1]
	s_cbranch_vccnz .LBB46_525
; %bb.524:
	global_load_sshort v3, v[0:1], off
.LBB46_525:
	s_mov_b64 s[0:1], 0
.LBB46_526:
	s_andn2_b64 vcc, exec, s[0:1]
	s_cbranch_vccnz .LBB46_532
; %bb.527:
	s_cmp_gt_i32 s26, 0
	s_cbranch_scc0 .LBB46_529
; %bb.528:
	global_load_sbyte v3, v[0:1], off
	s_mov_b64 s[0:1], 0
	s_branch .LBB46_530
.LBB46_529:
	s_mov_b64 s[0:1], -1
                                        ; implicit-def: $vgpr3
.LBB46_530:
	s_andn2_b64 vcc, exec, s[0:1]
	s_cbranch_vccnz .LBB46_532
; %bb.531:
	global_load_ubyte v3, v[0:1], off
.LBB46_532:
	s_branch .LBB46_405
.LBB46_533:
	s_mov_b64 s[34:35], 0
	s_mov_b64 s[0:1], s[16:17]
	;; [unrolled: 1-line block ×3, first 2 shown]
.LBB46_534:
                                        ; implicit-def: $vgpr2
	s_branch .LBB46_789
.LBB46_535:
	s_andn2_saveexec_b64 s[30:31], s[30:31]
	s_cbranch_execz .LBB46_205
.LBB46_536:
	v_add_f32_e32 v3, 0x42800000, v4
	v_and_b32_e32 v3, 0xff, v3
	v_cmp_ne_u32_e32 vcc, 0, v3
	s_andn2_b64 s[28:29], s[28:29], exec
	s_and_b64 s[36:37], vcc, exec
	s_or_b64 s[28:29], s[28:29], s[36:37]
	s_or_b64 exec, exec, s[30:31]
	v_mov_b32_e32 v5, 0
	s_and_saveexec_b64 s[30:31], s[28:29]
	s_cbranch_execnz .LBB46_206
	s_branch .LBB46_207
.LBB46_537:
	s_mov_b64 s[26:27], -1
                                        ; implicit-def: $vgpr4
	s_mov_b64 s[0:1], 0
.LBB46_538:
	s_and_b64 vcc, exec, s[28:29]
	s_cbranch_vccz .LBB46_542
; %bb.539:
	s_cmp_eq_u32 s35, 44
	s_cbranch_scc0 .LBB46_541
; %bb.540:
	global_load_ubyte v4, v[0:1], off
	s_mov_b64 s[0:1], -1
	s_mov_b64 s[26:27], 0
	s_waitcnt vmcnt(0)
	v_lshlrev_b32_e32 v5, 23, v4
	v_cvt_i32_f32_e32 v5, v5
	v_cmp_ne_u32_e32 vcc, 0, v4
	v_cndmask_b32_e32 v4, 0, v5, vcc
	s_branch .LBB46_542
.LBB46_541:
	s_mov_b64 s[26:27], -1
                                        ; implicit-def: $vgpr4
.LBB46_542:
	s_mov_b64 s[28:29], 0
.LBB46_543:
	s_and_b64 vcc, exec, s[28:29]
	s_cbranch_vccz .LBB46_547
; %bb.544:
	s_cmp_eq_u32 s35, 29
	s_cbranch_scc0 .LBB46_546
; %bb.545:
	global_load_dword v4, v[0:1], off
	s_mov_b64 s[0:1], -1
	s_mov_b64 s[26:27], 0
	s_branch .LBB46_547
.LBB46_546:
	s_mov_b64 s[26:27], -1
                                        ; implicit-def: $vgpr4
.LBB46_547:
	s_mov_b64 s[28:29], 0
.LBB46_548:
	s_and_b64 vcc, exec, s[28:29]
	s_cbranch_vccz .LBB46_564
; %bb.549:
	s_cmp_lt_i32 s35, 27
	s_cbranch_scc1 .LBB46_552
; %bb.550:
	s_cmp_gt_i32 s35, 27
	s_cbranch_scc0 .LBB46_553
; %bb.551:
	global_load_dword v4, v[0:1], off
	s_mov_b64 s[0:1], 0
	s_branch .LBB46_554
.LBB46_552:
	s_mov_b64 s[0:1], -1
                                        ; implicit-def: $vgpr4
	s_branch .LBB46_557
.LBB46_553:
	s_mov_b64 s[0:1], -1
                                        ; implicit-def: $vgpr4
.LBB46_554:
	s_andn2_b64 vcc, exec, s[0:1]
	s_cbranch_vccnz .LBB46_556
; %bb.555:
	global_load_ushort v4, v[0:1], off
.LBB46_556:
	s_mov_b64 s[0:1], 0
.LBB46_557:
	s_andn2_b64 vcc, exec, s[0:1]
	s_cbranch_vccnz .LBB46_563
; %bb.558:
	global_load_ubyte v5, v[0:1], off
	s_movk_i32 s0, 0x7f
	s_mov_b64 s[28:29], 0
	s_waitcnt vmcnt(0)
	v_cmp_lt_i16_e32 vcc, s0, v5
	s_and_saveexec_b64 s[0:1], vcc
	s_xor_b64 s[0:1], exec, s[0:1]
	s_cbranch_execz .LBB46_575
; %bb.559:
	s_movk_i32 s28, 0x80
	v_cmp_ne_u16_e32 vcc, s28, v5
	s_and_b64 s[28:29], vcc, exec
	s_andn2_saveexec_b64 s[0:1], s[0:1]
	s_cbranch_execnz .LBB46_576
.LBB46_560:
	s_or_b64 exec, exec, s[0:1]
	v_mov_b32_e32 v4, 0
	s_and_saveexec_b64 s[0:1], s[28:29]
	s_cbranch_execz .LBB46_562
.LBB46_561:
	v_lshlrev_b32_e32 v4, 24, v5
	v_and_b32_e32 v5, 0xffff, v5
	v_and_b32_e32 v6, 7, v5
	v_ffbh_u32_e32 v8, v6
	v_min_u32_e32 v8, 32, v8
	v_subrev_u32_e32 v9, 28, v8
	v_bfe_u32 v7, v5, 3, 4
	v_lshlrev_b32_e32 v5, v9, v5
	v_sub_u32_e32 v8, 29, v8
	v_and_b32_e32 v5, 7, v5
	v_cmp_eq_u32_e32 vcc, 0, v7
	v_cndmask_b32_e32 v7, v7, v8, vcc
	v_cndmask_b32_e32 v5, v6, v5, vcc
	v_mov_b32_e32 v6, 0x3b800000
	v_lshlrev_b32_e32 v5, 20, v5
	v_and_b32_e32 v4, 0x80000000, v4
	v_lshl_add_u32 v6, v7, 23, v6
	v_or3_b32 v4, v4, v6, v5
	v_cvt_i32_f32_e32 v4, v4
.LBB46_562:
	s_or_b64 exec, exec, s[0:1]
.LBB46_563:
	s_mov_b64 s[0:1], -1
.LBB46_564:
	s_mov_b64 s[28:29], 0
.LBB46_565:
	s_and_b64 vcc, exec, s[28:29]
	s_cbranch_vccz .LBB46_598
; %bb.566:
	s_cmp_gt_i32 s35, 22
	s_cbranch_scc0 .LBB46_574
; %bb.567:
	s_cmp_lt_i32 s35, 24
	s_cbranch_scc1 .LBB46_577
; %bb.568:
	s_cmp_gt_i32 s35, 24
	s_cbranch_scc0 .LBB46_578
; %bb.569:
	global_load_ubyte v5, v[0:1], off
	s_movk_i32 s0, 0x7f
	s_mov_b64 s[28:29], 0
	s_waitcnt vmcnt(0)
	v_cmp_lt_i16_e32 vcc, s0, v5
	s_and_saveexec_b64 s[0:1], vcc
	s_xor_b64 s[0:1], exec, s[0:1]
	s_cbranch_execz .LBB46_590
; %bb.570:
	s_movk_i32 s28, 0x80
	v_cmp_ne_u16_e32 vcc, s28, v5
	s_and_b64 s[28:29], vcc, exec
	s_andn2_saveexec_b64 s[0:1], s[0:1]
	s_cbranch_execnz .LBB46_591
.LBB46_571:
	s_or_b64 exec, exec, s[0:1]
	v_mov_b32_e32 v4, 0
	s_and_saveexec_b64 s[0:1], s[28:29]
	s_cbranch_execz .LBB46_573
.LBB46_572:
	v_lshlrev_b32_e32 v4, 24, v5
	v_and_b32_e32 v5, 0xffff, v5
	v_and_b32_e32 v6, 3, v5
	v_ffbh_u32_e32 v8, v6
	v_min_u32_e32 v8, 32, v8
	v_subrev_u32_e32 v9, 29, v8
	v_bfe_u32 v7, v5, 2, 5
	v_lshlrev_b32_e32 v5, v9, v5
	v_sub_u32_e32 v8, 30, v8
	v_and_b32_e32 v5, 3, v5
	v_cmp_eq_u32_e32 vcc, 0, v7
	v_cndmask_b32_e32 v7, v7, v8, vcc
	v_cndmask_b32_e32 v5, v6, v5, vcc
	v_mov_b32_e32 v6, 0x37800000
	v_lshlrev_b32_e32 v5, 21, v5
	v_and_b32_e32 v4, 0x80000000, v4
	v_lshl_add_u32 v6, v7, 23, v6
	v_or3_b32 v4, v4, v6, v5
	v_cvt_i32_f32_e32 v4, v4
.LBB46_573:
	s_or_b64 exec, exec, s[0:1]
	s_mov_b64 s[0:1], 0
	s_branch .LBB46_579
.LBB46_574:
	s_mov_b64 s[28:29], -1
                                        ; implicit-def: $vgpr4
	s_branch .LBB46_585
.LBB46_575:
	s_andn2_saveexec_b64 s[0:1], s[0:1]
	s_cbranch_execz .LBB46_560
.LBB46_576:
	v_cmp_ne_u16_e32 vcc, 0, v5
	s_andn2_b64 s[28:29], s[28:29], exec
	s_and_b64 s[36:37], vcc, exec
	s_or_b64 s[28:29], s[28:29], s[36:37]
	s_or_b64 exec, exec, s[0:1]
	v_mov_b32_e32 v4, 0
	s_and_saveexec_b64 s[0:1], s[28:29]
	s_cbranch_execnz .LBB46_561
	s_branch .LBB46_562
.LBB46_577:
	s_mov_b64 s[0:1], -1
                                        ; implicit-def: $vgpr4
	s_branch .LBB46_582
.LBB46_578:
	s_mov_b64 s[0:1], -1
                                        ; implicit-def: $vgpr4
.LBB46_579:
	s_and_b64 vcc, exec, s[0:1]
	s_cbranch_vccz .LBB46_581
; %bb.580:
	global_load_ubyte v4, v[0:1], off
	s_mov_b32 s0, 0x7f800000
	s_waitcnt vmcnt(0)
	v_lshlrev_b32_e32 v4, 24, v4
	v_and_b32_e32 v5, 0x7f000000, v4
	v_ffbh_u32_e32 v6, v5
	v_min_u32_e32 v6, 32, v6
	v_sub_u32_e64 v6, v6, 4 clamp
	v_lshlrev_b32_e32 v8, v6, v5
	v_lshlrev_b32_e32 v6, 23, v6
	v_lshrrev_b32_e32 v8, 4, v8
	v_add_u32_e32 v7, 0x1000000, v5
	v_sub_u32_e32 v6, v8, v6
	v_ashrrev_i32_e32 v7, 8, v7
	v_add_u32_e32 v6, 0x3c000000, v6
	v_and_or_b32 v6, v7, s0, v6
	v_cmp_ne_u32_e32 vcc, 0, v5
	v_cndmask_b32_e32 v5, 0, v6, vcc
	s_brev_b32 s0, 1
	v_and_or_b32 v4, v4, s0, v5
	v_cvt_i32_f32_e32 v4, v4
.LBB46_581:
	s_mov_b64 s[0:1], 0
.LBB46_582:
	s_andn2_b64 vcc, exec, s[0:1]
	s_cbranch_vccnz .LBB46_584
; %bb.583:
	global_load_ubyte v4, v[0:1], off
	s_movk_i32 s0, 0x7f00
	s_brev_b32 s1, 16
	s_waitcnt vmcnt(0)
	v_lshlrev_b16_e32 v5, 8, v4
	v_lshlrev_b32_e32 v4, 25, v4
	v_lshrrev_b32_e32 v6, 4, v4
	v_and_or_b32 v7, v5, s0, 0.5
	v_or_b32_e32 v6, 0x70000000, v6
	v_add_f32_e32 v7, -0.5, v7
	v_mul_f32_e32 v6, 0x7800000, v6
	v_cmp_gt_u32_e32 vcc, s1, v4
	v_bfe_i32 v5, v5, 0, 16
	v_cndmask_b32_e32 v4, v6, v7, vcc
	s_brev_b32 s0, 1
	v_and_or_b32 v4, v5, s0, v4
	v_cvt_i32_f32_e32 v4, v4
.LBB46_584:
	s_mov_b64 s[28:29], 0
	s_mov_b64 s[0:1], -1
.LBB46_585:
	s_andn2_b64 vcc, exec, s[28:29]
	s_cbranch_vccnz .LBB46_598
; %bb.586:
	s_cmp_gt_i32 s35, 14
	s_cbranch_scc0 .LBB46_589
; %bb.587:
	s_cmp_eq_u32 s35, 15
	s_cbranch_scc0 .LBB46_592
; %bb.588:
	global_load_ushort v4, v[0:1], off
	s_mov_b64 s[0:1], -1
	s_mov_b64 s[26:27], 0
	s_waitcnt vmcnt(0)
	v_lshlrev_b32_e32 v4, 16, v4
	v_cvt_i32_f32_e32 v4, v4
	s_branch .LBB46_593
.LBB46_589:
	s_mov_b64 s[28:29], -1
                                        ; implicit-def: $vgpr4
	s_branch .LBB46_594
.LBB46_590:
	s_andn2_saveexec_b64 s[0:1], s[0:1]
	s_cbranch_execz .LBB46_571
.LBB46_591:
	v_cmp_ne_u16_e32 vcc, 0, v5
	s_andn2_b64 s[28:29], s[28:29], exec
	s_and_b64 s[36:37], vcc, exec
	s_or_b64 s[28:29], s[28:29], s[36:37]
	s_or_b64 exec, exec, s[0:1]
	v_mov_b32_e32 v4, 0
	s_and_saveexec_b64 s[0:1], s[28:29]
	s_cbranch_execnz .LBB46_572
	s_branch .LBB46_573
.LBB46_592:
	s_mov_b64 s[26:27], -1
                                        ; implicit-def: $vgpr4
.LBB46_593:
	s_mov_b64 s[28:29], 0
.LBB46_594:
	s_and_b64 vcc, exec, s[28:29]
	s_cbranch_vccz .LBB46_598
; %bb.595:
	s_cmp_eq_u32 s35, 11
	s_cbranch_scc0 .LBB46_597
; %bb.596:
	global_load_ubyte v4, v[0:1], off
	s_mov_b64 s[0:1], -1
	s_mov_b64 s[26:27], 0
	s_waitcnt vmcnt(0)
	v_cmp_ne_u16_e32 vcc, 0, v4
	v_cndmask_b32_e64 v4, 0, 1, vcc
	s_branch .LBB46_598
.LBB46_597:
	s_mov_b64 s[26:27], -1
                                        ; implicit-def: $vgpr4
.LBB46_598:
	s_mov_b64 s[28:29], 0
.LBB46_599:
	s_and_b64 vcc, exec, s[28:29]
	s_cbranch_vccz .LBB46_648
; %bb.600:
	s_and_b32 s28, 0xffff, s34
	s_cmp_lt_i32 s28, 5
	s_cbranch_scc1 .LBB46_605
; %bb.601:
	s_cmp_lt_i32 s28, 8
	s_cbranch_scc1 .LBB46_606
; %bb.602:
	;; [unrolled: 3-line block ×3, first 2 shown]
	s_cmp_gt_i32 s28, 9
	s_cbranch_scc0 .LBB46_608
; %bb.604:
	global_load_dwordx2 v[4:5], v[0:1], off
	s_mov_b64 s[0:1], 0
	s_waitcnt vmcnt(0)
	v_cvt_i32_f64_e32 v4, v[4:5]
	s_branch .LBB46_609
.LBB46_605:
	s_mov_b64 s[0:1], -1
                                        ; implicit-def: $vgpr4
	s_branch .LBB46_627
.LBB46_606:
	s_mov_b64 s[0:1], -1
                                        ; implicit-def: $vgpr4
	s_branch .LBB46_615
.LBB46_607:
	s_mov_b64 s[0:1], -1
                                        ; implicit-def: $vgpr4
	s_branch .LBB46_612
.LBB46_608:
	s_mov_b64 s[0:1], -1
                                        ; implicit-def: $vgpr4
.LBB46_609:
	s_andn2_b64 vcc, exec, s[0:1]
	s_cbranch_vccnz .LBB46_611
; %bb.610:
	global_load_dword v4, v[0:1], off
	s_waitcnt vmcnt(0)
	v_cvt_i32_f32_e32 v4, v4
.LBB46_611:
	s_mov_b64 s[0:1], 0
.LBB46_612:
	s_andn2_b64 vcc, exec, s[0:1]
	s_cbranch_vccnz .LBB46_614
; %bb.613:
	global_load_dword v4, v[0:1], off
	s_waitcnt vmcnt(0)
	v_cvt_f32_f16_e32 v4, v4
	v_cvt_i32_f32_e32 v4, v4
.LBB46_614:
	s_mov_b64 s[0:1], 0
.LBB46_615:
	s_andn2_b64 vcc, exec, s[0:1]
	s_cbranch_vccnz .LBB46_626
; %bb.616:
	s_cmp_lt_i32 s28, 6
	s_cbranch_scc1 .LBB46_619
; %bb.617:
	s_cmp_gt_i32 s28, 6
	s_cbranch_scc0 .LBB46_620
; %bb.618:
	global_load_dwordx2 v[4:5], v[0:1], off
	s_mov_b64 s[0:1], 0
	s_waitcnt vmcnt(0)
	v_cvt_i32_f64_e32 v4, v[4:5]
	s_branch .LBB46_621
.LBB46_619:
	s_mov_b64 s[0:1], -1
                                        ; implicit-def: $vgpr4
	s_branch .LBB46_624
.LBB46_620:
	s_mov_b64 s[0:1], -1
                                        ; implicit-def: $vgpr4
.LBB46_621:
	s_andn2_b64 vcc, exec, s[0:1]
	s_cbranch_vccnz .LBB46_623
; %bb.622:
	global_load_dword v4, v[0:1], off
	s_waitcnt vmcnt(0)
	v_cvt_i32_f32_e32 v4, v4
.LBB46_623:
	s_mov_b64 s[0:1], 0
.LBB46_624:
	s_andn2_b64 vcc, exec, s[0:1]
	s_cbranch_vccnz .LBB46_626
; %bb.625:
	global_load_ushort v4, v[0:1], off
	s_waitcnt vmcnt(0)
	v_cvt_f32_f16_e32 v4, v4
	v_cvt_i32_f32_e32 v4, v4
.LBB46_626:
	s_mov_b64 s[0:1], 0
.LBB46_627:
	s_andn2_b64 vcc, exec, s[0:1]
	s_cbranch_vccnz .LBB46_647
; %bb.628:
	s_cmp_lt_i32 s28, 2
	s_cbranch_scc1 .LBB46_632
; %bb.629:
	s_cmp_lt_i32 s28, 3
	s_cbranch_scc1 .LBB46_633
; %bb.630:
	s_cmp_gt_i32 s28, 3
	s_cbranch_scc0 .LBB46_634
; %bb.631:
	global_load_dword v4, v[0:1], off
	s_mov_b64 s[0:1], 0
	s_branch .LBB46_635
.LBB46_632:
	s_mov_b64 s[0:1], -1
                                        ; implicit-def: $vgpr4
	s_branch .LBB46_641
.LBB46_633:
	s_mov_b64 s[0:1], -1
                                        ; implicit-def: $vgpr4
	s_branch .LBB46_638
.LBB46_634:
	s_mov_b64 s[0:1], -1
                                        ; implicit-def: $vgpr4
.LBB46_635:
	s_andn2_b64 vcc, exec, s[0:1]
	s_cbranch_vccnz .LBB46_637
; %bb.636:
	global_load_dword v4, v[0:1], off
.LBB46_637:
	s_mov_b64 s[0:1], 0
.LBB46_638:
	s_andn2_b64 vcc, exec, s[0:1]
	s_cbranch_vccnz .LBB46_640
; %bb.639:
	global_load_sshort v4, v[0:1], off
.LBB46_640:
	s_mov_b64 s[0:1], 0
.LBB46_641:
	s_andn2_b64 vcc, exec, s[0:1]
	s_cbranch_vccnz .LBB46_647
; %bb.642:
	s_cmp_gt_i32 s28, 0
	s_cbranch_scc0 .LBB46_644
; %bb.643:
	global_load_sbyte v4, v[0:1], off
	s_mov_b64 s[0:1], 0
	s_branch .LBB46_645
.LBB46_644:
	s_mov_b64 s[0:1], -1
                                        ; implicit-def: $vgpr4
.LBB46_645:
	s_andn2_b64 vcc, exec, s[0:1]
	s_cbranch_vccnz .LBB46_647
; %bb.646:
	global_load_ubyte v4, v[0:1], off
.LBB46_647:
	s_mov_b64 s[0:1], -1
.LBB46_648:
	s_andn2_b64 vcc, exec, s[0:1]
	s_cbranch_vccnz .LBB46_653
; %bb.649:
	s_cmp_lt_i32 s15, 1
	s_mov_b64 s[0:1], 0
	s_cbranch_scc1 .LBB46_654
; %bb.650:
	s_cmp_gt_i32 s15, 1
	s_cbranch_scc0 .LBB46_655
; %bb.651:
	s_cmp_eq_u32 s15, 2
	s_cbranch_scc0 .LBB46_656
; %bb.652:
	s_waitcnt vmcnt(0)
	v_cmp_le_i32_e64 s[28:29], v3, v4
	s_mov_b64 s[34:35], 0
	s_branch .LBB46_657
.LBB46_653:
	s_mov_b64 s[34:35], 0
                                        ; implicit-def: $vgpr2
	s_mov_b64 s[0:1], s[16:17]
	s_branch .LBB46_789
.LBB46_654:
	s_mov_b64 s[36:37], -1
                                        ; implicit-def: $sgpr28_sgpr29
	s_mov_b64 s[34:35], 0
	s_branch .LBB46_661
.LBB46_655:
	s_mov_b64 s[36:37], -1
	s_mov_b64 s[34:35], 0
                                        ; implicit-def: $sgpr28_sgpr29
	s_branch .LBB46_658
.LBB46_656:
	s_mov_b64 s[34:35], -1
                                        ; implicit-def: $sgpr28_sgpr29
.LBB46_657:
	s_mov_b64 s[36:37], 0
.LBB46_658:
	s_and_b64 vcc, exec, s[36:37]
	s_cbranch_vccz .LBB46_660
; %bb.659:
	s_waitcnt vmcnt(0)
	v_cmp_gt_i32_e32 vcc, v3, v4
	s_andn2_b64 s[28:29], s[28:29], exec
	s_and_b64 s[36:37], vcc, exec
	s_or_b64 s[28:29], s[28:29], s[36:37]
.LBB46_660:
	s_mov_b64 s[36:37], 0
.LBB46_661:
	s_and_b64 vcc, exec, s[36:37]
	s_cbranch_vccz .LBB46_672
; %bb.662:
	s_cmp_lg_u32 s15, 0
	s_mov_b64 s[0:1], -1
	s_cselect_b64 s[34:35], -1, 0
	s_andn2_b64 vcc, exec, s[34:35]
	s_cbranch_vccz .LBB46_673
.LBB46_663:
	s_andn2_b64 vcc, exec, s[0:1]
	s_cbranch_vccnz .LBB46_665
.LBB46_664:
	s_waitcnt vmcnt(0)
	v_cmp_ge_i32_e32 vcc, v3, v4
	s_andn2_b64 s[0:1], s[28:29], exec
	s_and_b64 s[28:29], vcc, exec
	s_or_b64 s[28:29], s[0:1], s[28:29]
.LBB46_665:
	v_mul_lo_u32 v0, v2, s12
	v_mov_b32_e32 v1, s9
	s_and_b32 s40, s33, 0xff
	s_cmp_lt_i32 s40, 11
	s_waitcnt vmcnt(0)
	v_ashrrev_i32_e32 v3, 31, v0
	v_add_co_u32_e32 v0, vcc, s8, v0
	v_addc_co_u32_e32 v1, vcc, v1, v3, vcc
	s_cbranch_scc1 .LBB46_674
; %bb.666:
	s_and_b32 s41, 0xffff, s40
	s_cmp_gt_i32 s41, 25
	s_cbranch_scc0 .LBB46_675
; %bb.667:
	s_cmp_gt_i32 s41, 28
	s_cbranch_scc0 .LBB46_676
; %bb.668:
	;; [unrolled: 3-line block ×4, first 2 shown]
	s_mov_b64 s[36:37], 0
	s_mov_b64 s[0:1], -1
	s_cmp_eq_u32 s41, 46
	s_mov_b64 s[34:35], 0
	s_cbranch_scc0 .LBB46_679
; %bb.671:
	v_cndmask_b32_e64 v3, 0, 1.0, s[28:29]
	v_bfe_u32 v4, v3, 16, 1
	s_movk_i32 s0, 0x7fff
	v_add3_u32 v3, v3, v4, s0
	v_lshrrev_b32_e32 v3, 16, v3
	global_store_dword v[0:1], v3, off
	s_mov_b64 s[34:35], -1
	s_mov_b64 s[0:1], 0
	s_branch .LBB46_679
.LBB46_672:
	s_andn2_b64 vcc, exec, s[34:35]
	s_cbranch_vccnz .LBB46_663
.LBB46_673:
	s_waitcnt vmcnt(0)
	v_cmp_lt_i32_e32 vcc, v3, v4
	s_andn2_b64 s[28:29], s[28:29], exec
	s_and_b64 s[34:35], vcc, exec
	s_or_b64 s[28:29], s[28:29], s[34:35]
	s_cbranch_execz .LBB46_664
	s_branch .LBB46_665
.LBB46_674:
	s_mov_b64 s[36:37], -1
	s_mov_b64 s[34:35], 0
	s_mov_b64 s[0:1], s[16:17]
	s_branch .LBB46_748
.LBB46_675:
	s_mov_b64 s[36:37], -1
	s_mov_b64 s[34:35], 0
	s_mov_b64 s[0:1], s[16:17]
	s_branch .LBB46_706
.LBB46_676:
	s_mov_b64 s[36:37], -1
	s_mov_b64 s[34:35], 0
	s_mov_b64 s[0:1], s[16:17]
	s_branch .LBB46_689
.LBB46_677:
	s_mov_b64 s[36:37], -1
	s_mov_b64 s[34:35], 0
	s_mov_b64 s[0:1], s[16:17]
	s_branch .LBB46_685
.LBB46_678:
	s_mov_b64 s[36:37], -1
	s_mov_b64 s[34:35], 0
	s_mov_b64 s[0:1], s[16:17]
.LBB46_679:
	s_and_b64 vcc, exec, s[36:37]
	s_cbranch_vccz .LBB46_684
; %bb.680:
	s_cmp_eq_u32 s41, 44
	s_mov_b64 s[0:1], -1
	s_cbranch_scc0 .LBB46_684
; %bb.681:
	v_cndmask_b32_e64 v4, 0, 1.0, s[28:29]
	v_lshrrev_b32_e32 v3, 23, v4
	s_movk_i32 s0, 0xff
	v_cmp_ne_u32_e32 vcc, s0, v3
	v_mov_b32_e32 v5, 0xff
	s_and_saveexec_b64 s[34:35], vcc
; %bb.682:
	s_mov_b32 s0, 0x3fffff
	v_and_b32_e32 v5, 0x400000, v4
	v_and_or_b32 v4, v4, s0, v3
	v_cmp_ne_u32_e32 vcc, 0, v5
	v_cmp_ne_u32_e64 s[0:1], 0, v4
	s_and_b64 s[0:1], vcc, s[0:1]
	v_cndmask_b32_e64 v4, 0, 1, s[0:1]
	v_add_u32_e32 v5, v3, v4
; %bb.683:
	s_or_b64 exec, exec, s[34:35]
	s_mov_b64 s[34:35], -1
	s_mov_b64 s[0:1], 0
	global_store_byte v[0:1], v5, off
.LBB46_684:
	s_mov_b64 s[36:37], 0
.LBB46_685:
	s_and_b64 vcc, exec, s[36:37]
	s_cbranch_vccz .LBB46_688
; %bb.686:
	s_cmp_eq_u32 s41, 29
	s_mov_b64 s[0:1], -1
	s_cbranch_scc0 .LBB46_688
; %bb.687:
	s_mov_b32 s0, 0
	v_cndmask_b32_e64 v3, 0, 1, s[28:29]
	v_mov_b32_e32 v4, s0
	global_store_dwordx2 v[0:1], v[3:4], off
	s_mov_b64 s[34:35], -1
	s_mov_b64 s[0:1], 0
.LBB46_688:
	s_mov_b64 s[36:37], 0
.LBB46_689:
	s_and_b64 vcc, exec, s[36:37]
	s_cbranch_vccz .LBB46_705
; %bb.690:
	s_cmp_lt_i32 s41, 27
	s_mov_b64 s[34:35], -1
	s_cbranch_scc1 .LBB46_696
; %bb.691:
	s_cmp_gt_i32 s41, 27
	s_cbranch_scc0 .LBB46_693
; %bb.692:
	v_cndmask_b32_e64 v3, 0, 1, s[28:29]
	s_mov_b64 s[34:35], 0
	global_store_dword v[0:1], v3, off
.LBB46_693:
	s_andn2_b64 vcc, exec, s[34:35]
	s_cbranch_vccnz .LBB46_695
; %bb.694:
	v_cndmask_b32_e64 v3, 0, 1, s[28:29]
	global_store_short v[0:1], v3, off
.LBB46_695:
	s_mov_b64 s[34:35], 0
.LBB46_696:
	s_andn2_b64 vcc, exec, s[34:35]
	s_cbranch_vccnz .LBB46_704
; %bb.697:
	v_cndmask_b32_e64 v4, 0, 1.0, s[28:29]
	s_mov_b32 s34, 0x43800000
	v_cmp_gt_u32_e32 vcc, s34, v4
	v_mov_b32_e32 v5, 0x80
	s_and_saveexec_b64 s[34:35], vcc
	s_cbranch_execz .LBB46_703
; %bb.698:
	s_mov_b32 s36, 0x3bffffff
	v_cmp_lt_u32_e32 vcc, s36, v4
	s_mov_b64 s[36:37], 0
                                        ; implicit-def: $vgpr3
	s_and_saveexec_b64 s[38:39], vcc
	s_xor_b64 s[38:39], exec, s[38:39]
	s_cbranch_execz .LBB46_805
; %bb.699:
	v_bfe_u32 v3, v4, 20, 1
	s_mov_b32 s42, 0x487ffff
	v_add3_u32 v3, v4, v3, s42
	s_mov_b64 s[36:37], exec
	v_lshrrev_b32_e32 v3, 20, v3
                                        ; implicit-def: $vgpr4
	s_andn2_saveexec_b64 s[38:39], s[38:39]
	s_cbranch_execnz .LBB46_806
.LBB46_700:
	s_or_b64 exec, exec, s[38:39]
	v_mov_b32_e32 v5, 0
	s_and_saveexec_b64 s[38:39], s[36:37]
.LBB46_701:
	v_mov_b32_e32 v5, v3
.LBB46_702:
	s_or_b64 exec, exec, s[38:39]
.LBB46_703:
	s_or_b64 exec, exec, s[34:35]
	global_store_byte v[0:1], v5, off
.LBB46_704:
	s_mov_b64 s[34:35], -1
.LBB46_705:
	s_mov_b64 s[36:37], 0
.LBB46_706:
	s_and_b64 vcc, exec, s[36:37]
	s_cbranch_vccz .LBB46_747
; %bb.707:
	s_cmp_gt_i32 s41, 22
	s_mov_b64 s[36:37], -1
	s_cbranch_scc0 .LBB46_739
; %bb.708:
	s_cmp_lt_i32 s41, 24
	s_mov_b64 s[34:35], -1
	s_cbranch_scc1 .LBB46_728
; %bb.709:
	s_cmp_gt_i32 s41, 24
	s_cbranch_scc0 .LBB46_717
; %bb.710:
	v_cndmask_b32_e64 v4, 0, 1.0, s[28:29]
	s_mov_b32 s34, 0x47800000
	v_cmp_gt_u32_e32 vcc, s34, v4
	v_mov_b32_e32 v5, 0x80
	s_and_saveexec_b64 s[34:35], vcc
	s_cbranch_execz .LBB46_716
; %bb.711:
	s_mov_b32 s36, 0x37ffffff
	v_cmp_lt_u32_e32 vcc, s36, v4
	s_mov_b64 s[36:37], 0
                                        ; implicit-def: $vgpr3
	s_and_saveexec_b64 s[38:39], vcc
	s_xor_b64 s[38:39], exec, s[38:39]
	s_cbranch_execz .LBB46_933
; %bb.712:
	v_bfe_u32 v3, v4, 21, 1
	s_mov_b32 s42, 0x88fffff
	v_add3_u32 v3, v4, v3, s42
	s_mov_b64 s[36:37], exec
	v_lshrrev_b32_e32 v3, 21, v3
                                        ; implicit-def: $vgpr4
	s_andn2_saveexec_b64 s[38:39], s[38:39]
	s_cbranch_execnz .LBB46_934
.LBB46_713:
	s_or_b64 exec, exec, s[38:39]
	v_mov_b32_e32 v5, 0
	s_and_saveexec_b64 s[38:39], s[36:37]
.LBB46_714:
	v_mov_b32_e32 v5, v3
.LBB46_715:
	s_or_b64 exec, exec, s[38:39]
.LBB46_716:
	s_or_b64 exec, exec, s[34:35]
	s_mov_b64 s[34:35], 0
	global_store_byte v[0:1], v5, off
.LBB46_717:
	s_and_b64 vcc, exec, s[34:35]
	s_cbranch_vccz .LBB46_727
; %bb.718:
	v_cndmask_b32_e64 v3, 0, 1.0, s[28:29]
	s_mov_b32 s34, 0x43f00000
	v_cmp_gt_u32_e32 vcc, s34, v3
                                        ; implicit-def: $vgpr4
	s_and_saveexec_b64 s[34:35], vcc
	s_xor_b64 s[34:35], exec, s[34:35]
	s_cbranch_execz .LBB46_724
; %bb.719:
	s_mov_b32 s36, 0x3c7fffff
	v_cmp_lt_u32_e32 vcc, s36, v3
                                        ; implicit-def: $vgpr4
	s_and_saveexec_b64 s[36:37], vcc
	s_xor_b64 s[36:37], exec, s[36:37]
; %bb.720:
	v_bfe_u32 v4, v3, 20, 1
	s_mov_b32 s38, 0x407ffff
	v_add3_u32 v3, v3, v4, s38
	v_lshrrev_b32_e32 v4, 20, v3
	v_and_b32_e32 v3, 0xff00000, v3
	s_mov_b32 s38, 0x7f00000
	v_mov_b32_e32 v5, 0x7e
	v_cmp_ne_u32_e32 vcc, s38, v3
	v_cndmask_b32_e32 v4, v5, v4, vcc
                                        ; implicit-def: $vgpr3
; %bb.721:
	s_andn2_saveexec_b64 s[36:37], s[36:37]
; %bb.722:
	v_add_f32_e32 v4, 0x46800000, v3
; %bb.723:
	s_or_b64 exec, exec, s[36:37]
                                        ; implicit-def: $vgpr3
.LBB46_724:
	s_andn2_saveexec_b64 s[34:35], s[34:35]
; %bb.725:
	s_mov_b32 s36, 0x7f800000
	v_mov_b32_e32 v4, 0x7e
	v_mov_b32_e32 v5, 0x7f
	v_cmp_lt_u32_e32 vcc, s36, v3
	v_cndmask_b32_e32 v4, v4, v5, vcc
; %bb.726:
	s_or_b64 exec, exec, s[34:35]
	global_store_byte v[0:1], v4, off
.LBB46_727:
	s_mov_b64 s[34:35], 0
.LBB46_728:
	s_andn2_b64 vcc, exec, s[34:35]
	s_cbranch_vccnz .LBB46_738
; %bb.729:
	v_cndmask_b32_e64 v3, 0, 1.0, s[28:29]
	s_mov_b32 s34, 0x47800000
	v_cmp_gt_u32_e32 vcc, s34, v3
                                        ; implicit-def: $vgpr4
	s_and_saveexec_b64 s[34:35], vcc
	s_xor_b64 s[34:35], exec, s[34:35]
	s_cbranch_execz .LBB46_735
; %bb.730:
	s_mov_b32 s36, 0x387fffff
	v_cmp_lt_u32_e32 vcc, s36, v3
                                        ; implicit-def: $vgpr4
	s_and_saveexec_b64 s[36:37], vcc
	s_xor_b64 s[36:37], exec, s[36:37]
; %bb.731:
	v_bfe_u32 v4, v3, 21, 1
	s_mov_b32 s38, 0x80fffff
	v_add3_u32 v3, v3, v4, s38
	v_lshrrev_b32_e32 v4, 21, v3
                                        ; implicit-def: $vgpr3
; %bb.732:
	s_andn2_saveexec_b64 s[36:37], s[36:37]
; %bb.733:
	v_add_f32_e32 v4, 0x43000000, v3
; %bb.734:
	s_or_b64 exec, exec, s[36:37]
                                        ; implicit-def: $vgpr3
.LBB46_735:
	s_andn2_saveexec_b64 s[34:35], s[34:35]
; %bb.736:
	s_mov_b32 s36, 0x7f800000
	v_mov_b32_e32 v4, 0x7c
	v_mov_b32_e32 v5, 0x7f
	v_cmp_lt_u32_e32 vcc, s36, v3
	v_cndmask_b32_e32 v4, v4, v5, vcc
; %bb.737:
	s_or_b64 exec, exec, s[34:35]
	global_store_byte v[0:1], v4, off
.LBB46_738:
	s_mov_b64 s[36:37], 0
	s_mov_b64 s[34:35], -1
.LBB46_739:
	s_andn2_b64 vcc, exec, s[36:37]
	s_cbranch_vccnz .LBB46_747
; %bb.740:
	s_cmp_gt_i32 s41, 14
	s_mov_b64 s[36:37], -1
	s_cbranch_scc0 .LBB46_744
; %bb.741:
	s_cmp_eq_u32 s41, 15
	s_mov_b64 s[0:1], -1
	s_cbranch_scc0 .LBB46_743
; %bb.742:
	v_cndmask_b32_e64 v3, 0, 1.0, s[28:29]
	v_bfe_u32 v4, v3, 16, 1
	s_movk_i32 s0, 0x7fff
	v_add3_u32 v3, v3, v4, s0
	global_store_short_d16_hi v[0:1], v3, off
	s_mov_b64 s[34:35], -1
	s_mov_b64 s[0:1], 0
.LBB46_743:
	s_mov_b64 s[36:37], 0
.LBB46_744:
	s_and_b64 vcc, exec, s[36:37]
	s_cbranch_vccz .LBB46_747
; %bb.745:
	s_cmp_eq_u32 s41, 11
	s_mov_b64 s[0:1], -1
	s_cbranch_scc0 .LBB46_747
; %bb.746:
	v_cndmask_b32_e64 v3, 0, 1, s[28:29]
	s_mov_b64 s[34:35], -1
	s_mov_b64 s[0:1], 0
	global_store_byte v[0:1], v3, off
.LBB46_747:
	s_mov_b64 s[36:37], 0
.LBB46_748:
	s_and_b64 vcc, exec, s[36:37]
	s_cbranch_vccz .LBB46_787
; %bb.749:
	s_and_b32 s36, 0xffff, s40
	s_cmp_lt_i32 s36, 5
	s_mov_b64 s[34:35], -1
	s_cbranch_scc1 .LBB46_770
; %bb.750:
	s_cmp_lt_i32 s36, 8
	s_cbranch_scc1 .LBB46_760
; %bb.751:
	s_cmp_lt_i32 s36, 9
	s_cbranch_scc1 .LBB46_757
; %bb.752:
	s_cmp_gt_i32 s36, 9
	s_cbranch_scc0 .LBB46_754
; %bb.753:
	v_cndmask_b32_e64 v3, 0, 1, s[28:29]
	v_cvt_f64_u32_e32 v[3:4], v3
	v_mov_b32_e32 v5, 0
	v_mov_b32_e32 v6, v5
	s_mov_b64 s[34:35], 0
	global_store_dwordx4 v[0:1], v[3:6], off
.LBB46_754:
	s_andn2_b64 vcc, exec, s[34:35]
	s_cbranch_vccnz .LBB46_756
; %bb.755:
	v_cndmask_b32_e64 v3, 0, 1.0, s[28:29]
	v_mov_b32_e32 v4, 0
	global_store_dwordx2 v[0:1], v[3:4], off
.LBB46_756:
	s_mov_b64 s[34:35], 0
.LBB46_757:
	s_andn2_b64 vcc, exec, s[34:35]
	s_cbranch_vccnz .LBB46_759
; %bb.758:
	v_cndmask_b32_e64 v3, 0, 1.0, s[28:29]
	v_cvt_f16_f32_e32 v3, v3
	global_store_dword v[0:1], v3, off
.LBB46_759:
	s_mov_b64 s[34:35], 0
.LBB46_760:
	s_andn2_b64 vcc, exec, s[34:35]
	s_cbranch_vccnz .LBB46_769
; %bb.761:
	s_cmp_lt_i32 s36, 6
	s_mov_b64 s[34:35], -1
	s_cbranch_scc1 .LBB46_767
; %bb.762:
	s_cmp_gt_i32 s36, 6
	s_cbranch_scc0 .LBB46_764
; %bb.763:
	v_cndmask_b32_e64 v3, 0, 1, s[28:29]
	v_cvt_f64_u32_e32 v[3:4], v3
	s_mov_b64 s[34:35], 0
	global_store_dwordx2 v[0:1], v[3:4], off
.LBB46_764:
	s_andn2_b64 vcc, exec, s[34:35]
	s_cbranch_vccnz .LBB46_766
; %bb.765:
	v_cndmask_b32_e64 v3, 0, 1.0, s[28:29]
	global_store_dword v[0:1], v3, off
.LBB46_766:
	s_mov_b64 s[34:35], 0
.LBB46_767:
	s_andn2_b64 vcc, exec, s[34:35]
	s_cbranch_vccnz .LBB46_769
; %bb.768:
	v_cndmask_b32_e64 v3, 0, 1.0, s[28:29]
	v_cvt_f16_f32_e32 v3, v3
	global_store_short v[0:1], v3, off
.LBB46_769:
	s_mov_b64 s[34:35], 0
.LBB46_770:
	s_andn2_b64 vcc, exec, s[34:35]
	s_cbranch_vccnz .LBB46_786
; %bb.771:
	s_cmp_lt_i32 s36, 2
	s_mov_b64 s[34:35], -1
	s_cbranch_scc1 .LBB46_781
; %bb.772:
	s_cmp_lt_i32 s36, 3
	s_cbranch_scc1 .LBB46_778
; %bb.773:
	s_cmp_gt_i32 s36, 3
	s_cbranch_scc0 .LBB46_775
; %bb.774:
	s_mov_b32 s34, 0
	v_cndmask_b32_e64 v3, 0, 1, s[28:29]
	v_mov_b32_e32 v4, s34
	s_mov_b64 s[34:35], 0
	global_store_dwordx2 v[0:1], v[3:4], off
.LBB46_775:
	s_andn2_b64 vcc, exec, s[34:35]
	s_cbranch_vccnz .LBB46_777
; %bb.776:
	v_cndmask_b32_e64 v3, 0, 1, s[28:29]
	global_store_dword v[0:1], v3, off
.LBB46_777:
	s_mov_b64 s[34:35], 0
.LBB46_778:
	s_andn2_b64 vcc, exec, s[34:35]
	s_cbranch_vccnz .LBB46_780
; %bb.779:
	v_cndmask_b32_e64 v3, 0, 1, s[28:29]
	global_store_short v[0:1], v3, off
.LBB46_780:
	s_mov_b64 s[34:35], 0
.LBB46_781:
	s_andn2_b64 vcc, exec, s[34:35]
	s_cbranch_vccnz .LBB46_786
; %bb.782:
	s_mov_b64 s[34:35], -1
	s_cmp_gt_i32 s36, 0
	v_cndmask_b32_e64 v3, 0, 1, s[28:29]
	s_cbranch_scc0 .LBB46_784
; %bb.783:
	s_mov_b64 s[34:35], 0
	global_store_byte v[0:1], v3, off
.LBB46_784:
	s_andn2_b64 vcc, exec, s[34:35]
	s_cbranch_vccnz .LBB46_786
; %bb.785:
	global_store_byte v[0:1], v3, off
.LBB46_786:
	s_mov_b64 s[34:35], -1
.LBB46_787:
	s_andn2_b64 vcc, exec, s[34:35]
	s_cbranch_vccnz .LBB46_800
; %bb.788:
	v_add_u32_e32 v2, 0x80, v2
	s_mov_b64 s[34:35], -1
.LBB46_789:
	s_andn2_b64 s[28:29], s[16:17], exec
	s_and_b64 s[0:1], s[0:1], exec
	s_or_b64 s[28:29], s[28:29], s[0:1]
	s_andn2_b64 s[0:1], s[18:19], exec
	s_and_b64 s[26:27], s[26:27], exec
	s_or_b64 s[26:27], s[0:1], s[26:27]
	;; [unrolled: 3-line block ×3, first 2 shown]
	s_orn2_b64 s[0:1], s[34:35], exec
.LBB46_790:
	s_or_b64 exec, exec, s[30:31]
	s_mov_b64 s[34:35], 0
	s_mov_b64 s[36:37], 0
	;; [unrolled: 1-line block ×3, first 2 shown]
                                        ; implicit-def: $sgpr56
                                        ; implicit-def: $vgpr0_vgpr1
                                        ; implicit-def: $vgpr3
	s_and_saveexec_b64 s[30:31], s[0:1]
	s_cbranch_execz .LBB46_1269
; %bb.791:
	v_cmp_gt_i32_e32 vcc, s48, v2
	s_mov_b64 s[46:47], -1
	s_mov_b64 s[0:1], s[24:25]
	s_mov_b64 s[38:39], s[26:27]
	;; [unrolled: 1-line block ×3, first 2 shown]
	s_and_saveexec_b64 s[34:35], vcc
	s_cbranch_execz .LBB46_1188
; %bb.792:
	v_mul_lo_u32 v0, v2, s13
	v_mov_b32_e32 v1, s11
	s_and_b32 s40, s55, 0xff
	s_cmp_lt_i32 s40, 11
	s_waitcnt vmcnt(0)
	v_ashrrev_i32_e32 v3, 31, v0
	v_add_co_u32_e32 v0, vcc, s10, v0
	v_addc_co_u32_e32 v1, vcc, v1, v3, vcc
	s_cbranch_scc1 .LBB46_799
; %bb.793:
	s_and_b32 s41, 0xffff, s40
	s_cmp_gt_i32 s41, 25
	s_cbranch_scc0 .LBB46_801
; %bb.794:
	s_cmp_gt_i32 s41, 28
	s_cbranch_scc0 .LBB46_802
; %bb.795:
	;; [unrolled: 3-line block ×4, first 2 shown]
	s_cmp_eq_u32 s41, 46
	s_mov_b64 s[38:39], 0
	s_cbranch_scc0 .LBB46_807
; %bb.798:
	global_load_dword v3, v[0:1], off
	s_mov_b64 s[0:1], -1
	s_waitcnt vmcnt(0)
	v_lshlrev_b32_e32 v3, 16, v3
	v_cvt_i32_f32_e32 v3, v3
	s_branch .LBB46_808
.LBB46_799:
	s_mov_b64 s[38:39], -1
	s_mov_b64 s[0:1], 0
                                        ; implicit-def: $vgpr3
	s_mov_b64 s[36:37], s[24:25]
	s_branch .LBB46_869
.LBB46_800:
	s_mov_b64 s[34:35], 0
	s_branch .LBB46_534
.LBB46_801:
	s_mov_b64 s[38:39], -1
	s_mov_b64 s[0:1], 0
	s_mov_b64 s[36:37], s[24:25]
                                        ; implicit-def: $vgpr3
	s_branch .LBB46_835
.LBB46_802:
	s_mov_b64 s[38:39], -1
	s_mov_b64 s[0:1], 0
	s_mov_b64 s[36:37], s[24:25]
                                        ; implicit-def: $vgpr3
	s_branch .LBB46_818
.LBB46_803:
	s_mov_b64 s[38:39], -1
	s_mov_b64 s[0:1], 0
	s_mov_b64 s[36:37], s[24:25]
                                        ; implicit-def: $vgpr3
	s_branch .LBB46_813
.LBB46_804:
	s_mov_b64 s[38:39], -1
	s_mov_b64 s[0:1], 0
	s_mov_b64 s[36:37], s[24:25]
                                        ; implicit-def: $vgpr3
	s_branch .LBB46_808
.LBB46_805:
	s_andn2_saveexec_b64 s[38:39], s[38:39]
	s_cbranch_execz .LBB46_700
.LBB46_806:
	v_add_f32_e32 v3, 0x46000000, v4
	v_and_b32_e32 v3, 0xff, v3
	v_cmp_ne_u32_e32 vcc, 0, v3
	s_andn2_b64 s[36:37], s[36:37], exec
	s_and_b64 s[42:43], vcc, exec
	s_or_b64 s[36:37], s[36:37], s[42:43]
	s_or_b64 exec, exec, s[38:39]
	v_mov_b32_e32 v5, 0
	s_and_saveexec_b64 s[38:39], s[36:37]
	s_cbranch_execnz .LBB46_701
	s_branch .LBB46_702
.LBB46_807:
	s_mov_b64 s[36:37], -1
                                        ; implicit-def: $vgpr3
	s_mov_b64 s[0:1], 0
.LBB46_808:
	s_and_b64 vcc, exec, s[38:39]
	s_cbranch_vccz .LBB46_812
; %bb.809:
	s_cmp_eq_u32 s41, 44
	s_cbranch_scc0 .LBB46_811
; %bb.810:
	global_load_ubyte v3, v[0:1], off
	s_mov_b64 s[0:1], -1
	s_mov_b64 s[36:37], 0
	s_waitcnt vmcnt(0)
	v_lshlrev_b32_e32 v4, 23, v3
	v_cvt_i32_f32_e32 v4, v4
	v_cmp_ne_u32_e32 vcc, 0, v3
	v_cndmask_b32_e32 v3, 0, v4, vcc
	s_branch .LBB46_812
.LBB46_811:
	s_mov_b64 s[36:37], -1
                                        ; implicit-def: $vgpr3
.LBB46_812:
	s_mov_b64 s[38:39], 0
.LBB46_813:
	s_and_b64 vcc, exec, s[38:39]
	s_cbranch_vccz .LBB46_817
; %bb.814:
	s_cmp_eq_u32 s41, 29
	s_cbranch_scc0 .LBB46_816
; %bb.815:
	global_load_dword v3, v[0:1], off
	s_mov_b64 s[0:1], -1
	s_mov_b64 s[36:37], 0
	s_branch .LBB46_817
.LBB46_816:
	s_mov_b64 s[36:37], -1
                                        ; implicit-def: $vgpr3
.LBB46_817:
	s_mov_b64 s[38:39], 0
.LBB46_818:
	s_and_b64 vcc, exec, s[38:39]
	s_cbranch_vccz .LBB46_834
; %bb.819:
	s_cmp_lt_i32 s41, 27
	s_cbranch_scc1 .LBB46_822
; %bb.820:
	s_cmp_gt_i32 s41, 27
	s_cbranch_scc0 .LBB46_823
; %bb.821:
	global_load_dword v3, v[0:1], off
	s_mov_b64 s[0:1], 0
	s_branch .LBB46_824
.LBB46_822:
	s_mov_b64 s[0:1], -1
                                        ; implicit-def: $vgpr3
	s_branch .LBB46_827
.LBB46_823:
	s_mov_b64 s[0:1], -1
                                        ; implicit-def: $vgpr3
.LBB46_824:
	s_andn2_b64 vcc, exec, s[0:1]
	s_cbranch_vccnz .LBB46_826
; %bb.825:
	global_load_ushort v3, v[0:1], off
.LBB46_826:
	s_mov_b64 s[0:1], 0
.LBB46_827:
	s_andn2_b64 vcc, exec, s[0:1]
	s_cbranch_vccnz .LBB46_833
; %bb.828:
	global_load_ubyte v4, v[0:1], off
	s_movk_i32 s0, 0x7f
	s_mov_b64 s[38:39], 0
	s_waitcnt vmcnt(0)
	v_cmp_lt_i16_e32 vcc, s0, v4
	s_and_saveexec_b64 s[0:1], vcc
	s_xor_b64 s[0:1], exec, s[0:1]
	s_cbranch_execz .LBB46_845
; %bb.829:
	s_movk_i32 s38, 0x80
	v_cmp_ne_u16_e32 vcc, s38, v4
	s_and_b64 s[38:39], vcc, exec
	s_andn2_saveexec_b64 s[0:1], s[0:1]
	s_cbranch_execnz .LBB46_846
.LBB46_830:
	s_or_b64 exec, exec, s[0:1]
	v_mov_b32_e32 v3, 0
	s_and_saveexec_b64 s[0:1], s[38:39]
	s_cbranch_execz .LBB46_832
.LBB46_831:
	v_lshlrev_b32_e32 v3, 24, v4
	v_and_b32_e32 v4, 0xffff, v4
	v_and_b32_e32 v5, 7, v4
	v_ffbh_u32_e32 v7, v5
	v_min_u32_e32 v7, 32, v7
	v_subrev_u32_e32 v8, 28, v7
	v_bfe_u32 v6, v4, 3, 4
	v_lshlrev_b32_e32 v4, v8, v4
	v_sub_u32_e32 v7, 29, v7
	v_and_b32_e32 v4, 7, v4
	v_cmp_eq_u32_e32 vcc, 0, v6
	v_cndmask_b32_e32 v6, v6, v7, vcc
	v_cndmask_b32_e32 v4, v5, v4, vcc
	v_mov_b32_e32 v5, 0x3b800000
	v_lshlrev_b32_e32 v4, 20, v4
	v_and_b32_e32 v3, 0x80000000, v3
	v_lshl_add_u32 v5, v6, 23, v5
	v_or3_b32 v3, v3, v5, v4
	v_cvt_i32_f32_e32 v3, v3
.LBB46_832:
	s_or_b64 exec, exec, s[0:1]
.LBB46_833:
	s_mov_b64 s[0:1], -1
.LBB46_834:
	s_mov_b64 s[38:39], 0
.LBB46_835:
	s_and_b64 vcc, exec, s[38:39]
	s_cbranch_vccz .LBB46_868
; %bb.836:
	s_cmp_gt_i32 s41, 22
	s_cbranch_scc0 .LBB46_844
; %bb.837:
	s_cmp_lt_i32 s41, 24
	s_cbranch_scc1 .LBB46_847
; %bb.838:
	s_cmp_gt_i32 s41, 24
	s_cbranch_scc0 .LBB46_848
; %bb.839:
	global_load_ubyte v4, v[0:1], off
	s_movk_i32 s0, 0x7f
	s_mov_b64 s[38:39], 0
	s_waitcnt vmcnt(0)
	v_cmp_lt_i16_e32 vcc, s0, v4
	s_and_saveexec_b64 s[0:1], vcc
	s_xor_b64 s[0:1], exec, s[0:1]
	s_cbranch_execz .LBB46_860
; %bb.840:
	s_movk_i32 s38, 0x80
	v_cmp_ne_u16_e32 vcc, s38, v4
	s_and_b64 s[38:39], vcc, exec
	s_andn2_saveexec_b64 s[0:1], s[0:1]
	s_cbranch_execnz .LBB46_861
.LBB46_841:
	s_or_b64 exec, exec, s[0:1]
	v_mov_b32_e32 v3, 0
	s_and_saveexec_b64 s[0:1], s[38:39]
	s_cbranch_execz .LBB46_843
.LBB46_842:
	v_lshlrev_b32_e32 v3, 24, v4
	v_and_b32_e32 v4, 0xffff, v4
	v_and_b32_e32 v5, 3, v4
	v_ffbh_u32_e32 v7, v5
	v_min_u32_e32 v7, 32, v7
	v_subrev_u32_e32 v8, 29, v7
	v_bfe_u32 v6, v4, 2, 5
	v_lshlrev_b32_e32 v4, v8, v4
	v_sub_u32_e32 v7, 30, v7
	v_and_b32_e32 v4, 3, v4
	v_cmp_eq_u32_e32 vcc, 0, v6
	v_cndmask_b32_e32 v6, v6, v7, vcc
	v_cndmask_b32_e32 v4, v5, v4, vcc
	v_mov_b32_e32 v5, 0x37800000
	v_lshlrev_b32_e32 v4, 21, v4
	v_and_b32_e32 v3, 0x80000000, v3
	v_lshl_add_u32 v5, v6, 23, v5
	v_or3_b32 v3, v3, v5, v4
	v_cvt_i32_f32_e32 v3, v3
.LBB46_843:
	s_or_b64 exec, exec, s[0:1]
	s_mov_b64 s[0:1], 0
	s_branch .LBB46_849
.LBB46_844:
	s_mov_b64 s[38:39], -1
                                        ; implicit-def: $vgpr3
	s_branch .LBB46_855
.LBB46_845:
	s_andn2_saveexec_b64 s[0:1], s[0:1]
	s_cbranch_execz .LBB46_830
.LBB46_846:
	v_cmp_ne_u16_e32 vcc, 0, v4
	s_andn2_b64 s[38:39], s[38:39], exec
	s_and_b64 s[42:43], vcc, exec
	s_or_b64 s[38:39], s[38:39], s[42:43]
	s_or_b64 exec, exec, s[0:1]
	v_mov_b32_e32 v3, 0
	s_and_saveexec_b64 s[0:1], s[38:39]
	s_cbranch_execnz .LBB46_831
	s_branch .LBB46_832
.LBB46_847:
	s_mov_b64 s[0:1], -1
                                        ; implicit-def: $vgpr3
	s_branch .LBB46_852
.LBB46_848:
	s_mov_b64 s[0:1], -1
                                        ; implicit-def: $vgpr3
.LBB46_849:
	s_and_b64 vcc, exec, s[0:1]
	s_cbranch_vccz .LBB46_851
; %bb.850:
	global_load_ubyte v3, v[0:1], off
	s_mov_b32 s0, 0x7f800000
	s_waitcnt vmcnt(0)
	v_lshlrev_b32_e32 v3, 24, v3
	v_and_b32_e32 v4, 0x7f000000, v3
	v_ffbh_u32_e32 v5, v4
	v_min_u32_e32 v5, 32, v5
	v_sub_u32_e64 v5, v5, 4 clamp
	v_lshlrev_b32_e32 v7, v5, v4
	v_lshlrev_b32_e32 v5, 23, v5
	v_lshrrev_b32_e32 v7, 4, v7
	v_add_u32_e32 v6, 0x1000000, v4
	v_sub_u32_e32 v5, v7, v5
	v_ashrrev_i32_e32 v6, 8, v6
	v_add_u32_e32 v5, 0x3c000000, v5
	v_and_or_b32 v5, v6, s0, v5
	v_cmp_ne_u32_e32 vcc, 0, v4
	v_cndmask_b32_e32 v4, 0, v5, vcc
	s_brev_b32 s0, 1
	v_and_or_b32 v3, v3, s0, v4
	v_cvt_i32_f32_e32 v3, v3
.LBB46_851:
	s_mov_b64 s[0:1], 0
.LBB46_852:
	s_andn2_b64 vcc, exec, s[0:1]
	s_cbranch_vccnz .LBB46_854
; %bb.853:
	global_load_ubyte v3, v[0:1], off
	s_movk_i32 s0, 0x7f00
	s_brev_b32 s1, 16
	s_waitcnt vmcnt(0)
	v_lshlrev_b16_e32 v4, 8, v3
	v_lshlrev_b32_e32 v3, 25, v3
	v_lshrrev_b32_e32 v5, 4, v3
	v_and_or_b32 v6, v4, s0, 0.5
	v_or_b32_e32 v5, 0x70000000, v5
	v_add_f32_e32 v6, -0.5, v6
	v_mul_f32_e32 v5, 0x7800000, v5
	v_cmp_gt_u32_e32 vcc, s1, v3
	v_bfe_i32 v4, v4, 0, 16
	v_cndmask_b32_e32 v3, v5, v6, vcc
	s_brev_b32 s0, 1
	v_and_or_b32 v3, v4, s0, v3
	v_cvt_i32_f32_e32 v3, v3
.LBB46_854:
	s_mov_b64 s[38:39], 0
	s_mov_b64 s[0:1], -1
.LBB46_855:
	s_andn2_b64 vcc, exec, s[38:39]
	s_cbranch_vccnz .LBB46_868
; %bb.856:
	s_cmp_gt_i32 s41, 14
	s_cbranch_scc0 .LBB46_859
; %bb.857:
	s_cmp_eq_u32 s41, 15
	s_cbranch_scc0 .LBB46_862
; %bb.858:
	global_load_ushort v3, v[0:1], off
	s_mov_b64 s[0:1], -1
	s_mov_b64 s[36:37], 0
	s_waitcnt vmcnt(0)
	v_lshlrev_b32_e32 v3, 16, v3
	v_cvt_i32_f32_e32 v3, v3
	s_branch .LBB46_863
.LBB46_859:
	s_mov_b64 s[38:39], -1
                                        ; implicit-def: $vgpr3
	s_branch .LBB46_864
.LBB46_860:
	s_andn2_saveexec_b64 s[0:1], s[0:1]
	s_cbranch_execz .LBB46_841
.LBB46_861:
	v_cmp_ne_u16_e32 vcc, 0, v4
	s_andn2_b64 s[38:39], s[38:39], exec
	s_and_b64 s[42:43], vcc, exec
	s_or_b64 s[38:39], s[38:39], s[42:43]
	s_or_b64 exec, exec, s[0:1]
	v_mov_b32_e32 v3, 0
	s_and_saveexec_b64 s[0:1], s[38:39]
	s_cbranch_execnz .LBB46_842
	s_branch .LBB46_843
.LBB46_862:
	s_mov_b64 s[36:37], -1
                                        ; implicit-def: $vgpr3
.LBB46_863:
	s_mov_b64 s[38:39], 0
.LBB46_864:
	s_and_b64 vcc, exec, s[38:39]
	s_cbranch_vccz .LBB46_868
; %bb.865:
	s_cmp_eq_u32 s41, 11
	s_cbranch_scc0 .LBB46_867
; %bb.866:
	global_load_ubyte v3, v[0:1], off
	s_mov_b64 s[0:1], -1
	s_mov_b64 s[36:37], 0
	s_waitcnt vmcnt(0)
	v_cmp_ne_u16_e32 vcc, 0, v3
	v_cndmask_b32_e64 v3, 0, 1, vcc
	s_branch .LBB46_868
.LBB46_867:
	s_mov_b64 s[36:37], -1
                                        ; implicit-def: $vgpr3
.LBB46_868:
	s_mov_b64 s[38:39], 0
.LBB46_869:
	s_and_b64 vcc, exec, s[38:39]
	s_cbranch_vccz .LBB46_918
; %bb.870:
	s_and_b32 s38, 0xffff, s40
	s_cmp_lt_i32 s38, 5
	s_cbranch_scc1 .LBB46_875
; %bb.871:
	s_cmp_lt_i32 s38, 8
	s_cbranch_scc1 .LBB46_876
; %bb.872:
	;; [unrolled: 3-line block ×3, first 2 shown]
	s_cmp_gt_i32 s38, 9
	s_cbranch_scc0 .LBB46_878
; %bb.874:
	global_load_dwordx2 v[3:4], v[0:1], off
	s_mov_b64 s[0:1], 0
	s_waitcnt vmcnt(0)
	v_cvt_i32_f64_e32 v3, v[3:4]
	s_branch .LBB46_879
.LBB46_875:
	s_mov_b64 s[0:1], -1
                                        ; implicit-def: $vgpr3
	s_branch .LBB46_897
.LBB46_876:
	s_mov_b64 s[0:1], -1
                                        ; implicit-def: $vgpr3
	s_branch .LBB46_885
.LBB46_877:
	s_mov_b64 s[0:1], -1
                                        ; implicit-def: $vgpr3
	s_branch .LBB46_882
.LBB46_878:
	s_mov_b64 s[0:1], -1
                                        ; implicit-def: $vgpr3
.LBB46_879:
	s_andn2_b64 vcc, exec, s[0:1]
	s_cbranch_vccnz .LBB46_881
; %bb.880:
	global_load_dword v3, v[0:1], off
	s_waitcnt vmcnt(0)
	v_cvt_i32_f32_e32 v3, v3
.LBB46_881:
	s_mov_b64 s[0:1], 0
.LBB46_882:
	s_andn2_b64 vcc, exec, s[0:1]
	s_cbranch_vccnz .LBB46_884
; %bb.883:
	global_load_dword v3, v[0:1], off
	s_waitcnt vmcnt(0)
	v_cvt_f32_f16_e32 v3, v3
	v_cvt_i32_f32_e32 v3, v3
.LBB46_884:
	s_mov_b64 s[0:1], 0
.LBB46_885:
	s_andn2_b64 vcc, exec, s[0:1]
	s_cbranch_vccnz .LBB46_896
; %bb.886:
	s_cmp_lt_i32 s38, 6
	s_cbranch_scc1 .LBB46_889
; %bb.887:
	s_cmp_gt_i32 s38, 6
	s_cbranch_scc0 .LBB46_890
; %bb.888:
	global_load_dwordx2 v[3:4], v[0:1], off
	s_mov_b64 s[0:1], 0
	s_waitcnt vmcnt(0)
	v_cvt_i32_f64_e32 v3, v[3:4]
	s_branch .LBB46_891
.LBB46_889:
	s_mov_b64 s[0:1], -1
                                        ; implicit-def: $vgpr3
	s_branch .LBB46_894
.LBB46_890:
	s_mov_b64 s[0:1], -1
                                        ; implicit-def: $vgpr3
.LBB46_891:
	s_andn2_b64 vcc, exec, s[0:1]
	s_cbranch_vccnz .LBB46_893
; %bb.892:
	global_load_dword v3, v[0:1], off
	s_waitcnt vmcnt(0)
	v_cvt_i32_f32_e32 v3, v3
.LBB46_893:
	s_mov_b64 s[0:1], 0
.LBB46_894:
	s_andn2_b64 vcc, exec, s[0:1]
	s_cbranch_vccnz .LBB46_896
; %bb.895:
	global_load_ushort v3, v[0:1], off
	s_waitcnt vmcnt(0)
	v_cvt_f32_f16_e32 v3, v3
	v_cvt_i32_f32_e32 v3, v3
.LBB46_896:
	s_mov_b64 s[0:1], 0
.LBB46_897:
	s_andn2_b64 vcc, exec, s[0:1]
	s_cbranch_vccnz .LBB46_917
; %bb.898:
	s_cmp_lt_i32 s38, 2
	s_cbranch_scc1 .LBB46_902
; %bb.899:
	s_cmp_lt_i32 s38, 3
	s_cbranch_scc1 .LBB46_903
; %bb.900:
	s_cmp_gt_i32 s38, 3
	s_cbranch_scc0 .LBB46_904
; %bb.901:
	global_load_dword v3, v[0:1], off
	s_mov_b64 s[0:1], 0
	s_branch .LBB46_905
.LBB46_902:
	s_mov_b64 s[0:1], -1
                                        ; implicit-def: $vgpr3
	s_branch .LBB46_911
.LBB46_903:
	s_mov_b64 s[0:1], -1
                                        ; implicit-def: $vgpr3
	s_branch .LBB46_908
.LBB46_904:
	s_mov_b64 s[0:1], -1
                                        ; implicit-def: $vgpr3
.LBB46_905:
	s_andn2_b64 vcc, exec, s[0:1]
	s_cbranch_vccnz .LBB46_907
; %bb.906:
	global_load_dword v3, v[0:1], off
.LBB46_907:
	s_mov_b64 s[0:1], 0
.LBB46_908:
	s_andn2_b64 vcc, exec, s[0:1]
	s_cbranch_vccnz .LBB46_910
; %bb.909:
	global_load_sshort v3, v[0:1], off
.LBB46_910:
	s_mov_b64 s[0:1], 0
.LBB46_911:
	s_andn2_b64 vcc, exec, s[0:1]
	s_cbranch_vccnz .LBB46_917
; %bb.912:
	s_cmp_gt_i32 s38, 0
	s_cbranch_scc0 .LBB46_914
; %bb.913:
	global_load_sbyte v3, v[0:1], off
	s_mov_b64 s[0:1], 0
	s_branch .LBB46_915
.LBB46_914:
	s_mov_b64 s[0:1], -1
                                        ; implicit-def: $vgpr3
.LBB46_915:
	s_andn2_b64 vcc, exec, s[0:1]
	s_cbranch_vccnz .LBB46_917
; %bb.916:
	global_load_ubyte v3, v[0:1], off
.LBB46_917:
	s_mov_b64 s[0:1], -1
.LBB46_918:
	s_andn2_b64 vcc, exec, s[0:1]
	s_cbranch_vccnz .LBB46_926
; %bb.919:
	v_mul_lo_u32 v0, v2, s14
	v_mov_b32_e32 v1, s3
	s_and_b32 s42, s54, 0xff
	s_cmp_lt_i32 s42, 11
	v_ashrrev_i32_e32 v4, 31, v0
	v_add_co_u32_e32 v0, vcc, s2, v0
	v_addc_co_u32_e32 v1, vcc, v1, v4, vcc
	s_cbranch_scc1 .LBB46_928
; %bb.920:
	s_and_b32 s43, 0xffff, s42
	s_cmp_gt_i32 s43, 25
	s_cbranch_scc0 .LBB46_929
; %bb.921:
	s_cmp_gt_i32 s43, 28
	s_cbranch_scc0 .LBB46_930
; %bb.922:
	;; [unrolled: 3-line block ×4, first 2 shown]
	s_cmp_eq_u32 s43, 46
	s_mov_b64 s[40:41], 0
	s_cbranch_scc0 .LBB46_935
; %bb.925:
	global_load_dword v4, v[0:1], off
	s_mov_b64 s[0:1], -1
	s_mov_b64 s[38:39], 0
	s_waitcnt vmcnt(0)
	v_lshlrev_b32_e32 v4, 16, v4
	v_cvt_i32_f32_e32 v4, v4
	s_branch .LBB46_936
.LBB46_926:
	s_mov_b64 s[42:43], 0
	s_mov_b64 s[0:1], s[28:29]
	;; [unrolled: 1-line block ×3, first 2 shown]
.LBB46_927:
                                        ; implicit-def: $vgpr2
	s_branch .LBB46_1187
.LBB46_928:
	s_mov_b64 s[40:41], -1
	s_mov_b64 s[0:1], 0
                                        ; implicit-def: $vgpr4
	s_mov_b64 s[38:39], s[26:27]
	s_branch .LBB46_997
.LBB46_929:
	s_mov_b64 s[40:41], -1
	s_mov_b64 s[0:1], 0
	s_mov_b64 s[38:39], s[26:27]
                                        ; implicit-def: $vgpr4
	s_branch .LBB46_963
.LBB46_930:
	s_mov_b64 s[40:41], -1
	s_mov_b64 s[0:1], 0
	s_mov_b64 s[38:39], s[26:27]
                                        ; implicit-def: $vgpr4
	s_branch .LBB46_946
.LBB46_931:
	s_mov_b64 s[40:41], -1
	s_mov_b64 s[0:1], 0
	s_mov_b64 s[38:39], s[26:27]
                                        ; implicit-def: $vgpr4
	s_branch .LBB46_941
.LBB46_932:
	s_mov_b64 s[40:41], -1
	s_mov_b64 s[0:1], 0
	s_mov_b64 s[38:39], s[26:27]
                                        ; implicit-def: $vgpr4
	s_branch .LBB46_936
.LBB46_933:
	s_andn2_saveexec_b64 s[38:39], s[38:39]
	s_cbranch_execz .LBB46_713
.LBB46_934:
	v_add_f32_e32 v3, 0x42800000, v4
	v_and_b32_e32 v3, 0xff, v3
	v_cmp_ne_u32_e32 vcc, 0, v3
	s_andn2_b64 s[36:37], s[36:37], exec
	s_and_b64 s[42:43], vcc, exec
	s_or_b64 s[36:37], s[36:37], s[42:43]
	s_or_b64 exec, exec, s[38:39]
	v_mov_b32_e32 v5, 0
	s_and_saveexec_b64 s[38:39], s[36:37]
	s_cbranch_execnz .LBB46_714
	s_branch .LBB46_715
.LBB46_935:
	s_mov_b64 s[38:39], -1
                                        ; implicit-def: $vgpr4
	s_mov_b64 s[0:1], 0
.LBB46_936:
	s_and_b64 vcc, exec, s[40:41]
	s_cbranch_vccz .LBB46_940
; %bb.937:
	s_cmp_eq_u32 s43, 44
	s_cbranch_scc0 .LBB46_939
; %bb.938:
	global_load_ubyte v4, v[0:1], off
	s_mov_b64 s[0:1], -1
	s_mov_b64 s[38:39], 0
	s_waitcnt vmcnt(0)
	v_lshlrev_b32_e32 v5, 23, v4
	v_cvt_i32_f32_e32 v5, v5
	v_cmp_ne_u32_e32 vcc, 0, v4
	v_cndmask_b32_e32 v4, 0, v5, vcc
	s_branch .LBB46_940
.LBB46_939:
	s_mov_b64 s[38:39], -1
                                        ; implicit-def: $vgpr4
.LBB46_940:
	s_mov_b64 s[40:41], 0
.LBB46_941:
	s_and_b64 vcc, exec, s[40:41]
	s_cbranch_vccz .LBB46_945
; %bb.942:
	s_cmp_eq_u32 s43, 29
	s_cbranch_scc0 .LBB46_944
; %bb.943:
	global_load_dword v4, v[0:1], off
	s_mov_b64 s[0:1], -1
	s_mov_b64 s[38:39], 0
	s_branch .LBB46_945
.LBB46_944:
	s_mov_b64 s[38:39], -1
                                        ; implicit-def: $vgpr4
.LBB46_945:
	s_mov_b64 s[40:41], 0
.LBB46_946:
	s_and_b64 vcc, exec, s[40:41]
	s_cbranch_vccz .LBB46_962
; %bb.947:
	s_cmp_lt_i32 s43, 27
	s_cbranch_scc1 .LBB46_950
; %bb.948:
	s_cmp_gt_i32 s43, 27
	s_cbranch_scc0 .LBB46_951
; %bb.949:
	global_load_dword v4, v[0:1], off
	s_mov_b64 s[0:1], 0
	s_branch .LBB46_952
.LBB46_950:
	s_mov_b64 s[0:1], -1
                                        ; implicit-def: $vgpr4
	s_branch .LBB46_955
.LBB46_951:
	s_mov_b64 s[0:1], -1
                                        ; implicit-def: $vgpr4
.LBB46_952:
	s_andn2_b64 vcc, exec, s[0:1]
	s_cbranch_vccnz .LBB46_954
; %bb.953:
	global_load_ushort v4, v[0:1], off
.LBB46_954:
	s_mov_b64 s[0:1], 0
.LBB46_955:
	s_andn2_b64 vcc, exec, s[0:1]
	s_cbranch_vccnz .LBB46_961
; %bb.956:
	global_load_ubyte v5, v[0:1], off
	s_movk_i32 s0, 0x7f
	s_mov_b64 s[40:41], 0
	s_waitcnt vmcnt(0)
	v_cmp_lt_i16_e32 vcc, s0, v5
	s_and_saveexec_b64 s[0:1], vcc
	s_xor_b64 s[0:1], exec, s[0:1]
	s_cbranch_execz .LBB46_973
; %bb.957:
	s_movk_i32 s40, 0x80
	v_cmp_ne_u16_e32 vcc, s40, v5
	s_and_b64 s[40:41], vcc, exec
	s_andn2_saveexec_b64 s[0:1], s[0:1]
	s_cbranch_execnz .LBB46_974
.LBB46_958:
	s_or_b64 exec, exec, s[0:1]
	v_mov_b32_e32 v4, 0
	s_and_saveexec_b64 s[0:1], s[40:41]
	s_cbranch_execz .LBB46_960
.LBB46_959:
	v_lshlrev_b32_e32 v4, 24, v5
	v_and_b32_e32 v5, 0xffff, v5
	v_and_b32_e32 v6, 7, v5
	v_ffbh_u32_e32 v8, v6
	v_min_u32_e32 v8, 32, v8
	v_subrev_u32_e32 v9, 28, v8
	v_bfe_u32 v7, v5, 3, 4
	v_lshlrev_b32_e32 v5, v9, v5
	v_sub_u32_e32 v8, 29, v8
	v_and_b32_e32 v5, 7, v5
	v_cmp_eq_u32_e32 vcc, 0, v7
	v_cndmask_b32_e32 v7, v7, v8, vcc
	v_cndmask_b32_e32 v5, v6, v5, vcc
	v_mov_b32_e32 v6, 0x3b800000
	v_lshlrev_b32_e32 v5, 20, v5
	v_and_b32_e32 v4, 0x80000000, v4
	v_lshl_add_u32 v6, v7, 23, v6
	v_or3_b32 v4, v4, v6, v5
	v_cvt_i32_f32_e32 v4, v4
.LBB46_960:
	s_or_b64 exec, exec, s[0:1]
.LBB46_961:
	s_mov_b64 s[0:1], -1
.LBB46_962:
	s_mov_b64 s[40:41], 0
.LBB46_963:
	s_and_b64 vcc, exec, s[40:41]
	s_cbranch_vccz .LBB46_996
; %bb.964:
	s_cmp_gt_i32 s43, 22
	s_cbranch_scc0 .LBB46_972
; %bb.965:
	s_cmp_lt_i32 s43, 24
	s_cbranch_scc1 .LBB46_975
; %bb.966:
	s_cmp_gt_i32 s43, 24
	s_cbranch_scc0 .LBB46_976
; %bb.967:
	global_load_ubyte v5, v[0:1], off
	s_movk_i32 s0, 0x7f
	s_mov_b64 s[40:41], 0
	s_waitcnt vmcnt(0)
	v_cmp_lt_i16_e32 vcc, s0, v5
	s_and_saveexec_b64 s[0:1], vcc
	s_xor_b64 s[0:1], exec, s[0:1]
	s_cbranch_execz .LBB46_988
; %bb.968:
	s_movk_i32 s40, 0x80
	v_cmp_ne_u16_e32 vcc, s40, v5
	s_and_b64 s[40:41], vcc, exec
	s_andn2_saveexec_b64 s[0:1], s[0:1]
	s_cbranch_execnz .LBB46_989
.LBB46_969:
	s_or_b64 exec, exec, s[0:1]
	v_mov_b32_e32 v4, 0
	s_and_saveexec_b64 s[0:1], s[40:41]
	s_cbranch_execz .LBB46_971
.LBB46_970:
	v_lshlrev_b32_e32 v4, 24, v5
	v_and_b32_e32 v5, 0xffff, v5
	v_and_b32_e32 v6, 3, v5
	v_ffbh_u32_e32 v8, v6
	v_min_u32_e32 v8, 32, v8
	v_subrev_u32_e32 v9, 29, v8
	v_bfe_u32 v7, v5, 2, 5
	v_lshlrev_b32_e32 v5, v9, v5
	v_sub_u32_e32 v8, 30, v8
	v_and_b32_e32 v5, 3, v5
	v_cmp_eq_u32_e32 vcc, 0, v7
	v_cndmask_b32_e32 v7, v7, v8, vcc
	v_cndmask_b32_e32 v5, v6, v5, vcc
	v_mov_b32_e32 v6, 0x37800000
	v_lshlrev_b32_e32 v5, 21, v5
	v_and_b32_e32 v4, 0x80000000, v4
	v_lshl_add_u32 v6, v7, 23, v6
	v_or3_b32 v4, v4, v6, v5
	v_cvt_i32_f32_e32 v4, v4
.LBB46_971:
	s_or_b64 exec, exec, s[0:1]
	s_mov_b64 s[0:1], 0
	s_branch .LBB46_977
.LBB46_972:
	s_mov_b64 s[40:41], -1
                                        ; implicit-def: $vgpr4
	s_branch .LBB46_983
.LBB46_973:
	s_andn2_saveexec_b64 s[0:1], s[0:1]
	s_cbranch_execz .LBB46_958
.LBB46_974:
	v_cmp_ne_u16_e32 vcc, 0, v5
	s_andn2_b64 s[40:41], s[40:41], exec
	s_and_b64 s[44:45], vcc, exec
	s_or_b64 s[40:41], s[40:41], s[44:45]
	s_or_b64 exec, exec, s[0:1]
	v_mov_b32_e32 v4, 0
	s_and_saveexec_b64 s[0:1], s[40:41]
	s_cbranch_execnz .LBB46_959
	s_branch .LBB46_960
.LBB46_975:
	s_mov_b64 s[0:1], -1
                                        ; implicit-def: $vgpr4
	s_branch .LBB46_980
.LBB46_976:
	s_mov_b64 s[0:1], -1
                                        ; implicit-def: $vgpr4
.LBB46_977:
	s_and_b64 vcc, exec, s[0:1]
	s_cbranch_vccz .LBB46_979
; %bb.978:
	global_load_ubyte v4, v[0:1], off
	s_mov_b32 s0, 0x7f800000
	s_waitcnt vmcnt(0)
	v_lshlrev_b32_e32 v4, 24, v4
	v_and_b32_e32 v5, 0x7f000000, v4
	v_ffbh_u32_e32 v6, v5
	v_min_u32_e32 v6, 32, v6
	v_sub_u32_e64 v6, v6, 4 clamp
	v_lshlrev_b32_e32 v8, v6, v5
	v_lshlrev_b32_e32 v6, 23, v6
	v_lshrrev_b32_e32 v8, 4, v8
	v_add_u32_e32 v7, 0x1000000, v5
	v_sub_u32_e32 v6, v8, v6
	v_ashrrev_i32_e32 v7, 8, v7
	v_add_u32_e32 v6, 0x3c000000, v6
	v_and_or_b32 v6, v7, s0, v6
	v_cmp_ne_u32_e32 vcc, 0, v5
	v_cndmask_b32_e32 v5, 0, v6, vcc
	s_brev_b32 s0, 1
	v_and_or_b32 v4, v4, s0, v5
	v_cvt_i32_f32_e32 v4, v4
.LBB46_979:
	s_mov_b64 s[0:1], 0
.LBB46_980:
	s_andn2_b64 vcc, exec, s[0:1]
	s_cbranch_vccnz .LBB46_982
; %bb.981:
	global_load_ubyte v4, v[0:1], off
	s_movk_i32 s0, 0x7f00
	s_brev_b32 s1, 16
	s_waitcnt vmcnt(0)
	v_lshlrev_b16_e32 v5, 8, v4
	v_lshlrev_b32_e32 v4, 25, v4
	v_lshrrev_b32_e32 v6, 4, v4
	v_and_or_b32 v7, v5, s0, 0.5
	v_or_b32_e32 v6, 0x70000000, v6
	v_add_f32_e32 v7, -0.5, v7
	v_mul_f32_e32 v6, 0x7800000, v6
	v_cmp_gt_u32_e32 vcc, s1, v4
	v_bfe_i32 v5, v5, 0, 16
	v_cndmask_b32_e32 v4, v6, v7, vcc
	s_brev_b32 s0, 1
	v_and_or_b32 v4, v5, s0, v4
	v_cvt_i32_f32_e32 v4, v4
.LBB46_982:
	s_mov_b64 s[40:41], 0
	s_mov_b64 s[0:1], -1
.LBB46_983:
	s_andn2_b64 vcc, exec, s[40:41]
	s_cbranch_vccnz .LBB46_996
; %bb.984:
	s_cmp_gt_i32 s43, 14
	s_cbranch_scc0 .LBB46_987
; %bb.985:
	s_cmp_eq_u32 s43, 15
	s_cbranch_scc0 .LBB46_990
; %bb.986:
	global_load_ushort v4, v[0:1], off
	s_mov_b64 s[0:1], -1
	s_mov_b64 s[38:39], 0
	s_waitcnt vmcnt(0)
	v_lshlrev_b32_e32 v4, 16, v4
	v_cvt_i32_f32_e32 v4, v4
	s_branch .LBB46_991
.LBB46_987:
	s_mov_b64 s[40:41], -1
                                        ; implicit-def: $vgpr4
	s_branch .LBB46_992
.LBB46_988:
	s_andn2_saveexec_b64 s[0:1], s[0:1]
	s_cbranch_execz .LBB46_969
.LBB46_989:
	v_cmp_ne_u16_e32 vcc, 0, v5
	s_andn2_b64 s[40:41], s[40:41], exec
	s_and_b64 s[44:45], vcc, exec
	s_or_b64 s[40:41], s[40:41], s[44:45]
	s_or_b64 exec, exec, s[0:1]
	v_mov_b32_e32 v4, 0
	s_and_saveexec_b64 s[0:1], s[40:41]
	s_cbranch_execnz .LBB46_970
	s_branch .LBB46_971
.LBB46_990:
	s_mov_b64 s[38:39], -1
                                        ; implicit-def: $vgpr4
.LBB46_991:
	s_mov_b64 s[40:41], 0
.LBB46_992:
	s_and_b64 vcc, exec, s[40:41]
	s_cbranch_vccz .LBB46_996
; %bb.993:
	s_cmp_eq_u32 s43, 11
	s_cbranch_scc0 .LBB46_995
; %bb.994:
	global_load_ubyte v4, v[0:1], off
	s_mov_b64 s[0:1], -1
	s_mov_b64 s[38:39], 0
	s_waitcnt vmcnt(0)
	v_cmp_ne_u16_e32 vcc, 0, v4
	v_cndmask_b32_e64 v4, 0, 1, vcc
	s_branch .LBB46_996
.LBB46_995:
	s_mov_b64 s[38:39], -1
                                        ; implicit-def: $vgpr4
.LBB46_996:
	s_mov_b64 s[40:41], 0
.LBB46_997:
	s_and_b64 vcc, exec, s[40:41]
	s_cbranch_vccz .LBB46_1046
; %bb.998:
	s_and_b32 s40, 0xffff, s42
	s_cmp_lt_i32 s40, 5
	s_cbranch_scc1 .LBB46_1003
; %bb.999:
	s_cmp_lt_i32 s40, 8
	s_cbranch_scc1 .LBB46_1004
; %bb.1000:
	s_cmp_lt_i32 s40, 9
	s_cbranch_scc1 .LBB46_1005
; %bb.1001:
	s_cmp_gt_i32 s40, 9
	s_cbranch_scc0 .LBB46_1006
; %bb.1002:
	global_load_dwordx2 v[4:5], v[0:1], off
	s_mov_b64 s[0:1], 0
	s_waitcnt vmcnt(0)
	v_cvt_i32_f64_e32 v4, v[4:5]
	s_branch .LBB46_1007
.LBB46_1003:
	s_mov_b64 s[0:1], -1
                                        ; implicit-def: $vgpr4
	s_branch .LBB46_1025
.LBB46_1004:
	s_mov_b64 s[0:1], -1
                                        ; implicit-def: $vgpr4
	s_branch .LBB46_1013
.LBB46_1005:
	s_mov_b64 s[0:1], -1
                                        ; implicit-def: $vgpr4
	s_branch .LBB46_1010
.LBB46_1006:
	s_mov_b64 s[0:1], -1
                                        ; implicit-def: $vgpr4
.LBB46_1007:
	s_andn2_b64 vcc, exec, s[0:1]
	s_cbranch_vccnz .LBB46_1009
; %bb.1008:
	global_load_dword v4, v[0:1], off
	s_waitcnt vmcnt(0)
	v_cvt_i32_f32_e32 v4, v4
.LBB46_1009:
	s_mov_b64 s[0:1], 0
.LBB46_1010:
	s_andn2_b64 vcc, exec, s[0:1]
	s_cbranch_vccnz .LBB46_1012
; %bb.1011:
	global_load_dword v4, v[0:1], off
	s_waitcnt vmcnt(0)
	v_cvt_f32_f16_e32 v4, v4
	v_cvt_i32_f32_e32 v4, v4
.LBB46_1012:
	s_mov_b64 s[0:1], 0
.LBB46_1013:
	s_andn2_b64 vcc, exec, s[0:1]
	s_cbranch_vccnz .LBB46_1024
; %bb.1014:
	s_cmp_lt_i32 s40, 6
	s_cbranch_scc1 .LBB46_1017
; %bb.1015:
	s_cmp_gt_i32 s40, 6
	s_cbranch_scc0 .LBB46_1018
; %bb.1016:
	global_load_dwordx2 v[4:5], v[0:1], off
	s_mov_b64 s[0:1], 0
	s_waitcnt vmcnt(0)
	v_cvt_i32_f64_e32 v4, v[4:5]
	s_branch .LBB46_1019
.LBB46_1017:
	s_mov_b64 s[0:1], -1
                                        ; implicit-def: $vgpr4
	s_branch .LBB46_1022
.LBB46_1018:
	s_mov_b64 s[0:1], -1
                                        ; implicit-def: $vgpr4
.LBB46_1019:
	s_andn2_b64 vcc, exec, s[0:1]
	s_cbranch_vccnz .LBB46_1021
; %bb.1020:
	global_load_dword v4, v[0:1], off
	s_waitcnt vmcnt(0)
	v_cvt_i32_f32_e32 v4, v4
.LBB46_1021:
	s_mov_b64 s[0:1], 0
.LBB46_1022:
	s_andn2_b64 vcc, exec, s[0:1]
	s_cbranch_vccnz .LBB46_1024
; %bb.1023:
	global_load_ushort v4, v[0:1], off
	s_waitcnt vmcnt(0)
	v_cvt_f32_f16_e32 v4, v4
	v_cvt_i32_f32_e32 v4, v4
.LBB46_1024:
	s_mov_b64 s[0:1], 0
.LBB46_1025:
	s_andn2_b64 vcc, exec, s[0:1]
	s_cbranch_vccnz .LBB46_1045
; %bb.1026:
	s_cmp_lt_i32 s40, 2
	s_cbranch_scc1 .LBB46_1030
; %bb.1027:
	s_cmp_lt_i32 s40, 3
	s_cbranch_scc1 .LBB46_1031
; %bb.1028:
	s_cmp_gt_i32 s40, 3
	s_cbranch_scc0 .LBB46_1032
; %bb.1029:
	global_load_dword v4, v[0:1], off
	s_mov_b64 s[0:1], 0
	s_branch .LBB46_1033
.LBB46_1030:
	s_mov_b64 s[0:1], -1
                                        ; implicit-def: $vgpr4
	s_branch .LBB46_1039
.LBB46_1031:
	s_mov_b64 s[0:1], -1
                                        ; implicit-def: $vgpr4
	s_branch .LBB46_1036
.LBB46_1032:
	s_mov_b64 s[0:1], -1
                                        ; implicit-def: $vgpr4
.LBB46_1033:
	s_andn2_b64 vcc, exec, s[0:1]
	s_cbranch_vccnz .LBB46_1035
; %bb.1034:
	global_load_dword v4, v[0:1], off
.LBB46_1035:
	s_mov_b64 s[0:1], 0
.LBB46_1036:
	s_andn2_b64 vcc, exec, s[0:1]
	s_cbranch_vccnz .LBB46_1038
; %bb.1037:
	global_load_sshort v4, v[0:1], off
.LBB46_1038:
	s_mov_b64 s[0:1], 0
.LBB46_1039:
	s_andn2_b64 vcc, exec, s[0:1]
	s_cbranch_vccnz .LBB46_1045
; %bb.1040:
	s_cmp_gt_i32 s40, 0
	s_cbranch_scc0 .LBB46_1042
; %bb.1041:
	global_load_sbyte v4, v[0:1], off
	s_mov_b64 s[0:1], 0
	s_branch .LBB46_1043
.LBB46_1042:
	s_mov_b64 s[0:1], -1
                                        ; implicit-def: $vgpr4
.LBB46_1043:
	s_andn2_b64 vcc, exec, s[0:1]
	s_cbranch_vccnz .LBB46_1045
; %bb.1044:
	global_load_ubyte v4, v[0:1], off
.LBB46_1045:
	s_mov_b64 s[0:1], -1
.LBB46_1046:
	s_andn2_b64 vcc, exec, s[0:1]
	s_cbranch_vccnz .LBB46_1051
; %bb.1047:
	s_cmp_lt_i32 s15, 1
	s_mov_b64 s[0:1], 0
	s_cbranch_scc1 .LBB46_1052
; %bb.1048:
	s_cmp_gt_i32 s15, 1
	s_cbranch_scc0 .LBB46_1053
; %bb.1049:
	s_cmp_eq_u32 s15, 2
	s_cbranch_scc0 .LBB46_1054
; %bb.1050:
	s_waitcnt vmcnt(0)
	v_cmp_le_i32_e64 s[40:41], v3, v4
	s_mov_b64 s[42:43], 0
	s_branch .LBB46_1055
.LBB46_1051:
	s_mov_b64 s[42:43], 0
                                        ; implicit-def: $vgpr2
	s_mov_b64 s[0:1], s[28:29]
	s_branch .LBB46_1187
.LBB46_1052:
	s_mov_b64 s[44:45], -1
                                        ; implicit-def: $sgpr40_sgpr41
	s_mov_b64 s[42:43], 0
	s_branch .LBB46_1059
.LBB46_1053:
	s_mov_b64 s[44:45], -1
	s_mov_b64 s[42:43], 0
                                        ; implicit-def: $sgpr40_sgpr41
	s_branch .LBB46_1056
.LBB46_1054:
	s_mov_b64 s[42:43], -1
                                        ; implicit-def: $sgpr40_sgpr41
.LBB46_1055:
	s_mov_b64 s[44:45], 0
.LBB46_1056:
	s_and_b64 vcc, exec, s[44:45]
	s_cbranch_vccz .LBB46_1058
; %bb.1057:
	s_waitcnt vmcnt(0)
	v_cmp_gt_i32_e32 vcc, v3, v4
	s_andn2_b64 s[40:41], s[40:41], exec
	s_and_b64 s[44:45], vcc, exec
	s_or_b64 s[40:41], s[40:41], s[44:45]
.LBB46_1058:
	s_mov_b64 s[44:45], 0
.LBB46_1059:
	s_and_b64 vcc, exec, s[44:45]
	s_cbranch_vccz .LBB46_1070
; %bb.1060:
	s_cmp_lg_u32 s15, 0
	s_mov_b64 s[0:1], -1
	s_cselect_b64 s[42:43], -1, 0
	s_andn2_b64 vcc, exec, s[42:43]
	s_cbranch_vccz .LBB46_1071
.LBB46_1061:
	s_andn2_b64 vcc, exec, s[0:1]
	s_cbranch_vccnz .LBB46_1063
.LBB46_1062:
	s_waitcnt vmcnt(0)
	v_cmp_ge_i32_e32 vcc, v3, v4
	s_andn2_b64 s[0:1], s[40:41], exec
	s_and_b64 s[40:41], vcc, exec
	s_or_b64 s[40:41], s[0:1], s[40:41]
.LBB46_1063:
	v_mul_lo_u32 v0, v2, s12
	v_mov_b32_e32 v1, s9
	s_and_b32 s49, s33, 0xff
	s_cmp_lt_i32 s49, 11
	s_waitcnt vmcnt(0)
	v_ashrrev_i32_e32 v3, 31, v0
	v_add_co_u32_e32 v0, vcc, s8, v0
	v_addc_co_u32_e32 v1, vcc, v1, v3, vcc
	s_cbranch_scc1 .LBB46_1072
; %bb.1064:
	s_and_b32 s50, 0xffff, s49
	s_cmp_gt_i32 s50, 25
	s_cbranch_scc0 .LBB46_1073
; %bb.1065:
	s_cmp_gt_i32 s50, 28
	s_cbranch_scc0 .LBB46_1074
; %bb.1066:
	;; [unrolled: 3-line block ×4, first 2 shown]
	s_mov_b64 s[44:45], 0
	s_mov_b64 s[0:1], -1
	s_cmp_eq_u32 s50, 46
	s_mov_b64 s[42:43], 0
	s_cbranch_scc0 .LBB46_1077
; %bb.1069:
	v_cndmask_b32_e64 v3, 0, 1.0, s[40:41]
	v_bfe_u32 v4, v3, 16, 1
	s_movk_i32 s0, 0x7fff
	v_add3_u32 v3, v3, v4, s0
	v_lshrrev_b32_e32 v3, 16, v3
	global_store_dword v[0:1], v3, off
	s_mov_b64 s[42:43], -1
	s_mov_b64 s[0:1], 0
	s_branch .LBB46_1077
.LBB46_1070:
	s_andn2_b64 vcc, exec, s[42:43]
	s_cbranch_vccnz .LBB46_1061
.LBB46_1071:
	s_waitcnt vmcnt(0)
	v_cmp_lt_i32_e32 vcc, v3, v4
	s_andn2_b64 s[40:41], s[40:41], exec
	s_and_b64 s[42:43], vcc, exec
	s_or_b64 s[40:41], s[40:41], s[42:43]
	s_cbranch_execz .LBB46_1062
	s_branch .LBB46_1063
.LBB46_1072:
	s_mov_b64 s[44:45], -1
	s_mov_b64 s[42:43], 0
	s_mov_b64 s[0:1], s[28:29]
	s_branch .LBB46_1146
.LBB46_1073:
	s_mov_b64 s[44:45], -1
	s_mov_b64 s[42:43], 0
	s_mov_b64 s[0:1], s[28:29]
	s_branch .LBB46_1104
.LBB46_1074:
	s_mov_b64 s[44:45], -1
	s_mov_b64 s[42:43], 0
	s_mov_b64 s[0:1], s[28:29]
	s_branch .LBB46_1087
.LBB46_1075:
	s_mov_b64 s[44:45], -1
	s_mov_b64 s[42:43], 0
	s_mov_b64 s[0:1], s[28:29]
	s_branch .LBB46_1083
.LBB46_1076:
	s_mov_b64 s[44:45], -1
	s_mov_b64 s[42:43], 0
	s_mov_b64 s[0:1], s[28:29]
.LBB46_1077:
	s_and_b64 vcc, exec, s[44:45]
	s_cbranch_vccz .LBB46_1082
; %bb.1078:
	s_cmp_eq_u32 s50, 44
	s_mov_b64 s[0:1], -1
	s_cbranch_scc0 .LBB46_1082
; %bb.1079:
	v_cndmask_b32_e64 v4, 0, 1.0, s[40:41]
	v_lshrrev_b32_e32 v3, 23, v4
	s_movk_i32 s0, 0xff
	v_cmp_ne_u32_e32 vcc, s0, v3
	v_mov_b32_e32 v5, 0xff
	s_and_saveexec_b64 s[42:43], vcc
; %bb.1080:
	s_mov_b32 s0, 0x3fffff
	v_and_b32_e32 v5, 0x400000, v4
	v_and_or_b32 v4, v4, s0, v3
	v_cmp_ne_u32_e32 vcc, 0, v5
	v_cmp_ne_u32_e64 s[0:1], 0, v4
	s_and_b64 s[0:1], vcc, s[0:1]
	v_cndmask_b32_e64 v4, 0, 1, s[0:1]
	v_add_u32_e32 v5, v3, v4
; %bb.1081:
	s_or_b64 exec, exec, s[42:43]
	s_mov_b64 s[42:43], -1
	s_mov_b64 s[0:1], 0
	global_store_byte v[0:1], v5, off
.LBB46_1082:
	s_mov_b64 s[44:45], 0
.LBB46_1083:
	s_and_b64 vcc, exec, s[44:45]
	s_cbranch_vccz .LBB46_1086
; %bb.1084:
	s_cmp_eq_u32 s50, 29
	s_mov_b64 s[0:1], -1
	s_cbranch_scc0 .LBB46_1086
; %bb.1085:
	s_mov_b32 s0, 0
	v_cndmask_b32_e64 v3, 0, 1, s[40:41]
	v_mov_b32_e32 v4, s0
	global_store_dwordx2 v[0:1], v[3:4], off
	s_mov_b64 s[42:43], -1
	s_mov_b64 s[0:1], 0
.LBB46_1086:
	s_mov_b64 s[44:45], 0
.LBB46_1087:
	s_and_b64 vcc, exec, s[44:45]
	s_cbranch_vccz .LBB46_1103
; %bb.1088:
	s_cmp_lt_i32 s50, 27
	s_mov_b64 s[42:43], -1
	s_cbranch_scc1 .LBB46_1094
; %bb.1089:
	s_cmp_gt_i32 s50, 27
	s_cbranch_scc0 .LBB46_1091
; %bb.1090:
	v_cndmask_b32_e64 v3, 0, 1, s[40:41]
	s_mov_b64 s[42:43], 0
	global_store_dword v[0:1], v3, off
.LBB46_1091:
	s_andn2_b64 vcc, exec, s[42:43]
	s_cbranch_vccnz .LBB46_1093
; %bb.1092:
	v_cndmask_b32_e64 v3, 0, 1, s[40:41]
	global_store_short v[0:1], v3, off
.LBB46_1093:
	s_mov_b64 s[42:43], 0
.LBB46_1094:
	s_andn2_b64 vcc, exec, s[42:43]
	s_cbranch_vccnz .LBB46_1102
; %bb.1095:
	v_cndmask_b32_e64 v4, 0, 1.0, s[40:41]
	s_mov_b32 s42, 0x43800000
	v_cmp_gt_u32_e32 vcc, s42, v4
	v_mov_b32_e32 v5, 0x80
	s_and_saveexec_b64 s[42:43], vcc
	s_cbranch_execz .LBB46_1101
; %bb.1096:
	s_mov_b32 s44, 0x3bffffff
	v_cmp_lt_u32_e32 vcc, s44, v4
	s_mov_b64 s[44:45], 0
                                        ; implicit-def: $vgpr3
	s_and_saveexec_b64 s[46:47], vcc
	s_xor_b64 s[46:47], exec, s[46:47]
	s_cbranch_execz .LBB46_1203
; %bb.1097:
	v_bfe_u32 v3, v4, 20, 1
	s_mov_b32 s51, 0x487ffff
	v_add3_u32 v3, v4, v3, s51
	s_mov_b64 s[44:45], exec
	v_lshrrev_b32_e32 v3, 20, v3
                                        ; implicit-def: $vgpr4
	s_andn2_saveexec_b64 s[46:47], s[46:47]
	s_cbranch_execnz .LBB46_1204
.LBB46_1098:
	s_or_b64 exec, exec, s[46:47]
	v_mov_b32_e32 v5, 0
	s_and_saveexec_b64 s[46:47], s[44:45]
.LBB46_1099:
	v_mov_b32_e32 v5, v3
.LBB46_1100:
	s_or_b64 exec, exec, s[46:47]
.LBB46_1101:
	s_or_b64 exec, exec, s[42:43]
	global_store_byte v[0:1], v5, off
.LBB46_1102:
	s_mov_b64 s[42:43], -1
.LBB46_1103:
	s_mov_b64 s[44:45], 0
.LBB46_1104:
	s_and_b64 vcc, exec, s[44:45]
	s_cbranch_vccz .LBB46_1145
; %bb.1105:
	s_cmp_gt_i32 s50, 22
	s_mov_b64 s[44:45], -1
	s_cbranch_scc0 .LBB46_1137
; %bb.1106:
	s_cmp_lt_i32 s50, 24
	s_mov_b64 s[42:43], -1
	s_cbranch_scc1 .LBB46_1126
; %bb.1107:
	s_cmp_gt_i32 s50, 24
	s_cbranch_scc0 .LBB46_1115
; %bb.1108:
	v_cndmask_b32_e64 v4, 0, 1.0, s[40:41]
	s_mov_b32 s42, 0x47800000
	v_cmp_gt_u32_e32 vcc, s42, v4
	v_mov_b32_e32 v5, 0x80
	s_and_saveexec_b64 s[42:43], vcc
	s_cbranch_execz .LBB46_1114
; %bb.1109:
	s_mov_b32 s44, 0x37ffffff
	v_cmp_lt_u32_e32 vcc, s44, v4
	s_mov_b64 s[44:45], 0
                                        ; implicit-def: $vgpr3
	s_and_saveexec_b64 s[46:47], vcc
	s_xor_b64 s[46:47], exec, s[46:47]
	s_cbranch_execz .LBB46_2246
; %bb.1110:
	v_bfe_u32 v3, v4, 21, 1
	s_mov_b32 s51, 0x88fffff
	v_add3_u32 v3, v4, v3, s51
	s_mov_b64 s[44:45], exec
	v_lshrrev_b32_e32 v3, 21, v3
                                        ; implicit-def: $vgpr4
	s_andn2_saveexec_b64 s[46:47], s[46:47]
	s_cbranch_execnz .LBB46_2247
.LBB46_1111:
	s_or_b64 exec, exec, s[46:47]
	v_mov_b32_e32 v5, 0
	s_and_saveexec_b64 s[46:47], s[44:45]
.LBB46_1112:
	v_mov_b32_e32 v5, v3
.LBB46_1113:
	s_or_b64 exec, exec, s[46:47]
.LBB46_1114:
	s_or_b64 exec, exec, s[42:43]
	s_mov_b64 s[42:43], 0
	global_store_byte v[0:1], v5, off
.LBB46_1115:
	s_and_b64 vcc, exec, s[42:43]
	s_cbranch_vccz .LBB46_1125
; %bb.1116:
	v_cndmask_b32_e64 v3, 0, 1.0, s[40:41]
	s_mov_b32 s42, 0x43f00000
	v_cmp_gt_u32_e32 vcc, s42, v3
                                        ; implicit-def: $vgpr4
	s_and_saveexec_b64 s[42:43], vcc
	s_xor_b64 s[42:43], exec, s[42:43]
	s_cbranch_execz .LBB46_1122
; %bb.1117:
	s_mov_b32 s44, 0x3c7fffff
	v_cmp_lt_u32_e32 vcc, s44, v3
                                        ; implicit-def: $vgpr4
	s_and_saveexec_b64 s[44:45], vcc
	s_xor_b64 s[44:45], exec, s[44:45]
; %bb.1118:
	v_bfe_u32 v4, v3, 20, 1
	s_mov_b32 s46, 0x407ffff
	v_add3_u32 v3, v3, v4, s46
	v_lshrrev_b32_e32 v4, 20, v3
	v_and_b32_e32 v3, 0xff00000, v3
	s_mov_b32 s46, 0x7f00000
	v_mov_b32_e32 v5, 0x7e
	v_cmp_ne_u32_e32 vcc, s46, v3
	v_cndmask_b32_e32 v4, v5, v4, vcc
                                        ; implicit-def: $vgpr3
; %bb.1119:
	s_andn2_saveexec_b64 s[44:45], s[44:45]
; %bb.1120:
	v_add_f32_e32 v4, 0x46800000, v3
; %bb.1121:
	s_or_b64 exec, exec, s[44:45]
                                        ; implicit-def: $vgpr3
.LBB46_1122:
	s_andn2_saveexec_b64 s[42:43], s[42:43]
; %bb.1123:
	s_mov_b32 s44, 0x7f800000
	v_mov_b32_e32 v4, 0x7e
	v_mov_b32_e32 v5, 0x7f
	v_cmp_lt_u32_e32 vcc, s44, v3
	v_cndmask_b32_e32 v4, v4, v5, vcc
; %bb.1124:
	s_or_b64 exec, exec, s[42:43]
	global_store_byte v[0:1], v4, off
.LBB46_1125:
	s_mov_b64 s[42:43], 0
.LBB46_1126:
	s_andn2_b64 vcc, exec, s[42:43]
	s_cbranch_vccnz .LBB46_1136
; %bb.1127:
	v_cndmask_b32_e64 v3, 0, 1.0, s[40:41]
	s_mov_b32 s42, 0x47800000
	v_cmp_gt_u32_e32 vcc, s42, v3
                                        ; implicit-def: $vgpr4
	s_and_saveexec_b64 s[42:43], vcc
	s_xor_b64 s[42:43], exec, s[42:43]
	s_cbranch_execz .LBB46_1133
; %bb.1128:
	s_mov_b32 s44, 0x387fffff
	v_cmp_lt_u32_e32 vcc, s44, v3
                                        ; implicit-def: $vgpr4
	s_and_saveexec_b64 s[44:45], vcc
	s_xor_b64 s[44:45], exec, s[44:45]
; %bb.1129:
	v_bfe_u32 v4, v3, 21, 1
	s_mov_b32 s46, 0x80fffff
	v_add3_u32 v3, v3, v4, s46
	v_lshrrev_b32_e32 v4, 21, v3
                                        ; implicit-def: $vgpr3
; %bb.1130:
	s_andn2_saveexec_b64 s[44:45], s[44:45]
; %bb.1131:
	v_add_f32_e32 v4, 0x43000000, v3
; %bb.1132:
	s_or_b64 exec, exec, s[44:45]
                                        ; implicit-def: $vgpr3
.LBB46_1133:
	s_andn2_saveexec_b64 s[42:43], s[42:43]
; %bb.1134:
	s_mov_b32 s44, 0x7f800000
	v_mov_b32_e32 v4, 0x7c
	v_mov_b32_e32 v5, 0x7f
	v_cmp_lt_u32_e32 vcc, s44, v3
	v_cndmask_b32_e32 v4, v4, v5, vcc
; %bb.1135:
	s_or_b64 exec, exec, s[42:43]
	global_store_byte v[0:1], v4, off
.LBB46_1136:
	s_mov_b64 s[44:45], 0
	s_mov_b64 s[42:43], -1
.LBB46_1137:
	s_andn2_b64 vcc, exec, s[44:45]
	s_cbranch_vccnz .LBB46_1145
; %bb.1138:
	s_cmp_gt_i32 s50, 14
	s_mov_b64 s[44:45], -1
	s_cbranch_scc0 .LBB46_1142
; %bb.1139:
	s_cmp_eq_u32 s50, 15
	s_mov_b64 s[0:1], -1
	s_cbranch_scc0 .LBB46_1141
; %bb.1140:
	v_cndmask_b32_e64 v3, 0, 1.0, s[40:41]
	v_bfe_u32 v4, v3, 16, 1
	s_movk_i32 s0, 0x7fff
	v_add3_u32 v3, v3, v4, s0
	global_store_short_d16_hi v[0:1], v3, off
	s_mov_b64 s[42:43], -1
	s_mov_b64 s[0:1], 0
.LBB46_1141:
	s_mov_b64 s[44:45], 0
.LBB46_1142:
	s_and_b64 vcc, exec, s[44:45]
	s_cbranch_vccz .LBB46_1145
; %bb.1143:
	s_cmp_eq_u32 s50, 11
	s_mov_b64 s[0:1], -1
	s_cbranch_scc0 .LBB46_1145
; %bb.1144:
	v_cndmask_b32_e64 v3, 0, 1, s[40:41]
	s_mov_b64 s[42:43], -1
	s_mov_b64 s[0:1], 0
	global_store_byte v[0:1], v3, off
.LBB46_1145:
	s_mov_b64 s[44:45], 0
.LBB46_1146:
	s_and_b64 vcc, exec, s[44:45]
	s_cbranch_vccz .LBB46_1185
; %bb.1147:
	s_and_b32 s44, 0xffff, s49
	s_cmp_lt_i32 s44, 5
	s_mov_b64 s[42:43], -1
	s_cbranch_scc1 .LBB46_1168
; %bb.1148:
	s_cmp_lt_i32 s44, 8
	s_cbranch_scc1 .LBB46_1158
; %bb.1149:
	s_cmp_lt_i32 s44, 9
	s_cbranch_scc1 .LBB46_1155
; %bb.1150:
	s_cmp_gt_i32 s44, 9
	s_cbranch_scc0 .LBB46_1152
; %bb.1151:
	v_cndmask_b32_e64 v3, 0, 1, s[40:41]
	v_cvt_f64_u32_e32 v[3:4], v3
	v_mov_b32_e32 v5, 0
	v_mov_b32_e32 v6, v5
	s_mov_b64 s[42:43], 0
	global_store_dwordx4 v[0:1], v[3:6], off
.LBB46_1152:
	s_andn2_b64 vcc, exec, s[42:43]
	s_cbranch_vccnz .LBB46_1154
; %bb.1153:
	v_cndmask_b32_e64 v3, 0, 1.0, s[40:41]
	v_mov_b32_e32 v4, 0
	global_store_dwordx2 v[0:1], v[3:4], off
.LBB46_1154:
	s_mov_b64 s[42:43], 0
.LBB46_1155:
	s_andn2_b64 vcc, exec, s[42:43]
	s_cbranch_vccnz .LBB46_1157
; %bb.1156:
	v_cndmask_b32_e64 v3, 0, 1.0, s[40:41]
	v_cvt_f16_f32_e32 v3, v3
	global_store_dword v[0:1], v3, off
.LBB46_1157:
	s_mov_b64 s[42:43], 0
.LBB46_1158:
	s_andn2_b64 vcc, exec, s[42:43]
	s_cbranch_vccnz .LBB46_1167
; %bb.1159:
	s_cmp_lt_i32 s44, 6
	s_mov_b64 s[42:43], -1
	s_cbranch_scc1 .LBB46_1165
; %bb.1160:
	s_cmp_gt_i32 s44, 6
	s_cbranch_scc0 .LBB46_1162
; %bb.1161:
	v_cndmask_b32_e64 v3, 0, 1, s[40:41]
	v_cvt_f64_u32_e32 v[3:4], v3
	s_mov_b64 s[42:43], 0
	global_store_dwordx2 v[0:1], v[3:4], off
.LBB46_1162:
	s_andn2_b64 vcc, exec, s[42:43]
	s_cbranch_vccnz .LBB46_1164
; %bb.1163:
	v_cndmask_b32_e64 v3, 0, 1.0, s[40:41]
	global_store_dword v[0:1], v3, off
.LBB46_1164:
	s_mov_b64 s[42:43], 0
.LBB46_1165:
	s_andn2_b64 vcc, exec, s[42:43]
	s_cbranch_vccnz .LBB46_1167
; %bb.1166:
	v_cndmask_b32_e64 v3, 0, 1.0, s[40:41]
	v_cvt_f16_f32_e32 v3, v3
	global_store_short v[0:1], v3, off
.LBB46_1167:
	s_mov_b64 s[42:43], 0
.LBB46_1168:
	s_andn2_b64 vcc, exec, s[42:43]
	s_cbranch_vccnz .LBB46_1184
; %bb.1169:
	s_cmp_lt_i32 s44, 2
	s_mov_b64 s[42:43], -1
	s_cbranch_scc1 .LBB46_1179
; %bb.1170:
	s_cmp_lt_i32 s44, 3
	s_cbranch_scc1 .LBB46_1176
; %bb.1171:
	s_cmp_gt_i32 s44, 3
	s_cbranch_scc0 .LBB46_1173
; %bb.1172:
	s_mov_b32 s42, 0
	v_cndmask_b32_e64 v3, 0, 1, s[40:41]
	v_mov_b32_e32 v4, s42
	s_mov_b64 s[42:43], 0
	global_store_dwordx2 v[0:1], v[3:4], off
.LBB46_1173:
	s_andn2_b64 vcc, exec, s[42:43]
	s_cbranch_vccnz .LBB46_1175
; %bb.1174:
	v_cndmask_b32_e64 v3, 0, 1, s[40:41]
	global_store_dword v[0:1], v3, off
.LBB46_1175:
	s_mov_b64 s[42:43], 0
.LBB46_1176:
	s_andn2_b64 vcc, exec, s[42:43]
	s_cbranch_vccnz .LBB46_1178
; %bb.1177:
	v_cndmask_b32_e64 v3, 0, 1, s[40:41]
	global_store_short v[0:1], v3, off
.LBB46_1178:
	s_mov_b64 s[42:43], 0
.LBB46_1179:
	s_andn2_b64 vcc, exec, s[42:43]
	s_cbranch_vccnz .LBB46_1184
; %bb.1180:
	s_mov_b64 s[42:43], -1
	s_cmp_gt_i32 s44, 0
	v_cndmask_b32_e64 v3, 0, 1, s[40:41]
	s_cbranch_scc0 .LBB46_1182
; %bb.1181:
	s_mov_b64 s[42:43], 0
	global_store_byte v[0:1], v3, off
.LBB46_1182:
	s_andn2_b64 vcc, exec, s[42:43]
	s_cbranch_vccnz .LBB46_1184
; %bb.1183:
	global_store_byte v[0:1], v3, off
.LBB46_1184:
	s_mov_b64 s[42:43], -1
.LBB46_1185:
	s_andn2_b64 vcc, exec, s[42:43]
	s_cbranch_vccnz .LBB46_1198
; %bb.1186:
	v_add_u32_e32 v2, 0x80, v2
	s_mov_b64 s[42:43], -1
.LBB46_1187:
	s_andn2_b64 s[40:41], s[28:29], exec
	s_and_b64 s[0:1], s[0:1], exec
	s_or_b64 s[40:41], s[40:41], s[0:1]
	s_andn2_b64 s[0:1], s[26:27], exec
	s_and_b64 s[38:39], s[38:39], exec
	s_or_b64 s[38:39], s[0:1], s[38:39]
	;; [unrolled: 3-line block ×3, first 2 shown]
	s_orn2_b64 s[46:47], s[42:43], exec
.LBB46_1188:
	s_or_b64 exec, exec, s[34:35]
	s_mov_b64 s[42:43], 0
	s_mov_b64 s[36:37], 0
	;; [unrolled: 1-line block ×3, first 2 shown]
                                        ; implicit-def: $sgpr56
                                        ; implicit-def: $vgpr0_vgpr1
                                        ; implicit-def: $vgpr3
	s_and_saveexec_b64 s[34:35], s[46:47]
	s_cbranch_execz .LBB46_1268
; %bb.1189:
	v_cmp_gt_i32_e32 vcc, s48, v2
	s_mov_b64 s[46:47], 0
	s_mov_b64 s[48:49], s[0:1]
	;; [unrolled: 1-line block ×4, first 2 shown]
                                        ; implicit-def: $sgpr56
                                        ; implicit-def: $vgpr0_vgpr1
                                        ; implicit-def: $vgpr3
	s_and_saveexec_b64 s[36:37], vcc
	s_cbranch_execz .LBB46_1267
; %bb.1190:
	v_mul_lo_u32 v0, v2, s13
	v_mov_b32_e32 v1, s11
	s_and_b32 s56, s55, 0xff
	s_cmp_lt_i32 s56, 11
	s_waitcnt vmcnt(0)
	v_ashrrev_i32_e32 v3, 31, v0
	v_add_co_u32_e32 v0, vcc, s10, v0
	v_addc_co_u32_e32 v1, vcc, v1, v3, vcc
	s_cbranch_scc1 .LBB46_1197
; %bb.1191:
	s_and_b32 s50, 0xffff, s56
	s_cmp_gt_i32 s50, 25
	s_cbranch_scc0 .LBB46_1199
; %bb.1192:
	s_cmp_gt_i32 s50, 28
	s_cbranch_scc0 .LBB46_1200
; %bb.1193:
	s_cmp_gt_i32 s50, 43
	s_cbranch_scc0 .LBB46_1201
; %bb.1194:
	s_cmp_gt_i32 s50, 45
	s_cbranch_scc0 .LBB46_1202
; %bb.1195:
	s_cmp_eq_u32 s50, 46
	s_mov_b64 s[48:49], 0
	s_cbranch_scc0 .LBB46_1205
; %bb.1196:
	global_load_dword v3, v[0:1], off
	s_mov_b64 s[46:47], -1
	s_waitcnt vmcnt(0)
	v_lshlrev_b32_e32 v3, 16, v3
	v_cvt_i32_f32_e32 v3, v3
	s_branch .LBB46_1207
.LBB46_1197:
	s_mov_b64 s[48:49], -1
                                        ; implicit-def: $vgpr3
	s_mov_b64 s[42:43], s[0:1]
	s_branch .LBB46_1266
.LBB46_1198:
	s_mov_b64 s[42:43], 0
	s_branch .LBB46_927
.LBB46_1199:
	s_mov_b64 s[48:49], -1
	s_mov_b64 s[42:43], s[0:1]
                                        ; implicit-def: $vgpr3
	s_branch .LBB46_1234
.LBB46_1200:
	s_mov_b64 s[48:49], -1
	s_mov_b64 s[42:43], s[0:1]
                                        ; implicit-def: $vgpr3
	s_branch .LBB46_1217
.LBB46_1201:
	s_mov_b64 s[48:49], -1
	s_mov_b64 s[42:43], s[0:1]
                                        ; implicit-def: $vgpr3
	s_branch .LBB46_1212
.LBB46_1202:
	s_mov_b64 s[48:49], -1
	s_mov_b64 s[42:43], s[0:1]
	s_branch .LBB46_1206
.LBB46_1203:
	s_andn2_saveexec_b64 s[46:47], s[46:47]
	s_cbranch_execz .LBB46_1098
.LBB46_1204:
	v_add_f32_e32 v3, 0x46000000, v4
	v_and_b32_e32 v3, 0xff, v3
	v_cmp_ne_u32_e32 vcc, 0, v3
	s_andn2_b64 s[44:45], s[44:45], exec
	s_and_b64 s[52:53], vcc, exec
	s_or_b64 s[44:45], s[44:45], s[52:53]
	s_or_b64 exec, exec, s[46:47]
	v_mov_b32_e32 v5, 0
	s_and_saveexec_b64 s[46:47], s[44:45]
	s_cbranch_execnz .LBB46_1099
	s_branch .LBB46_1100
.LBB46_1205:
	s_mov_b64 s[42:43], -1
.LBB46_1206:
                                        ; implicit-def: $vgpr3
.LBB46_1207:
	s_and_b64 vcc, exec, s[48:49]
	s_cbranch_vccz .LBB46_1211
; %bb.1208:
	s_cmp_eq_u32 s50, 44
	s_cbranch_scc0 .LBB46_1210
; %bb.1209:
	global_load_ubyte v3, v[0:1], off
	s_mov_b64 s[42:43], 0
	s_mov_b64 s[46:47], -1
	s_waitcnt vmcnt(0)
	v_lshlrev_b32_e32 v4, 23, v3
	v_cvt_i32_f32_e32 v4, v4
	v_cmp_ne_u32_e32 vcc, 0, v3
	v_cndmask_b32_e32 v3, 0, v4, vcc
	s_branch .LBB46_1211
.LBB46_1210:
	s_mov_b64 s[42:43], -1
                                        ; implicit-def: $vgpr3
.LBB46_1211:
	s_mov_b64 s[48:49], 0
.LBB46_1212:
	s_and_b64 vcc, exec, s[48:49]
	s_cbranch_vccz .LBB46_1216
; %bb.1213:
	s_cmp_eq_u32 s50, 29
	s_cbranch_scc0 .LBB46_1215
; %bb.1214:
	global_load_dword v3, v[0:1], off
	s_mov_b64 s[42:43], 0
	s_mov_b64 s[46:47], -1
	s_branch .LBB46_1216
.LBB46_1215:
	s_mov_b64 s[42:43], -1
                                        ; implicit-def: $vgpr3
.LBB46_1216:
	s_mov_b64 s[48:49], 0
.LBB46_1217:
	s_and_b64 vcc, exec, s[48:49]
	s_cbranch_vccz .LBB46_1233
; %bb.1218:
	s_cmp_lt_i32 s50, 27
	s_cbranch_scc1 .LBB46_1221
; %bb.1219:
	s_cmp_gt_i32 s50, 27
	s_cbranch_scc0 .LBB46_1222
; %bb.1220:
	global_load_dword v3, v[0:1], off
	s_mov_b64 s[46:47], 0
	s_branch .LBB46_1223
.LBB46_1221:
	s_mov_b64 s[46:47], -1
                                        ; implicit-def: $vgpr3
	s_branch .LBB46_1226
.LBB46_1222:
	s_mov_b64 s[46:47], -1
                                        ; implicit-def: $vgpr3
.LBB46_1223:
	s_andn2_b64 vcc, exec, s[46:47]
	s_cbranch_vccnz .LBB46_1225
; %bb.1224:
	global_load_ushort v3, v[0:1], off
.LBB46_1225:
	s_mov_b64 s[46:47], 0
.LBB46_1226:
	s_andn2_b64 vcc, exec, s[46:47]
	s_cbranch_vccnz .LBB46_1232
; %bb.1227:
	global_load_ubyte v4, v[0:1], off
	s_movk_i32 s46, 0x7f
	s_mov_b64 s[48:49], 0
	s_waitcnt vmcnt(0)
	v_cmp_lt_i16_e32 vcc, s46, v4
	s_and_saveexec_b64 s[46:47], vcc
	s_xor_b64 s[46:47], exec, s[46:47]
	s_cbranch_execz .LBB46_1244
; %bb.1228:
	s_movk_i32 s48, 0x80
	v_cmp_ne_u16_e32 vcc, s48, v4
	s_and_b64 s[48:49], vcc, exec
	s_andn2_saveexec_b64 s[46:47], s[46:47]
	s_cbranch_execnz .LBB46_1245
.LBB46_1229:
	s_or_b64 exec, exec, s[46:47]
	v_mov_b32_e32 v3, 0
	s_and_saveexec_b64 s[46:47], s[48:49]
	s_cbranch_execz .LBB46_1231
.LBB46_1230:
	v_lshlrev_b32_e32 v3, 24, v4
	v_and_b32_e32 v4, 0xffff, v4
	v_and_b32_e32 v5, 7, v4
	v_ffbh_u32_e32 v7, v5
	v_min_u32_e32 v7, 32, v7
	v_subrev_u32_e32 v8, 28, v7
	v_bfe_u32 v6, v4, 3, 4
	v_lshlrev_b32_e32 v4, v8, v4
	v_sub_u32_e32 v7, 29, v7
	v_and_b32_e32 v4, 7, v4
	v_cmp_eq_u32_e32 vcc, 0, v6
	v_cndmask_b32_e32 v6, v6, v7, vcc
	v_cndmask_b32_e32 v4, v5, v4, vcc
	v_mov_b32_e32 v5, 0x3b800000
	v_lshlrev_b32_e32 v4, 20, v4
	v_and_b32_e32 v3, 0x80000000, v3
	v_lshl_add_u32 v5, v6, 23, v5
	v_or3_b32 v3, v3, v5, v4
	v_cvt_i32_f32_e32 v3, v3
.LBB46_1231:
	s_or_b64 exec, exec, s[46:47]
.LBB46_1232:
	s_mov_b64 s[46:47], -1
.LBB46_1233:
	s_mov_b64 s[48:49], 0
.LBB46_1234:
	s_and_b64 vcc, exec, s[48:49]
	s_cbranch_vccz .LBB46_1265
; %bb.1235:
	s_cmp_gt_i32 s50, 22
	s_cbranch_scc0 .LBB46_1243
; %bb.1236:
	s_cmp_lt_i32 s50, 24
	s_cbranch_scc1 .LBB46_1246
; %bb.1237:
	s_cmp_gt_i32 s50, 24
	s_cbranch_scc0 .LBB46_1247
; %bb.1238:
	global_load_ubyte v4, v[0:1], off
	s_movk_i32 s44, 0x7f
	s_mov_b64 s[46:47], 0
	s_waitcnt vmcnt(0)
	v_cmp_lt_i16_e32 vcc, s44, v4
	s_and_saveexec_b64 s[44:45], vcc
	s_xor_b64 s[44:45], exec, s[44:45]
	s_cbranch_execz .LBB46_1259
; %bb.1239:
	s_movk_i32 s46, 0x80
	v_cmp_ne_u16_e32 vcc, s46, v4
	s_and_b64 s[46:47], vcc, exec
	s_andn2_saveexec_b64 s[44:45], s[44:45]
	s_cbranch_execnz .LBB46_1260
.LBB46_1240:
	s_or_b64 exec, exec, s[44:45]
	v_mov_b32_e32 v3, 0
	s_and_saveexec_b64 s[44:45], s[46:47]
	s_cbranch_execz .LBB46_1242
.LBB46_1241:
	v_lshlrev_b32_e32 v3, 24, v4
	v_and_b32_e32 v4, 0xffff, v4
	v_and_b32_e32 v5, 3, v4
	v_ffbh_u32_e32 v7, v5
	v_min_u32_e32 v7, 32, v7
	v_subrev_u32_e32 v8, 29, v7
	v_bfe_u32 v6, v4, 2, 5
	v_lshlrev_b32_e32 v4, v8, v4
	v_sub_u32_e32 v7, 30, v7
	v_and_b32_e32 v4, 3, v4
	v_cmp_eq_u32_e32 vcc, 0, v6
	v_cndmask_b32_e32 v6, v6, v7, vcc
	v_cndmask_b32_e32 v4, v5, v4, vcc
	v_mov_b32_e32 v5, 0x37800000
	v_lshlrev_b32_e32 v4, 21, v4
	v_and_b32_e32 v3, 0x80000000, v3
	v_lshl_add_u32 v5, v6, 23, v5
	v_or3_b32 v3, v3, v5, v4
	v_cvt_i32_f32_e32 v3, v3
.LBB46_1242:
	s_or_b64 exec, exec, s[44:45]
	s_mov_b64 s[44:45], 0
	s_branch .LBB46_1248
.LBB46_1243:
	s_mov_b64 s[44:45], -1
                                        ; implicit-def: $vgpr3
	s_branch .LBB46_1254
.LBB46_1244:
	s_andn2_saveexec_b64 s[46:47], s[46:47]
	s_cbranch_execz .LBB46_1229
.LBB46_1245:
	v_cmp_ne_u16_e32 vcc, 0, v4
	s_andn2_b64 s[48:49], s[48:49], exec
	s_and_b64 s[52:53], vcc, exec
	s_or_b64 s[48:49], s[48:49], s[52:53]
	s_or_b64 exec, exec, s[46:47]
	v_mov_b32_e32 v3, 0
	s_and_saveexec_b64 s[46:47], s[48:49]
	s_cbranch_execnz .LBB46_1230
	s_branch .LBB46_1231
.LBB46_1246:
	s_mov_b64 s[44:45], -1
                                        ; implicit-def: $vgpr3
	s_branch .LBB46_1251
.LBB46_1247:
	s_mov_b64 s[44:45], -1
                                        ; implicit-def: $vgpr3
.LBB46_1248:
	s_and_b64 vcc, exec, s[44:45]
	s_cbranch_vccz .LBB46_1250
; %bb.1249:
	global_load_ubyte v3, v[0:1], off
	s_mov_b32 s44, 0x7f800000
	s_waitcnt vmcnt(0)
	v_lshlrev_b32_e32 v3, 24, v3
	v_and_b32_e32 v4, 0x7f000000, v3
	v_ffbh_u32_e32 v5, v4
	v_min_u32_e32 v5, 32, v5
	v_sub_u32_e64 v5, v5, 4 clamp
	v_lshlrev_b32_e32 v7, v5, v4
	v_lshlrev_b32_e32 v5, 23, v5
	v_lshrrev_b32_e32 v7, 4, v7
	v_add_u32_e32 v6, 0x1000000, v4
	v_sub_u32_e32 v5, v7, v5
	v_ashrrev_i32_e32 v6, 8, v6
	v_add_u32_e32 v5, 0x3c000000, v5
	v_and_or_b32 v5, v6, s44, v5
	v_cmp_ne_u32_e32 vcc, 0, v4
	v_cndmask_b32_e32 v4, 0, v5, vcc
	s_brev_b32 s44, 1
	v_and_or_b32 v3, v3, s44, v4
	v_cvt_i32_f32_e32 v3, v3
.LBB46_1250:
	s_mov_b64 s[44:45], 0
.LBB46_1251:
	s_andn2_b64 vcc, exec, s[44:45]
	s_cbranch_vccnz .LBB46_1253
; %bb.1252:
	global_load_ubyte v3, v[0:1], off
	s_movk_i32 s44, 0x7f00
	s_brev_b32 s45, 16
	s_waitcnt vmcnt(0)
	v_lshlrev_b16_e32 v4, 8, v3
	v_lshlrev_b32_e32 v3, 25, v3
	v_lshrrev_b32_e32 v5, 4, v3
	v_and_or_b32 v6, v4, s44, 0.5
	v_or_b32_e32 v5, 0x70000000, v5
	v_add_f32_e32 v6, -0.5, v6
	v_mul_f32_e32 v5, 0x7800000, v5
	v_cmp_gt_u32_e32 vcc, s45, v3
	v_bfe_i32 v4, v4, 0, 16
	v_cndmask_b32_e32 v3, v5, v6, vcc
	s_brev_b32 s44, 1
	v_and_or_b32 v3, v4, s44, v3
	v_cvt_i32_f32_e32 v3, v3
.LBB46_1253:
	s_mov_b64 s[44:45], 0
	s_mov_b64 s[46:47], -1
.LBB46_1254:
	s_andn2_b64 vcc, exec, s[44:45]
	s_mov_b64 s[44:45], 0
	s_cbranch_vccnz .LBB46_1265
; %bb.1255:
	s_cmp_gt_i32 s50, 14
	s_cbranch_scc0 .LBB46_1258
; %bb.1256:
	s_cmp_eq_u32 s50, 15
	s_cbranch_scc0 .LBB46_1261
; %bb.1257:
	global_load_ushort v3, v[0:1], off
	s_mov_b64 s[42:43], 0
	s_mov_b64 s[46:47], -1
	s_waitcnt vmcnt(0)
	v_lshlrev_b32_e32 v3, 16, v3
	v_cvt_i32_f32_e32 v3, v3
	s_branch .LBB46_1262
.LBB46_1258:
	s_mov_b64 s[48:49], -1
                                        ; implicit-def: $vgpr3
	s_branch .LBB46_1263
.LBB46_1259:
	s_andn2_saveexec_b64 s[44:45], s[44:45]
	s_cbranch_execz .LBB46_1240
.LBB46_1260:
	v_cmp_ne_u16_e32 vcc, 0, v4
	s_andn2_b64 s[46:47], s[46:47], exec
	s_and_b64 s[48:49], vcc, exec
	s_or_b64 s[46:47], s[46:47], s[48:49]
	s_or_b64 exec, exec, s[44:45]
	v_mov_b32_e32 v3, 0
	s_and_saveexec_b64 s[44:45], s[46:47]
	s_cbranch_execnz .LBB46_1241
	s_branch .LBB46_1242
.LBB46_1261:
	s_mov_b64 s[42:43], -1
                                        ; implicit-def: $vgpr3
.LBB46_1262:
	s_mov_b64 s[48:49], 0
.LBB46_1263:
	s_and_b64 vcc, exec, s[48:49]
	s_cbranch_vccz .LBB46_1265
; %bb.1264:
	s_cmp_lg_u32 s50, 11
	s_cselect_b64 s[48:49], -1, 0
	s_andn2_b64 s[42:43], s[42:43], exec
	s_and_b64 s[48:49], s[48:49], exec
	s_mov_b64 s[44:45], -1
	s_or_b64 s[42:43], s[42:43], s[48:49]
.LBB46_1265:
	s_mov_b64 s[48:49], 0
.LBB46_1266:
	s_and_b64 s[52:53], s[46:47], exec
	s_and_b64 s[46:47], s[44:45], exec
	s_andn2_b64 s[44:45], s[0:1], exec
	s_and_b64 s[42:43], s[42:43], exec
	s_and_b64 s[50:51], s[48:49], exec
	s_or_b64 s[48:49], s[44:45], s[42:43]
.LBB46_1267:
	s_or_b64 exec, exec, s[36:37]
	s_and_b64 s[42:43], s[46:47], exec
	s_andn2_b64 s[0:1], s[0:1], exec
	s_and_b64 s[46:47], s[48:49], exec
	s_and_b64 s[44:45], s[52:53], exec
	;; [unrolled: 1-line block ×3, first 2 shown]
	s_or_b64 s[0:1], s[0:1], s[46:47]
.LBB46_1268:
	s_or_b64 exec, exec, s[34:35]
	s_andn2_b64 s[28:29], s[28:29], exec
	s_and_b64 s[34:35], s[40:41], exec
	s_or_b64 s[28:29], s[28:29], s[34:35]
	s_andn2_b64 s[26:27], s[26:27], exec
	s_and_b64 s[34:35], s[38:39], exec
	s_andn2_b64 s[24:25], s[24:25], exec
	s_and_b64 s[0:1], s[0:1], exec
	s_or_b64 s[26:27], s[26:27], s[34:35]
	s_and_b64 s[38:39], s[44:45], exec
	s_and_b64 s[36:37], s[36:37], exec
	;; [unrolled: 1-line block ×3, first 2 shown]
	s_or_b64 s[24:25], s[24:25], s[0:1]
.LBB46_1269:
	s_or_b64 exec, exec, s[30:31]
	s_andn2_b64 s[0:1], s[16:17], exec
	s_and_b64 s[16:17], s[28:29], exec
	s_or_b64 s[16:17], s[0:1], s[16:17]
	s_andn2_b64 s[0:1], s[18:19], exec
	s_and_b64 s[18:19], s[26:27], exec
	s_or_b64 s[18:19], s[0:1], s[18:19]
	s_andn2_b64 s[0:1], s[20:21], exec
	s_and_b64 s[20:21], s[24:25], exec
	s_and_b64 s[28:29], s[38:39], exec
	;; [unrolled: 1-line block ×4, first 2 shown]
	s_or_b64 s[20:21], s[0:1], s[20:21]
	s_or_b64 exec, exec, s[22:23]
	s_mov_b64 s[22:23], 0
	s_and_saveexec_b64 s[0:1], s[20:21]
	s_cbranch_execz .LBB46_401
.LBB46_1270:
	s_mov_b64 s[22:23], exec
	s_andn2_b64 s[26:27], s[26:27], exec
	s_trap 2
	s_or_b64 exec, exec, s[0:1]
	s_and_saveexec_b64 s[0:1], s[26:27]
	s_xor_b64 s[0:1], exec, s[0:1]
	s_cbranch_execnz .LBB46_402
.LBB46_1271:
	s_or_b64 exec, exec, s[0:1]
	s_and_saveexec_b64 s[0:1], s[30:31]
	s_cbranch_execz .LBB46_1317
.LBB46_1272:
	s_sext_i32_i16 s20, s56
	s_cmp_lt_i32 s20, 5
	s_cbranch_scc1 .LBB46_1277
; %bb.1273:
	s_cmp_lt_i32 s20, 8
	s_cbranch_scc1 .LBB46_1278
; %bb.1274:
	;; [unrolled: 3-line block ×3, first 2 shown]
	s_cmp_gt_i32 s20, 9
	s_cbranch_scc0 .LBB46_1280
; %bb.1276:
	global_load_dwordx2 v[3:4], v[0:1], off
	s_mov_b64 s[20:21], 0
	s_waitcnt vmcnt(0)
	v_cvt_i32_f64_e32 v3, v[3:4]
	s_branch .LBB46_1281
.LBB46_1277:
                                        ; implicit-def: $vgpr3
	s_branch .LBB46_1298
.LBB46_1278:
                                        ; implicit-def: $vgpr3
	s_branch .LBB46_1287
.LBB46_1279:
	s_mov_b64 s[20:21], -1
                                        ; implicit-def: $vgpr3
	s_branch .LBB46_1284
.LBB46_1280:
	s_mov_b64 s[20:21], -1
                                        ; implicit-def: $vgpr3
.LBB46_1281:
	s_andn2_b64 vcc, exec, s[20:21]
	s_cbranch_vccnz .LBB46_1283
; %bb.1282:
	global_load_dword v3, v[0:1], off
	s_waitcnt vmcnt(0)
	v_cvt_i32_f32_e32 v3, v3
.LBB46_1283:
	s_mov_b64 s[20:21], 0
.LBB46_1284:
	s_andn2_b64 vcc, exec, s[20:21]
	s_cbranch_vccnz .LBB46_1286
; %bb.1285:
	global_load_dword v3, v[0:1], off
	s_waitcnt vmcnt(0)
	v_cvt_f32_f16_e32 v3, v3
	v_cvt_i32_f32_e32 v3, v3
.LBB46_1286:
	s_cbranch_execnz .LBB46_1297
.LBB46_1287:
	s_sext_i32_i16 s20, s56
	s_cmp_lt_i32 s20, 6
	s_cbranch_scc1 .LBB46_1290
; %bb.1288:
	s_cmp_gt_i32 s20, 6
	s_cbranch_scc0 .LBB46_1291
; %bb.1289:
	global_load_dwordx2 v[3:4], v[0:1], off
	s_mov_b64 s[20:21], 0
	s_waitcnt vmcnt(0)
	v_cvt_i32_f64_e32 v3, v[3:4]
	s_branch .LBB46_1292
.LBB46_1290:
	s_mov_b64 s[20:21], -1
                                        ; implicit-def: $vgpr3
	s_branch .LBB46_1295
.LBB46_1291:
	s_mov_b64 s[20:21], -1
                                        ; implicit-def: $vgpr3
.LBB46_1292:
	s_andn2_b64 vcc, exec, s[20:21]
	s_cbranch_vccnz .LBB46_1294
; %bb.1293:
	global_load_dword v3, v[0:1], off
	s_waitcnt vmcnt(0)
	v_cvt_i32_f32_e32 v3, v3
.LBB46_1294:
	s_mov_b64 s[20:21], 0
.LBB46_1295:
	s_andn2_b64 vcc, exec, s[20:21]
	s_cbranch_vccnz .LBB46_1297
; %bb.1296:
	global_load_ushort v3, v[0:1], off
	s_waitcnt vmcnt(0)
	v_cvt_f32_f16_e32 v3, v3
	v_cvt_i32_f32_e32 v3, v3
.LBB46_1297:
	s_cbranch_execnz .LBB46_1316
.LBB46_1298:
	s_sext_i32_i16 s20, s56
	s_cmp_lt_i32 s20, 2
	s_cbranch_scc1 .LBB46_1302
; %bb.1299:
	s_cmp_lt_i32 s20, 3
	s_cbranch_scc1 .LBB46_1303
; %bb.1300:
	s_cmp_gt_i32 s20, 3
	s_cbranch_scc0 .LBB46_1304
; %bb.1301:
	global_load_dword v3, v[0:1], off
	s_mov_b64 s[20:21], 0
	s_branch .LBB46_1305
.LBB46_1302:
                                        ; implicit-def: $vgpr3
	s_branch .LBB46_1311
.LBB46_1303:
	s_mov_b64 s[20:21], -1
                                        ; implicit-def: $vgpr3
	s_branch .LBB46_1308
.LBB46_1304:
	s_mov_b64 s[20:21], -1
                                        ; implicit-def: $vgpr3
.LBB46_1305:
	s_andn2_b64 vcc, exec, s[20:21]
	s_cbranch_vccnz .LBB46_1307
; %bb.1306:
	global_load_dword v3, v[0:1], off
.LBB46_1307:
	s_mov_b64 s[20:21], 0
.LBB46_1308:
	s_andn2_b64 vcc, exec, s[20:21]
	s_cbranch_vccnz .LBB46_1310
; %bb.1309:
	global_load_sshort v3, v[0:1], off
.LBB46_1310:
	s_cbranch_execnz .LBB46_1316
.LBB46_1311:
	s_sext_i32_i16 s20, s56
	s_cmp_gt_i32 s20, 0
	s_cbranch_scc0 .LBB46_1313
; %bb.1312:
	global_load_sbyte v3, v[0:1], off
	s_mov_b64 s[20:21], 0
	s_branch .LBB46_1314
.LBB46_1313:
	s_mov_b64 s[20:21], -1
                                        ; implicit-def: $vgpr3
.LBB46_1314:
	s_andn2_b64 vcc, exec, s[20:21]
	s_cbranch_vccnz .LBB46_1316
; %bb.1315:
	global_load_ubyte v3, v[0:1], off
.LBB46_1316:
	s_or_b64 s[28:29], s[28:29], exec
.LBB46_1317:
	s_or_b64 exec, exec, s[0:1]
	s_mov_b64 s[26:27], 0
	s_mov_b64 s[30:31], 0
	;; [unrolled: 1-line block ×3, first 2 shown]
                                        ; implicit-def: $sgpr34
                                        ; implicit-def: $vgpr0_vgpr1
                                        ; implicit-def: $vgpr4
	s_and_saveexec_b64 s[0:1], s[28:29]
	s_cbranch_execz .LBB46_1325
; %bb.1318:
	v_mul_lo_u32 v0, v2, s14
	v_mov_b32_e32 v1, s3
	s_and_b32 s34, s54, 0xff
	s_cmp_lt_i32 s34, 11
	s_waitcnt vmcnt(0)
	v_ashrrev_i32_e32 v4, 31, v0
	v_add_co_u32_e32 v0, vcc, s2, v0
	v_addc_co_u32_e32 v1, vcc, v1, v4, vcc
	s_cbranch_scc1 .LBB46_1328
; %bb.1319:
	s_and_b32 s30, 0xffff, s34
	s_cmp_gt_i32 s30, 25
	s_cbranch_scc0 .LBB46_1329
; %bb.1320:
	s_cmp_gt_i32 s30, 28
	s_cbranch_scc0 .LBB46_1330
; %bb.1321:
	;; [unrolled: 3-line block ×4, first 2 shown]
	s_cmp_eq_u32 s30, 46
	s_mov_b64 s[28:29], 0
	s_cbranch_scc0 .LBB46_1333
; %bb.1324:
	global_load_dword v4, v[0:1], off
	s_mov_b64 s[20:21], 0
	s_mov_b64 s[24:25], -1
	s_waitcnt vmcnt(0)
	v_lshlrev_b32_e32 v4, 16, v4
	v_cvt_i32_f32_e32 v4, v4
	s_branch .LBB46_1335
.LBB46_1325:
	s_or_b64 exec, exec, s[0:1]
	s_and_saveexec_b64 s[0:1], s[18:19]
	s_cbranch_execnz .LBB46_1394
.LBB46_1326:
	s_or_b64 exec, exec, s[0:1]
	s_and_saveexec_b64 s[0:1], s[26:27]
	s_xor_b64 s[0:1], exec, s[0:1]
	s_cbranch_execz .LBB46_1395
.LBB46_1327:
	global_load_ubyte v4, v[0:1], off
	s_or_b64 s[24:25], s[24:25], exec
	s_waitcnt vmcnt(0)
	v_cmp_ne_u16_e32 vcc, 0, v4
	v_cndmask_b32_e64 v4, 0, 1, vcc
	s_or_b64 exec, exec, s[0:1]
	s_and_saveexec_b64 s[0:1], s[30:31]
	s_cbranch_execz .LBB46_1441
	s_branch .LBB46_1396
.LBB46_1328:
	s_mov_b64 s[28:29], -1
                                        ; implicit-def: $vgpr4
	s_mov_b64 s[20:21], s[18:19]
	s_branch .LBB46_1393
.LBB46_1329:
	s_mov_b64 s[20:21], s[18:19]
                                        ; implicit-def: $vgpr4
	s_cbranch_execnz .LBB46_1362
	s_branch .LBB46_1392
.LBB46_1330:
	s_mov_b64 s[28:29], -1
	s_mov_b64 s[20:21], s[18:19]
                                        ; implicit-def: $vgpr4
	s_branch .LBB46_1345
.LBB46_1331:
	s_mov_b64 s[28:29], -1
	s_mov_b64 s[20:21], s[18:19]
                                        ; implicit-def: $vgpr4
	s_branch .LBB46_1340
.LBB46_1332:
	s_mov_b64 s[28:29], -1
	s_mov_b64 s[20:21], s[18:19]
	s_branch .LBB46_1334
.LBB46_1333:
	s_mov_b64 s[20:21], -1
.LBB46_1334:
                                        ; implicit-def: $vgpr4
.LBB46_1335:
	s_and_b64 vcc, exec, s[28:29]
	s_cbranch_vccz .LBB46_1339
; %bb.1336:
	s_cmp_eq_u32 s30, 44
	s_cbranch_scc0 .LBB46_1338
; %bb.1337:
	global_load_ubyte v4, v[0:1], off
	s_mov_b64 s[20:21], 0
	s_mov_b64 s[24:25], -1
	s_waitcnt vmcnt(0)
	v_lshlrev_b32_e32 v5, 23, v4
	v_cvt_i32_f32_e32 v5, v5
	v_cmp_ne_u32_e32 vcc, 0, v4
	v_cndmask_b32_e32 v4, 0, v5, vcc
	s_branch .LBB46_1339
.LBB46_1338:
	s_mov_b64 s[20:21], -1
                                        ; implicit-def: $vgpr4
.LBB46_1339:
	s_mov_b64 s[28:29], 0
.LBB46_1340:
	s_and_b64 vcc, exec, s[28:29]
	s_cbranch_vccz .LBB46_1344
; %bb.1341:
	s_cmp_eq_u32 s30, 29
	s_cbranch_scc0 .LBB46_1343
; %bb.1342:
	global_load_dword v4, v[0:1], off
	s_mov_b64 s[20:21], 0
	s_mov_b64 s[24:25], -1
	s_branch .LBB46_1344
.LBB46_1343:
	s_mov_b64 s[20:21], -1
                                        ; implicit-def: $vgpr4
.LBB46_1344:
	s_mov_b64 s[28:29], 0
.LBB46_1345:
	s_and_b64 vcc, exec, s[28:29]
	s_cbranch_vccz .LBB46_1361
; %bb.1346:
	s_cmp_lt_i32 s30, 27
	s_cbranch_scc1 .LBB46_1349
; %bb.1347:
	s_cmp_gt_i32 s30, 27
	s_cbranch_scc0 .LBB46_1350
; %bb.1348:
	global_load_dword v4, v[0:1], off
	s_mov_b64 s[24:25], 0
	s_branch .LBB46_1351
.LBB46_1349:
	s_mov_b64 s[24:25], -1
                                        ; implicit-def: $vgpr4
	s_branch .LBB46_1354
.LBB46_1350:
	s_mov_b64 s[24:25], -1
                                        ; implicit-def: $vgpr4
.LBB46_1351:
	s_andn2_b64 vcc, exec, s[24:25]
	s_cbranch_vccnz .LBB46_1353
; %bb.1352:
	global_load_ushort v4, v[0:1], off
.LBB46_1353:
	s_mov_b64 s[24:25], 0
.LBB46_1354:
	s_andn2_b64 vcc, exec, s[24:25]
	s_cbranch_vccnz .LBB46_1360
; %bb.1355:
	global_load_ubyte v5, v[0:1], off
	s_movk_i32 s24, 0x7f
	s_mov_b64 s[28:29], 0
	s_waitcnt vmcnt(0)
	v_cmp_lt_i16_e32 vcc, s24, v5
	s_and_saveexec_b64 s[24:25], vcc
	s_xor_b64 s[24:25], exec, s[24:25]
	s_cbranch_execz .LBB46_1371
; %bb.1356:
	s_movk_i32 s28, 0x80
	v_cmp_ne_u16_e32 vcc, s28, v5
	s_and_b64 s[28:29], vcc, exec
	s_andn2_saveexec_b64 s[24:25], s[24:25]
	s_cbranch_execnz .LBB46_1372
.LBB46_1357:
	s_or_b64 exec, exec, s[24:25]
	v_mov_b32_e32 v4, 0
	s_and_saveexec_b64 s[24:25], s[28:29]
	s_cbranch_execz .LBB46_1359
.LBB46_1358:
	v_lshlrev_b32_e32 v4, 24, v5
	v_and_b32_e32 v5, 0xffff, v5
	v_and_b32_e32 v6, 7, v5
	v_ffbh_u32_e32 v8, v6
	v_min_u32_e32 v8, 32, v8
	v_subrev_u32_e32 v9, 28, v8
	v_bfe_u32 v7, v5, 3, 4
	v_lshlrev_b32_e32 v5, v9, v5
	v_sub_u32_e32 v8, 29, v8
	v_and_b32_e32 v5, 7, v5
	v_cmp_eq_u32_e32 vcc, 0, v7
	v_cndmask_b32_e32 v7, v7, v8, vcc
	v_cndmask_b32_e32 v5, v6, v5, vcc
	v_mov_b32_e32 v6, 0x3b800000
	v_lshlrev_b32_e32 v5, 20, v5
	v_and_b32_e32 v4, 0x80000000, v4
	v_lshl_add_u32 v6, v7, 23, v6
	v_or3_b32 v4, v4, v6, v5
	v_cvt_i32_f32_e32 v4, v4
.LBB46_1359:
	s_or_b64 exec, exec, s[24:25]
.LBB46_1360:
	s_mov_b64 s[24:25], -1
.LBB46_1361:
	s_branch .LBB46_1392
.LBB46_1362:
	s_cmp_gt_i32 s30, 22
	s_cbranch_scc0 .LBB46_1370
; %bb.1363:
	s_cmp_lt_i32 s30, 24
	s_cbranch_scc1 .LBB46_1373
; %bb.1364:
	s_cmp_gt_i32 s30, 24
	s_cbranch_scc0 .LBB46_1374
; %bb.1365:
	global_load_ubyte v5, v[0:1], off
	s_movk_i32 s24, 0x7f
	s_waitcnt vmcnt(0)
	v_cmp_lt_i16_e32 vcc, s24, v5
	s_and_saveexec_b64 s[24:25], vcc
	s_xor_b64 s[24:25], exec, s[24:25]
	s_cbranch_execz .LBB46_1386
; %bb.1366:
	s_movk_i32 s26, 0x80
	v_cmp_ne_u16_e32 vcc, s26, v5
	s_and_b64 s[26:27], vcc, exec
	s_andn2_saveexec_b64 s[24:25], s[24:25]
	s_cbranch_execnz .LBB46_1387
.LBB46_1367:
	s_or_b64 exec, exec, s[24:25]
	v_mov_b32_e32 v4, 0
	s_and_saveexec_b64 s[24:25], s[26:27]
	s_cbranch_execz .LBB46_1369
.LBB46_1368:
	v_lshlrev_b32_e32 v4, 24, v5
	v_and_b32_e32 v5, 0xffff, v5
	v_and_b32_e32 v6, 3, v5
	v_ffbh_u32_e32 v8, v6
	v_min_u32_e32 v8, 32, v8
	v_subrev_u32_e32 v9, 29, v8
	v_bfe_u32 v7, v5, 2, 5
	v_lshlrev_b32_e32 v5, v9, v5
	v_sub_u32_e32 v8, 30, v8
	v_and_b32_e32 v5, 3, v5
	v_cmp_eq_u32_e32 vcc, 0, v7
	v_cndmask_b32_e32 v7, v7, v8, vcc
	v_cndmask_b32_e32 v5, v6, v5, vcc
	v_mov_b32_e32 v6, 0x37800000
	v_lshlrev_b32_e32 v5, 21, v5
	v_and_b32_e32 v4, 0x80000000, v4
	v_lshl_add_u32 v6, v7, 23, v6
	v_or3_b32 v4, v4, v6, v5
	v_cvt_i32_f32_e32 v4, v4
.LBB46_1369:
	s_or_b64 exec, exec, s[24:25]
	s_mov_b64 s[24:25], 0
	s_branch .LBB46_1375
.LBB46_1370:
	s_mov_b64 s[26:27], -1
                                        ; implicit-def: $vgpr4
	s_branch .LBB46_1381
.LBB46_1371:
	s_andn2_saveexec_b64 s[24:25], s[24:25]
	s_cbranch_execz .LBB46_1357
.LBB46_1372:
	v_cmp_ne_u16_e32 vcc, 0, v5
	s_andn2_b64 s[28:29], s[28:29], exec
	s_and_b64 s[36:37], vcc, exec
	s_or_b64 s[28:29], s[28:29], s[36:37]
	s_or_b64 exec, exec, s[24:25]
	v_mov_b32_e32 v4, 0
	s_and_saveexec_b64 s[24:25], s[28:29]
	s_cbranch_execnz .LBB46_1358
	s_branch .LBB46_1359
.LBB46_1373:
	s_mov_b64 s[24:25], -1
                                        ; implicit-def: $vgpr4
	s_branch .LBB46_1378
.LBB46_1374:
	s_mov_b64 s[24:25], -1
                                        ; implicit-def: $vgpr4
.LBB46_1375:
	s_and_b64 vcc, exec, s[24:25]
	s_cbranch_vccz .LBB46_1377
; %bb.1376:
	global_load_ubyte v4, v[0:1], off
	s_mov_b32 s24, 0x7f800000
	s_waitcnt vmcnt(0)
	v_lshlrev_b32_e32 v4, 24, v4
	v_and_b32_e32 v5, 0x7f000000, v4
	v_ffbh_u32_e32 v6, v5
	v_min_u32_e32 v6, 32, v6
	v_sub_u32_e64 v6, v6, 4 clamp
	v_lshlrev_b32_e32 v8, v6, v5
	v_lshlrev_b32_e32 v6, 23, v6
	v_lshrrev_b32_e32 v8, 4, v8
	v_add_u32_e32 v7, 0x1000000, v5
	v_sub_u32_e32 v6, v8, v6
	v_ashrrev_i32_e32 v7, 8, v7
	v_add_u32_e32 v6, 0x3c000000, v6
	v_and_or_b32 v6, v7, s24, v6
	v_cmp_ne_u32_e32 vcc, 0, v5
	v_cndmask_b32_e32 v5, 0, v6, vcc
	s_brev_b32 s24, 1
	v_and_or_b32 v4, v4, s24, v5
	v_cvt_i32_f32_e32 v4, v4
.LBB46_1377:
	s_mov_b64 s[24:25], 0
.LBB46_1378:
	s_andn2_b64 vcc, exec, s[24:25]
	s_cbranch_vccnz .LBB46_1380
; %bb.1379:
	global_load_ubyte v4, v[0:1], off
	s_movk_i32 s24, 0x7f00
	s_brev_b32 s25, 16
	s_waitcnt vmcnt(0)
	v_lshlrev_b16_e32 v5, 8, v4
	v_lshlrev_b32_e32 v4, 25, v4
	v_lshrrev_b32_e32 v6, 4, v4
	v_and_or_b32 v7, v5, s24, 0.5
	v_or_b32_e32 v6, 0x70000000, v6
	v_add_f32_e32 v7, -0.5, v7
	v_mul_f32_e32 v6, 0x7800000, v6
	v_cmp_gt_u32_e32 vcc, s25, v4
	v_bfe_i32 v5, v5, 0, 16
	v_cndmask_b32_e32 v4, v6, v7, vcc
	s_brev_b32 s24, 1
	v_and_or_b32 v4, v5, s24, v4
	v_cvt_i32_f32_e32 v4, v4
.LBB46_1380:
	s_mov_b64 s[26:27], 0
	s_mov_b64 s[24:25], -1
.LBB46_1381:
	s_andn2_b64 vcc, exec, s[26:27]
	s_mov_b64 s[26:27], 0
	s_cbranch_vccnz .LBB46_1392
; %bb.1382:
	s_cmp_gt_i32 s30, 14
	s_cbranch_scc0 .LBB46_1385
; %bb.1383:
	s_cmp_eq_u32 s30, 15
	s_cbranch_scc0 .LBB46_1388
; %bb.1384:
	global_load_ushort v4, v[0:1], off
	s_mov_b64 s[20:21], 0
	s_mov_b64 s[24:25], -1
	s_waitcnt vmcnt(0)
	v_lshlrev_b32_e32 v4, 16, v4
	v_cvt_i32_f32_e32 v4, v4
	s_branch .LBB46_1389
.LBB46_1385:
	s_mov_b64 s[28:29], -1
                                        ; implicit-def: $vgpr4
	s_branch .LBB46_1390
.LBB46_1386:
	s_andn2_saveexec_b64 s[24:25], s[24:25]
	s_cbranch_execz .LBB46_1367
.LBB46_1387:
	v_cmp_ne_u16_e32 vcc, 0, v5
	s_andn2_b64 s[26:27], s[26:27], exec
	s_and_b64 s[28:29], vcc, exec
	s_or_b64 s[26:27], s[26:27], s[28:29]
	s_or_b64 exec, exec, s[24:25]
	v_mov_b32_e32 v4, 0
	s_and_saveexec_b64 s[24:25], s[26:27]
	s_cbranch_execnz .LBB46_1368
	s_branch .LBB46_1369
.LBB46_1388:
	s_mov_b64 s[20:21], -1
                                        ; implicit-def: $vgpr4
.LBB46_1389:
	s_mov_b64 s[28:29], 0
.LBB46_1390:
	s_and_b64 vcc, exec, s[28:29]
	s_cbranch_vccz .LBB46_1392
; %bb.1391:
	s_cmp_lg_u32 s30, 11
	s_cselect_b64 s[28:29], -1, 0
	s_andn2_b64 s[20:21], s[20:21], exec
	s_and_b64 s[28:29], s[28:29], exec
	s_mov_b64 s[26:27], -1
	s_or_b64 s[20:21], s[20:21], s[28:29]
.LBB46_1392:
	s_mov_b64 s[28:29], 0
.LBB46_1393:
	s_andn2_b64 s[18:19], s[18:19], exec
	s_and_b64 s[20:21], s[20:21], exec
	s_and_b64 s[24:25], s[24:25], exec
	;; [unrolled: 1-line block ×4, first 2 shown]
	s_or_b64 s[18:19], s[18:19], s[20:21]
	s_or_b64 exec, exec, s[0:1]
	s_and_saveexec_b64 s[0:1], s[18:19]
	s_cbranch_execz .LBB46_1326
.LBB46_1394:
	s_or_b64 s[22:23], s[22:23], exec
	s_andn2_b64 s[26:27], s[26:27], exec
	s_trap 2
	s_or_b64 exec, exec, s[0:1]
	s_and_saveexec_b64 s[0:1], s[26:27]
	s_xor_b64 s[0:1], exec, s[0:1]
	s_cbranch_execnz .LBB46_1327
.LBB46_1395:
	s_or_b64 exec, exec, s[0:1]
	s_and_saveexec_b64 s[0:1], s[30:31]
	s_cbranch_execz .LBB46_1441
.LBB46_1396:
	s_sext_i32_i16 s18, s34
	s_cmp_lt_i32 s18, 5
	s_cbranch_scc1 .LBB46_1401
; %bb.1397:
	s_cmp_lt_i32 s18, 8
	s_cbranch_scc1 .LBB46_1402
; %bb.1398:
	;; [unrolled: 3-line block ×3, first 2 shown]
	s_cmp_gt_i32 s18, 9
	s_cbranch_scc0 .LBB46_1404
; %bb.1400:
	global_load_dwordx2 v[4:5], v[0:1], off
	s_mov_b64 s[18:19], 0
	s_waitcnt vmcnt(0)
	v_cvt_i32_f64_e32 v4, v[4:5]
	s_branch .LBB46_1405
.LBB46_1401:
                                        ; implicit-def: $vgpr4
	s_branch .LBB46_1422
.LBB46_1402:
                                        ; implicit-def: $vgpr4
	s_branch .LBB46_1411
.LBB46_1403:
	s_mov_b64 s[18:19], -1
                                        ; implicit-def: $vgpr4
	s_branch .LBB46_1408
.LBB46_1404:
	s_mov_b64 s[18:19], -1
                                        ; implicit-def: $vgpr4
.LBB46_1405:
	s_andn2_b64 vcc, exec, s[18:19]
	s_cbranch_vccnz .LBB46_1407
; %bb.1406:
	global_load_dword v4, v[0:1], off
	s_waitcnt vmcnt(0)
	v_cvt_i32_f32_e32 v4, v4
.LBB46_1407:
	s_mov_b64 s[18:19], 0
.LBB46_1408:
	s_andn2_b64 vcc, exec, s[18:19]
	s_cbranch_vccnz .LBB46_1410
; %bb.1409:
	global_load_dword v4, v[0:1], off
	s_waitcnt vmcnt(0)
	v_cvt_f32_f16_e32 v4, v4
	v_cvt_i32_f32_e32 v4, v4
.LBB46_1410:
	s_cbranch_execnz .LBB46_1421
.LBB46_1411:
	s_sext_i32_i16 s18, s34
	s_cmp_lt_i32 s18, 6
	s_cbranch_scc1 .LBB46_1414
; %bb.1412:
	s_cmp_gt_i32 s18, 6
	s_cbranch_scc0 .LBB46_1415
; %bb.1413:
	global_load_dwordx2 v[4:5], v[0:1], off
	s_mov_b64 s[18:19], 0
	s_waitcnt vmcnt(0)
	v_cvt_i32_f64_e32 v4, v[4:5]
	s_branch .LBB46_1416
.LBB46_1414:
	s_mov_b64 s[18:19], -1
                                        ; implicit-def: $vgpr4
	s_branch .LBB46_1419
.LBB46_1415:
	s_mov_b64 s[18:19], -1
                                        ; implicit-def: $vgpr4
.LBB46_1416:
	s_andn2_b64 vcc, exec, s[18:19]
	s_cbranch_vccnz .LBB46_1418
; %bb.1417:
	global_load_dword v4, v[0:1], off
	s_waitcnt vmcnt(0)
	v_cvt_i32_f32_e32 v4, v4
.LBB46_1418:
	s_mov_b64 s[18:19], 0
.LBB46_1419:
	s_andn2_b64 vcc, exec, s[18:19]
	s_cbranch_vccnz .LBB46_1421
; %bb.1420:
	global_load_ushort v4, v[0:1], off
	s_waitcnt vmcnt(0)
	v_cvt_f32_f16_e32 v4, v4
	v_cvt_i32_f32_e32 v4, v4
.LBB46_1421:
	s_cbranch_execnz .LBB46_1440
.LBB46_1422:
	s_sext_i32_i16 s18, s34
	s_cmp_lt_i32 s18, 2
	s_cbranch_scc1 .LBB46_1426
; %bb.1423:
	s_cmp_lt_i32 s18, 3
	s_cbranch_scc1 .LBB46_1427
; %bb.1424:
	s_cmp_gt_i32 s18, 3
	s_cbranch_scc0 .LBB46_1428
; %bb.1425:
	global_load_dword v4, v[0:1], off
	s_mov_b64 s[18:19], 0
	s_branch .LBB46_1429
.LBB46_1426:
                                        ; implicit-def: $vgpr4
	s_branch .LBB46_1435
.LBB46_1427:
	s_mov_b64 s[18:19], -1
                                        ; implicit-def: $vgpr4
	s_branch .LBB46_1432
.LBB46_1428:
	s_mov_b64 s[18:19], -1
                                        ; implicit-def: $vgpr4
.LBB46_1429:
	s_andn2_b64 vcc, exec, s[18:19]
	s_cbranch_vccnz .LBB46_1431
; %bb.1430:
	global_load_dword v4, v[0:1], off
.LBB46_1431:
	s_mov_b64 s[18:19], 0
.LBB46_1432:
	s_andn2_b64 vcc, exec, s[18:19]
	s_cbranch_vccnz .LBB46_1434
; %bb.1433:
	global_load_sshort v4, v[0:1], off
.LBB46_1434:
	s_cbranch_execnz .LBB46_1440
.LBB46_1435:
	s_sext_i32_i16 s18, s34
	s_cmp_gt_i32 s18, 0
	s_cbranch_scc0 .LBB46_1437
; %bb.1436:
	global_load_sbyte v4, v[0:1], off
	s_mov_b64 s[18:19], 0
	s_branch .LBB46_1438
.LBB46_1437:
	s_mov_b64 s[18:19], -1
                                        ; implicit-def: $vgpr4
.LBB46_1438:
	s_andn2_b64 vcc, exec, s[18:19]
	s_cbranch_vccnz .LBB46_1440
; %bb.1439:
	global_load_ubyte v4, v[0:1], off
.LBB46_1440:
	s_or_b64 s[24:25], s[24:25], exec
.LBB46_1441:
	s_or_b64 exec, exec, s[0:1]
	s_mov_b64 s[28:29], 0
	s_mov_b64 s[26:27], 0
                                        ; implicit-def: $sgpr18_sgpr19
                                        ; implicit-def: $sgpr34
                                        ; implicit-def: $vgpr0_vgpr1
	s_and_saveexec_b64 s[20:21], s[24:25]
	s_cbranch_execz .LBB46_1446
; %bb.1442:
	s_cmp_lt_i32 s15, 1
	s_mov_b64 s[0:1], 0
	s_cbranch_scc1 .LBB46_1449
; %bb.1443:
	s_cmp_gt_i32 s15, 1
	s_cbranch_scc0 .LBB46_1450
; %bb.1444:
	s_cmp_eq_u32 s15, 2
	s_cbranch_scc0 .LBB46_1451
; %bb.1445:
	s_waitcnt vmcnt(0)
	v_cmp_le_i32_e64 s[18:19], v3, v4
	s_mov_b64 s[24:25], 0
	s_branch .LBB46_1453
.LBB46_1446:
	s_or_b64 exec, exec, s[20:21]
	s_and_saveexec_b64 s[0:1], s[16:17]
	s_cbranch_execnz .LBB46_1538
.LBB46_1447:
	s_or_b64 exec, exec, s[0:1]
	s_and_saveexec_b64 s[0:1], s[28:29]
	s_xor_b64 s[0:1], exec, s[0:1]
	s_cbranch_execz .LBB46_1539
.LBB46_1448:
	v_cndmask_b32_e64 v2, 0, 1, s[18:19]
	global_store_byte v[0:1], v2, off
	s_or_b64 exec, exec, s[0:1]
	s_and_saveexec_b64 s[0:1], s[26:27]
	s_xor_b64 s[0:1], exec, s[0:1]
	s_cbranch_execz .LBB46_1577
	s_branch .LBB46_1540
.LBB46_1449:
                                        ; implicit-def: $sgpr18_sgpr19
	s_mov_b64 s[24:25], 0
	s_cbranch_execnz .LBB46_1456
	s_branch .LBB46_1457
.LBB46_1450:
	s_mov_b64 s[26:27], -1
	s_mov_b64 s[24:25], 0
	s_branch .LBB46_1452
.LBB46_1451:
	s_mov_b64 s[24:25], -1
.LBB46_1452:
                                        ; implicit-def: $sgpr18_sgpr19
.LBB46_1453:
	s_and_b64 vcc, exec, s[26:27]
	s_cbranch_vccz .LBB46_1455
; %bb.1454:
	s_waitcnt vmcnt(0)
	v_cmp_gt_i32_e32 vcc, v3, v4
	s_andn2_b64 s[18:19], s[18:19], exec
	s_and_b64 s[26:27], vcc, exec
	s_or_b64 s[18:19], s[18:19], s[26:27]
.LBB46_1455:
	s_branch .LBB46_1457
.LBB46_1456:
	s_cmp_lg_u32 s15, 0
	s_mov_b64 s[0:1], -1
	s_cselect_b64 s[24:25], -1, 0
.LBB46_1457:
	s_andn2_b64 vcc, exec, s[24:25]
	s_cbranch_vccnz .LBB46_1459
; %bb.1458:
	s_waitcnt vmcnt(0)
	v_cmp_lt_i32_e32 vcc, v3, v4
	s_andn2_b64 s[18:19], s[18:19], exec
	s_and_b64 s[24:25], vcc, exec
	s_or_b64 s[18:19], s[18:19], s[24:25]
	s_cbranch_execz .LBB46_1460
	s_branch .LBB46_1461
.LBB46_1459:
	s_andn2_b64 vcc, exec, s[0:1]
	s_cbranch_vccnz .LBB46_1461
.LBB46_1460:
	s_waitcnt vmcnt(0)
	v_cmp_ge_i32_e32 vcc, v3, v4
	s_andn2_b64 s[0:1], s[18:19], exec
	s_and_b64 s[18:19], vcc, exec
	s_or_b64 s[18:19], s[0:1], s[18:19]
.LBB46_1461:
	v_mul_lo_u32 v0, v2, s12
	v_mov_b32_e32 v1, s9
	s_and_b32 s34, s33, 0xff
	s_cmp_lt_i32 s34, 11
	v_ashrrev_i32_e32 v2, 31, v0
	v_add_co_u32_e32 v0, vcc, s8, v0
	v_addc_co_u32_e32 v1, vcc, v1, v2, vcc
	s_cbranch_scc1 .LBB46_1535
; %bb.1462:
	s_and_b32 s35, 0xffff, s34
	s_mov_b64 s[26:27], -1
	s_cmp_gt_i32 s35, 25
	s_mov_b64 s[0:1], s[16:17]
	s_cbranch_scc0 .LBB46_1495
; %bb.1463:
	s_mov_b64 s[24:25], -1
	s_cmp_gt_i32 s35, 28
	s_mov_b64 s[0:1], s[16:17]
	s_cbranch_scc0 .LBB46_1479
; %bb.1464:
	s_cmp_gt_i32 s35, 43
	s_mov_b64 s[0:1], s[16:17]
	s_cbranch_scc0 .LBB46_1475
; %bb.1465:
	s_cmp_gt_i32 s35, 45
	s_mov_b64 s[0:1], s[16:17]
	s_cbranch_scc0 .LBB46_1469
; %bb.1466:
	s_cmp_eq_u32 s35, 46
	s_mov_b64 s[0:1], -1
	s_cbranch_scc0 .LBB46_1468
; %bb.1467:
	v_cndmask_b32_e64 v2, 0, 1.0, s[18:19]
	s_waitcnt vmcnt(0)
	v_bfe_u32 v3, v2, 16, 1
	s_movk_i32 s0, 0x7fff
	v_add3_u32 v2, v2, v3, s0
	v_lshrrev_b32_e32 v2, 16, v2
	global_store_dword v[0:1], v2, off
	s_mov_b64 s[0:1], 0
.LBB46_1468:
	s_mov_b64 s[24:25], 0
.LBB46_1469:
	s_and_b64 vcc, exec, s[24:25]
	s_cbranch_vccz .LBB46_1474
; %bb.1470:
	s_cmp_eq_u32 s35, 44
	s_mov_b64 s[0:1], -1
	s_cbranch_scc0 .LBB46_1474
; %bb.1471:
	s_waitcnt vmcnt(0)
	v_cndmask_b32_e64 v3, 0, 1.0, s[18:19]
	v_lshrrev_b32_e32 v2, 23, v3
	s_movk_i32 s0, 0xff
	v_cmp_ne_u32_e32 vcc, s0, v2
	v_mov_b32_e32 v4, 0xff
	s_and_saveexec_b64 s[24:25], vcc
; %bb.1472:
	s_mov_b32 s0, 0x3fffff
	v_and_b32_e32 v4, 0x400000, v3
	v_and_or_b32 v3, v3, s0, v2
	v_cmp_ne_u32_e32 vcc, 0, v4
	v_cmp_ne_u32_e64 s[0:1], 0, v3
	s_and_b64 s[0:1], vcc, s[0:1]
	v_cndmask_b32_e64 v3, 0, 1, s[0:1]
	v_add_u32_e32 v4, v2, v3
; %bb.1473:
	s_or_b64 exec, exec, s[24:25]
	s_mov_b64 s[0:1], 0
	global_store_byte v[0:1], v4, off
.LBB46_1474:
	s_mov_b64 s[24:25], 0
.LBB46_1475:
	s_and_b64 vcc, exec, s[24:25]
	s_cbranch_vccz .LBB46_1478
; %bb.1476:
	s_cmp_eq_u32 s35, 29
	s_mov_b64 s[0:1], -1
	s_cbranch_scc0 .LBB46_1478
; %bb.1477:
	s_mov_b32 s0, 0
	v_cndmask_b32_e64 v2, 0, 1, s[18:19]
	s_waitcnt vmcnt(0)
	v_mov_b32_e32 v3, s0
	global_store_dwordx2 v[0:1], v[2:3], off
	s_mov_b64 s[0:1], 0
.LBB46_1478:
	s_mov_b64 s[24:25], 0
.LBB46_1479:
	s_and_b64 vcc, exec, s[24:25]
	s_cbranch_vccz .LBB46_1494
; %bb.1480:
	s_cmp_lt_i32 s35, 27
	s_mov_b64 s[24:25], -1
	s_cbranch_scc1 .LBB46_1486
; %bb.1481:
	s_cmp_gt_i32 s35, 27
	v_cndmask_b32_e64 v2, 0, 1, s[18:19]
	s_cbranch_scc0 .LBB46_1483
; %bb.1482:
	s_mov_b64 s[24:25], 0
	global_store_dword v[0:1], v2, off
.LBB46_1483:
	s_andn2_b64 vcc, exec, s[24:25]
	s_cbranch_vccnz .LBB46_1485
; %bb.1484:
	global_store_short v[0:1], v2, off
.LBB46_1485:
	s_mov_b64 s[24:25], 0
.LBB46_1486:
	s_andn2_b64 vcc, exec, s[24:25]
	s_cbranch_vccnz .LBB46_1494
; %bb.1487:
	s_waitcnt vmcnt(0)
	v_cndmask_b32_e64 v3, 0, 1.0, s[18:19]
	s_mov_b32 s24, 0x43800000
	v_cmp_gt_u32_e32 vcc, s24, v3
	v_mov_b32_e32 v4, 0x80
	s_and_saveexec_b64 s[24:25], vcc
	s_cbranch_execz .LBB46_1493
; %bb.1488:
	s_mov_b32 s26, 0x3bffffff
	v_cmp_lt_u32_e32 vcc, s26, v3
	s_mov_b64 s[26:27], 0
                                        ; implicit-def: $vgpr2
	s_and_saveexec_b64 s[28:29], vcc
	s_xor_b64 s[28:29], exec, s[28:29]
	s_cbranch_execz .LBB46_1592
; %bb.1489:
	v_bfe_u32 v2, v3, 20, 1
	s_mov_b32 s30, 0x487ffff
	v_add3_u32 v2, v3, v2, s30
	s_mov_b64 s[26:27], exec
	v_lshrrev_b32_e32 v2, 20, v2
                                        ; implicit-def: $vgpr3
	s_andn2_saveexec_b64 s[28:29], s[28:29]
	s_cbranch_execnz .LBB46_1593
.LBB46_1490:
	s_or_b64 exec, exec, s[28:29]
	v_mov_b32_e32 v4, 0
	s_and_saveexec_b64 s[28:29], s[26:27]
.LBB46_1491:
	v_mov_b32_e32 v4, v2
.LBB46_1492:
	s_or_b64 exec, exec, s[28:29]
.LBB46_1493:
	s_or_b64 exec, exec, s[24:25]
	global_store_byte v[0:1], v4, off
.LBB46_1494:
	s_mov_b64 s[26:27], 0
.LBB46_1495:
	s_mov_b64 s[24:25], 0
	s_and_b64 vcc, exec, s[26:27]
	s_cbranch_vccz .LBB46_1536
; %bb.1496:
	s_cmp_gt_i32 s35, 22
	s_mov_b64 s[26:27], -1
	s_cbranch_scc0 .LBB46_1528
; %bb.1497:
	s_cmp_lt_i32 s35, 24
	s_cbranch_scc1 .LBB46_1517
; %bb.1498:
	s_cmp_gt_i32 s35, 24
	s_cbranch_scc0 .LBB46_1506
; %bb.1499:
	s_waitcnt vmcnt(0)
	v_cndmask_b32_e64 v3, 0, 1.0, s[18:19]
	s_mov_b32 s26, 0x47800000
	v_cmp_gt_u32_e32 vcc, s26, v3
	v_mov_b32_e32 v4, 0x80
	s_and_saveexec_b64 s[26:27], vcc
	s_cbranch_execz .LBB46_1505
; %bb.1500:
	s_mov_b32 s28, 0x37ffffff
	v_cmp_lt_u32_e32 vcc, s28, v3
	s_mov_b64 s[28:29], 0
                                        ; implicit-def: $vgpr2
	s_and_saveexec_b64 s[30:31], vcc
	s_xor_b64 s[30:31], exec, s[30:31]
	s_cbranch_execz .LBB46_1712
; %bb.1501:
	v_bfe_u32 v2, v3, 21, 1
	s_mov_b32 s36, 0x88fffff
	v_add3_u32 v2, v3, v2, s36
	s_mov_b64 s[28:29], exec
	v_lshrrev_b32_e32 v2, 21, v2
                                        ; implicit-def: $vgpr3
	s_andn2_saveexec_b64 s[30:31], s[30:31]
	s_cbranch_execnz .LBB46_1713
.LBB46_1502:
	s_or_b64 exec, exec, s[30:31]
	v_mov_b32_e32 v4, 0
	s_and_saveexec_b64 s[30:31], s[28:29]
.LBB46_1503:
	v_mov_b32_e32 v4, v2
.LBB46_1504:
	s_or_b64 exec, exec, s[30:31]
.LBB46_1505:
	s_or_b64 exec, exec, s[26:27]
	s_mov_b64 s[26:27], 0
	global_store_byte v[0:1], v4, off
.LBB46_1506:
	s_and_b64 vcc, exec, s[26:27]
	s_cbranch_vccz .LBB46_1516
; %bb.1507:
	v_cndmask_b32_e64 v2, 0, 1.0, s[18:19]
	s_mov_b32 s26, 0x43f00000
	v_cmp_gt_u32_e32 vcc, s26, v2
                                        ; implicit-def: $vgpr3
	s_and_saveexec_b64 s[26:27], vcc
	s_xor_b64 s[26:27], exec, s[26:27]
	s_cbranch_execz .LBB46_1513
; %bb.1508:
	s_mov_b32 s28, 0x3c7fffff
	v_cmp_lt_u32_e32 vcc, s28, v2
                                        ; implicit-def: $vgpr3
	s_and_saveexec_b64 s[28:29], vcc
	s_xor_b64 s[28:29], exec, s[28:29]
	s_cbranch_execz .LBB46_1510
; %bb.1509:
	s_waitcnt vmcnt(0)
	v_bfe_u32 v3, v2, 20, 1
	s_mov_b32 s30, 0x407ffff
	v_add3_u32 v2, v2, v3, s30
	v_lshrrev_b32_e32 v3, 20, v2
	v_and_b32_e32 v2, 0xff00000, v2
	s_mov_b32 s30, 0x7f00000
	v_mov_b32_e32 v4, 0x7e
	v_cmp_ne_u32_e32 vcc, s30, v2
	v_cndmask_b32_e32 v3, v4, v3, vcc
                                        ; implicit-def: $vgpr2
.LBB46_1510:
	s_andn2_saveexec_b64 s[28:29], s[28:29]
	s_cbranch_execz .LBB46_1512
; %bb.1511:
	s_waitcnt vmcnt(0)
	v_add_f32_e32 v3, 0x46800000, v2
.LBB46_1512:
	s_or_b64 exec, exec, s[28:29]
                                        ; implicit-def: $vgpr2
.LBB46_1513:
	s_andn2_saveexec_b64 s[26:27], s[26:27]
	s_cbranch_execz .LBB46_1515
; %bb.1514:
	s_mov_b32 s28, 0x7f800000
	s_waitcnt vmcnt(0)
	v_mov_b32_e32 v3, 0x7e
	v_mov_b32_e32 v4, 0x7f
	v_cmp_lt_u32_e32 vcc, s28, v2
	v_cndmask_b32_e32 v3, v3, v4, vcc
.LBB46_1515:
	s_or_b64 exec, exec, s[26:27]
	s_waitcnt vmcnt(0)
	global_store_byte v[0:1], v3, off
.LBB46_1516:
	s_mov_b64 s[26:27], 0
.LBB46_1517:
	s_andn2_b64 vcc, exec, s[26:27]
	s_cbranch_vccnz .LBB46_1527
; %bb.1518:
	v_cndmask_b32_e64 v2, 0, 1.0, s[18:19]
	s_mov_b32 s26, 0x47800000
	v_cmp_gt_u32_e32 vcc, s26, v2
                                        ; implicit-def: $vgpr3
	s_and_saveexec_b64 s[26:27], vcc
	s_xor_b64 s[26:27], exec, s[26:27]
	s_cbranch_execz .LBB46_1524
; %bb.1519:
	s_mov_b32 s28, 0x387fffff
	v_cmp_lt_u32_e32 vcc, s28, v2
                                        ; implicit-def: $vgpr3
	s_and_saveexec_b64 s[28:29], vcc
	s_xor_b64 s[28:29], exec, s[28:29]
	s_cbranch_execz .LBB46_1521
; %bb.1520:
	s_waitcnt vmcnt(0)
	v_bfe_u32 v3, v2, 21, 1
	s_mov_b32 s30, 0x80fffff
	v_add3_u32 v2, v2, v3, s30
	v_lshrrev_b32_e32 v3, 21, v2
                                        ; implicit-def: $vgpr2
.LBB46_1521:
	s_andn2_saveexec_b64 s[28:29], s[28:29]
	s_cbranch_execz .LBB46_1523
; %bb.1522:
	s_waitcnt vmcnt(0)
	v_add_f32_e32 v3, 0x43000000, v2
.LBB46_1523:
	s_or_b64 exec, exec, s[28:29]
                                        ; implicit-def: $vgpr2
.LBB46_1524:
	s_andn2_saveexec_b64 s[26:27], s[26:27]
	s_cbranch_execz .LBB46_1526
; %bb.1525:
	s_mov_b32 s28, 0x7f800000
	s_waitcnt vmcnt(0)
	v_mov_b32_e32 v3, 0x7c
	v_mov_b32_e32 v4, 0x7f
	v_cmp_lt_u32_e32 vcc, s28, v2
	v_cndmask_b32_e32 v3, v3, v4, vcc
.LBB46_1526:
	s_or_b64 exec, exec, s[26:27]
	s_waitcnt vmcnt(0)
	global_store_byte v[0:1], v3, off
.LBB46_1527:
	s_mov_b64 s[26:27], 0
.LBB46_1528:
	s_andn2_b64 vcc, exec, s[26:27]
	s_mov_b64 s[28:29], 0
	s_cbranch_vccnz .LBB46_1537
; %bb.1529:
	s_cmp_gt_i32 s35, 14
	s_mov_b64 s[26:27], -1
	s_cbranch_scc0 .LBB46_1533
; %bb.1530:
	s_cmp_eq_u32 s35, 15
	s_mov_b64 s[0:1], -1
	s_cbranch_scc0 .LBB46_1532
; %bb.1531:
	v_cndmask_b32_e64 v2, 0, 1.0, s[18:19]
	s_waitcnt vmcnt(0)
	v_bfe_u32 v3, v2, 16, 1
	s_movk_i32 s0, 0x7fff
	v_add3_u32 v2, v2, v3, s0
	global_store_short_d16_hi v[0:1], v2, off
	s_mov_b64 s[0:1], 0
.LBB46_1532:
	s_mov_b64 s[26:27], 0
.LBB46_1533:
	s_and_b64 vcc, exec, s[26:27]
	s_cbranch_vccz .LBB46_1537
; %bb.1534:
	s_cmp_lg_u32 s35, 11
	s_cselect_b64 s[26:27], -1, 0
	s_andn2_b64 s[0:1], s[0:1], exec
	s_and_b64 s[26:27], s[26:27], exec
	s_mov_b64 s[28:29], -1
	s_or_b64 s[0:1], s[0:1], s[26:27]
	s_branch .LBB46_1537
.LBB46_1535:
	s_mov_b64 s[24:25], -1
	s_mov_b64 s[0:1], s[16:17]
	s_branch .LBB46_1537
.LBB46_1536:
	s_mov_b64 s[28:29], 0
.LBB46_1537:
	s_andn2_b64 s[16:17], s[16:17], exec
	s_and_b64 s[0:1], s[0:1], exec
	s_and_b64 s[26:27], s[24:25], exec
	;; [unrolled: 1-line block ×3, first 2 shown]
	s_or_b64 s[16:17], s[16:17], s[0:1]
	s_or_b64 exec, exec, s[20:21]
	s_and_saveexec_b64 s[0:1], s[16:17]
	s_cbranch_execz .LBB46_1447
.LBB46_1538:
	s_or_b64 s[22:23], s[22:23], exec
	s_andn2_b64 s[28:29], s[28:29], exec
	s_trap 2
	s_or_b64 exec, exec, s[0:1]
	s_and_saveexec_b64 s[0:1], s[28:29]
	s_xor_b64 s[0:1], exec, s[0:1]
	s_cbranch_execnz .LBB46_1448
.LBB46_1539:
	s_or_b64 exec, exec, s[0:1]
	s_and_saveexec_b64 s[0:1], s[26:27]
	s_xor_b64 s[0:1], exec, s[0:1]
	s_cbranch_execz .LBB46_1577
.LBB46_1540:
	s_sext_i32_i16 s20, s34
	s_cmp_lt_i32 s20, 5
	s_mov_b64 s[16:17], -1
	s_cbranch_scc1 .LBB46_1561
; %bb.1541:
	s_cmp_lt_i32 s20, 8
	s_cbranch_scc1 .LBB46_1551
; %bb.1542:
	s_cmp_lt_i32 s20, 9
	s_cbranch_scc1 .LBB46_1548
; %bb.1543:
	s_cmp_gt_i32 s20, 9
	s_cbranch_scc0 .LBB46_1545
; %bb.1544:
	v_cndmask_b32_e64 v2, 0, 1, s[18:19]
	s_waitcnt vmcnt(0)
	v_cvt_f64_u32_e32 v[2:3], v2
	v_mov_b32_e32 v4, 0
	v_mov_b32_e32 v5, v4
	s_mov_b64 s[16:17], 0
	global_store_dwordx4 v[0:1], v[2:5], off
.LBB46_1545:
	s_andn2_b64 vcc, exec, s[16:17]
	s_cbranch_vccnz .LBB46_1547
; %bb.1546:
	v_cndmask_b32_e64 v2, 0, 1.0, s[18:19]
	s_waitcnt vmcnt(0)
	v_mov_b32_e32 v3, 0
	global_store_dwordx2 v[0:1], v[2:3], off
.LBB46_1547:
	s_mov_b64 s[16:17], 0
.LBB46_1548:
	s_andn2_b64 vcc, exec, s[16:17]
	s_cbranch_vccnz .LBB46_1550
; %bb.1549:
	v_cndmask_b32_e64 v2, 0, 1.0, s[18:19]
	v_cvt_f16_f32_e32 v2, v2
	global_store_dword v[0:1], v2, off
.LBB46_1550:
	s_mov_b64 s[16:17], 0
.LBB46_1551:
	s_andn2_b64 vcc, exec, s[16:17]
	s_cbranch_vccnz .LBB46_1560
; %bb.1552:
	s_sext_i32_i16 s20, s34
	s_cmp_lt_i32 s20, 6
	s_mov_b64 s[16:17], -1
	s_cbranch_scc1 .LBB46_1558
; %bb.1553:
	s_cmp_gt_i32 s20, 6
	s_cbranch_scc0 .LBB46_1555
; %bb.1554:
	v_cndmask_b32_e64 v2, 0, 1, s[18:19]
	s_waitcnt vmcnt(0)
	v_cvt_f64_u32_e32 v[2:3], v2
	s_mov_b64 s[16:17], 0
	global_store_dwordx2 v[0:1], v[2:3], off
.LBB46_1555:
	s_andn2_b64 vcc, exec, s[16:17]
	s_cbranch_vccnz .LBB46_1557
; %bb.1556:
	v_cndmask_b32_e64 v2, 0, 1.0, s[18:19]
	global_store_dword v[0:1], v2, off
.LBB46_1557:
	s_mov_b64 s[16:17], 0
.LBB46_1558:
	s_andn2_b64 vcc, exec, s[16:17]
	s_cbranch_vccnz .LBB46_1560
; %bb.1559:
	v_cndmask_b32_e64 v2, 0, 1.0, s[18:19]
	v_cvt_f16_f32_e32 v2, v2
	global_store_short v[0:1], v2, off
.LBB46_1560:
	s_mov_b64 s[16:17], 0
.LBB46_1561:
	s_andn2_b64 vcc, exec, s[16:17]
	s_cbranch_vccnz .LBB46_1577
; %bb.1562:
	s_sext_i32_i16 s20, s34
	s_cmp_lt_i32 s20, 2
	s_mov_b64 s[16:17], -1
	s_cbranch_scc1 .LBB46_1572
; %bb.1563:
	s_cmp_lt_i32 s20, 3
	s_cbranch_scc1 .LBB46_1569
; %bb.1564:
	s_cmp_gt_i32 s20, 3
	s_cbranch_scc0 .LBB46_1566
; %bb.1565:
	s_mov_b32 s16, 0
	v_cndmask_b32_e64 v2, 0, 1, s[18:19]
	s_waitcnt vmcnt(0)
	v_mov_b32_e32 v3, s16
	s_mov_b64 s[16:17], 0
	global_store_dwordx2 v[0:1], v[2:3], off
.LBB46_1566:
	s_andn2_b64 vcc, exec, s[16:17]
	s_cbranch_vccnz .LBB46_1568
; %bb.1567:
	v_cndmask_b32_e64 v2, 0, 1, s[18:19]
	global_store_dword v[0:1], v2, off
.LBB46_1568:
	s_mov_b64 s[16:17], 0
.LBB46_1569:
	s_andn2_b64 vcc, exec, s[16:17]
	s_cbranch_vccnz .LBB46_1571
; %bb.1570:
	v_cndmask_b32_e64 v2, 0, 1, s[18:19]
	global_store_short v[0:1], v2, off
.LBB46_1571:
	s_mov_b64 s[16:17], 0
.LBB46_1572:
	s_andn2_b64 vcc, exec, s[16:17]
	s_cbranch_vccnz .LBB46_1577
; %bb.1573:
	s_sext_i32_i16 s20, s34
	s_mov_b64 s[16:17], -1
	s_cmp_gt_i32 s20, 0
	v_cndmask_b32_e64 v2, 0, 1, s[18:19]
	s_cbranch_scc0 .LBB46_1575
; %bb.1574:
	s_mov_b64 s[16:17], 0
	global_store_byte v[0:1], v2, off
.LBB46_1575:
	s_andn2_b64 vcc, exec, s[16:17]
	s_cbranch_vccnz .LBB46_1577
; %bb.1576:
	global_store_byte v[0:1], v2, off
.LBB46_1577:
	s_or_b64 exec, exec, s[0:1]
	s_and_b64 s[16:17], s[22:23], exec
                                        ; implicit-def: $vgpr2
.LBB46_1578:
	s_or_saveexec_b64 s[6:7], s[6:7]
	s_mov_b64 s[0:1], 0
                                        ; implicit-def: $sgpr24_sgpr25
                                        ; implicit-def: $sgpr28
                                        ; implicit-def: $vgpr0_vgpr1
	s_xor_b64 exec, exec, s[6:7]
	s_cbranch_execz .LBB46_2637
; %bb.1579:
	s_waitcnt vmcnt(0)
	v_mul_lo_u32 v3, s13, v2
	v_mov_b32_e32 v1, s11
	s_and_b32 s28, s55, 0xff
	s_cmp_lt_i32 s28, 11
	v_ashrrev_i32_e32 v4, 31, v3
	v_add_co_u32_e32 v0, vcc, s10, v3
	v_addc_co_u32_e32 v1, vcc, v1, v4, vcc
	s_cbranch_scc1 .LBB46_1586
; %bb.1580:
	s_and_b32 s22, 0xffff, s28
	s_cmp_gt_i32 s22, 25
	s_cbranch_scc0 .LBB46_1588
; %bb.1581:
	s_cmp_gt_i32 s22, 28
	s_cbranch_scc0 .LBB46_1589
; %bb.1582:
	;; [unrolled: 3-line block ×4, first 2 shown]
	s_cmp_eq_u32 s22, 46
	s_mov_b64 s[18:19], 0
	s_cbranch_scc0 .LBB46_1594
; %bb.1585:
	global_load_dword v4, v[0:1], off
	s_mov_b64 s[20:21], -1
	s_waitcnt vmcnt(0)
	v_lshlrev_b32_e32 v4, 16, v4
	v_cvt_i32_f32_e32 v5, v4
	s_branch .LBB46_1595
.LBB46_1586:
	s_mov_b64 s[20:21], 0
                                        ; implicit-def: $vgpr5
	s_mov_b64 s[18:19], s[16:17]
	s_cbranch_execnz .LBB46_1653
.LBB46_1587:
	s_andn2_b64 vcc, exec, s[20:21]
	s_cbranch_vccz .LBB46_1698
	s_branch .LBB46_2634
.LBB46_1588:
	s_mov_b64 s[20:21], 0
                                        ; implicit-def: $vgpr5
	s_cbranch_execnz .LBB46_1620
	s_branch .LBB46_1649
.LBB46_1589:
	s_mov_b64 s[20:21], 0
                                        ; implicit-def: $vgpr5
	s_cbranch_execz .LBB46_1619
	s_branch .LBB46_1604
.LBB46_1590:
	s_mov_b64 s[20:21], 0
                                        ; implicit-def: $vgpr5
	s_cbranch_execnz .LBB46_1600
	s_branch .LBB46_1603
.LBB46_1591:
	s_mov_b64 s[18:19], -1
	s_mov_b64 s[20:21], 0
                                        ; implicit-def: $vgpr5
	s_branch .LBB46_1595
.LBB46_1592:
	s_andn2_saveexec_b64 s[28:29], s[28:29]
	s_cbranch_execz .LBB46_1490
.LBB46_1593:
	v_add_f32_e32 v2, 0x46000000, v3
	v_and_b32_e32 v2, 0xff, v2
	v_cmp_ne_u32_e32 vcc, 0, v2
	s_andn2_b64 s[26:27], s[26:27], exec
	s_and_b64 s[30:31], vcc, exec
	s_or_b64 s[26:27], s[26:27], s[30:31]
	s_or_b64 exec, exec, s[28:29]
	v_mov_b32_e32 v4, 0
	s_and_saveexec_b64 s[28:29], s[26:27]
	s_cbranch_execnz .LBB46_1491
	s_branch .LBB46_1492
.LBB46_1594:
	s_mov_b64 s[0:1], -1
                                        ; implicit-def: $vgpr5
	s_mov_b64 s[20:21], 0
.LBB46_1595:
	s_and_b64 vcc, exec, s[18:19]
	s_cbranch_vccz .LBB46_1598
; %bb.1596:
	s_cmp_eq_u32 s22, 44
	s_cbranch_scc0 .LBB46_1599
; %bb.1597:
	global_load_ubyte v4, v[0:1], off
	s_mov_b64 s[0:1], 0
	s_mov_b64 s[20:21], -1
	s_waitcnt vmcnt(0)
	v_lshlrev_b32_e32 v5, 23, v4
	v_cvt_i32_f32_e32 v5, v5
	v_cmp_ne_u32_e32 vcc, 0, v4
	v_cndmask_b32_e32 v5, 0, v5, vcc
.LBB46_1598:
	s_branch .LBB46_1603
.LBB46_1599:
	s_mov_b64 s[0:1], -1
                                        ; implicit-def: $vgpr5
	s_branch .LBB46_1603
.LBB46_1600:
	s_cmp_eq_u32 s22, 29
	s_cbranch_scc0 .LBB46_1602
; %bb.1601:
	global_load_dword v5, v[0:1], off
	s_mov_b64 s[0:1], 0
	s_mov_b64 s[20:21], -1
	s_branch .LBB46_1603
.LBB46_1602:
	s_mov_b64 s[0:1], -1
                                        ; implicit-def: $vgpr5
.LBB46_1603:
	s_branch .LBB46_1619
.LBB46_1604:
	s_cmp_lt_i32 s22, 27
	s_cbranch_scc1 .LBB46_1607
; %bb.1605:
	s_cmp_gt_i32 s22, 27
	s_cbranch_scc0 .LBB46_1608
; %bb.1606:
	global_load_dword v5, v[0:1], off
	s_mov_b64 s[18:19], 0
	s_branch .LBB46_1609
.LBB46_1607:
	s_mov_b64 s[18:19], -1
                                        ; implicit-def: $vgpr5
	s_branch .LBB46_1612
.LBB46_1608:
	s_mov_b64 s[18:19], -1
                                        ; implicit-def: $vgpr5
.LBB46_1609:
	s_andn2_b64 vcc, exec, s[18:19]
	s_cbranch_vccnz .LBB46_1611
; %bb.1610:
	global_load_ushort v5, v[0:1], off
.LBB46_1611:
	s_mov_b64 s[18:19], 0
.LBB46_1612:
	s_andn2_b64 vcc, exec, s[18:19]
	s_cbranch_vccnz .LBB46_1618
; %bb.1613:
	global_load_ubyte v4, v[0:1], off
	s_movk_i32 s18, 0x7f
	s_mov_b64 s[20:21], 0
	s_waitcnt vmcnt(0)
	v_cmp_lt_i16_e32 vcc, s18, v4
	s_and_saveexec_b64 s[18:19], vcc
	s_xor_b64 s[18:19], exec, s[18:19]
	s_cbranch_execz .LBB46_1629
; %bb.1614:
	s_movk_i32 s20, 0x80
	v_cmp_ne_u16_e32 vcc, s20, v4
	s_and_b64 s[20:21], vcc, exec
	s_andn2_saveexec_b64 s[18:19], s[18:19]
	s_cbranch_execnz .LBB46_1630
.LBB46_1615:
	s_or_b64 exec, exec, s[18:19]
	v_mov_b32_e32 v5, 0
	s_and_saveexec_b64 s[18:19], s[20:21]
	s_cbranch_execz .LBB46_1617
.LBB46_1616:
	v_lshlrev_b32_e32 v5, 24, v4
	v_and_b32_e32 v4, 0xffff, v4
	v_and_b32_e32 v6, 7, v4
	v_ffbh_u32_e32 v8, v6
	v_min_u32_e32 v8, 32, v8
	v_subrev_u32_e32 v9, 28, v8
	v_bfe_u32 v7, v4, 3, 4
	v_lshlrev_b32_e32 v4, v9, v4
	v_sub_u32_e32 v8, 29, v8
	v_and_b32_e32 v4, 7, v4
	v_cmp_eq_u32_e32 vcc, 0, v7
	v_cndmask_b32_e32 v7, v7, v8, vcc
	v_cndmask_b32_e32 v4, v6, v4, vcc
	v_mov_b32_e32 v6, 0x3b800000
	v_lshlrev_b32_e32 v4, 20, v4
	v_and_b32_e32 v5, 0x80000000, v5
	v_lshl_add_u32 v6, v7, 23, v6
	v_or3_b32 v4, v5, v6, v4
	v_cvt_i32_f32_e32 v5, v4
.LBB46_1617:
	s_or_b64 exec, exec, s[18:19]
.LBB46_1618:
	s_mov_b64 s[20:21], -1
.LBB46_1619:
	s_branch .LBB46_1649
.LBB46_1620:
	s_cmp_gt_i32 s22, 22
	s_cbranch_scc0 .LBB46_1628
; %bb.1621:
	s_cmp_lt_i32 s22, 24
	s_cbranch_scc1 .LBB46_1631
; %bb.1622:
	s_cmp_gt_i32 s22, 24
	s_cbranch_scc0 .LBB46_1632
; %bb.1623:
	global_load_ubyte v4, v[0:1], off
	s_movk_i32 s4, 0x7f
	s_mov_b64 s[18:19], 0
	s_waitcnt vmcnt(0)
	v_cmp_lt_i16_e32 vcc, s4, v4
	s_and_saveexec_b64 s[4:5], vcc
	s_xor_b64 s[4:5], exec, s[4:5]
	s_cbranch_execz .LBB46_1643
; %bb.1624:
	s_movk_i32 s18, 0x80
	v_cmp_ne_u16_e32 vcc, s18, v4
	s_and_b64 s[18:19], vcc, exec
	s_andn2_saveexec_b64 s[4:5], s[4:5]
	s_cbranch_execnz .LBB46_1644
.LBB46_1625:
	s_or_b64 exec, exec, s[4:5]
	v_mov_b32_e32 v5, 0
	s_and_saveexec_b64 s[4:5], s[18:19]
	s_cbranch_execz .LBB46_1627
.LBB46_1626:
	v_lshlrev_b32_e32 v5, 24, v4
	v_and_b32_e32 v4, 0xffff, v4
	v_and_b32_e32 v6, 3, v4
	v_ffbh_u32_e32 v8, v6
	v_min_u32_e32 v8, 32, v8
	v_subrev_u32_e32 v9, 29, v8
	v_bfe_u32 v7, v4, 2, 5
	v_lshlrev_b32_e32 v4, v9, v4
	v_sub_u32_e32 v8, 30, v8
	v_and_b32_e32 v4, 3, v4
	v_cmp_eq_u32_e32 vcc, 0, v7
	v_cndmask_b32_e32 v7, v7, v8, vcc
	v_cndmask_b32_e32 v4, v6, v4, vcc
	v_mov_b32_e32 v6, 0x37800000
	v_lshlrev_b32_e32 v4, 21, v4
	v_and_b32_e32 v5, 0x80000000, v5
	v_lshl_add_u32 v6, v7, 23, v6
	v_or3_b32 v4, v5, v6, v4
	v_cvt_i32_f32_e32 v5, v4
.LBB46_1627:
	s_or_b64 exec, exec, s[4:5]
	s_mov_b64 s[4:5], 0
	s_branch .LBB46_1633
.LBB46_1628:
                                        ; implicit-def: $vgpr5
	s_mov_b64 s[4:5], 0
	s_branch .LBB46_1639
.LBB46_1629:
	s_andn2_saveexec_b64 s[18:19], s[18:19]
	s_cbranch_execz .LBB46_1615
.LBB46_1630:
	v_cmp_ne_u16_e32 vcc, 0, v4
	s_andn2_b64 s[20:21], s[20:21], exec
	s_and_b64 s[24:25], vcc, exec
	s_or_b64 s[20:21], s[20:21], s[24:25]
	s_or_b64 exec, exec, s[18:19]
	v_mov_b32_e32 v5, 0
	s_and_saveexec_b64 s[18:19], s[20:21]
	s_cbranch_execnz .LBB46_1616
	s_branch .LBB46_1617
.LBB46_1631:
	s_mov_b64 s[4:5], -1
                                        ; implicit-def: $vgpr5
	s_branch .LBB46_1636
.LBB46_1632:
	s_mov_b64 s[4:5], -1
                                        ; implicit-def: $vgpr5
.LBB46_1633:
	s_and_b64 vcc, exec, s[4:5]
	s_cbranch_vccz .LBB46_1635
; %bb.1634:
	global_load_ubyte v4, v[0:1], off
	s_mov_b32 s4, 0x7f800000
	s_waitcnt vmcnt(0)
	v_lshlrev_b32_e32 v4, 24, v4
	v_and_b32_e32 v5, 0x7f000000, v4
	v_ffbh_u32_e32 v6, v5
	v_min_u32_e32 v6, 32, v6
	v_sub_u32_e64 v6, v6, 4 clamp
	v_lshlrev_b32_e32 v8, v6, v5
	v_lshlrev_b32_e32 v6, 23, v6
	v_lshrrev_b32_e32 v8, 4, v8
	v_add_u32_e32 v7, 0x1000000, v5
	v_sub_u32_e32 v6, v8, v6
	v_ashrrev_i32_e32 v7, 8, v7
	v_add_u32_e32 v6, 0x3c000000, v6
	v_and_or_b32 v6, v7, s4, v6
	v_cmp_ne_u32_e32 vcc, 0, v5
	v_cndmask_b32_e32 v5, 0, v6, vcc
	s_brev_b32 s4, 1
	v_and_or_b32 v4, v4, s4, v5
	v_cvt_i32_f32_e32 v5, v4
.LBB46_1635:
	s_mov_b64 s[4:5], 0
.LBB46_1636:
	s_andn2_b64 vcc, exec, s[4:5]
	s_cbranch_vccnz .LBB46_1638
; %bb.1637:
	global_load_ubyte v4, v[0:1], off
	s_movk_i32 s4, 0x7f00
	s_brev_b32 s5, 16
	s_waitcnt vmcnt(0)
	v_lshlrev_b16_e32 v5, 8, v4
	v_lshlrev_b32_e32 v4, 25, v4
	v_lshrrev_b32_e32 v6, 4, v4
	v_and_or_b32 v7, v5, s4, 0.5
	v_or_b32_e32 v6, 0x70000000, v6
	v_add_f32_e32 v7, -0.5, v7
	v_mul_f32_e32 v6, 0x7800000, v6
	v_cmp_gt_u32_e32 vcc, s5, v4
	v_bfe_i32 v5, v5, 0, 16
	v_cndmask_b32_e32 v4, v6, v7, vcc
	s_brev_b32 s4, 1
	v_and_or_b32 v4, v5, s4, v4
	v_cvt_i32_f32_e32 v5, v4
.LBB46_1638:
	s_mov_b64 s[20:21], -1
	s_mov_b64 s[4:5], 0
	s_cbranch_execnz .LBB46_1649
.LBB46_1639:
	s_cmp_gt_i32 s22, 14
	s_cbranch_scc0 .LBB46_1642
; %bb.1640:
	s_cmp_eq_u32 s22, 15
	s_cbranch_scc0 .LBB46_1645
; %bb.1641:
	global_load_ushort v4, v[0:1], off
	s_mov_b64 s[0:1], 0
	s_mov_b64 s[20:21], -1
	s_waitcnt vmcnt(0)
	v_lshlrev_b32_e32 v4, 16, v4
	v_cvt_i32_f32_e32 v5, v4
	s_branch .LBB46_1646
.LBB46_1642:
	s_mov_b64 s[18:19], -1
                                        ; implicit-def: $vgpr5
	s_branch .LBB46_1647
.LBB46_1643:
	s_andn2_saveexec_b64 s[4:5], s[4:5]
	s_cbranch_execz .LBB46_1625
.LBB46_1644:
	v_cmp_ne_u16_e32 vcc, 0, v4
	s_andn2_b64 s[18:19], s[18:19], exec
	s_and_b64 s[20:21], vcc, exec
	s_or_b64 s[18:19], s[18:19], s[20:21]
	s_or_b64 exec, exec, s[4:5]
	v_mov_b32_e32 v5, 0
	s_and_saveexec_b64 s[4:5], s[18:19]
	s_cbranch_execnz .LBB46_1626
	s_branch .LBB46_1627
.LBB46_1645:
	s_mov_b64 s[0:1], -1
                                        ; implicit-def: $vgpr5
.LBB46_1646:
	s_mov_b64 s[18:19], 0
.LBB46_1647:
	s_and_b64 vcc, exec, s[18:19]
	s_cbranch_vccz .LBB46_1649
; %bb.1648:
	s_cmp_lg_u32 s22, 11
	s_mov_b64 s[4:5], -1
	s_cselect_b64 s[0:1], -1, 0
.LBB46_1649:
	s_and_b64 vcc, exec, s[0:1]
	s_mov_b64 s[18:19], s[16:17]
	s_cbranch_vccnz .LBB46_1710
; %bb.1650:
	s_andn2_b64 vcc, exec, s[4:5]
	s_cbranch_vccnz .LBB46_1652
.LBB46_1651:
	global_load_ubyte v4, v[0:1], off
	s_mov_b64 s[20:21], -1
	s_waitcnt vmcnt(0)
	v_cmp_ne_u16_e32 vcc, 0, v4
	v_cndmask_b32_e64 v5, 0, 1, vcc
.LBB46_1652:
	s_branch .LBB46_1587
.LBB46_1653:
	s_and_b32 s4, 0xffff, s28
	s_cmp_lt_i32 s4, 5
	s_cbranch_scc1 .LBB46_1658
; %bb.1654:
	s_cmp_lt_i32 s4, 8
	s_cbranch_scc1 .LBB46_1659
; %bb.1655:
	s_cmp_lt_i32 s4, 9
	s_cbranch_scc1 .LBB46_1660
; %bb.1656:
	s_cmp_gt_i32 s4, 9
	s_cbranch_scc0 .LBB46_1661
; %bb.1657:
	global_load_dwordx2 v[4:5], v[0:1], off
	s_mov_b64 s[0:1], 0
	s_waitcnt vmcnt(0)
	v_cvt_i32_f64_e32 v5, v[4:5]
	s_branch .LBB46_1662
.LBB46_1658:
                                        ; implicit-def: $vgpr5
	s_branch .LBB46_1679
.LBB46_1659:
                                        ; implicit-def: $vgpr5
	s_branch .LBB46_1668
.LBB46_1660:
	s_mov_b64 s[0:1], -1
                                        ; implicit-def: $vgpr5
	s_branch .LBB46_1665
.LBB46_1661:
	s_mov_b64 s[0:1], -1
                                        ; implicit-def: $vgpr5
.LBB46_1662:
	s_andn2_b64 vcc, exec, s[0:1]
	s_cbranch_vccnz .LBB46_1664
; %bb.1663:
	global_load_dword v4, v[0:1], off
	s_waitcnt vmcnt(0)
	v_cvt_i32_f32_e32 v5, v4
.LBB46_1664:
	s_mov_b64 s[0:1], 0
.LBB46_1665:
	s_andn2_b64 vcc, exec, s[0:1]
	s_cbranch_vccnz .LBB46_1667
; %bb.1666:
	global_load_dword v4, v[0:1], off
	s_waitcnt vmcnt(0)
	v_cvt_f32_f16_e32 v4, v4
	v_cvt_i32_f32_e32 v5, v4
.LBB46_1667:
	s_cbranch_execnz .LBB46_1678
.LBB46_1668:
	s_cmp_lt_i32 s4, 6
	s_cbranch_scc1 .LBB46_1671
; %bb.1669:
	s_cmp_gt_i32 s4, 6
	s_cbranch_scc0 .LBB46_1672
; %bb.1670:
	global_load_dwordx2 v[4:5], v[0:1], off
	s_mov_b64 s[0:1], 0
	s_waitcnt vmcnt(0)
	v_cvt_i32_f64_e32 v5, v[4:5]
	s_branch .LBB46_1673
.LBB46_1671:
	s_mov_b64 s[0:1], -1
                                        ; implicit-def: $vgpr5
	s_branch .LBB46_1676
.LBB46_1672:
	s_mov_b64 s[0:1], -1
                                        ; implicit-def: $vgpr5
.LBB46_1673:
	s_andn2_b64 vcc, exec, s[0:1]
	s_cbranch_vccnz .LBB46_1675
; %bb.1674:
	global_load_dword v4, v[0:1], off
	s_waitcnt vmcnt(0)
	v_cvt_i32_f32_e32 v5, v4
.LBB46_1675:
	s_mov_b64 s[0:1], 0
.LBB46_1676:
	s_andn2_b64 vcc, exec, s[0:1]
	s_cbranch_vccnz .LBB46_1678
; %bb.1677:
	global_load_ushort v4, v[0:1], off
	s_waitcnt vmcnt(0)
	v_cvt_f32_f16_e32 v4, v4
	v_cvt_i32_f32_e32 v5, v4
.LBB46_1678:
	s_cbranch_execnz .LBB46_1697
.LBB46_1679:
	s_cmp_lt_i32 s4, 2
	s_cbranch_scc1 .LBB46_1683
; %bb.1680:
	s_cmp_lt_i32 s4, 3
	s_cbranch_scc1 .LBB46_1684
; %bb.1681:
	s_cmp_gt_i32 s4, 3
	s_cbranch_scc0 .LBB46_1685
; %bb.1682:
	global_load_dword v5, v[0:1], off
	s_mov_b64 s[0:1], 0
	s_branch .LBB46_1686
.LBB46_1683:
                                        ; implicit-def: $vgpr5
	s_branch .LBB46_1692
.LBB46_1684:
	s_mov_b64 s[0:1], -1
                                        ; implicit-def: $vgpr5
	s_branch .LBB46_1689
.LBB46_1685:
	s_mov_b64 s[0:1], -1
                                        ; implicit-def: $vgpr5
.LBB46_1686:
	s_andn2_b64 vcc, exec, s[0:1]
	s_cbranch_vccnz .LBB46_1688
; %bb.1687:
	global_load_dword v5, v[0:1], off
.LBB46_1688:
	s_mov_b64 s[0:1], 0
.LBB46_1689:
	s_andn2_b64 vcc, exec, s[0:1]
	s_cbranch_vccnz .LBB46_1691
; %bb.1690:
	global_load_sshort v5, v[0:1], off
.LBB46_1691:
	s_cbranch_execnz .LBB46_1697
.LBB46_1692:
	s_cmp_gt_i32 s4, 0
	s_cbranch_scc0 .LBB46_1694
; %bb.1693:
	global_load_sbyte v5, v[0:1], off
	s_mov_b64 s[0:1], 0
	s_branch .LBB46_1695
.LBB46_1694:
	s_mov_b64 s[0:1], -1
                                        ; implicit-def: $vgpr5
.LBB46_1695:
	s_andn2_b64 vcc, exec, s[0:1]
	s_cbranch_vccnz .LBB46_1697
; %bb.1696:
	global_load_ubyte v5, v[0:1], off
.LBB46_1697:
.LBB46_1698:
	v_mul_lo_u32 v4, s14, v2
	v_mov_b32_e32 v1, s3
	s_and_b32 s29, s54, 0xff
	s_cmp_lt_i32 s29, 11
	v_ashrrev_i32_e32 v6, 31, v4
	v_add_co_u32_e32 v0, vcc, s2, v4
	v_addc_co_u32_e32 v1, vcc, v1, v6, vcc
	s_cbranch_scc1 .LBB46_1705
; %bb.1699:
	s_and_b32 s24, 0xffff, s29
	s_cmp_gt_i32 s24, 25
	s_mov_b64 s[4:5], 0
	s_cbranch_scc0 .LBB46_1707
; %bb.1700:
	s_cmp_gt_i32 s24, 28
	s_cbranch_scc0 .LBB46_1708
; %bb.1701:
	s_cmp_gt_i32 s24, 43
	;; [unrolled: 3-line block ×3, first 2 shown]
	s_cbranch_scc0 .LBB46_1711
; %bb.1703:
	s_cmp_eq_u32 s24, 46
	s_mov_b64 s[22:23], 0
	s_cbranch_scc0 .LBB46_1714
; %bb.1704:
	global_load_dword v6, v[0:1], off
	s_mov_b64 s[0:1], 0
	s_mov_b64 s[20:21], -1
	s_waitcnt vmcnt(0)
	v_lshlrev_b32_e32 v6, 16, v6
	v_cvt_i32_f32_e32 v6, v6
	s_branch .LBB46_1715
.LBB46_1705:
	s_mov_b64 s[20:21], 0
                                        ; implicit-def: $vgpr6
	s_cbranch_execnz .LBB46_1776
.LBB46_1706:
	s_andn2_b64 vcc, exec, s[20:21]
	s_cbranch_vccnz .LBB46_2634
	s_branch .LBB46_1823
.LBB46_1707:
	s_mov_b64 s[20:21], 0
	s_mov_b64 s[0:1], 0
                                        ; implicit-def: $vgpr6
	s_cbranch_execnz .LBB46_1742
	s_branch .LBB46_1772
.LBB46_1708:
	s_mov_b64 s[22:23], -1
	s_mov_b64 s[20:21], 0
	s_mov_b64 s[0:1], 0
                                        ; implicit-def: $vgpr6
	s_branch .LBB46_1725
.LBB46_1709:
	s_mov_b64 s[22:23], -1
	s_mov_b64 s[20:21], 0
	s_mov_b64 s[0:1], 0
                                        ; implicit-def: $vgpr6
	s_branch .LBB46_1720
.LBB46_1710:
	s_or_b64 s[18:19], s[16:17], exec
	s_trap 2
	s_cbranch_execz .LBB46_1651
	s_branch .LBB46_1652
.LBB46_1711:
	s_mov_b64 s[22:23], -1
	s_mov_b64 s[20:21], 0
	s_mov_b64 s[0:1], 0
                                        ; implicit-def: $vgpr6
	s_branch .LBB46_1715
.LBB46_1712:
	s_andn2_saveexec_b64 s[30:31], s[30:31]
	s_cbranch_execz .LBB46_1502
.LBB46_1713:
	v_add_f32_e32 v2, 0x42800000, v3
	v_and_b32_e32 v2, 0xff, v2
	v_cmp_ne_u32_e32 vcc, 0, v2
	s_andn2_b64 s[28:29], s[28:29], exec
	s_and_b64 s[36:37], vcc, exec
	s_or_b64 s[28:29], s[28:29], s[36:37]
	s_or_b64 exec, exec, s[30:31]
	v_mov_b32_e32 v4, 0
	s_and_saveexec_b64 s[30:31], s[28:29]
	s_cbranch_execnz .LBB46_1503
	s_branch .LBB46_1504
.LBB46_1714:
	s_mov_b64 s[0:1], -1
                                        ; implicit-def: $vgpr6
	s_mov_b64 s[20:21], 0
.LBB46_1715:
	s_and_b64 vcc, exec, s[22:23]
	s_cbranch_vccz .LBB46_1719
; %bb.1716:
	s_cmp_eq_u32 s24, 44
	s_cbranch_scc0 .LBB46_1718
; %bb.1717:
	global_load_ubyte v6, v[0:1], off
	s_mov_b64 s[0:1], 0
	s_mov_b64 s[20:21], -1
	s_waitcnt vmcnt(0)
	v_lshlrev_b32_e32 v7, 23, v6
	v_cvt_i32_f32_e32 v7, v7
	v_cmp_ne_u32_e32 vcc, 0, v6
	v_cndmask_b32_e32 v6, 0, v7, vcc
	s_branch .LBB46_1719
.LBB46_1718:
	s_mov_b64 s[0:1], -1
                                        ; implicit-def: $vgpr6
.LBB46_1719:
	s_mov_b64 s[22:23], 0
.LBB46_1720:
	s_and_b64 vcc, exec, s[22:23]
	s_cbranch_vccz .LBB46_1724
; %bb.1721:
	s_cmp_eq_u32 s24, 29
	s_cbranch_scc0 .LBB46_1723
; %bb.1722:
	global_load_dword v6, v[0:1], off
	s_mov_b64 s[0:1], 0
	s_mov_b64 s[20:21], -1
	s_branch .LBB46_1724
.LBB46_1723:
	s_mov_b64 s[0:1], -1
                                        ; implicit-def: $vgpr6
.LBB46_1724:
	s_mov_b64 s[22:23], 0
.LBB46_1725:
	s_and_b64 vcc, exec, s[22:23]
	s_cbranch_vccz .LBB46_1741
; %bb.1726:
	s_cmp_lt_i32 s24, 27
	s_cbranch_scc1 .LBB46_1729
; %bb.1727:
	s_cmp_gt_i32 s24, 27
	s_cbranch_scc0 .LBB46_1730
; %bb.1728:
	global_load_dword v6, v[0:1], off
	s_mov_b64 s[20:21], 0
	s_branch .LBB46_1731
.LBB46_1729:
	s_mov_b64 s[20:21], -1
                                        ; implicit-def: $vgpr6
	s_branch .LBB46_1734
.LBB46_1730:
	s_mov_b64 s[20:21], -1
                                        ; implicit-def: $vgpr6
.LBB46_1731:
	s_andn2_b64 vcc, exec, s[20:21]
	s_cbranch_vccnz .LBB46_1733
; %bb.1732:
	global_load_ushort v6, v[0:1], off
.LBB46_1733:
	s_mov_b64 s[20:21], 0
.LBB46_1734:
	s_andn2_b64 vcc, exec, s[20:21]
	s_cbranch_vccnz .LBB46_1740
; %bb.1735:
	global_load_ubyte v7, v[0:1], off
	s_movk_i32 s20, 0x7f
	s_mov_b64 s[22:23], 0
	s_waitcnt vmcnt(0)
	v_cmp_lt_i16_e32 vcc, s20, v7
	s_and_saveexec_b64 s[20:21], vcc
	s_xor_b64 s[20:21], exec, s[20:21]
	s_cbranch_execz .LBB46_1751
; %bb.1736:
	s_movk_i32 s22, 0x80
	v_cmp_ne_u16_e32 vcc, s22, v7
	s_and_b64 s[22:23], vcc, exec
	s_andn2_saveexec_b64 s[20:21], s[20:21]
	s_cbranch_execnz .LBB46_1752
.LBB46_1737:
	s_or_b64 exec, exec, s[20:21]
	v_mov_b32_e32 v6, 0
	s_and_saveexec_b64 s[20:21], s[22:23]
	s_cbranch_execz .LBB46_1739
.LBB46_1738:
	v_lshlrev_b32_e32 v6, 24, v7
	v_and_b32_e32 v7, 0xffff, v7
	v_and_b32_e32 v8, 7, v7
	v_ffbh_u32_e32 v10, v8
	v_min_u32_e32 v10, 32, v10
	v_subrev_u32_e32 v11, 28, v10
	v_bfe_u32 v9, v7, 3, 4
	v_lshlrev_b32_e32 v7, v11, v7
	v_sub_u32_e32 v10, 29, v10
	v_and_b32_e32 v7, 7, v7
	v_cmp_eq_u32_e32 vcc, 0, v9
	v_cndmask_b32_e32 v9, v9, v10, vcc
	v_cndmask_b32_e32 v7, v8, v7, vcc
	v_mov_b32_e32 v8, 0x3b800000
	v_lshlrev_b32_e32 v7, 20, v7
	v_and_b32_e32 v6, 0x80000000, v6
	v_lshl_add_u32 v8, v9, 23, v8
	v_or3_b32 v6, v6, v8, v7
	v_cvt_i32_f32_e32 v6, v6
.LBB46_1739:
	s_or_b64 exec, exec, s[20:21]
.LBB46_1740:
	s_mov_b64 s[20:21], -1
.LBB46_1741:
	s_branch .LBB46_1772
.LBB46_1742:
	s_cmp_gt_i32 s24, 22
	s_cbranch_scc0 .LBB46_1750
; %bb.1743:
	s_cmp_lt_i32 s24, 24
	s_cbranch_scc1 .LBB46_1753
; %bb.1744:
	s_cmp_gt_i32 s24, 24
	s_cbranch_scc0 .LBB46_1754
; %bb.1745:
	global_load_ubyte v7, v[0:1], off
	s_movk_i32 s4, 0x7f
	s_mov_b64 s[20:21], 0
	s_waitcnt vmcnt(0)
	v_cmp_lt_i16_e32 vcc, s4, v7
	s_and_saveexec_b64 s[4:5], vcc
	s_xor_b64 s[4:5], exec, s[4:5]
	s_cbranch_execz .LBB46_1766
; %bb.1746:
	s_movk_i32 s20, 0x80
	v_cmp_ne_u16_e32 vcc, s20, v7
	s_and_b64 s[20:21], vcc, exec
	s_andn2_saveexec_b64 s[4:5], s[4:5]
	s_cbranch_execnz .LBB46_1767
.LBB46_1747:
	s_or_b64 exec, exec, s[4:5]
	v_mov_b32_e32 v6, 0
	s_and_saveexec_b64 s[4:5], s[20:21]
	s_cbranch_execz .LBB46_1749
.LBB46_1748:
	v_lshlrev_b32_e32 v6, 24, v7
	v_and_b32_e32 v7, 0xffff, v7
	v_and_b32_e32 v8, 3, v7
	v_ffbh_u32_e32 v10, v8
	v_min_u32_e32 v10, 32, v10
	v_subrev_u32_e32 v11, 29, v10
	v_bfe_u32 v9, v7, 2, 5
	v_lshlrev_b32_e32 v7, v11, v7
	v_sub_u32_e32 v10, 30, v10
	v_and_b32_e32 v7, 3, v7
	v_cmp_eq_u32_e32 vcc, 0, v9
	v_cndmask_b32_e32 v9, v9, v10, vcc
	v_cndmask_b32_e32 v7, v8, v7, vcc
	v_mov_b32_e32 v8, 0x37800000
	v_lshlrev_b32_e32 v7, 21, v7
	v_and_b32_e32 v6, 0x80000000, v6
	v_lshl_add_u32 v8, v9, 23, v8
	v_or3_b32 v6, v6, v8, v7
	v_cvt_i32_f32_e32 v6, v6
.LBB46_1749:
	s_or_b64 exec, exec, s[4:5]
	s_mov_b64 s[4:5], 0
	s_branch .LBB46_1755
.LBB46_1750:
	s_mov_b64 s[4:5], -1
                                        ; implicit-def: $vgpr6
	s_branch .LBB46_1761
.LBB46_1751:
	s_andn2_saveexec_b64 s[20:21], s[20:21]
	s_cbranch_execz .LBB46_1737
.LBB46_1752:
	v_cmp_ne_u16_e32 vcc, 0, v7
	s_andn2_b64 s[22:23], s[22:23], exec
	s_and_b64 s[26:27], vcc, exec
	s_or_b64 s[22:23], s[22:23], s[26:27]
	s_or_b64 exec, exec, s[20:21]
	v_mov_b32_e32 v6, 0
	s_and_saveexec_b64 s[20:21], s[22:23]
	s_cbranch_execnz .LBB46_1738
	s_branch .LBB46_1739
.LBB46_1753:
	s_mov_b64 s[4:5], -1
                                        ; implicit-def: $vgpr6
	s_branch .LBB46_1758
.LBB46_1754:
	s_mov_b64 s[4:5], -1
                                        ; implicit-def: $vgpr6
.LBB46_1755:
	s_and_b64 vcc, exec, s[4:5]
	s_cbranch_vccz .LBB46_1757
; %bb.1756:
	global_load_ubyte v6, v[0:1], off
	s_mov_b32 s4, 0x7f800000
	s_waitcnt vmcnt(0)
	v_lshlrev_b32_e32 v6, 24, v6
	v_and_b32_e32 v7, 0x7f000000, v6
	v_ffbh_u32_e32 v8, v7
	v_min_u32_e32 v8, 32, v8
	v_sub_u32_e64 v8, v8, 4 clamp
	v_lshlrev_b32_e32 v10, v8, v7
	v_lshlrev_b32_e32 v8, 23, v8
	v_lshrrev_b32_e32 v10, 4, v10
	v_add_u32_e32 v9, 0x1000000, v7
	v_sub_u32_e32 v8, v10, v8
	v_ashrrev_i32_e32 v9, 8, v9
	v_add_u32_e32 v8, 0x3c000000, v8
	v_and_or_b32 v8, v9, s4, v8
	v_cmp_ne_u32_e32 vcc, 0, v7
	v_cndmask_b32_e32 v7, 0, v8, vcc
	s_brev_b32 s4, 1
	v_and_or_b32 v6, v6, s4, v7
	v_cvt_i32_f32_e32 v6, v6
.LBB46_1757:
	s_mov_b64 s[4:5], 0
.LBB46_1758:
	s_andn2_b64 vcc, exec, s[4:5]
	s_cbranch_vccnz .LBB46_1760
; %bb.1759:
	global_load_ubyte v6, v[0:1], off
	s_movk_i32 s4, 0x7f00
	s_brev_b32 s5, 16
	s_waitcnt vmcnt(0)
	v_lshlrev_b16_e32 v7, 8, v6
	v_lshlrev_b32_e32 v6, 25, v6
	v_lshrrev_b32_e32 v8, 4, v6
	v_and_or_b32 v9, v7, s4, 0.5
	v_or_b32_e32 v8, 0x70000000, v8
	v_add_f32_e32 v9, -0.5, v9
	v_mul_f32_e32 v8, 0x7800000, v8
	v_cmp_gt_u32_e32 vcc, s5, v6
	v_bfe_i32 v7, v7, 0, 16
	v_cndmask_b32_e32 v6, v8, v9, vcc
	s_brev_b32 s4, 1
	v_and_or_b32 v6, v7, s4, v6
	v_cvt_i32_f32_e32 v6, v6
.LBB46_1760:
	s_mov_b64 s[4:5], 0
	s_mov_b64 s[20:21], -1
.LBB46_1761:
	s_andn2_b64 vcc, exec, s[4:5]
	s_mov_b64 s[4:5], 0
	s_cbranch_vccnz .LBB46_1772
; %bb.1762:
	s_cmp_gt_i32 s24, 14
	s_cbranch_scc0 .LBB46_1765
; %bb.1763:
	s_cmp_eq_u32 s24, 15
	s_cbranch_scc0 .LBB46_1768
; %bb.1764:
	global_load_ushort v6, v[0:1], off
	s_mov_b64 s[0:1], 0
	s_mov_b64 s[20:21], -1
	s_waitcnt vmcnt(0)
	v_lshlrev_b32_e32 v6, 16, v6
	v_cvt_i32_f32_e32 v6, v6
	s_branch .LBB46_1769
.LBB46_1765:
	s_mov_b64 s[22:23], -1
                                        ; implicit-def: $vgpr6
	s_branch .LBB46_1770
.LBB46_1766:
	s_andn2_saveexec_b64 s[4:5], s[4:5]
	s_cbranch_execz .LBB46_1747
.LBB46_1767:
	v_cmp_ne_u16_e32 vcc, 0, v7
	s_andn2_b64 s[20:21], s[20:21], exec
	s_and_b64 s[22:23], vcc, exec
	s_or_b64 s[20:21], s[20:21], s[22:23]
	s_or_b64 exec, exec, s[4:5]
	v_mov_b32_e32 v6, 0
	s_and_saveexec_b64 s[4:5], s[20:21]
	s_cbranch_execnz .LBB46_1748
	s_branch .LBB46_1749
.LBB46_1768:
	s_mov_b64 s[0:1], -1
                                        ; implicit-def: $vgpr6
.LBB46_1769:
	s_mov_b64 s[22:23], 0
.LBB46_1770:
	s_and_b64 vcc, exec, s[22:23]
	s_cbranch_vccz .LBB46_1772
; %bb.1771:
	s_cmp_lg_u32 s24, 11
	s_mov_b64 s[4:5], -1
	s_cselect_b64 s[0:1], -1, 0
.LBB46_1772:
	s_and_b64 vcc, exec, s[0:1]
	s_cbranch_vccnz .LBB46_1851
; %bb.1773:
	s_andn2_b64 vcc, exec, s[4:5]
	s_cbranch_vccnz .LBB46_1775
.LBB46_1774:
	global_load_ubyte v6, v[0:1], off
	s_mov_b64 s[20:21], -1
	s_waitcnt vmcnt(0)
	v_cmp_ne_u16_e32 vcc, 0, v6
	v_cndmask_b32_e64 v6, 0, 1, vcc
.LBB46_1775:
	s_branch .LBB46_1706
.LBB46_1776:
	s_and_b32 s4, 0xffff, s29
	s_cmp_lt_i32 s4, 5
	s_cbranch_scc1 .LBB46_1781
; %bb.1777:
	s_cmp_lt_i32 s4, 8
	s_cbranch_scc1 .LBB46_1782
; %bb.1778:
	;; [unrolled: 3-line block ×3, first 2 shown]
	s_cmp_gt_i32 s4, 9
	s_cbranch_scc0 .LBB46_1784
; %bb.1780:
	global_load_dwordx2 v[6:7], v[0:1], off
	s_mov_b64 s[0:1], 0
	s_waitcnt vmcnt(0)
	v_cvt_i32_f64_e32 v6, v[6:7]
	s_branch .LBB46_1785
.LBB46_1781:
                                        ; implicit-def: $vgpr6
	s_branch .LBB46_1803
.LBB46_1782:
	s_mov_b64 s[0:1], -1
                                        ; implicit-def: $vgpr6
	s_branch .LBB46_1791
.LBB46_1783:
	s_mov_b64 s[0:1], -1
                                        ; implicit-def: $vgpr6
	s_branch .LBB46_1788
.LBB46_1784:
	s_mov_b64 s[0:1], -1
                                        ; implicit-def: $vgpr6
.LBB46_1785:
	s_andn2_b64 vcc, exec, s[0:1]
	s_cbranch_vccnz .LBB46_1787
; %bb.1786:
	global_load_dword v6, v[0:1], off
	s_waitcnt vmcnt(0)
	v_cvt_i32_f32_e32 v6, v6
.LBB46_1787:
	s_mov_b64 s[0:1], 0
.LBB46_1788:
	s_andn2_b64 vcc, exec, s[0:1]
	s_cbranch_vccnz .LBB46_1790
; %bb.1789:
	global_load_dword v6, v[0:1], off
	s_waitcnt vmcnt(0)
	v_cvt_f32_f16_e32 v6, v6
	v_cvt_i32_f32_e32 v6, v6
.LBB46_1790:
	s_mov_b64 s[0:1], 0
.LBB46_1791:
	s_andn2_b64 vcc, exec, s[0:1]
	s_cbranch_vccnz .LBB46_1802
; %bb.1792:
	s_cmp_lt_i32 s4, 6
	s_cbranch_scc1 .LBB46_1795
; %bb.1793:
	s_cmp_gt_i32 s4, 6
	s_cbranch_scc0 .LBB46_1796
; %bb.1794:
	global_load_dwordx2 v[6:7], v[0:1], off
	s_mov_b64 s[0:1], 0
	s_waitcnt vmcnt(0)
	v_cvt_i32_f64_e32 v6, v[6:7]
	s_branch .LBB46_1797
.LBB46_1795:
	s_mov_b64 s[0:1], -1
                                        ; implicit-def: $vgpr6
	s_branch .LBB46_1800
.LBB46_1796:
	s_mov_b64 s[0:1], -1
                                        ; implicit-def: $vgpr6
.LBB46_1797:
	s_andn2_b64 vcc, exec, s[0:1]
	s_cbranch_vccnz .LBB46_1799
; %bb.1798:
	global_load_dword v6, v[0:1], off
	s_waitcnt vmcnt(0)
	v_cvt_i32_f32_e32 v6, v6
.LBB46_1799:
	s_mov_b64 s[0:1], 0
.LBB46_1800:
	s_andn2_b64 vcc, exec, s[0:1]
	s_cbranch_vccnz .LBB46_1802
; %bb.1801:
	global_load_ushort v6, v[0:1], off
	s_waitcnt vmcnt(0)
	v_cvt_f32_f16_e32 v6, v6
	v_cvt_i32_f32_e32 v6, v6
.LBB46_1802:
	s_cbranch_execnz .LBB46_1822
.LBB46_1803:
	s_cmp_lt_i32 s4, 2
	s_cbranch_scc1 .LBB46_1807
; %bb.1804:
	s_cmp_lt_i32 s4, 3
	s_cbranch_scc1 .LBB46_1808
; %bb.1805:
	s_cmp_gt_i32 s4, 3
	s_cbranch_scc0 .LBB46_1809
; %bb.1806:
	global_load_dword v6, v[0:1], off
	s_mov_b64 s[0:1], 0
	s_branch .LBB46_1810
.LBB46_1807:
	s_mov_b64 s[0:1], -1
                                        ; implicit-def: $vgpr6
	s_branch .LBB46_1816
.LBB46_1808:
	s_mov_b64 s[0:1], -1
                                        ; implicit-def: $vgpr6
	s_branch .LBB46_1813
.LBB46_1809:
	s_mov_b64 s[0:1], -1
                                        ; implicit-def: $vgpr6
.LBB46_1810:
	s_andn2_b64 vcc, exec, s[0:1]
	s_cbranch_vccnz .LBB46_1812
; %bb.1811:
	global_load_dword v6, v[0:1], off
.LBB46_1812:
	s_mov_b64 s[0:1], 0
.LBB46_1813:
	s_andn2_b64 vcc, exec, s[0:1]
	s_cbranch_vccnz .LBB46_1815
; %bb.1814:
	global_load_sshort v6, v[0:1], off
.LBB46_1815:
	s_mov_b64 s[0:1], 0
.LBB46_1816:
	s_andn2_b64 vcc, exec, s[0:1]
	s_cbranch_vccnz .LBB46_1822
; %bb.1817:
	s_cmp_gt_i32 s4, 0
	s_cbranch_scc0 .LBB46_1819
; %bb.1818:
	global_load_sbyte v6, v[0:1], off
	s_mov_b64 s[0:1], 0
	s_branch .LBB46_1820
.LBB46_1819:
	s_mov_b64 s[0:1], -1
                                        ; implicit-def: $vgpr6
.LBB46_1820:
	s_andn2_b64 vcc, exec, s[0:1]
	s_cbranch_vccnz .LBB46_1822
; %bb.1821:
	global_load_ubyte v6, v[0:1], off
.LBB46_1822:
.LBB46_1823:
	s_cmp_lt_i32 s15, 1
	s_mov_b64 s[0:1], 0
	s_cbranch_scc1 .LBB46_1827
; %bb.1824:
	s_cmp_gt_i32 s15, 1
	s_cbranch_scc0 .LBB46_1828
; %bb.1825:
	s_cmp_eq_u32 s15, 2
	s_cbranch_scc0 .LBB46_1829
; %bb.1826:
	s_waitcnt vmcnt(0)
	v_cmp_le_i32_e64 s[4:5], v5, v6
	s_mov_b64 s[20:21], 0
	s_branch .LBB46_1830
.LBB46_1827:
                                        ; implicit-def: $sgpr4_sgpr5
	s_mov_b64 s[20:21], 0
	s_cbranch_execnz .LBB46_1834
	s_branch .LBB46_1835
.LBB46_1828:
	s_mov_b64 s[22:23], -1
	s_mov_b64 s[20:21], 0
                                        ; implicit-def: $sgpr4_sgpr5
	s_branch .LBB46_1831
.LBB46_1829:
	s_mov_b64 s[20:21], -1
                                        ; implicit-def: $sgpr4_sgpr5
.LBB46_1830:
	s_mov_b64 s[22:23], 0
.LBB46_1831:
	s_and_b64 vcc, exec, s[22:23]
	s_cbranch_vccz .LBB46_1833
; %bb.1832:
	s_waitcnt vmcnt(0)
	v_cmp_gt_i32_e32 vcc, v5, v6
	s_andn2_b64 s[4:5], s[4:5], exec
	s_and_b64 s[22:23], vcc, exec
	s_or_b64 s[4:5], s[4:5], s[22:23]
.LBB46_1833:
	s_branch .LBB46_1835
.LBB46_1834:
	s_cmp_lg_u32 s15, 0
	s_mov_b64 s[0:1], -1
	s_cselect_b64 s[20:21], -1, 0
.LBB46_1835:
	s_andn2_b64 vcc, exec, s[20:21]
	s_cbranch_vccnz .LBB46_1837
; %bb.1836:
	s_waitcnt vmcnt(0)
	v_cmp_lt_i32_e32 vcc, v5, v6
	s_andn2_b64 s[4:5], s[4:5], exec
	s_and_b64 s[20:21], vcc, exec
	s_or_b64 s[4:5], s[4:5], s[20:21]
	s_cbranch_execz .LBB46_1838
	s_branch .LBB46_1839
.LBB46_1837:
	s_andn2_b64 vcc, exec, s[0:1]
	s_cbranch_vccnz .LBB46_1839
.LBB46_1838:
	s_waitcnt vmcnt(0)
	v_cmp_ge_i32_e32 vcc, v5, v6
	s_andn2_b64 s[0:1], s[4:5], exec
	s_and_b64 s[4:5], vcc, exec
	s_or_b64 s[4:5], s[0:1], s[4:5]
.LBB46_1839:
	s_lshl_b32 s13, s13, 7
	v_add_u32_e32 v3, s13, v3
	v_ashrrev_i32_e32 v1, 31, v3
	s_waitcnt vmcnt(0)
	v_mov_b32_e32 v5, s11
	v_add_co_u32_e32 v0, vcc, s10, v3
	s_cmp_lt_i32 s28, 11
	v_addc_co_u32_e32 v1, vcc, v5, v1, vcc
	s_cbranch_scc1 .LBB46_1846
; %bb.1840:
	s_and_b32 s26, 0xffff, s28
	s_cmp_gt_i32 s26, 25
	s_mov_b64 s[20:21], 0
	s_cbranch_scc0 .LBB46_1848
; %bb.1841:
	s_cmp_gt_i32 s26, 28
	s_cbranch_scc0 .LBB46_1849
; %bb.1842:
	s_cmp_gt_i32 s26, 43
	;; [unrolled: 3-line block ×3, first 2 shown]
	s_cbranch_scc0 .LBB46_1852
; %bb.1844:
	s_cmp_eq_u32 s26, 46
	s_mov_b64 s[24:25], 0
	s_cbranch_scc0 .LBB46_1853
; %bb.1845:
	global_load_dword v5, v[0:1], off
	s_mov_b64 s[0:1], 0
	s_mov_b64 s[22:23], -1
	s_waitcnt vmcnt(0)
	v_lshlrev_b32_e32 v5, 16, v5
	v_cvt_i32_f32_e32 v5, v5
	s_branch .LBB46_1854
.LBB46_1846:
	s_mov_b64 s[22:23], 0
                                        ; implicit-def: $vgpr5
	s_cbranch_execnz .LBB46_1916
.LBB46_1847:
	s_andn2_b64 vcc, exec, s[22:23]
	s_cbranch_vccnz .LBB46_2634
	s_branch .LBB46_1964
.LBB46_1848:
	s_mov_b64 s[24:25], -1
	s_mov_b64 s[22:23], 0
	s_mov_b64 s[0:1], 0
                                        ; implicit-def: $vgpr5
	s_branch .LBB46_1881
.LBB46_1849:
	s_mov_b64 s[24:25], -1
	s_mov_b64 s[22:23], 0
	s_mov_b64 s[0:1], 0
                                        ; implicit-def: $vgpr5
	s_branch .LBB46_1864
.LBB46_1850:
	s_mov_b64 s[24:25], -1
	s_mov_b64 s[22:23], 0
	s_mov_b64 s[0:1], 0
                                        ; implicit-def: $vgpr5
	s_branch .LBB46_1859
.LBB46_1851:
	s_trap 2
	s_or_b64 s[18:19], s[18:19], exec
	s_cbranch_execz .LBB46_1774
	s_branch .LBB46_1775
.LBB46_1852:
	s_mov_b64 s[24:25], -1
	s_mov_b64 s[22:23], 0
	s_mov_b64 s[0:1], 0
                                        ; implicit-def: $vgpr5
	s_branch .LBB46_1854
.LBB46_1853:
	s_mov_b64 s[0:1], -1
                                        ; implicit-def: $vgpr5
	s_mov_b64 s[22:23], 0
.LBB46_1854:
	s_and_b64 vcc, exec, s[24:25]
	s_cbranch_vccz .LBB46_1858
; %bb.1855:
	s_cmp_eq_u32 s26, 44
	s_cbranch_scc0 .LBB46_1857
; %bb.1856:
	global_load_ubyte v5, v[0:1], off
	s_mov_b64 s[0:1], 0
	s_mov_b64 s[22:23], -1
	s_waitcnt vmcnt(0)
	v_lshlrev_b32_e32 v6, 23, v5
	v_cvt_i32_f32_e32 v6, v6
	v_cmp_ne_u32_e32 vcc, 0, v5
	v_cndmask_b32_e32 v5, 0, v6, vcc
	s_branch .LBB46_1858
.LBB46_1857:
	s_mov_b64 s[0:1], -1
                                        ; implicit-def: $vgpr5
.LBB46_1858:
	s_mov_b64 s[24:25], 0
.LBB46_1859:
	s_and_b64 vcc, exec, s[24:25]
	s_cbranch_vccz .LBB46_1863
; %bb.1860:
	s_cmp_eq_u32 s26, 29
	s_cbranch_scc0 .LBB46_1862
; %bb.1861:
	global_load_dword v5, v[0:1], off
	s_mov_b64 s[0:1], 0
	s_mov_b64 s[22:23], -1
	s_branch .LBB46_1863
.LBB46_1862:
	s_mov_b64 s[0:1], -1
                                        ; implicit-def: $vgpr5
.LBB46_1863:
	s_mov_b64 s[24:25], 0
.LBB46_1864:
	s_and_b64 vcc, exec, s[24:25]
	s_cbranch_vccz .LBB46_1880
; %bb.1865:
	s_cmp_lt_i32 s26, 27
	s_cbranch_scc1 .LBB46_1868
; %bb.1866:
	s_cmp_gt_i32 s26, 27
	s_cbranch_scc0 .LBB46_1869
; %bb.1867:
	global_load_dword v5, v[0:1], off
	s_mov_b64 s[22:23], 0
	s_branch .LBB46_1870
.LBB46_1868:
	s_mov_b64 s[22:23], -1
                                        ; implicit-def: $vgpr5
	s_branch .LBB46_1873
.LBB46_1869:
	s_mov_b64 s[22:23], -1
                                        ; implicit-def: $vgpr5
.LBB46_1870:
	s_andn2_b64 vcc, exec, s[22:23]
	s_cbranch_vccnz .LBB46_1872
; %bb.1871:
	global_load_ushort v5, v[0:1], off
.LBB46_1872:
	s_mov_b64 s[22:23], 0
.LBB46_1873:
	s_andn2_b64 vcc, exec, s[22:23]
	s_cbranch_vccnz .LBB46_1879
; %bb.1874:
	global_load_ubyte v6, v[0:1], off
	s_movk_i32 s22, 0x7f
	s_mov_b64 s[24:25], 0
	s_waitcnt vmcnt(0)
	v_cmp_lt_i16_e32 vcc, s22, v6
	s_and_saveexec_b64 s[22:23], vcc
	s_xor_b64 s[22:23], exec, s[22:23]
	s_cbranch_execz .LBB46_1891
; %bb.1875:
	s_movk_i32 s24, 0x80
	v_cmp_ne_u16_e32 vcc, s24, v6
	s_and_b64 s[24:25], vcc, exec
	s_andn2_saveexec_b64 s[22:23], s[22:23]
	s_cbranch_execnz .LBB46_1892
.LBB46_1876:
	s_or_b64 exec, exec, s[22:23]
	v_mov_b32_e32 v5, 0
	s_and_saveexec_b64 s[22:23], s[24:25]
	s_cbranch_execz .LBB46_1878
.LBB46_1877:
	v_lshlrev_b32_e32 v5, 24, v6
	v_and_b32_e32 v6, 0xffff, v6
	v_and_b32_e32 v7, 7, v6
	v_ffbh_u32_e32 v9, v7
	v_min_u32_e32 v9, 32, v9
	v_subrev_u32_e32 v10, 28, v9
	v_bfe_u32 v8, v6, 3, 4
	v_lshlrev_b32_e32 v6, v10, v6
	v_sub_u32_e32 v9, 29, v9
	v_and_b32_e32 v6, 7, v6
	v_cmp_eq_u32_e32 vcc, 0, v8
	v_cndmask_b32_e32 v8, v8, v9, vcc
	v_cndmask_b32_e32 v6, v7, v6, vcc
	v_mov_b32_e32 v7, 0x3b800000
	v_lshlrev_b32_e32 v6, 20, v6
	v_and_b32_e32 v5, 0x80000000, v5
	v_lshl_add_u32 v7, v8, 23, v7
	v_or3_b32 v5, v5, v7, v6
	v_cvt_i32_f32_e32 v5, v5
.LBB46_1878:
	s_or_b64 exec, exec, s[22:23]
.LBB46_1879:
	s_mov_b64 s[22:23], -1
.LBB46_1880:
	s_mov_b64 s[24:25], 0
.LBB46_1881:
	s_and_b64 vcc, exec, s[24:25]
	s_cbranch_vccz .LBB46_1912
; %bb.1882:
	s_cmp_gt_i32 s26, 22
	s_cbranch_scc0 .LBB46_1890
; %bb.1883:
	s_cmp_lt_i32 s26, 24
	s_cbranch_scc1 .LBB46_1893
; %bb.1884:
	s_cmp_gt_i32 s26, 24
	s_cbranch_scc0 .LBB46_1894
; %bb.1885:
	global_load_ubyte v6, v[0:1], off
	s_movk_i32 s20, 0x7f
	s_mov_b64 s[22:23], 0
	s_waitcnt vmcnt(0)
	v_cmp_lt_i16_e32 vcc, s20, v6
	s_and_saveexec_b64 s[20:21], vcc
	s_xor_b64 s[20:21], exec, s[20:21]
	s_cbranch_execz .LBB46_1906
; %bb.1886:
	s_movk_i32 s22, 0x80
	v_cmp_ne_u16_e32 vcc, s22, v6
	s_and_b64 s[22:23], vcc, exec
	s_andn2_saveexec_b64 s[20:21], s[20:21]
	s_cbranch_execnz .LBB46_1907
.LBB46_1887:
	s_or_b64 exec, exec, s[20:21]
	v_mov_b32_e32 v5, 0
	s_and_saveexec_b64 s[20:21], s[22:23]
	s_cbranch_execz .LBB46_1889
.LBB46_1888:
	v_lshlrev_b32_e32 v5, 24, v6
	v_and_b32_e32 v6, 0xffff, v6
	v_and_b32_e32 v7, 3, v6
	v_ffbh_u32_e32 v9, v7
	v_min_u32_e32 v9, 32, v9
	v_subrev_u32_e32 v10, 29, v9
	v_bfe_u32 v8, v6, 2, 5
	v_lshlrev_b32_e32 v6, v10, v6
	v_sub_u32_e32 v9, 30, v9
	v_and_b32_e32 v6, 3, v6
	v_cmp_eq_u32_e32 vcc, 0, v8
	v_cndmask_b32_e32 v8, v8, v9, vcc
	v_cndmask_b32_e32 v6, v7, v6, vcc
	v_mov_b32_e32 v7, 0x37800000
	v_lshlrev_b32_e32 v6, 21, v6
	v_and_b32_e32 v5, 0x80000000, v5
	v_lshl_add_u32 v7, v8, 23, v7
	v_or3_b32 v5, v5, v7, v6
	v_cvt_i32_f32_e32 v5, v5
.LBB46_1889:
	s_or_b64 exec, exec, s[20:21]
	s_mov_b64 s[20:21], 0
	s_branch .LBB46_1895
.LBB46_1890:
	s_mov_b64 s[20:21], -1
                                        ; implicit-def: $vgpr5
	s_branch .LBB46_1901
.LBB46_1891:
	s_andn2_saveexec_b64 s[22:23], s[22:23]
	s_cbranch_execz .LBB46_1876
.LBB46_1892:
	v_cmp_ne_u16_e32 vcc, 0, v6
	s_andn2_b64 s[24:25], s[24:25], exec
	s_and_b64 s[30:31], vcc, exec
	s_or_b64 s[24:25], s[24:25], s[30:31]
	s_or_b64 exec, exec, s[22:23]
	v_mov_b32_e32 v5, 0
	s_and_saveexec_b64 s[22:23], s[24:25]
	s_cbranch_execnz .LBB46_1877
	s_branch .LBB46_1878
.LBB46_1893:
	s_mov_b64 s[20:21], -1
                                        ; implicit-def: $vgpr5
	s_branch .LBB46_1898
.LBB46_1894:
	s_mov_b64 s[20:21], -1
                                        ; implicit-def: $vgpr5
.LBB46_1895:
	s_and_b64 vcc, exec, s[20:21]
	s_cbranch_vccz .LBB46_1897
; %bb.1896:
	global_load_ubyte v5, v[0:1], off
	s_mov_b32 s20, 0x7f800000
	s_waitcnt vmcnt(0)
	v_lshlrev_b32_e32 v5, 24, v5
	v_and_b32_e32 v6, 0x7f000000, v5
	v_ffbh_u32_e32 v7, v6
	v_min_u32_e32 v7, 32, v7
	v_sub_u32_e64 v7, v7, 4 clamp
	v_lshlrev_b32_e32 v9, v7, v6
	v_lshlrev_b32_e32 v7, 23, v7
	v_lshrrev_b32_e32 v9, 4, v9
	v_add_u32_e32 v8, 0x1000000, v6
	v_sub_u32_e32 v7, v9, v7
	v_ashrrev_i32_e32 v8, 8, v8
	v_add_u32_e32 v7, 0x3c000000, v7
	v_and_or_b32 v7, v8, s20, v7
	v_cmp_ne_u32_e32 vcc, 0, v6
	v_cndmask_b32_e32 v6, 0, v7, vcc
	s_brev_b32 s20, 1
	v_and_or_b32 v5, v5, s20, v6
	v_cvt_i32_f32_e32 v5, v5
.LBB46_1897:
	s_mov_b64 s[20:21], 0
.LBB46_1898:
	s_andn2_b64 vcc, exec, s[20:21]
	s_cbranch_vccnz .LBB46_1900
; %bb.1899:
	global_load_ubyte v5, v[0:1], off
	s_movk_i32 s20, 0x7f00
	s_brev_b32 s21, 16
	s_waitcnt vmcnt(0)
	v_lshlrev_b16_e32 v6, 8, v5
	v_lshlrev_b32_e32 v5, 25, v5
	v_lshrrev_b32_e32 v7, 4, v5
	v_and_or_b32 v8, v6, s20, 0.5
	v_or_b32_e32 v7, 0x70000000, v7
	v_add_f32_e32 v8, -0.5, v8
	v_mul_f32_e32 v7, 0x7800000, v7
	v_cmp_gt_u32_e32 vcc, s21, v5
	v_bfe_i32 v6, v6, 0, 16
	v_cndmask_b32_e32 v5, v7, v8, vcc
	s_brev_b32 s20, 1
	v_and_or_b32 v5, v6, s20, v5
	v_cvt_i32_f32_e32 v5, v5
.LBB46_1900:
	s_mov_b64 s[20:21], 0
	s_mov_b64 s[22:23], -1
.LBB46_1901:
	s_andn2_b64 vcc, exec, s[20:21]
	s_mov_b64 s[20:21], 0
	s_cbranch_vccnz .LBB46_1912
; %bb.1902:
	s_cmp_gt_i32 s26, 14
	s_cbranch_scc0 .LBB46_1905
; %bb.1903:
	s_cmp_eq_u32 s26, 15
	s_cbranch_scc0 .LBB46_1908
; %bb.1904:
	global_load_ushort v5, v[0:1], off
	s_mov_b64 s[0:1], 0
	s_mov_b64 s[22:23], -1
	s_waitcnt vmcnt(0)
	v_lshlrev_b32_e32 v5, 16, v5
	v_cvt_i32_f32_e32 v5, v5
	s_branch .LBB46_1909
.LBB46_1905:
	s_mov_b64 s[24:25], -1
                                        ; implicit-def: $vgpr5
	s_branch .LBB46_1910
.LBB46_1906:
	s_andn2_saveexec_b64 s[20:21], s[20:21]
	s_cbranch_execz .LBB46_1887
.LBB46_1907:
	v_cmp_ne_u16_e32 vcc, 0, v6
	s_andn2_b64 s[22:23], s[22:23], exec
	s_and_b64 s[24:25], vcc, exec
	s_or_b64 s[22:23], s[22:23], s[24:25]
	s_or_b64 exec, exec, s[20:21]
	v_mov_b32_e32 v5, 0
	s_and_saveexec_b64 s[20:21], s[22:23]
	s_cbranch_execnz .LBB46_1888
	s_branch .LBB46_1889
.LBB46_1908:
	s_mov_b64 s[0:1], -1
                                        ; implicit-def: $vgpr5
.LBB46_1909:
	s_mov_b64 s[24:25], 0
.LBB46_1910:
	s_and_b64 vcc, exec, s[24:25]
	s_cbranch_vccz .LBB46_1912
; %bb.1911:
	s_cmp_lg_u32 s26, 11
	s_mov_b64 s[20:21], -1
	s_cselect_b64 s[0:1], -1, 0
.LBB46_1912:
	s_and_b64 vcc, exec, s[0:1]
	s_cbranch_vccnz .LBB46_1975
; %bb.1913:
	s_andn2_b64 vcc, exec, s[20:21]
	s_cbranch_vccnz .LBB46_1915
.LBB46_1914:
	global_load_ubyte v5, v[0:1], off
	s_mov_b64 s[22:23], -1
	s_waitcnt vmcnt(0)
	v_cmp_ne_u16_e32 vcc, 0, v5
	v_cndmask_b32_e64 v5, 0, 1, vcc
.LBB46_1915:
	s_branch .LBB46_1847
.LBB46_1916:
	s_and_b32 s20, 0xffff, s28
	s_cmp_lt_i32 s20, 5
	s_cbranch_scc1 .LBB46_1921
; %bb.1917:
	s_cmp_lt_i32 s20, 8
	s_cbranch_scc1 .LBB46_1922
; %bb.1918:
	;; [unrolled: 3-line block ×3, first 2 shown]
	s_cmp_gt_i32 s20, 9
	s_cbranch_scc0 .LBB46_1924
; %bb.1920:
	global_load_dwordx2 v[5:6], v[0:1], off
	s_mov_b64 s[0:1], 0
	s_waitcnt vmcnt(0)
	v_cvt_i32_f64_e32 v5, v[5:6]
	s_branch .LBB46_1925
.LBB46_1921:
	s_mov_b64 s[0:1], -1
                                        ; implicit-def: $vgpr5
	s_branch .LBB46_1943
.LBB46_1922:
	s_mov_b64 s[0:1], -1
                                        ; implicit-def: $vgpr5
	s_branch .LBB46_1931
.LBB46_1923:
	s_mov_b64 s[0:1], -1
                                        ; implicit-def: $vgpr5
	s_branch .LBB46_1928
.LBB46_1924:
	s_mov_b64 s[0:1], -1
                                        ; implicit-def: $vgpr5
.LBB46_1925:
	s_andn2_b64 vcc, exec, s[0:1]
	s_cbranch_vccnz .LBB46_1927
; %bb.1926:
	global_load_dword v5, v[0:1], off
	s_waitcnt vmcnt(0)
	v_cvt_i32_f32_e32 v5, v5
.LBB46_1927:
	s_mov_b64 s[0:1], 0
.LBB46_1928:
	s_andn2_b64 vcc, exec, s[0:1]
	s_cbranch_vccnz .LBB46_1930
; %bb.1929:
	global_load_dword v5, v[0:1], off
	s_waitcnt vmcnt(0)
	v_cvt_f32_f16_e32 v5, v5
	v_cvt_i32_f32_e32 v5, v5
.LBB46_1930:
	s_mov_b64 s[0:1], 0
.LBB46_1931:
	s_andn2_b64 vcc, exec, s[0:1]
	s_cbranch_vccnz .LBB46_1942
; %bb.1932:
	s_cmp_lt_i32 s20, 6
	s_cbranch_scc1 .LBB46_1935
; %bb.1933:
	s_cmp_gt_i32 s20, 6
	s_cbranch_scc0 .LBB46_1936
; %bb.1934:
	global_load_dwordx2 v[5:6], v[0:1], off
	s_mov_b64 s[0:1], 0
	s_waitcnt vmcnt(0)
	v_cvt_i32_f64_e32 v5, v[5:6]
	s_branch .LBB46_1937
.LBB46_1935:
	s_mov_b64 s[0:1], -1
                                        ; implicit-def: $vgpr5
	s_branch .LBB46_1940
.LBB46_1936:
	s_mov_b64 s[0:1], -1
                                        ; implicit-def: $vgpr5
.LBB46_1937:
	s_andn2_b64 vcc, exec, s[0:1]
	s_cbranch_vccnz .LBB46_1939
; %bb.1938:
	global_load_dword v5, v[0:1], off
	s_waitcnt vmcnt(0)
	v_cvt_i32_f32_e32 v5, v5
.LBB46_1939:
	s_mov_b64 s[0:1], 0
.LBB46_1940:
	s_andn2_b64 vcc, exec, s[0:1]
	s_cbranch_vccnz .LBB46_1942
; %bb.1941:
	global_load_ushort v5, v[0:1], off
	s_waitcnt vmcnt(0)
	v_cvt_f32_f16_e32 v5, v5
	v_cvt_i32_f32_e32 v5, v5
.LBB46_1942:
	s_mov_b64 s[0:1], 0
.LBB46_1943:
	s_andn2_b64 vcc, exec, s[0:1]
	s_cbranch_vccnz .LBB46_1963
; %bb.1944:
	s_cmp_lt_i32 s20, 2
	s_cbranch_scc1 .LBB46_1948
; %bb.1945:
	s_cmp_lt_i32 s20, 3
	s_cbranch_scc1 .LBB46_1949
; %bb.1946:
	s_cmp_gt_i32 s20, 3
	s_cbranch_scc0 .LBB46_1950
; %bb.1947:
	global_load_dword v5, v[0:1], off
	s_mov_b64 s[0:1], 0
	s_branch .LBB46_1951
.LBB46_1948:
	s_mov_b64 s[0:1], -1
                                        ; implicit-def: $vgpr5
	s_branch .LBB46_1957
.LBB46_1949:
	s_mov_b64 s[0:1], -1
                                        ; implicit-def: $vgpr5
	s_branch .LBB46_1954
.LBB46_1950:
	s_mov_b64 s[0:1], -1
                                        ; implicit-def: $vgpr5
.LBB46_1951:
	s_andn2_b64 vcc, exec, s[0:1]
	s_cbranch_vccnz .LBB46_1953
; %bb.1952:
	global_load_dword v5, v[0:1], off
.LBB46_1953:
	s_mov_b64 s[0:1], 0
.LBB46_1954:
	s_andn2_b64 vcc, exec, s[0:1]
	s_cbranch_vccnz .LBB46_1956
; %bb.1955:
	global_load_sshort v5, v[0:1], off
.LBB46_1956:
	s_mov_b64 s[0:1], 0
.LBB46_1957:
	s_andn2_b64 vcc, exec, s[0:1]
	s_cbranch_vccnz .LBB46_1963
; %bb.1958:
	s_cmp_gt_i32 s20, 0
	s_cbranch_scc0 .LBB46_1960
; %bb.1959:
	global_load_sbyte v5, v[0:1], off
	s_mov_b64 s[0:1], 0
	s_branch .LBB46_1961
.LBB46_1960:
	s_mov_b64 s[0:1], -1
                                        ; implicit-def: $vgpr5
.LBB46_1961:
	s_andn2_b64 vcc, exec, s[0:1]
	s_cbranch_vccnz .LBB46_1963
; %bb.1962:
	global_load_ubyte v5, v[0:1], off
.LBB46_1963:
.LBB46_1964:
	s_lshl_b32 s14, s14, 7
	v_add_u32_e32 v4, s14, v4
	v_ashrrev_i32_e32 v1, 31, v4
	v_mov_b32_e32 v6, s3
	v_add_co_u32_e32 v0, vcc, s2, v4
	s_cmp_lt_i32 s29, 11
	v_addc_co_u32_e32 v1, vcc, v6, v1, vcc
	s_cbranch_scc1 .LBB46_1971
; %bb.1965:
	s_and_b32 s26, 0xffff, s29
	s_cmp_gt_i32 s26, 25
	s_mov_b64 s[20:21], 0
	s_cbranch_scc0 .LBB46_1972
; %bb.1966:
	s_cmp_gt_i32 s26, 28
	s_cbranch_scc0 .LBB46_1973
; %bb.1967:
	s_cmp_gt_i32 s26, 43
	;; [unrolled: 3-line block ×3, first 2 shown]
	s_cbranch_scc0 .LBB46_1976
; %bb.1969:
	s_cmp_eq_u32 s26, 46
	s_mov_b64 s[24:25], 0
	s_cbranch_scc0 .LBB46_1977
; %bb.1970:
	global_load_dword v6, v[0:1], off
	s_mov_b64 s[0:1], 0
	s_mov_b64 s[22:23], -1
	s_waitcnt vmcnt(0)
	v_lshlrev_b32_e32 v6, 16, v6
	v_cvt_i32_f32_e32 v6, v6
	s_branch .LBB46_1978
.LBB46_1971:
	s_mov_b64 s[0:1], -1
	s_mov_b64 s[22:23], 0
                                        ; implicit-def: $vgpr6
	s_branch .LBB46_2040
.LBB46_1972:
	s_mov_b64 s[24:25], -1
	s_mov_b64 s[22:23], 0
	s_mov_b64 s[0:1], 0
                                        ; implicit-def: $vgpr6
	s_branch .LBB46_2005
.LBB46_1973:
	s_mov_b64 s[24:25], -1
	s_mov_b64 s[22:23], 0
	s_mov_b64 s[0:1], 0
                                        ; implicit-def: $vgpr6
	s_branch .LBB46_1988
.LBB46_1974:
	s_mov_b64 s[24:25], -1
	s_mov_b64 s[22:23], 0
	s_mov_b64 s[0:1], 0
                                        ; implicit-def: $vgpr6
	s_branch .LBB46_1983
.LBB46_1975:
	s_trap 2
	s_or_b64 s[18:19], s[18:19], exec
	s_cbranch_execz .LBB46_1914
	s_branch .LBB46_1915
.LBB46_1976:
	s_mov_b64 s[24:25], -1
	s_mov_b64 s[22:23], 0
	s_mov_b64 s[0:1], 0
                                        ; implicit-def: $vgpr6
	s_branch .LBB46_1978
.LBB46_1977:
	s_mov_b64 s[0:1], -1
                                        ; implicit-def: $vgpr6
	s_mov_b64 s[22:23], 0
.LBB46_1978:
	s_and_b64 vcc, exec, s[24:25]
	s_cbranch_vccz .LBB46_1982
; %bb.1979:
	s_cmp_eq_u32 s26, 44
	s_cbranch_scc0 .LBB46_1981
; %bb.1980:
	global_load_ubyte v6, v[0:1], off
	s_mov_b64 s[0:1], 0
	s_mov_b64 s[22:23], -1
	s_waitcnt vmcnt(0)
	v_lshlrev_b32_e32 v7, 23, v6
	v_cvt_i32_f32_e32 v7, v7
	v_cmp_ne_u32_e32 vcc, 0, v6
	v_cndmask_b32_e32 v6, 0, v7, vcc
	s_branch .LBB46_1982
.LBB46_1981:
	s_mov_b64 s[0:1], -1
                                        ; implicit-def: $vgpr6
.LBB46_1982:
	s_mov_b64 s[24:25], 0
.LBB46_1983:
	s_and_b64 vcc, exec, s[24:25]
	s_cbranch_vccz .LBB46_1987
; %bb.1984:
	s_cmp_eq_u32 s26, 29
	s_cbranch_scc0 .LBB46_1986
; %bb.1985:
	global_load_dword v6, v[0:1], off
	s_mov_b64 s[0:1], 0
	s_mov_b64 s[22:23], -1
	s_branch .LBB46_1987
.LBB46_1986:
	s_mov_b64 s[0:1], -1
                                        ; implicit-def: $vgpr6
.LBB46_1987:
	s_mov_b64 s[24:25], 0
.LBB46_1988:
	s_and_b64 vcc, exec, s[24:25]
	s_cbranch_vccz .LBB46_2004
; %bb.1989:
	s_cmp_lt_i32 s26, 27
	s_cbranch_scc1 .LBB46_1992
; %bb.1990:
	s_cmp_gt_i32 s26, 27
	s_cbranch_scc0 .LBB46_1993
; %bb.1991:
	global_load_dword v6, v[0:1], off
	s_mov_b64 s[22:23], 0
	s_branch .LBB46_1994
.LBB46_1992:
	s_mov_b64 s[22:23], -1
                                        ; implicit-def: $vgpr6
	s_branch .LBB46_1997
.LBB46_1993:
	s_mov_b64 s[22:23], -1
                                        ; implicit-def: $vgpr6
.LBB46_1994:
	s_andn2_b64 vcc, exec, s[22:23]
	s_cbranch_vccnz .LBB46_1996
; %bb.1995:
	global_load_ushort v6, v[0:1], off
.LBB46_1996:
	s_mov_b64 s[22:23], 0
.LBB46_1997:
	s_andn2_b64 vcc, exec, s[22:23]
	s_cbranch_vccnz .LBB46_2003
; %bb.1998:
	global_load_ubyte v7, v[0:1], off
	s_movk_i32 s22, 0x7f
	s_mov_b64 s[24:25], 0
	s_waitcnt vmcnt(0)
	v_cmp_lt_i16_e32 vcc, s22, v7
	s_and_saveexec_b64 s[22:23], vcc
	s_xor_b64 s[22:23], exec, s[22:23]
	s_cbranch_execz .LBB46_2015
; %bb.1999:
	s_movk_i32 s24, 0x80
	v_cmp_ne_u16_e32 vcc, s24, v7
	s_and_b64 s[24:25], vcc, exec
	s_andn2_saveexec_b64 s[22:23], s[22:23]
	s_cbranch_execnz .LBB46_2016
.LBB46_2000:
	s_or_b64 exec, exec, s[22:23]
	v_mov_b32_e32 v6, 0
	s_and_saveexec_b64 s[22:23], s[24:25]
	s_cbranch_execz .LBB46_2002
.LBB46_2001:
	v_lshlrev_b32_e32 v6, 24, v7
	v_and_b32_e32 v7, 0xffff, v7
	v_and_b32_e32 v8, 7, v7
	v_ffbh_u32_e32 v10, v8
	v_min_u32_e32 v10, 32, v10
	v_subrev_u32_e32 v11, 28, v10
	v_bfe_u32 v9, v7, 3, 4
	v_lshlrev_b32_e32 v7, v11, v7
	v_sub_u32_e32 v10, 29, v10
	v_and_b32_e32 v7, 7, v7
	v_cmp_eq_u32_e32 vcc, 0, v9
	v_cndmask_b32_e32 v9, v9, v10, vcc
	v_cndmask_b32_e32 v7, v8, v7, vcc
	v_mov_b32_e32 v8, 0x3b800000
	v_lshlrev_b32_e32 v7, 20, v7
	v_and_b32_e32 v6, 0x80000000, v6
	v_lshl_add_u32 v8, v9, 23, v8
	v_or3_b32 v6, v6, v8, v7
	v_cvt_i32_f32_e32 v6, v6
.LBB46_2002:
	s_or_b64 exec, exec, s[22:23]
.LBB46_2003:
	s_mov_b64 s[22:23], -1
.LBB46_2004:
	s_mov_b64 s[24:25], 0
.LBB46_2005:
	s_and_b64 vcc, exec, s[24:25]
	s_cbranch_vccz .LBB46_2036
; %bb.2006:
	s_cmp_gt_i32 s26, 22
	s_cbranch_scc0 .LBB46_2014
; %bb.2007:
	s_cmp_lt_i32 s26, 24
	s_cbranch_scc1 .LBB46_2017
; %bb.2008:
	s_cmp_gt_i32 s26, 24
	s_cbranch_scc0 .LBB46_2018
; %bb.2009:
	global_load_ubyte v7, v[0:1], off
	s_movk_i32 s20, 0x7f
	s_mov_b64 s[22:23], 0
	s_waitcnt vmcnt(0)
	v_cmp_lt_i16_e32 vcc, s20, v7
	s_and_saveexec_b64 s[20:21], vcc
	s_xor_b64 s[20:21], exec, s[20:21]
	s_cbranch_execz .LBB46_2030
; %bb.2010:
	s_movk_i32 s22, 0x80
	v_cmp_ne_u16_e32 vcc, s22, v7
	s_and_b64 s[22:23], vcc, exec
	s_andn2_saveexec_b64 s[20:21], s[20:21]
	s_cbranch_execnz .LBB46_2031
.LBB46_2011:
	s_or_b64 exec, exec, s[20:21]
	v_mov_b32_e32 v6, 0
	s_and_saveexec_b64 s[20:21], s[22:23]
	s_cbranch_execz .LBB46_2013
.LBB46_2012:
	v_lshlrev_b32_e32 v6, 24, v7
	v_and_b32_e32 v7, 0xffff, v7
	v_and_b32_e32 v8, 3, v7
	v_ffbh_u32_e32 v10, v8
	v_min_u32_e32 v10, 32, v10
	v_subrev_u32_e32 v11, 29, v10
	v_bfe_u32 v9, v7, 2, 5
	v_lshlrev_b32_e32 v7, v11, v7
	v_sub_u32_e32 v10, 30, v10
	v_and_b32_e32 v7, 3, v7
	v_cmp_eq_u32_e32 vcc, 0, v9
	v_cndmask_b32_e32 v9, v9, v10, vcc
	v_cndmask_b32_e32 v7, v8, v7, vcc
	v_mov_b32_e32 v8, 0x37800000
	v_lshlrev_b32_e32 v7, 21, v7
	v_and_b32_e32 v6, 0x80000000, v6
	v_lshl_add_u32 v8, v9, 23, v8
	v_or3_b32 v6, v6, v8, v7
	v_cvt_i32_f32_e32 v6, v6
.LBB46_2013:
	s_or_b64 exec, exec, s[20:21]
	s_mov_b64 s[20:21], 0
	s_branch .LBB46_2019
.LBB46_2014:
	s_mov_b64 s[20:21], -1
                                        ; implicit-def: $vgpr6
	s_branch .LBB46_2025
.LBB46_2015:
	s_andn2_saveexec_b64 s[22:23], s[22:23]
	s_cbranch_execz .LBB46_2000
.LBB46_2016:
	v_cmp_ne_u16_e32 vcc, 0, v7
	s_andn2_b64 s[24:25], s[24:25], exec
	s_and_b64 s[30:31], vcc, exec
	s_or_b64 s[24:25], s[24:25], s[30:31]
	s_or_b64 exec, exec, s[22:23]
	v_mov_b32_e32 v6, 0
	s_and_saveexec_b64 s[22:23], s[24:25]
	s_cbranch_execnz .LBB46_2001
	s_branch .LBB46_2002
.LBB46_2017:
	s_mov_b64 s[20:21], -1
                                        ; implicit-def: $vgpr6
	s_branch .LBB46_2022
.LBB46_2018:
	s_mov_b64 s[20:21], -1
                                        ; implicit-def: $vgpr6
.LBB46_2019:
	s_and_b64 vcc, exec, s[20:21]
	s_cbranch_vccz .LBB46_2021
; %bb.2020:
	global_load_ubyte v6, v[0:1], off
	s_mov_b32 s20, 0x7f800000
	s_waitcnt vmcnt(0)
	v_lshlrev_b32_e32 v6, 24, v6
	v_and_b32_e32 v7, 0x7f000000, v6
	v_ffbh_u32_e32 v8, v7
	v_min_u32_e32 v8, 32, v8
	v_sub_u32_e64 v8, v8, 4 clamp
	v_lshlrev_b32_e32 v10, v8, v7
	v_lshlrev_b32_e32 v8, 23, v8
	v_lshrrev_b32_e32 v10, 4, v10
	v_add_u32_e32 v9, 0x1000000, v7
	v_sub_u32_e32 v8, v10, v8
	v_ashrrev_i32_e32 v9, 8, v9
	v_add_u32_e32 v8, 0x3c000000, v8
	v_and_or_b32 v8, v9, s20, v8
	v_cmp_ne_u32_e32 vcc, 0, v7
	v_cndmask_b32_e32 v7, 0, v8, vcc
	s_brev_b32 s20, 1
	v_and_or_b32 v6, v6, s20, v7
	v_cvt_i32_f32_e32 v6, v6
.LBB46_2021:
	s_mov_b64 s[20:21], 0
.LBB46_2022:
	s_andn2_b64 vcc, exec, s[20:21]
	s_cbranch_vccnz .LBB46_2024
; %bb.2023:
	global_load_ubyte v6, v[0:1], off
	s_movk_i32 s20, 0x7f00
	s_brev_b32 s21, 16
	s_waitcnt vmcnt(0)
	v_lshlrev_b16_e32 v7, 8, v6
	v_lshlrev_b32_e32 v6, 25, v6
	v_lshrrev_b32_e32 v8, 4, v6
	v_and_or_b32 v9, v7, s20, 0.5
	v_or_b32_e32 v8, 0x70000000, v8
	v_add_f32_e32 v9, -0.5, v9
	v_mul_f32_e32 v8, 0x7800000, v8
	v_cmp_gt_u32_e32 vcc, s21, v6
	v_bfe_i32 v7, v7, 0, 16
	v_cndmask_b32_e32 v6, v8, v9, vcc
	s_brev_b32 s20, 1
	v_and_or_b32 v6, v7, s20, v6
	v_cvt_i32_f32_e32 v6, v6
.LBB46_2024:
	s_mov_b64 s[20:21], 0
	s_mov_b64 s[22:23], -1
.LBB46_2025:
	s_andn2_b64 vcc, exec, s[20:21]
	s_mov_b64 s[20:21], 0
	s_cbranch_vccnz .LBB46_2036
; %bb.2026:
	s_cmp_gt_i32 s26, 14
	s_cbranch_scc0 .LBB46_2029
; %bb.2027:
	s_cmp_eq_u32 s26, 15
	s_cbranch_scc0 .LBB46_2032
; %bb.2028:
	global_load_ushort v6, v[0:1], off
	s_mov_b64 s[0:1], 0
	s_mov_b64 s[22:23], -1
	s_waitcnt vmcnt(0)
	v_lshlrev_b32_e32 v6, 16, v6
	v_cvt_i32_f32_e32 v6, v6
	s_branch .LBB46_2033
.LBB46_2029:
	s_mov_b64 s[24:25], -1
                                        ; implicit-def: $vgpr6
	s_branch .LBB46_2034
.LBB46_2030:
	s_andn2_saveexec_b64 s[20:21], s[20:21]
	s_cbranch_execz .LBB46_2011
.LBB46_2031:
	v_cmp_ne_u16_e32 vcc, 0, v7
	s_andn2_b64 s[22:23], s[22:23], exec
	s_and_b64 s[24:25], vcc, exec
	s_or_b64 s[22:23], s[22:23], s[24:25]
	s_or_b64 exec, exec, s[20:21]
	v_mov_b32_e32 v6, 0
	s_and_saveexec_b64 s[20:21], s[22:23]
	s_cbranch_execnz .LBB46_2012
	s_branch .LBB46_2013
.LBB46_2032:
	s_mov_b64 s[0:1], -1
                                        ; implicit-def: $vgpr6
.LBB46_2033:
	s_mov_b64 s[24:25], 0
.LBB46_2034:
	s_and_b64 vcc, exec, s[24:25]
	s_cbranch_vccz .LBB46_2036
; %bb.2035:
	s_cmp_lg_u32 s26, 11
	s_mov_b64 s[20:21], -1
	s_cselect_b64 s[0:1], -1, 0
.LBB46_2036:
	s_and_b64 vcc, exec, s[0:1]
	s_cbranch_vccnz .LBB46_2118
; %bb.2037:
	s_andn2_b64 vcc, exec, s[20:21]
	s_cbranch_vccnz .LBB46_2039
.LBB46_2038:
	global_load_ubyte v6, v[0:1], off
	s_mov_b64 s[22:23], -1
	s_waitcnt vmcnt(0)
	v_cmp_ne_u16_e32 vcc, 0, v6
	v_cndmask_b32_e64 v6, 0, 1, vcc
.LBB46_2039:
	s_mov_b64 s[0:1], 0
.LBB46_2040:
	s_and_b64 vcc, exec, s[0:1]
	s_cbranch_vccz .LBB46_2089
; %bb.2041:
	s_and_b32 s20, 0xffff, s29
	s_cmp_lt_i32 s20, 5
	s_cbranch_scc1 .LBB46_2046
; %bb.2042:
	s_cmp_lt_i32 s20, 8
	s_cbranch_scc1 .LBB46_2047
; %bb.2043:
	;; [unrolled: 3-line block ×3, first 2 shown]
	s_cmp_gt_i32 s20, 9
	s_cbranch_scc0 .LBB46_2049
; %bb.2045:
	global_load_dwordx2 v[6:7], v[0:1], off
	s_mov_b64 s[0:1], 0
	s_waitcnt vmcnt(0)
	v_cvt_i32_f64_e32 v6, v[6:7]
	s_branch .LBB46_2050
.LBB46_2046:
	s_mov_b64 s[0:1], -1
                                        ; implicit-def: $vgpr6
	s_branch .LBB46_2068
.LBB46_2047:
	s_mov_b64 s[0:1], -1
                                        ; implicit-def: $vgpr6
	s_branch .LBB46_2056
.LBB46_2048:
	s_mov_b64 s[0:1], -1
                                        ; implicit-def: $vgpr6
	s_branch .LBB46_2053
.LBB46_2049:
	s_mov_b64 s[0:1], -1
                                        ; implicit-def: $vgpr6
.LBB46_2050:
	s_andn2_b64 vcc, exec, s[0:1]
	s_cbranch_vccnz .LBB46_2052
; %bb.2051:
	global_load_dword v6, v[0:1], off
	s_waitcnt vmcnt(0)
	v_cvt_i32_f32_e32 v6, v6
.LBB46_2052:
	s_mov_b64 s[0:1], 0
.LBB46_2053:
	s_andn2_b64 vcc, exec, s[0:1]
	s_cbranch_vccnz .LBB46_2055
; %bb.2054:
	global_load_dword v6, v[0:1], off
	s_waitcnt vmcnt(0)
	v_cvt_f32_f16_e32 v6, v6
	v_cvt_i32_f32_e32 v6, v6
.LBB46_2055:
	s_mov_b64 s[0:1], 0
.LBB46_2056:
	s_andn2_b64 vcc, exec, s[0:1]
	s_cbranch_vccnz .LBB46_2067
; %bb.2057:
	s_cmp_lt_i32 s20, 6
	s_cbranch_scc1 .LBB46_2060
; %bb.2058:
	s_cmp_gt_i32 s20, 6
	s_cbranch_scc0 .LBB46_2061
; %bb.2059:
	global_load_dwordx2 v[6:7], v[0:1], off
	s_mov_b64 s[0:1], 0
	s_waitcnt vmcnt(0)
	v_cvt_i32_f64_e32 v6, v[6:7]
	s_branch .LBB46_2062
.LBB46_2060:
	s_mov_b64 s[0:1], -1
                                        ; implicit-def: $vgpr6
	s_branch .LBB46_2065
.LBB46_2061:
	s_mov_b64 s[0:1], -1
                                        ; implicit-def: $vgpr6
.LBB46_2062:
	s_andn2_b64 vcc, exec, s[0:1]
	s_cbranch_vccnz .LBB46_2064
; %bb.2063:
	global_load_dword v6, v[0:1], off
	s_waitcnt vmcnt(0)
	v_cvt_i32_f32_e32 v6, v6
.LBB46_2064:
	s_mov_b64 s[0:1], 0
.LBB46_2065:
	s_andn2_b64 vcc, exec, s[0:1]
	s_cbranch_vccnz .LBB46_2067
; %bb.2066:
	global_load_ushort v6, v[0:1], off
	s_waitcnt vmcnt(0)
	v_cvt_f32_f16_e32 v6, v6
	v_cvt_i32_f32_e32 v6, v6
.LBB46_2067:
	s_mov_b64 s[0:1], 0
.LBB46_2068:
	s_andn2_b64 vcc, exec, s[0:1]
	s_cbranch_vccnz .LBB46_2088
; %bb.2069:
	s_cmp_lt_i32 s20, 2
	s_cbranch_scc1 .LBB46_2073
; %bb.2070:
	s_cmp_lt_i32 s20, 3
	s_cbranch_scc1 .LBB46_2074
; %bb.2071:
	s_cmp_gt_i32 s20, 3
	s_cbranch_scc0 .LBB46_2075
; %bb.2072:
	global_load_dword v6, v[0:1], off
	s_mov_b64 s[0:1], 0
	s_branch .LBB46_2076
.LBB46_2073:
	s_mov_b64 s[0:1], -1
                                        ; implicit-def: $vgpr6
	s_branch .LBB46_2082
.LBB46_2074:
	s_mov_b64 s[0:1], -1
                                        ; implicit-def: $vgpr6
	s_branch .LBB46_2079
.LBB46_2075:
	s_mov_b64 s[0:1], -1
                                        ; implicit-def: $vgpr6
.LBB46_2076:
	s_andn2_b64 vcc, exec, s[0:1]
	s_cbranch_vccnz .LBB46_2078
; %bb.2077:
	global_load_dword v6, v[0:1], off
.LBB46_2078:
	s_mov_b64 s[0:1], 0
.LBB46_2079:
	s_andn2_b64 vcc, exec, s[0:1]
	s_cbranch_vccnz .LBB46_2081
; %bb.2080:
	global_load_sshort v6, v[0:1], off
.LBB46_2081:
	s_mov_b64 s[0:1], 0
.LBB46_2082:
	s_andn2_b64 vcc, exec, s[0:1]
	s_cbranch_vccnz .LBB46_2088
; %bb.2083:
	s_cmp_gt_i32 s20, 0
	s_cbranch_scc0 .LBB46_2085
; %bb.2084:
	global_load_sbyte v6, v[0:1], off
	s_mov_b64 s[0:1], 0
	s_branch .LBB46_2086
.LBB46_2085:
	s_mov_b64 s[0:1], -1
                                        ; implicit-def: $vgpr6
.LBB46_2086:
	s_andn2_b64 vcc, exec, s[0:1]
	s_cbranch_vccnz .LBB46_2088
; %bb.2087:
	global_load_ubyte v6, v[0:1], off
.LBB46_2088:
	s_mov_b64 s[22:23], -1
.LBB46_2089:
	s_andn2_b64 vcc, exec, s[22:23]
	s_cbranch_vccnz .LBB46_2634
; %bb.2090:
	s_cmp_lt_i32 s15, 1
	s_mov_b64 s[0:1], 0
	s_cbranch_scc1 .LBB46_2094
; %bb.2091:
	s_cmp_gt_i32 s15, 1
	s_cbranch_scc0 .LBB46_2095
; %bb.2092:
	s_cmp_eq_u32 s15, 2
	s_cbranch_scc0 .LBB46_2096
; %bb.2093:
	s_waitcnt vmcnt(0)
	v_cmp_le_i32_e64 s[20:21], v5, v6
	s_mov_b64 s[22:23], 0
	s_branch .LBB46_2097
.LBB46_2094:
	s_mov_b64 s[24:25], -1
                                        ; implicit-def: $sgpr20_sgpr21
	s_mov_b64 s[22:23], 0
	s_branch .LBB46_2101
.LBB46_2095:
	s_mov_b64 s[24:25], -1
	s_mov_b64 s[22:23], 0
                                        ; implicit-def: $sgpr20_sgpr21
	s_branch .LBB46_2098
.LBB46_2096:
	s_mov_b64 s[22:23], -1
                                        ; implicit-def: $sgpr20_sgpr21
.LBB46_2097:
	s_mov_b64 s[24:25], 0
.LBB46_2098:
	s_and_b64 vcc, exec, s[24:25]
	s_cbranch_vccz .LBB46_2100
; %bb.2099:
	s_waitcnt vmcnt(0)
	v_cmp_gt_i32_e32 vcc, v5, v6
	s_andn2_b64 s[20:21], s[20:21], exec
	s_and_b64 s[24:25], vcc, exec
	s_or_b64 s[20:21], s[20:21], s[24:25]
.LBB46_2100:
	s_mov_b64 s[24:25], 0
.LBB46_2101:
	s_and_b64 vcc, exec, s[24:25]
	s_cbranch_vccz .LBB46_2112
; %bb.2102:
	s_cmp_lg_u32 s15, 0
	s_mov_b64 s[0:1], -1
	s_cselect_b64 s[22:23], -1, 0
	s_andn2_b64 vcc, exec, s[22:23]
	s_cbranch_vccz .LBB46_2113
.LBB46_2103:
	s_andn2_b64 vcc, exec, s[0:1]
	s_cbranch_vccnz .LBB46_2105
.LBB46_2104:
	s_waitcnt vmcnt(0)
	v_cmp_ge_i32_e32 vcc, v5, v6
	s_andn2_b64 s[0:1], s[20:21], exec
	s_and_b64 s[20:21], vcc, exec
	s_or_b64 s[20:21], s[0:1], s[20:21]
.LBB46_2105:
	v_add_u32_e32 v3, s13, v3
	v_ashrrev_i32_e32 v1, 31, v3
	s_waitcnt vmcnt(0)
	v_mov_b32_e32 v5, s11
	v_add_co_u32_e32 v0, vcc, s10, v3
	s_cmp_lt_i32 s28, 11
	v_addc_co_u32_e32 v1, vcc, v5, v1, vcc
	s_cbranch_scc1 .LBB46_2114
; %bb.2106:
	s_and_b32 s30, 0xffff, s28
	s_cmp_gt_i32 s30, 25
	s_mov_b64 s[22:23], 0
	s_cbranch_scc0 .LBB46_2115
; %bb.2107:
	s_cmp_gt_i32 s30, 28
	s_cbranch_scc0 .LBB46_2116
; %bb.2108:
	s_cmp_gt_i32 s30, 43
	;; [unrolled: 3-line block ×3, first 2 shown]
	s_cbranch_scc0 .LBB46_2119
; %bb.2110:
	s_cmp_eq_u32 s30, 46
	s_mov_b64 s[26:27], 0
	s_cbranch_scc0 .LBB46_2120
; %bb.2111:
	global_load_dword v5, v[0:1], off
	s_mov_b64 s[0:1], 0
	s_mov_b64 s[24:25], -1
	s_waitcnt vmcnt(0)
	v_lshlrev_b32_e32 v5, 16, v5
	v_cvt_i32_f32_e32 v5, v5
	s_branch .LBB46_2121
.LBB46_2112:
	s_andn2_b64 vcc, exec, s[22:23]
	s_cbranch_vccnz .LBB46_2103
.LBB46_2113:
	s_waitcnt vmcnt(0)
	v_cmp_lt_i32_e32 vcc, v5, v6
	s_andn2_b64 s[20:21], s[20:21], exec
	s_and_b64 s[22:23], vcc, exec
	s_or_b64 s[20:21], s[20:21], s[22:23]
	s_cbranch_execz .LBB46_2104
	s_branch .LBB46_2105
.LBB46_2114:
	s_mov_b64 s[0:1], -1
	s_mov_b64 s[24:25], 0
                                        ; implicit-def: $vgpr5
	s_branch .LBB46_2183
.LBB46_2115:
	s_mov_b64 s[26:27], -1
	s_mov_b64 s[24:25], 0
	s_mov_b64 s[0:1], 0
                                        ; implicit-def: $vgpr5
	s_branch .LBB46_2148
.LBB46_2116:
	s_mov_b64 s[26:27], -1
	s_mov_b64 s[24:25], 0
	s_mov_b64 s[0:1], 0
                                        ; implicit-def: $vgpr5
	s_branch .LBB46_2131
.LBB46_2117:
	s_mov_b64 s[26:27], -1
	s_mov_b64 s[24:25], 0
	s_mov_b64 s[0:1], 0
                                        ; implicit-def: $vgpr5
	s_branch .LBB46_2126
.LBB46_2118:
	s_trap 2
	s_or_b64 s[18:19], s[18:19], exec
	s_cbranch_execz .LBB46_2038
	s_branch .LBB46_2039
.LBB46_2119:
	s_mov_b64 s[26:27], -1
	s_mov_b64 s[24:25], 0
	s_mov_b64 s[0:1], 0
                                        ; implicit-def: $vgpr5
	s_branch .LBB46_2121
.LBB46_2120:
	s_mov_b64 s[0:1], -1
                                        ; implicit-def: $vgpr5
	s_mov_b64 s[24:25], 0
.LBB46_2121:
	s_and_b64 vcc, exec, s[26:27]
	s_cbranch_vccz .LBB46_2125
; %bb.2122:
	s_cmp_eq_u32 s30, 44
	s_cbranch_scc0 .LBB46_2124
; %bb.2123:
	global_load_ubyte v5, v[0:1], off
	s_mov_b64 s[0:1], 0
	s_mov_b64 s[24:25], -1
	s_waitcnt vmcnt(0)
	v_lshlrev_b32_e32 v6, 23, v5
	v_cvt_i32_f32_e32 v6, v6
	v_cmp_ne_u32_e32 vcc, 0, v5
	v_cndmask_b32_e32 v5, 0, v6, vcc
	s_branch .LBB46_2125
.LBB46_2124:
	s_mov_b64 s[0:1], -1
                                        ; implicit-def: $vgpr5
.LBB46_2125:
	s_mov_b64 s[26:27], 0
.LBB46_2126:
	s_and_b64 vcc, exec, s[26:27]
	s_cbranch_vccz .LBB46_2130
; %bb.2127:
	s_cmp_eq_u32 s30, 29
	s_cbranch_scc0 .LBB46_2129
; %bb.2128:
	global_load_dword v5, v[0:1], off
	s_mov_b64 s[0:1], 0
	s_mov_b64 s[24:25], -1
	s_branch .LBB46_2130
.LBB46_2129:
	s_mov_b64 s[0:1], -1
                                        ; implicit-def: $vgpr5
.LBB46_2130:
	s_mov_b64 s[26:27], 0
.LBB46_2131:
	s_and_b64 vcc, exec, s[26:27]
	s_cbranch_vccz .LBB46_2147
; %bb.2132:
	s_cmp_lt_i32 s30, 27
	s_cbranch_scc1 .LBB46_2135
; %bb.2133:
	s_cmp_gt_i32 s30, 27
	s_cbranch_scc0 .LBB46_2136
; %bb.2134:
	global_load_dword v5, v[0:1], off
	s_mov_b64 s[24:25], 0
	s_branch .LBB46_2137
.LBB46_2135:
	s_mov_b64 s[24:25], -1
                                        ; implicit-def: $vgpr5
	s_branch .LBB46_2140
.LBB46_2136:
	s_mov_b64 s[24:25], -1
                                        ; implicit-def: $vgpr5
.LBB46_2137:
	s_andn2_b64 vcc, exec, s[24:25]
	s_cbranch_vccnz .LBB46_2139
; %bb.2138:
	global_load_ushort v5, v[0:1], off
.LBB46_2139:
	s_mov_b64 s[24:25], 0
.LBB46_2140:
	s_andn2_b64 vcc, exec, s[24:25]
	s_cbranch_vccnz .LBB46_2146
; %bb.2141:
	global_load_ubyte v6, v[0:1], off
	s_movk_i32 s24, 0x7f
	s_mov_b64 s[26:27], 0
	s_waitcnt vmcnt(0)
	v_cmp_lt_i16_e32 vcc, s24, v6
	s_and_saveexec_b64 s[24:25], vcc
	s_xor_b64 s[24:25], exec, s[24:25]
	s_cbranch_execz .LBB46_2158
; %bb.2142:
	s_movk_i32 s26, 0x80
	v_cmp_ne_u16_e32 vcc, s26, v6
	s_and_b64 s[26:27], vcc, exec
	s_andn2_saveexec_b64 s[24:25], s[24:25]
	s_cbranch_execnz .LBB46_2159
.LBB46_2143:
	s_or_b64 exec, exec, s[24:25]
	v_mov_b32_e32 v5, 0
	s_and_saveexec_b64 s[24:25], s[26:27]
	s_cbranch_execz .LBB46_2145
.LBB46_2144:
	v_lshlrev_b32_e32 v5, 24, v6
	v_and_b32_e32 v6, 0xffff, v6
	v_and_b32_e32 v7, 7, v6
	v_ffbh_u32_e32 v9, v7
	v_min_u32_e32 v9, 32, v9
	v_subrev_u32_e32 v10, 28, v9
	v_bfe_u32 v8, v6, 3, 4
	v_lshlrev_b32_e32 v6, v10, v6
	v_sub_u32_e32 v9, 29, v9
	v_and_b32_e32 v6, 7, v6
	v_cmp_eq_u32_e32 vcc, 0, v8
	v_cndmask_b32_e32 v8, v8, v9, vcc
	v_cndmask_b32_e32 v6, v7, v6, vcc
	v_mov_b32_e32 v7, 0x3b800000
	v_lshlrev_b32_e32 v6, 20, v6
	v_and_b32_e32 v5, 0x80000000, v5
	v_lshl_add_u32 v7, v8, 23, v7
	v_or3_b32 v5, v5, v7, v6
	v_cvt_i32_f32_e32 v5, v5
.LBB46_2145:
	s_or_b64 exec, exec, s[24:25]
.LBB46_2146:
	s_mov_b64 s[24:25], -1
.LBB46_2147:
	s_mov_b64 s[26:27], 0
.LBB46_2148:
	s_and_b64 vcc, exec, s[26:27]
	s_cbranch_vccz .LBB46_2179
; %bb.2149:
	s_cmp_gt_i32 s30, 22
	s_cbranch_scc0 .LBB46_2157
; %bb.2150:
	s_cmp_lt_i32 s30, 24
	s_cbranch_scc1 .LBB46_2160
; %bb.2151:
	s_cmp_gt_i32 s30, 24
	s_cbranch_scc0 .LBB46_2161
; %bb.2152:
	global_load_ubyte v6, v[0:1], off
	s_movk_i32 s22, 0x7f
	s_mov_b64 s[24:25], 0
	s_waitcnt vmcnt(0)
	v_cmp_lt_i16_e32 vcc, s22, v6
	s_and_saveexec_b64 s[22:23], vcc
	s_xor_b64 s[22:23], exec, s[22:23]
	s_cbranch_execz .LBB46_2173
; %bb.2153:
	s_movk_i32 s24, 0x80
	v_cmp_ne_u16_e32 vcc, s24, v6
	s_and_b64 s[24:25], vcc, exec
	s_andn2_saveexec_b64 s[22:23], s[22:23]
	s_cbranch_execnz .LBB46_2174
.LBB46_2154:
	s_or_b64 exec, exec, s[22:23]
	v_mov_b32_e32 v5, 0
	s_and_saveexec_b64 s[22:23], s[24:25]
	s_cbranch_execz .LBB46_2156
.LBB46_2155:
	v_lshlrev_b32_e32 v5, 24, v6
	v_and_b32_e32 v6, 0xffff, v6
	v_and_b32_e32 v7, 3, v6
	v_ffbh_u32_e32 v9, v7
	v_min_u32_e32 v9, 32, v9
	v_subrev_u32_e32 v10, 29, v9
	v_bfe_u32 v8, v6, 2, 5
	v_lshlrev_b32_e32 v6, v10, v6
	v_sub_u32_e32 v9, 30, v9
	v_and_b32_e32 v6, 3, v6
	v_cmp_eq_u32_e32 vcc, 0, v8
	v_cndmask_b32_e32 v8, v8, v9, vcc
	v_cndmask_b32_e32 v6, v7, v6, vcc
	v_mov_b32_e32 v7, 0x37800000
	v_lshlrev_b32_e32 v6, 21, v6
	v_and_b32_e32 v5, 0x80000000, v5
	v_lshl_add_u32 v7, v8, 23, v7
	v_or3_b32 v5, v5, v7, v6
	v_cvt_i32_f32_e32 v5, v5
.LBB46_2156:
	s_or_b64 exec, exec, s[22:23]
	s_mov_b64 s[22:23], 0
	s_branch .LBB46_2162
.LBB46_2157:
	s_mov_b64 s[22:23], -1
                                        ; implicit-def: $vgpr5
	s_branch .LBB46_2168
.LBB46_2158:
	s_andn2_saveexec_b64 s[24:25], s[24:25]
	s_cbranch_execz .LBB46_2143
.LBB46_2159:
	v_cmp_ne_u16_e32 vcc, 0, v6
	s_andn2_b64 s[26:27], s[26:27], exec
	s_and_b64 s[34:35], vcc, exec
	s_or_b64 s[26:27], s[26:27], s[34:35]
	s_or_b64 exec, exec, s[24:25]
	v_mov_b32_e32 v5, 0
	s_and_saveexec_b64 s[24:25], s[26:27]
	s_cbranch_execnz .LBB46_2144
	s_branch .LBB46_2145
.LBB46_2160:
	s_mov_b64 s[22:23], -1
                                        ; implicit-def: $vgpr5
	s_branch .LBB46_2165
.LBB46_2161:
	s_mov_b64 s[22:23], -1
                                        ; implicit-def: $vgpr5
.LBB46_2162:
	s_and_b64 vcc, exec, s[22:23]
	s_cbranch_vccz .LBB46_2164
; %bb.2163:
	global_load_ubyte v5, v[0:1], off
	s_mov_b32 s22, 0x7f800000
	s_waitcnt vmcnt(0)
	v_lshlrev_b32_e32 v5, 24, v5
	v_and_b32_e32 v6, 0x7f000000, v5
	v_ffbh_u32_e32 v7, v6
	v_min_u32_e32 v7, 32, v7
	v_sub_u32_e64 v7, v7, 4 clamp
	v_lshlrev_b32_e32 v9, v7, v6
	v_lshlrev_b32_e32 v7, 23, v7
	v_lshrrev_b32_e32 v9, 4, v9
	v_add_u32_e32 v8, 0x1000000, v6
	v_sub_u32_e32 v7, v9, v7
	v_ashrrev_i32_e32 v8, 8, v8
	v_add_u32_e32 v7, 0x3c000000, v7
	v_and_or_b32 v7, v8, s22, v7
	v_cmp_ne_u32_e32 vcc, 0, v6
	v_cndmask_b32_e32 v6, 0, v7, vcc
	s_brev_b32 s22, 1
	v_and_or_b32 v5, v5, s22, v6
	v_cvt_i32_f32_e32 v5, v5
.LBB46_2164:
	s_mov_b64 s[22:23], 0
.LBB46_2165:
	s_andn2_b64 vcc, exec, s[22:23]
	s_cbranch_vccnz .LBB46_2167
; %bb.2166:
	global_load_ubyte v5, v[0:1], off
	s_movk_i32 s22, 0x7f00
	s_brev_b32 s23, 16
	s_waitcnt vmcnt(0)
	v_lshlrev_b16_e32 v6, 8, v5
	v_lshlrev_b32_e32 v5, 25, v5
	v_lshrrev_b32_e32 v7, 4, v5
	v_and_or_b32 v8, v6, s22, 0.5
	v_or_b32_e32 v7, 0x70000000, v7
	v_add_f32_e32 v8, -0.5, v8
	v_mul_f32_e32 v7, 0x7800000, v7
	v_cmp_gt_u32_e32 vcc, s23, v5
	v_bfe_i32 v6, v6, 0, 16
	v_cndmask_b32_e32 v5, v7, v8, vcc
	s_brev_b32 s22, 1
	v_and_or_b32 v5, v6, s22, v5
	v_cvt_i32_f32_e32 v5, v5
.LBB46_2167:
	s_mov_b64 s[22:23], 0
	s_mov_b64 s[24:25], -1
.LBB46_2168:
	s_andn2_b64 vcc, exec, s[22:23]
	s_mov_b64 s[22:23], 0
	s_cbranch_vccnz .LBB46_2179
; %bb.2169:
	s_cmp_gt_i32 s30, 14
	s_cbranch_scc0 .LBB46_2172
; %bb.2170:
	s_cmp_eq_u32 s30, 15
	s_cbranch_scc0 .LBB46_2175
; %bb.2171:
	global_load_ushort v5, v[0:1], off
	s_mov_b64 s[0:1], 0
	s_mov_b64 s[24:25], -1
	s_waitcnt vmcnt(0)
	v_lshlrev_b32_e32 v5, 16, v5
	v_cvt_i32_f32_e32 v5, v5
	s_branch .LBB46_2176
.LBB46_2172:
	s_mov_b64 s[26:27], -1
                                        ; implicit-def: $vgpr5
	s_branch .LBB46_2177
.LBB46_2173:
	s_andn2_saveexec_b64 s[22:23], s[22:23]
	s_cbranch_execz .LBB46_2154
.LBB46_2174:
	v_cmp_ne_u16_e32 vcc, 0, v6
	s_andn2_b64 s[24:25], s[24:25], exec
	s_and_b64 s[26:27], vcc, exec
	s_or_b64 s[24:25], s[24:25], s[26:27]
	s_or_b64 exec, exec, s[22:23]
	v_mov_b32_e32 v5, 0
	s_and_saveexec_b64 s[22:23], s[24:25]
	s_cbranch_execnz .LBB46_2155
	s_branch .LBB46_2156
.LBB46_2175:
	s_mov_b64 s[0:1], -1
                                        ; implicit-def: $vgpr5
.LBB46_2176:
	s_mov_b64 s[26:27], 0
.LBB46_2177:
	s_and_b64 vcc, exec, s[26:27]
	s_cbranch_vccz .LBB46_2179
; %bb.2178:
	s_cmp_lg_u32 s30, 11
	s_mov_b64 s[22:23], -1
	s_cselect_b64 s[0:1], -1, 0
.LBB46_2179:
	s_and_b64 vcc, exec, s[0:1]
	s_cbranch_vccnz .LBB46_2244
; %bb.2180:
	s_andn2_b64 vcc, exec, s[22:23]
	s_cbranch_vccnz .LBB46_2182
.LBB46_2181:
	global_load_ubyte v5, v[0:1], off
	s_mov_b64 s[24:25], -1
	s_waitcnt vmcnt(0)
	v_cmp_ne_u16_e32 vcc, 0, v5
	v_cndmask_b32_e64 v5, 0, 1, vcc
.LBB46_2182:
	s_mov_b64 s[0:1], 0
.LBB46_2183:
	s_and_b64 vcc, exec, s[0:1]
	s_cbranch_vccz .LBB46_2232
; %bb.2184:
	s_and_b32 s22, 0xffff, s28
	s_cmp_lt_i32 s22, 5
	s_cbranch_scc1 .LBB46_2189
; %bb.2185:
	s_cmp_lt_i32 s22, 8
	s_cbranch_scc1 .LBB46_2190
; %bb.2186:
	;; [unrolled: 3-line block ×3, first 2 shown]
	s_cmp_gt_i32 s22, 9
	s_cbranch_scc0 .LBB46_2192
; %bb.2188:
	global_load_dwordx2 v[5:6], v[0:1], off
	s_mov_b64 s[0:1], 0
	s_waitcnt vmcnt(0)
	v_cvt_i32_f64_e32 v5, v[5:6]
	s_branch .LBB46_2193
.LBB46_2189:
	s_mov_b64 s[0:1], -1
                                        ; implicit-def: $vgpr5
	s_branch .LBB46_2211
.LBB46_2190:
	s_mov_b64 s[0:1], -1
                                        ; implicit-def: $vgpr5
	s_branch .LBB46_2199
.LBB46_2191:
	s_mov_b64 s[0:1], -1
                                        ; implicit-def: $vgpr5
	s_branch .LBB46_2196
.LBB46_2192:
	s_mov_b64 s[0:1], -1
                                        ; implicit-def: $vgpr5
.LBB46_2193:
	s_andn2_b64 vcc, exec, s[0:1]
	s_cbranch_vccnz .LBB46_2195
; %bb.2194:
	global_load_dword v5, v[0:1], off
	s_waitcnt vmcnt(0)
	v_cvt_i32_f32_e32 v5, v5
.LBB46_2195:
	s_mov_b64 s[0:1], 0
.LBB46_2196:
	s_andn2_b64 vcc, exec, s[0:1]
	s_cbranch_vccnz .LBB46_2198
; %bb.2197:
	global_load_dword v5, v[0:1], off
	s_waitcnt vmcnt(0)
	v_cvt_f32_f16_e32 v5, v5
	v_cvt_i32_f32_e32 v5, v5
.LBB46_2198:
	s_mov_b64 s[0:1], 0
.LBB46_2199:
	s_andn2_b64 vcc, exec, s[0:1]
	s_cbranch_vccnz .LBB46_2210
; %bb.2200:
	s_cmp_lt_i32 s22, 6
	s_cbranch_scc1 .LBB46_2203
; %bb.2201:
	s_cmp_gt_i32 s22, 6
	s_cbranch_scc0 .LBB46_2204
; %bb.2202:
	global_load_dwordx2 v[5:6], v[0:1], off
	s_mov_b64 s[0:1], 0
	s_waitcnt vmcnt(0)
	v_cvt_i32_f64_e32 v5, v[5:6]
	s_branch .LBB46_2205
.LBB46_2203:
	s_mov_b64 s[0:1], -1
                                        ; implicit-def: $vgpr5
	s_branch .LBB46_2208
.LBB46_2204:
	s_mov_b64 s[0:1], -1
                                        ; implicit-def: $vgpr5
.LBB46_2205:
	s_andn2_b64 vcc, exec, s[0:1]
	s_cbranch_vccnz .LBB46_2207
; %bb.2206:
	global_load_dword v5, v[0:1], off
	s_waitcnt vmcnt(0)
	v_cvt_i32_f32_e32 v5, v5
.LBB46_2207:
	s_mov_b64 s[0:1], 0
.LBB46_2208:
	s_andn2_b64 vcc, exec, s[0:1]
	s_cbranch_vccnz .LBB46_2210
; %bb.2209:
	global_load_ushort v5, v[0:1], off
	s_waitcnt vmcnt(0)
	v_cvt_f32_f16_e32 v5, v5
	v_cvt_i32_f32_e32 v5, v5
.LBB46_2210:
	s_mov_b64 s[0:1], 0
.LBB46_2211:
	s_andn2_b64 vcc, exec, s[0:1]
	s_cbranch_vccnz .LBB46_2231
; %bb.2212:
	s_cmp_lt_i32 s22, 2
	s_cbranch_scc1 .LBB46_2216
; %bb.2213:
	s_cmp_lt_i32 s22, 3
	s_cbranch_scc1 .LBB46_2217
; %bb.2214:
	s_cmp_gt_i32 s22, 3
	s_cbranch_scc0 .LBB46_2218
; %bb.2215:
	global_load_dword v5, v[0:1], off
	s_mov_b64 s[0:1], 0
	s_branch .LBB46_2219
.LBB46_2216:
	s_mov_b64 s[0:1], -1
                                        ; implicit-def: $vgpr5
	s_branch .LBB46_2225
.LBB46_2217:
	s_mov_b64 s[0:1], -1
                                        ; implicit-def: $vgpr5
	s_branch .LBB46_2222
.LBB46_2218:
	s_mov_b64 s[0:1], -1
                                        ; implicit-def: $vgpr5
.LBB46_2219:
	s_andn2_b64 vcc, exec, s[0:1]
	s_cbranch_vccnz .LBB46_2221
; %bb.2220:
	global_load_dword v5, v[0:1], off
.LBB46_2221:
	s_mov_b64 s[0:1], 0
.LBB46_2222:
	s_andn2_b64 vcc, exec, s[0:1]
	s_cbranch_vccnz .LBB46_2224
; %bb.2223:
	global_load_sshort v5, v[0:1], off
.LBB46_2224:
	s_mov_b64 s[0:1], 0
.LBB46_2225:
	s_andn2_b64 vcc, exec, s[0:1]
	s_cbranch_vccnz .LBB46_2231
; %bb.2226:
	s_cmp_gt_i32 s22, 0
	s_cbranch_scc0 .LBB46_2228
; %bb.2227:
	global_load_sbyte v5, v[0:1], off
	s_mov_b64 s[0:1], 0
	s_branch .LBB46_2229
.LBB46_2228:
	s_mov_b64 s[0:1], -1
                                        ; implicit-def: $vgpr5
.LBB46_2229:
	s_andn2_b64 vcc, exec, s[0:1]
	s_cbranch_vccnz .LBB46_2231
; %bb.2230:
	global_load_ubyte v5, v[0:1], off
.LBB46_2231:
	s_mov_b64 s[24:25], -1
.LBB46_2232:
	s_andn2_b64 vcc, exec, s[24:25]
	s_cbranch_vccnz .LBB46_2634
; %bb.2233:
	v_add_u32_e32 v4, s14, v4
	v_ashrrev_i32_e32 v1, 31, v4
	v_mov_b32_e32 v6, s3
	v_add_co_u32_e32 v0, vcc, s2, v4
	s_cmp_lt_i32 s29, 11
	v_addc_co_u32_e32 v1, vcc, v6, v1, vcc
	s_cbranch_scc1 .LBB46_2240
; %bb.2234:
	s_and_b32 s30, 0xffff, s29
	s_cmp_gt_i32 s30, 25
	s_mov_b64 s[22:23], 0
	s_cbranch_scc0 .LBB46_2241
; %bb.2235:
	s_cmp_gt_i32 s30, 28
	s_cbranch_scc0 .LBB46_2242
; %bb.2236:
	s_cmp_gt_i32 s30, 43
	;; [unrolled: 3-line block ×3, first 2 shown]
	s_cbranch_scc0 .LBB46_2245
; %bb.2238:
	s_cmp_eq_u32 s30, 46
	s_mov_b64 s[26:27], 0
	s_cbranch_scc0 .LBB46_2248
; %bb.2239:
	global_load_dword v6, v[0:1], off
	s_mov_b64 s[0:1], 0
	s_mov_b64 s[24:25], -1
	s_waitcnt vmcnt(0)
	v_lshlrev_b32_e32 v6, 16, v6
	v_cvt_i32_f32_e32 v6, v6
	s_branch .LBB46_2249
.LBB46_2240:
	s_mov_b64 s[0:1], -1
	s_mov_b64 s[24:25], 0
                                        ; implicit-def: $vgpr6
	s_branch .LBB46_2311
.LBB46_2241:
	s_mov_b64 s[26:27], -1
	s_mov_b64 s[24:25], 0
	s_mov_b64 s[0:1], 0
                                        ; implicit-def: $vgpr6
	s_branch .LBB46_2276
.LBB46_2242:
	s_mov_b64 s[26:27], -1
	s_mov_b64 s[24:25], 0
	s_mov_b64 s[0:1], 0
                                        ; implicit-def: $vgpr6
	s_branch .LBB46_2259
.LBB46_2243:
	s_mov_b64 s[26:27], -1
	s_mov_b64 s[24:25], 0
	s_mov_b64 s[0:1], 0
                                        ; implicit-def: $vgpr6
	s_branch .LBB46_2254
.LBB46_2244:
	s_trap 2
	s_or_b64 s[18:19], s[18:19], exec
	s_cbranch_execz .LBB46_2181
	s_branch .LBB46_2182
.LBB46_2245:
	s_mov_b64 s[26:27], -1
	s_mov_b64 s[24:25], 0
	s_mov_b64 s[0:1], 0
                                        ; implicit-def: $vgpr6
	s_branch .LBB46_2249
.LBB46_2246:
	s_andn2_saveexec_b64 s[46:47], s[46:47]
	s_cbranch_execz .LBB46_1111
.LBB46_2247:
	v_add_f32_e32 v3, 0x42800000, v4
	v_and_b32_e32 v3, 0xff, v3
	v_cmp_ne_u32_e32 vcc, 0, v3
	s_andn2_b64 s[44:45], s[44:45], exec
	s_and_b64 s[52:53], vcc, exec
	s_or_b64 s[44:45], s[44:45], s[52:53]
	s_or_b64 exec, exec, s[46:47]
	v_mov_b32_e32 v5, 0
	s_and_saveexec_b64 s[46:47], s[44:45]
	s_cbranch_execnz .LBB46_1112
	s_branch .LBB46_1113
.LBB46_2248:
	s_mov_b64 s[0:1], -1
                                        ; implicit-def: $vgpr6
	s_mov_b64 s[24:25], 0
.LBB46_2249:
	s_and_b64 vcc, exec, s[26:27]
	s_cbranch_vccz .LBB46_2253
; %bb.2250:
	s_cmp_eq_u32 s30, 44
	s_cbranch_scc0 .LBB46_2252
; %bb.2251:
	global_load_ubyte v6, v[0:1], off
	s_mov_b64 s[0:1], 0
	s_mov_b64 s[24:25], -1
	s_waitcnt vmcnt(0)
	v_lshlrev_b32_e32 v7, 23, v6
	v_cvt_i32_f32_e32 v7, v7
	v_cmp_ne_u32_e32 vcc, 0, v6
	v_cndmask_b32_e32 v6, 0, v7, vcc
	s_branch .LBB46_2253
.LBB46_2252:
	s_mov_b64 s[0:1], -1
                                        ; implicit-def: $vgpr6
.LBB46_2253:
	s_mov_b64 s[26:27], 0
.LBB46_2254:
	s_and_b64 vcc, exec, s[26:27]
	s_cbranch_vccz .LBB46_2258
; %bb.2255:
	s_cmp_eq_u32 s30, 29
	s_cbranch_scc0 .LBB46_2257
; %bb.2256:
	global_load_dword v6, v[0:1], off
	s_mov_b64 s[0:1], 0
	s_mov_b64 s[24:25], -1
	s_branch .LBB46_2258
.LBB46_2257:
	s_mov_b64 s[0:1], -1
                                        ; implicit-def: $vgpr6
.LBB46_2258:
	s_mov_b64 s[26:27], 0
.LBB46_2259:
	s_and_b64 vcc, exec, s[26:27]
	s_cbranch_vccz .LBB46_2275
; %bb.2260:
	s_cmp_lt_i32 s30, 27
	s_cbranch_scc1 .LBB46_2263
; %bb.2261:
	s_cmp_gt_i32 s30, 27
	s_cbranch_scc0 .LBB46_2264
; %bb.2262:
	global_load_dword v6, v[0:1], off
	s_mov_b64 s[24:25], 0
	s_branch .LBB46_2265
.LBB46_2263:
	s_mov_b64 s[24:25], -1
                                        ; implicit-def: $vgpr6
	s_branch .LBB46_2268
.LBB46_2264:
	s_mov_b64 s[24:25], -1
                                        ; implicit-def: $vgpr6
.LBB46_2265:
	s_andn2_b64 vcc, exec, s[24:25]
	s_cbranch_vccnz .LBB46_2267
; %bb.2266:
	global_load_ushort v6, v[0:1], off
.LBB46_2267:
	s_mov_b64 s[24:25], 0
.LBB46_2268:
	s_andn2_b64 vcc, exec, s[24:25]
	s_cbranch_vccnz .LBB46_2274
; %bb.2269:
	global_load_ubyte v7, v[0:1], off
	s_movk_i32 s24, 0x7f
	s_mov_b64 s[26:27], 0
	s_waitcnt vmcnt(0)
	v_cmp_lt_i16_e32 vcc, s24, v7
	s_and_saveexec_b64 s[24:25], vcc
	s_xor_b64 s[24:25], exec, s[24:25]
	s_cbranch_execz .LBB46_2286
; %bb.2270:
	s_movk_i32 s26, 0x80
	v_cmp_ne_u16_e32 vcc, s26, v7
	s_and_b64 s[26:27], vcc, exec
	s_andn2_saveexec_b64 s[24:25], s[24:25]
	s_cbranch_execnz .LBB46_2287
.LBB46_2271:
	s_or_b64 exec, exec, s[24:25]
	v_mov_b32_e32 v6, 0
	s_and_saveexec_b64 s[24:25], s[26:27]
	s_cbranch_execz .LBB46_2273
.LBB46_2272:
	v_lshlrev_b32_e32 v6, 24, v7
	v_and_b32_e32 v7, 0xffff, v7
	v_and_b32_e32 v8, 7, v7
	v_ffbh_u32_e32 v10, v8
	v_min_u32_e32 v10, 32, v10
	v_subrev_u32_e32 v11, 28, v10
	v_bfe_u32 v9, v7, 3, 4
	v_lshlrev_b32_e32 v7, v11, v7
	v_sub_u32_e32 v10, 29, v10
	v_and_b32_e32 v7, 7, v7
	v_cmp_eq_u32_e32 vcc, 0, v9
	v_cndmask_b32_e32 v9, v9, v10, vcc
	v_cndmask_b32_e32 v7, v8, v7, vcc
	v_mov_b32_e32 v8, 0x3b800000
	v_lshlrev_b32_e32 v7, 20, v7
	v_and_b32_e32 v6, 0x80000000, v6
	v_lshl_add_u32 v8, v9, 23, v8
	v_or3_b32 v6, v6, v8, v7
	v_cvt_i32_f32_e32 v6, v6
.LBB46_2273:
	s_or_b64 exec, exec, s[24:25]
.LBB46_2274:
	s_mov_b64 s[24:25], -1
.LBB46_2275:
	s_mov_b64 s[26:27], 0
.LBB46_2276:
	s_and_b64 vcc, exec, s[26:27]
	s_cbranch_vccz .LBB46_2307
; %bb.2277:
	s_cmp_gt_i32 s30, 22
	s_cbranch_scc0 .LBB46_2285
; %bb.2278:
	s_cmp_lt_i32 s30, 24
	s_cbranch_scc1 .LBB46_2288
; %bb.2279:
	s_cmp_gt_i32 s30, 24
	s_cbranch_scc0 .LBB46_2289
; %bb.2280:
	global_load_ubyte v7, v[0:1], off
	s_movk_i32 s22, 0x7f
	s_mov_b64 s[24:25], 0
	s_waitcnt vmcnt(0)
	v_cmp_lt_i16_e32 vcc, s22, v7
	s_and_saveexec_b64 s[22:23], vcc
	s_xor_b64 s[22:23], exec, s[22:23]
	s_cbranch_execz .LBB46_2301
; %bb.2281:
	s_movk_i32 s24, 0x80
	v_cmp_ne_u16_e32 vcc, s24, v7
	s_and_b64 s[24:25], vcc, exec
	s_andn2_saveexec_b64 s[22:23], s[22:23]
	s_cbranch_execnz .LBB46_2302
.LBB46_2282:
	s_or_b64 exec, exec, s[22:23]
	v_mov_b32_e32 v6, 0
	s_and_saveexec_b64 s[22:23], s[24:25]
	s_cbranch_execz .LBB46_2284
.LBB46_2283:
	v_lshlrev_b32_e32 v6, 24, v7
	v_and_b32_e32 v7, 0xffff, v7
	v_and_b32_e32 v8, 3, v7
	v_ffbh_u32_e32 v10, v8
	v_min_u32_e32 v10, 32, v10
	v_subrev_u32_e32 v11, 29, v10
	v_bfe_u32 v9, v7, 2, 5
	v_lshlrev_b32_e32 v7, v11, v7
	v_sub_u32_e32 v10, 30, v10
	v_and_b32_e32 v7, 3, v7
	v_cmp_eq_u32_e32 vcc, 0, v9
	v_cndmask_b32_e32 v9, v9, v10, vcc
	v_cndmask_b32_e32 v7, v8, v7, vcc
	v_mov_b32_e32 v8, 0x37800000
	v_lshlrev_b32_e32 v7, 21, v7
	v_and_b32_e32 v6, 0x80000000, v6
	v_lshl_add_u32 v8, v9, 23, v8
	v_or3_b32 v6, v6, v8, v7
	v_cvt_i32_f32_e32 v6, v6
.LBB46_2284:
	s_or_b64 exec, exec, s[22:23]
	s_mov_b64 s[22:23], 0
	s_branch .LBB46_2290
.LBB46_2285:
	s_mov_b64 s[22:23], -1
                                        ; implicit-def: $vgpr6
	s_branch .LBB46_2296
.LBB46_2286:
	s_andn2_saveexec_b64 s[24:25], s[24:25]
	s_cbranch_execz .LBB46_2271
.LBB46_2287:
	v_cmp_ne_u16_e32 vcc, 0, v7
	s_andn2_b64 s[26:27], s[26:27], exec
	s_and_b64 s[34:35], vcc, exec
	s_or_b64 s[26:27], s[26:27], s[34:35]
	s_or_b64 exec, exec, s[24:25]
	v_mov_b32_e32 v6, 0
	s_and_saveexec_b64 s[24:25], s[26:27]
	s_cbranch_execnz .LBB46_2272
	s_branch .LBB46_2273
.LBB46_2288:
	s_mov_b64 s[22:23], -1
                                        ; implicit-def: $vgpr6
	s_branch .LBB46_2293
.LBB46_2289:
	s_mov_b64 s[22:23], -1
                                        ; implicit-def: $vgpr6
.LBB46_2290:
	s_and_b64 vcc, exec, s[22:23]
	s_cbranch_vccz .LBB46_2292
; %bb.2291:
	global_load_ubyte v6, v[0:1], off
	s_mov_b32 s22, 0x7f800000
	s_waitcnt vmcnt(0)
	v_lshlrev_b32_e32 v6, 24, v6
	v_and_b32_e32 v7, 0x7f000000, v6
	v_ffbh_u32_e32 v8, v7
	v_min_u32_e32 v8, 32, v8
	v_sub_u32_e64 v8, v8, 4 clamp
	v_lshlrev_b32_e32 v10, v8, v7
	v_lshlrev_b32_e32 v8, 23, v8
	v_lshrrev_b32_e32 v10, 4, v10
	v_add_u32_e32 v9, 0x1000000, v7
	v_sub_u32_e32 v8, v10, v8
	v_ashrrev_i32_e32 v9, 8, v9
	v_add_u32_e32 v8, 0x3c000000, v8
	v_and_or_b32 v8, v9, s22, v8
	v_cmp_ne_u32_e32 vcc, 0, v7
	v_cndmask_b32_e32 v7, 0, v8, vcc
	s_brev_b32 s22, 1
	v_and_or_b32 v6, v6, s22, v7
	v_cvt_i32_f32_e32 v6, v6
.LBB46_2292:
	s_mov_b64 s[22:23], 0
.LBB46_2293:
	s_andn2_b64 vcc, exec, s[22:23]
	s_cbranch_vccnz .LBB46_2295
; %bb.2294:
	global_load_ubyte v6, v[0:1], off
	s_movk_i32 s22, 0x7f00
	s_brev_b32 s23, 16
	s_waitcnt vmcnt(0)
	v_lshlrev_b16_e32 v7, 8, v6
	v_lshlrev_b32_e32 v6, 25, v6
	v_lshrrev_b32_e32 v8, 4, v6
	v_and_or_b32 v9, v7, s22, 0.5
	v_or_b32_e32 v8, 0x70000000, v8
	v_add_f32_e32 v9, -0.5, v9
	v_mul_f32_e32 v8, 0x7800000, v8
	v_cmp_gt_u32_e32 vcc, s23, v6
	v_bfe_i32 v7, v7, 0, 16
	v_cndmask_b32_e32 v6, v8, v9, vcc
	s_brev_b32 s22, 1
	v_and_or_b32 v6, v7, s22, v6
	v_cvt_i32_f32_e32 v6, v6
.LBB46_2295:
	s_mov_b64 s[22:23], 0
	s_mov_b64 s[24:25], -1
.LBB46_2296:
	s_andn2_b64 vcc, exec, s[22:23]
	s_mov_b64 s[22:23], 0
	s_cbranch_vccnz .LBB46_2307
; %bb.2297:
	s_cmp_gt_i32 s30, 14
	s_cbranch_scc0 .LBB46_2300
; %bb.2298:
	s_cmp_eq_u32 s30, 15
	s_cbranch_scc0 .LBB46_2303
; %bb.2299:
	global_load_ushort v6, v[0:1], off
	s_mov_b64 s[0:1], 0
	s_mov_b64 s[24:25], -1
	s_waitcnt vmcnt(0)
	v_lshlrev_b32_e32 v6, 16, v6
	v_cvt_i32_f32_e32 v6, v6
	s_branch .LBB46_2304
.LBB46_2300:
	s_mov_b64 s[26:27], -1
                                        ; implicit-def: $vgpr6
	s_branch .LBB46_2305
.LBB46_2301:
	s_andn2_saveexec_b64 s[22:23], s[22:23]
	s_cbranch_execz .LBB46_2282
.LBB46_2302:
	v_cmp_ne_u16_e32 vcc, 0, v7
	s_andn2_b64 s[24:25], s[24:25], exec
	s_and_b64 s[26:27], vcc, exec
	s_or_b64 s[24:25], s[24:25], s[26:27]
	s_or_b64 exec, exec, s[22:23]
	v_mov_b32_e32 v6, 0
	s_and_saveexec_b64 s[22:23], s[24:25]
	s_cbranch_execnz .LBB46_2283
	s_branch .LBB46_2284
.LBB46_2303:
	s_mov_b64 s[0:1], -1
                                        ; implicit-def: $vgpr6
.LBB46_2304:
	s_mov_b64 s[26:27], 0
.LBB46_2305:
	s_and_b64 vcc, exec, s[26:27]
	s_cbranch_vccz .LBB46_2307
; %bb.2306:
	s_cmp_lg_u32 s30, 11
	s_mov_b64 s[22:23], -1
	s_cselect_b64 s[0:1], -1, 0
.LBB46_2307:
	s_and_b64 vcc, exec, s[0:1]
	s_cbranch_vccnz .LBB46_2389
; %bb.2308:
	s_andn2_b64 vcc, exec, s[22:23]
	s_cbranch_vccnz .LBB46_2310
.LBB46_2309:
	global_load_ubyte v6, v[0:1], off
	s_mov_b64 s[24:25], -1
	s_waitcnt vmcnt(0)
	v_cmp_ne_u16_e32 vcc, 0, v6
	v_cndmask_b32_e64 v6, 0, 1, vcc
.LBB46_2310:
	s_mov_b64 s[0:1], 0
.LBB46_2311:
	s_and_b64 vcc, exec, s[0:1]
	s_cbranch_vccz .LBB46_2360
; %bb.2312:
	s_and_b32 s22, 0xffff, s29
	s_cmp_lt_i32 s22, 5
	s_cbranch_scc1 .LBB46_2317
; %bb.2313:
	s_cmp_lt_i32 s22, 8
	s_cbranch_scc1 .LBB46_2318
; %bb.2314:
	;; [unrolled: 3-line block ×3, first 2 shown]
	s_cmp_gt_i32 s22, 9
	s_cbranch_scc0 .LBB46_2320
; %bb.2316:
	global_load_dwordx2 v[6:7], v[0:1], off
	s_mov_b64 s[0:1], 0
	s_waitcnt vmcnt(0)
	v_cvt_i32_f64_e32 v6, v[6:7]
	s_branch .LBB46_2321
.LBB46_2317:
	s_mov_b64 s[0:1], -1
                                        ; implicit-def: $vgpr6
	s_branch .LBB46_2339
.LBB46_2318:
	s_mov_b64 s[0:1], -1
                                        ; implicit-def: $vgpr6
	s_branch .LBB46_2327
.LBB46_2319:
	s_mov_b64 s[0:1], -1
                                        ; implicit-def: $vgpr6
	s_branch .LBB46_2324
.LBB46_2320:
	s_mov_b64 s[0:1], -1
                                        ; implicit-def: $vgpr6
.LBB46_2321:
	s_andn2_b64 vcc, exec, s[0:1]
	s_cbranch_vccnz .LBB46_2323
; %bb.2322:
	global_load_dword v6, v[0:1], off
	s_waitcnt vmcnt(0)
	v_cvt_i32_f32_e32 v6, v6
.LBB46_2323:
	s_mov_b64 s[0:1], 0
.LBB46_2324:
	s_andn2_b64 vcc, exec, s[0:1]
	s_cbranch_vccnz .LBB46_2326
; %bb.2325:
	global_load_dword v6, v[0:1], off
	s_waitcnt vmcnt(0)
	v_cvt_f32_f16_e32 v6, v6
	v_cvt_i32_f32_e32 v6, v6
.LBB46_2326:
	s_mov_b64 s[0:1], 0
.LBB46_2327:
	s_andn2_b64 vcc, exec, s[0:1]
	s_cbranch_vccnz .LBB46_2338
; %bb.2328:
	s_cmp_lt_i32 s22, 6
	s_cbranch_scc1 .LBB46_2331
; %bb.2329:
	s_cmp_gt_i32 s22, 6
	s_cbranch_scc0 .LBB46_2332
; %bb.2330:
	global_load_dwordx2 v[6:7], v[0:1], off
	s_mov_b64 s[0:1], 0
	s_waitcnt vmcnt(0)
	v_cvt_i32_f64_e32 v6, v[6:7]
	s_branch .LBB46_2333
.LBB46_2331:
	s_mov_b64 s[0:1], -1
                                        ; implicit-def: $vgpr6
	s_branch .LBB46_2336
.LBB46_2332:
	s_mov_b64 s[0:1], -1
                                        ; implicit-def: $vgpr6
.LBB46_2333:
	s_andn2_b64 vcc, exec, s[0:1]
	s_cbranch_vccnz .LBB46_2335
; %bb.2334:
	global_load_dword v6, v[0:1], off
	s_waitcnt vmcnt(0)
	v_cvt_i32_f32_e32 v6, v6
.LBB46_2335:
	s_mov_b64 s[0:1], 0
.LBB46_2336:
	s_andn2_b64 vcc, exec, s[0:1]
	s_cbranch_vccnz .LBB46_2338
; %bb.2337:
	global_load_ushort v6, v[0:1], off
	s_waitcnt vmcnt(0)
	v_cvt_f32_f16_e32 v6, v6
	v_cvt_i32_f32_e32 v6, v6
.LBB46_2338:
	s_mov_b64 s[0:1], 0
.LBB46_2339:
	s_andn2_b64 vcc, exec, s[0:1]
	s_cbranch_vccnz .LBB46_2359
; %bb.2340:
	s_cmp_lt_i32 s22, 2
	s_cbranch_scc1 .LBB46_2344
; %bb.2341:
	s_cmp_lt_i32 s22, 3
	s_cbranch_scc1 .LBB46_2345
; %bb.2342:
	s_cmp_gt_i32 s22, 3
	s_cbranch_scc0 .LBB46_2346
; %bb.2343:
	global_load_dword v6, v[0:1], off
	s_mov_b64 s[0:1], 0
	s_branch .LBB46_2347
.LBB46_2344:
	s_mov_b64 s[0:1], -1
                                        ; implicit-def: $vgpr6
	s_branch .LBB46_2353
.LBB46_2345:
	s_mov_b64 s[0:1], -1
                                        ; implicit-def: $vgpr6
	s_branch .LBB46_2350
.LBB46_2346:
	s_mov_b64 s[0:1], -1
                                        ; implicit-def: $vgpr6
.LBB46_2347:
	s_andn2_b64 vcc, exec, s[0:1]
	s_cbranch_vccnz .LBB46_2349
; %bb.2348:
	global_load_dword v6, v[0:1], off
.LBB46_2349:
	s_mov_b64 s[0:1], 0
.LBB46_2350:
	s_andn2_b64 vcc, exec, s[0:1]
	s_cbranch_vccnz .LBB46_2352
; %bb.2351:
	global_load_sshort v6, v[0:1], off
.LBB46_2352:
	s_mov_b64 s[0:1], 0
.LBB46_2353:
	s_andn2_b64 vcc, exec, s[0:1]
	s_cbranch_vccnz .LBB46_2359
; %bb.2354:
	s_cmp_gt_i32 s22, 0
	s_cbranch_scc0 .LBB46_2356
; %bb.2355:
	global_load_sbyte v6, v[0:1], off
	s_mov_b64 s[0:1], 0
	s_branch .LBB46_2357
.LBB46_2356:
	s_mov_b64 s[0:1], -1
                                        ; implicit-def: $vgpr6
.LBB46_2357:
	s_andn2_b64 vcc, exec, s[0:1]
	s_cbranch_vccnz .LBB46_2359
; %bb.2358:
	global_load_ubyte v6, v[0:1], off
.LBB46_2359:
	s_mov_b64 s[24:25], -1
.LBB46_2360:
	s_andn2_b64 vcc, exec, s[24:25]
	s_cbranch_vccnz .LBB46_2634
; %bb.2361:
	s_cmp_lt_i32 s15, 1
	s_mov_b64 s[0:1], 0
	s_cbranch_scc1 .LBB46_2365
; %bb.2362:
	s_cmp_gt_i32 s15, 1
	s_cbranch_scc0 .LBB46_2366
; %bb.2363:
	s_cmp_eq_u32 s15, 2
	s_cbranch_scc0 .LBB46_2367
; %bb.2364:
	s_waitcnt vmcnt(0)
	v_cmp_le_i32_e64 s[22:23], v5, v6
	s_mov_b64 s[24:25], 0
	s_branch .LBB46_2368
.LBB46_2365:
	s_mov_b64 s[26:27], -1
                                        ; implicit-def: $sgpr22_sgpr23
	s_mov_b64 s[24:25], 0
	s_branch .LBB46_2372
.LBB46_2366:
	s_mov_b64 s[26:27], -1
	s_mov_b64 s[24:25], 0
                                        ; implicit-def: $sgpr22_sgpr23
	s_branch .LBB46_2369
.LBB46_2367:
	s_mov_b64 s[24:25], -1
                                        ; implicit-def: $sgpr22_sgpr23
.LBB46_2368:
	s_mov_b64 s[26:27], 0
.LBB46_2369:
	s_and_b64 vcc, exec, s[26:27]
	s_cbranch_vccz .LBB46_2371
; %bb.2370:
	s_waitcnt vmcnt(0)
	v_cmp_gt_i32_e32 vcc, v5, v6
	s_andn2_b64 s[22:23], s[22:23], exec
	s_and_b64 s[26:27], vcc, exec
	s_or_b64 s[22:23], s[22:23], s[26:27]
.LBB46_2371:
	s_mov_b64 s[26:27], 0
.LBB46_2372:
	s_and_b64 vcc, exec, s[26:27]
	s_cbranch_vccz .LBB46_2383
; %bb.2373:
	s_cmp_lg_u32 s15, 0
	s_mov_b64 s[0:1], -1
	s_cselect_b64 s[24:25], -1, 0
	s_andn2_b64 vcc, exec, s[24:25]
	s_cbranch_vccz .LBB46_2384
.LBB46_2374:
	s_andn2_b64 vcc, exec, s[0:1]
	s_cbranch_vccnz .LBB46_2376
.LBB46_2375:
	s_waitcnt vmcnt(0)
	v_cmp_ge_i32_e32 vcc, v5, v6
	s_andn2_b64 s[0:1], s[22:23], exec
	s_and_b64 s[22:23], vcc, exec
	s_or_b64 s[22:23], s[0:1], s[22:23]
.LBB46_2376:
	v_add_u32_e32 v0, s13, v3
	v_ashrrev_i32_e32 v1, 31, v0
	v_mov_b32_e32 v3, s11
	v_add_co_u32_e32 v0, vcc, s10, v0
	s_cmp_lt_i32 s28, 11
	v_addc_co_u32_e32 v1, vcc, v3, v1, vcc
	s_cbranch_scc1 .LBB46_2385
; %bb.2377:
	s_and_b32 s13, 0xffff, s28
	s_cmp_gt_i32 s13, 25
	s_mov_b64 s[10:11], 0
	s_cbranch_scc0 .LBB46_2386
; %bb.2378:
	s_cmp_gt_i32 s13, 28
	s_cbranch_scc0 .LBB46_2387
; %bb.2379:
	s_cmp_gt_i32 s13, 43
	;; [unrolled: 3-line block ×3, first 2 shown]
	s_cbranch_scc0 .LBB46_2390
; %bb.2381:
	s_cmp_eq_u32 s13, 46
	s_mov_b64 s[26:27], 0
	s_cbranch_scc0 .LBB46_2391
; %bb.2382:
	global_load_dword v3, v[0:1], off
	s_mov_b64 s[0:1], 0
	s_mov_b64 s[24:25], -1
	s_waitcnt vmcnt(0)
	v_lshlrev_b32_e32 v3, 16, v3
	v_cvt_i32_f32_e32 v3, v3
	s_branch .LBB46_2392
.LBB46_2383:
	s_andn2_b64 vcc, exec, s[24:25]
	s_cbranch_vccnz .LBB46_2374
.LBB46_2384:
	s_waitcnt vmcnt(0)
	v_cmp_lt_i32_e32 vcc, v5, v6
	s_andn2_b64 s[22:23], s[22:23], exec
	s_and_b64 s[24:25], vcc, exec
	s_or_b64 s[22:23], s[22:23], s[24:25]
	s_cbranch_execz .LBB46_2375
	s_branch .LBB46_2376
.LBB46_2385:
	s_mov_b64 s[0:1], -1
	s_mov_b64 s[24:25], 0
                                        ; implicit-def: $vgpr3
	s_branch .LBB46_2454
.LBB46_2386:
	s_mov_b64 s[26:27], -1
	s_mov_b64 s[24:25], 0
	s_mov_b64 s[0:1], 0
                                        ; implicit-def: $vgpr3
	s_branch .LBB46_2419
.LBB46_2387:
	s_mov_b64 s[26:27], -1
	s_mov_b64 s[24:25], 0
	s_mov_b64 s[0:1], 0
                                        ; implicit-def: $vgpr3
	s_branch .LBB46_2402
.LBB46_2388:
	s_mov_b64 s[26:27], -1
	s_mov_b64 s[24:25], 0
	s_mov_b64 s[0:1], 0
                                        ; implicit-def: $vgpr3
	s_branch .LBB46_2397
.LBB46_2389:
	s_trap 2
	s_or_b64 s[18:19], s[18:19], exec
	s_cbranch_execz .LBB46_2309
	s_branch .LBB46_2310
.LBB46_2390:
	s_mov_b64 s[26:27], -1
	s_mov_b64 s[24:25], 0
	s_mov_b64 s[0:1], 0
                                        ; implicit-def: $vgpr3
	s_branch .LBB46_2392
.LBB46_2391:
	s_mov_b64 s[0:1], -1
                                        ; implicit-def: $vgpr3
	s_mov_b64 s[24:25], 0
.LBB46_2392:
	s_and_b64 vcc, exec, s[26:27]
	s_cbranch_vccz .LBB46_2396
; %bb.2393:
	s_cmp_eq_u32 s13, 44
	s_cbranch_scc0 .LBB46_2395
; %bb.2394:
	global_load_ubyte v3, v[0:1], off
	s_mov_b64 s[0:1], 0
	s_mov_b64 s[24:25], -1
	s_waitcnt vmcnt(0)
	v_lshlrev_b32_e32 v5, 23, v3
	v_cvt_i32_f32_e32 v5, v5
	v_cmp_ne_u32_e32 vcc, 0, v3
	v_cndmask_b32_e32 v3, 0, v5, vcc
	s_branch .LBB46_2396
.LBB46_2395:
	s_mov_b64 s[0:1], -1
                                        ; implicit-def: $vgpr3
.LBB46_2396:
	s_mov_b64 s[26:27], 0
.LBB46_2397:
	s_and_b64 vcc, exec, s[26:27]
	s_cbranch_vccz .LBB46_2401
; %bb.2398:
	s_cmp_eq_u32 s13, 29
	s_cbranch_scc0 .LBB46_2400
; %bb.2399:
	global_load_dword v3, v[0:1], off
	s_mov_b64 s[0:1], 0
	s_mov_b64 s[24:25], -1
	s_branch .LBB46_2401
.LBB46_2400:
	s_mov_b64 s[0:1], -1
                                        ; implicit-def: $vgpr3
.LBB46_2401:
	s_mov_b64 s[26:27], 0
.LBB46_2402:
	s_and_b64 vcc, exec, s[26:27]
	s_cbranch_vccz .LBB46_2418
; %bb.2403:
	s_cmp_lt_i32 s13, 27
	s_cbranch_scc1 .LBB46_2406
; %bb.2404:
	s_cmp_gt_i32 s13, 27
	s_cbranch_scc0 .LBB46_2407
; %bb.2405:
	global_load_dword v3, v[0:1], off
	s_mov_b64 s[24:25], 0
	s_branch .LBB46_2408
.LBB46_2406:
	s_mov_b64 s[24:25], -1
                                        ; implicit-def: $vgpr3
	s_branch .LBB46_2411
.LBB46_2407:
	s_mov_b64 s[24:25], -1
                                        ; implicit-def: $vgpr3
.LBB46_2408:
	s_andn2_b64 vcc, exec, s[24:25]
	s_cbranch_vccnz .LBB46_2410
; %bb.2409:
	global_load_ushort v3, v[0:1], off
.LBB46_2410:
	s_mov_b64 s[24:25], 0
.LBB46_2411:
	s_andn2_b64 vcc, exec, s[24:25]
	s_cbranch_vccnz .LBB46_2417
; %bb.2412:
	global_load_ubyte v5, v[0:1], off
	s_movk_i32 s24, 0x7f
	s_mov_b64 s[26:27], 0
	s_waitcnt vmcnt(0)
	v_cmp_lt_i16_e32 vcc, s24, v5
	s_and_saveexec_b64 s[24:25], vcc
	s_xor_b64 s[24:25], exec, s[24:25]
	s_cbranch_execz .LBB46_2429
; %bb.2413:
	s_movk_i32 s26, 0x80
	v_cmp_ne_u16_e32 vcc, s26, v5
	s_and_b64 s[26:27], vcc, exec
	s_andn2_saveexec_b64 s[24:25], s[24:25]
	s_cbranch_execnz .LBB46_2430
.LBB46_2414:
	s_or_b64 exec, exec, s[24:25]
	v_mov_b32_e32 v3, 0
	s_and_saveexec_b64 s[24:25], s[26:27]
	s_cbranch_execz .LBB46_2416
.LBB46_2415:
	v_lshlrev_b32_e32 v3, 24, v5
	v_and_b32_e32 v5, 0xffff, v5
	v_and_b32_e32 v6, 7, v5
	v_ffbh_u32_e32 v8, v6
	v_min_u32_e32 v8, 32, v8
	v_subrev_u32_e32 v9, 28, v8
	v_bfe_u32 v7, v5, 3, 4
	v_lshlrev_b32_e32 v5, v9, v5
	v_sub_u32_e32 v8, 29, v8
	v_and_b32_e32 v5, 7, v5
	v_cmp_eq_u32_e32 vcc, 0, v7
	v_cndmask_b32_e32 v7, v7, v8, vcc
	v_cndmask_b32_e32 v5, v6, v5, vcc
	v_mov_b32_e32 v6, 0x3b800000
	v_lshlrev_b32_e32 v5, 20, v5
	v_and_b32_e32 v3, 0x80000000, v3
	v_lshl_add_u32 v6, v7, 23, v6
	v_or3_b32 v3, v3, v6, v5
	v_cvt_i32_f32_e32 v3, v3
.LBB46_2416:
	s_or_b64 exec, exec, s[24:25]
.LBB46_2417:
	s_mov_b64 s[24:25], -1
.LBB46_2418:
	s_mov_b64 s[26:27], 0
.LBB46_2419:
	s_and_b64 vcc, exec, s[26:27]
	s_cbranch_vccz .LBB46_2450
; %bb.2420:
	s_cmp_gt_i32 s13, 22
	s_cbranch_scc0 .LBB46_2428
; %bb.2421:
	s_cmp_lt_i32 s13, 24
	s_cbranch_scc1 .LBB46_2431
; %bb.2422:
	s_cmp_gt_i32 s13, 24
	s_cbranch_scc0 .LBB46_2432
; %bb.2423:
	global_load_ubyte v5, v[0:1], off
	s_movk_i32 s10, 0x7f
	s_mov_b64 s[24:25], 0
	s_waitcnt vmcnt(0)
	v_cmp_lt_i16_e32 vcc, s10, v5
	s_and_saveexec_b64 s[10:11], vcc
	s_xor_b64 s[10:11], exec, s[10:11]
	s_cbranch_execz .LBB46_2444
; %bb.2424:
	s_movk_i32 s24, 0x80
	v_cmp_ne_u16_e32 vcc, s24, v5
	s_and_b64 s[24:25], vcc, exec
	s_andn2_saveexec_b64 s[10:11], s[10:11]
	s_cbranch_execnz .LBB46_2445
.LBB46_2425:
	s_or_b64 exec, exec, s[10:11]
	v_mov_b32_e32 v3, 0
	s_and_saveexec_b64 s[10:11], s[24:25]
	s_cbranch_execz .LBB46_2427
.LBB46_2426:
	v_lshlrev_b32_e32 v3, 24, v5
	v_and_b32_e32 v5, 0xffff, v5
	v_and_b32_e32 v6, 3, v5
	v_ffbh_u32_e32 v8, v6
	v_min_u32_e32 v8, 32, v8
	v_subrev_u32_e32 v9, 29, v8
	v_bfe_u32 v7, v5, 2, 5
	v_lshlrev_b32_e32 v5, v9, v5
	v_sub_u32_e32 v8, 30, v8
	v_and_b32_e32 v5, 3, v5
	v_cmp_eq_u32_e32 vcc, 0, v7
	v_cndmask_b32_e32 v7, v7, v8, vcc
	v_cndmask_b32_e32 v5, v6, v5, vcc
	v_mov_b32_e32 v6, 0x37800000
	v_lshlrev_b32_e32 v5, 21, v5
	v_and_b32_e32 v3, 0x80000000, v3
	v_lshl_add_u32 v6, v7, 23, v6
	v_or3_b32 v3, v3, v6, v5
	v_cvt_i32_f32_e32 v3, v3
.LBB46_2427:
	s_or_b64 exec, exec, s[10:11]
	s_mov_b64 s[10:11], 0
	s_branch .LBB46_2433
.LBB46_2428:
	s_mov_b64 s[10:11], -1
                                        ; implicit-def: $vgpr3
	s_branch .LBB46_2439
.LBB46_2429:
	s_andn2_saveexec_b64 s[24:25], s[24:25]
	s_cbranch_execz .LBB46_2414
.LBB46_2430:
	v_cmp_ne_u16_e32 vcc, 0, v5
	s_andn2_b64 s[26:27], s[26:27], exec
	s_and_b64 s[30:31], vcc, exec
	s_or_b64 s[26:27], s[26:27], s[30:31]
	s_or_b64 exec, exec, s[24:25]
	v_mov_b32_e32 v3, 0
	s_and_saveexec_b64 s[24:25], s[26:27]
	s_cbranch_execnz .LBB46_2415
	s_branch .LBB46_2416
.LBB46_2431:
	s_mov_b64 s[10:11], -1
                                        ; implicit-def: $vgpr3
	s_branch .LBB46_2436
.LBB46_2432:
	s_mov_b64 s[10:11], -1
                                        ; implicit-def: $vgpr3
.LBB46_2433:
	s_and_b64 vcc, exec, s[10:11]
	s_cbranch_vccz .LBB46_2435
; %bb.2434:
	global_load_ubyte v3, v[0:1], off
	s_mov_b32 s10, 0x7f800000
	s_waitcnt vmcnt(0)
	v_lshlrev_b32_e32 v3, 24, v3
	v_and_b32_e32 v5, 0x7f000000, v3
	v_ffbh_u32_e32 v6, v5
	v_min_u32_e32 v6, 32, v6
	v_sub_u32_e64 v6, v6, 4 clamp
	v_lshlrev_b32_e32 v8, v6, v5
	v_lshlrev_b32_e32 v6, 23, v6
	v_lshrrev_b32_e32 v8, 4, v8
	v_add_u32_e32 v7, 0x1000000, v5
	v_sub_u32_e32 v6, v8, v6
	v_ashrrev_i32_e32 v7, 8, v7
	v_add_u32_e32 v6, 0x3c000000, v6
	v_and_or_b32 v6, v7, s10, v6
	v_cmp_ne_u32_e32 vcc, 0, v5
	v_cndmask_b32_e32 v5, 0, v6, vcc
	s_brev_b32 s10, 1
	v_and_or_b32 v3, v3, s10, v5
	v_cvt_i32_f32_e32 v3, v3
.LBB46_2435:
	s_mov_b64 s[10:11], 0
.LBB46_2436:
	s_andn2_b64 vcc, exec, s[10:11]
	s_cbranch_vccnz .LBB46_2438
; %bb.2437:
	global_load_ubyte v3, v[0:1], off
	s_movk_i32 s10, 0x7f00
	s_brev_b32 s11, 16
	s_waitcnt vmcnt(0)
	v_lshlrev_b16_e32 v5, 8, v3
	v_lshlrev_b32_e32 v3, 25, v3
	v_lshrrev_b32_e32 v6, 4, v3
	v_and_or_b32 v7, v5, s10, 0.5
	v_or_b32_e32 v6, 0x70000000, v6
	v_add_f32_e32 v7, -0.5, v7
	v_mul_f32_e32 v6, 0x7800000, v6
	v_cmp_gt_u32_e32 vcc, s11, v3
	v_bfe_i32 v5, v5, 0, 16
	v_cndmask_b32_e32 v3, v6, v7, vcc
	s_brev_b32 s10, 1
	v_and_or_b32 v3, v5, s10, v3
	v_cvt_i32_f32_e32 v3, v3
.LBB46_2438:
	s_mov_b64 s[10:11], 0
	s_mov_b64 s[24:25], -1
.LBB46_2439:
	s_andn2_b64 vcc, exec, s[10:11]
	s_mov_b64 s[10:11], 0
	s_cbranch_vccnz .LBB46_2450
; %bb.2440:
	s_cmp_gt_i32 s13, 14
	s_cbranch_scc0 .LBB46_2443
; %bb.2441:
	s_cmp_eq_u32 s13, 15
	s_cbranch_scc0 .LBB46_2446
; %bb.2442:
	global_load_ushort v3, v[0:1], off
	s_mov_b64 s[0:1], 0
	s_mov_b64 s[24:25], -1
	s_waitcnt vmcnt(0)
	v_lshlrev_b32_e32 v3, 16, v3
	v_cvt_i32_f32_e32 v3, v3
	s_branch .LBB46_2447
.LBB46_2443:
	s_mov_b64 s[26:27], -1
                                        ; implicit-def: $vgpr3
	s_branch .LBB46_2448
.LBB46_2444:
	s_andn2_saveexec_b64 s[10:11], s[10:11]
	s_cbranch_execz .LBB46_2425
.LBB46_2445:
	v_cmp_ne_u16_e32 vcc, 0, v5
	s_andn2_b64 s[24:25], s[24:25], exec
	s_and_b64 s[26:27], vcc, exec
	s_or_b64 s[24:25], s[24:25], s[26:27]
	s_or_b64 exec, exec, s[10:11]
	v_mov_b32_e32 v3, 0
	s_and_saveexec_b64 s[10:11], s[24:25]
	s_cbranch_execnz .LBB46_2426
	s_branch .LBB46_2427
.LBB46_2446:
	s_mov_b64 s[0:1], -1
                                        ; implicit-def: $vgpr3
.LBB46_2447:
	s_mov_b64 s[26:27], 0
.LBB46_2448:
	s_and_b64 vcc, exec, s[26:27]
	s_cbranch_vccz .LBB46_2450
; %bb.2449:
	s_cmp_lg_u32 s13, 11
	s_mov_b64 s[10:11], -1
	s_cselect_b64 s[0:1], -1, 0
.LBB46_2450:
	s_and_b64 vcc, exec, s[0:1]
	s_cbranch_vccnz .LBB46_2515
; %bb.2451:
	s_andn2_b64 vcc, exec, s[10:11]
	s_cbranch_vccnz .LBB46_2453
.LBB46_2452:
	global_load_ubyte v3, v[0:1], off
	s_mov_b64 s[24:25], -1
	s_waitcnt vmcnt(0)
	v_cmp_ne_u16_e32 vcc, 0, v3
	v_cndmask_b32_e64 v3, 0, 1, vcc
.LBB46_2453:
	s_mov_b64 s[0:1], 0
.LBB46_2454:
	s_and_b64 vcc, exec, s[0:1]
	s_cbranch_vccz .LBB46_2503
; %bb.2455:
	s_and_b32 s10, 0xffff, s28
	s_cmp_lt_i32 s10, 5
	s_cbranch_scc1 .LBB46_2460
; %bb.2456:
	s_cmp_lt_i32 s10, 8
	s_cbranch_scc1 .LBB46_2461
; %bb.2457:
	;; [unrolled: 3-line block ×3, first 2 shown]
	s_cmp_gt_i32 s10, 9
	s_cbranch_scc0 .LBB46_2463
; %bb.2459:
	global_load_dwordx2 v[5:6], v[0:1], off
	s_mov_b64 s[0:1], 0
	s_waitcnt vmcnt(0)
	v_cvt_i32_f64_e32 v3, v[5:6]
	s_branch .LBB46_2464
.LBB46_2460:
	s_mov_b64 s[0:1], -1
                                        ; implicit-def: $vgpr3
	s_branch .LBB46_2482
.LBB46_2461:
	s_mov_b64 s[0:1], -1
                                        ; implicit-def: $vgpr3
	s_branch .LBB46_2470
.LBB46_2462:
	s_mov_b64 s[0:1], -1
                                        ; implicit-def: $vgpr3
	s_branch .LBB46_2467
.LBB46_2463:
	s_mov_b64 s[0:1], -1
                                        ; implicit-def: $vgpr3
.LBB46_2464:
	s_andn2_b64 vcc, exec, s[0:1]
	s_cbranch_vccnz .LBB46_2466
; %bb.2465:
	global_load_dword v3, v[0:1], off
	s_waitcnt vmcnt(0)
	v_cvt_i32_f32_e32 v3, v3
.LBB46_2466:
	s_mov_b64 s[0:1], 0
.LBB46_2467:
	s_andn2_b64 vcc, exec, s[0:1]
	s_cbranch_vccnz .LBB46_2469
; %bb.2468:
	global_load_dword v3, v[0:1], off
	s_waitcnt vmcnt(0)
	v_cvt_f32_f16_e32 v3, v3
	v_cvt_i32_f32_e32 v3, v3
.LBB46_2469:
	s_mov_b64 s[0:1], 0
.LBB46_2470:
	s_andn2_b64 vcc, exec, s[0:1]
	s_cbranch_vccnz .LBB46_2481
; %bb.2471:
	s_cmp_lt_i32 s10, 6
	s_cbranch_scc1 .LBB46_2474
; %bb.2472:
	s_cmp_gt_i32 s10, 6
	s_cbranch_scc0 .LBB46_2475
; %bb.2473:
	global_load_dwordx2 v[5:6], v[0:1], off
	s_mov_b64 s[0:1], 0
	s_waitcnt vmcnt(0)
	v_cvt_i32_f64_e32 v3, v[5:6]
	s_branch .LBB46_2476
.LBB46_2474:
	s_mov_b64 s[0:1], -1
                                        ; implicit-def: $vgpr3
	s_branch .LBB46_2479
.LBB46_2475:
	s_mov_b64 s[0:1], -1
                                        ; implicit-def: $vgpr3
.LBB46_2476:
	s_andn2_b64 vcc, exec, s[0:1]
	s_cbranch_vccnz .LBB46_2478
; %bb.2477:
	global_load_dword v3, v[0:1], off
	s_waitcnt vmcnt(0)
	v_cvt_i32_f32_e32 v3, v3
.LBB46_2478:
	s_mov_b64 s[0:1], 0
.LBB46_2479:
	s_andn2_b64 vcc, exec, s[0:1]
	s_cbranch_vccnz .LBB46_2481
; %bb.2480:
	global_load_ushort v3, v[0:1], off
	s_waitcnt vmcnt(0)
	v_cvt_f32_f16_e32 v3, v3
	v_cvt_i32_f32_e32 v3, v3
.LBB46_2481:
	s_mov_b64 s[0:1], 0
.LBB46_2482:
	s_andn2_b64 vcc, exec, s[0:1]
	s_cbranch_vccnz .LBB46_2502
; %bb.2483:
	s_cmp_lt_i32 s10, 2
	s_cbranch_scc1 .LBB46_2487
; %bb.2484:
	s_cmp_lt_i32 s10, 3
	s_cbranch_scc1 .LBB46_2488
; %bb.2485:
	s_cmp_gt_i32 s10, 3
	s_cbranch_scc0 .LBB46_2489
; %bb.2486:
	global_load_dword v3, v[0:1], off
	s_mov_b64 s[0:1], 0
	s_branch .LBB46_2490
.LBB46_2487:
	s_mov_b64 s[0:1], -1
                                        ; implicit-def: $vgpr3
	s_branch .LBB46_2496
.LBB46_2488:
	s_mov_b64 s[0:1], -1
                                        ; implicit-def: $vgpr3
	s_branch .LBB46_2493
.LBB46_2489:
	s_mov_b64 s[0:1], -1
                                        ; implicit-def: $vgpr3
.LBB46_2490:
	s_andn2_b64 vcc, exec, s[0:1]
	s_cbranch_vccnz .LBB46_2492
; %bb.2491:
	global_load_dword v3, v[0:1], off
.LBB46_2492:
	s_mov_b64 s[0:1], 0
.LBB46_2493:
	s_andn2_b64 vcc, exec, s[0:1]
	s_cbranch_vccnz .LBB46_2495
; %bb.2494:
	global_load_sshort v3, v[0:1], off
.LBB46_2495:
	s_mov_b64 s[0:1], 0
.LBB46_2496:
	s_andn2_b64 vcc, exec, s[0:1]
	s_cbranch_vccnz .LBB46_2502
; %bb.2497:
	s_cmp_gt_i32 s10, 0
	s_cbranch_scc0 .LBB46_2499
; %bb.2498:
	global_load_sbyte v3, v[0:1], off
	s_mov_b64 s[0:1], 0
	s_branch .LBB46_2500
.LBB46_2499:
	s_mov_b64 s[0:1], -1
                                        ; implicit-def: $vgpr3
.LBB46_2500:
	s_andn2_b64 vcc, exec, s[0:1]
	s_cbranch_vccnz .LBB46_2502
; %bb.2501:
	global_load_ubyte v3, v[0:1], off
.LBB46_2502:
	s_mov_b64 s[24:25], -1
.LBB46_2503:
	s_andn2_b64 vcc, exec, s[24:25]
	s_cbranch_vccnz .LBB46_2634
; %bb.2504:
	v_add_u32_e32 v0, s14, v4
	v_ashrrev_i32_e32 v1, 31, v0
	v_mov_b32_e32 v4, s3
	v_add_co_u32_e32 v0, vcc, s2, v0
	s_cmp_lt_i32 s29, 11
	v_addc_co_u32_e32 v1, vcc, v4, v1, vcc
	s_cbranch_scc1 .LBB46_2511
; %bb.2505:
	s_and_b32 s13, 0xffff, s29
	s_cmp_gt_i32 s13, 25
	s_mov_b64 s[2:3], 0
	s_cbranch_scc0 .LBB46_2512
; %bb.2506:
	s_cmp_gt_i32 s13, 28
	s_cbranch_scc0 .LBB46_2513
; %bb.2507:
	s_cmp_gt_i32 s13, 43
	;; [unrolled: 3-line block ×3, first 2 shown]
	s_cbranch_scc0 .LBB46_2516
; %bb.2509:
	s_cmp_eq_u32 s13, 46
	s_mov_b64 s[24:25], 0
	s_cbranch_scc0 .LBB46_2517
; %bb.2510:
	global_load_dword v4, v[0:1], off
	s_mov_b64 s[0:1], 0
	s_mov_b64 s[10:11], -1
	s_waitcnt vmcnt(0)
	v_lshlrev_b32_e32 v4, 16, v4
	v_cvt_i32_f32_e32 v4, v4
	s_branch .LBB46_2518
.LBB46_2511:
	s_mov_b64 s[0:1], -1
	s_mov_b64 s[10:11], 0
                                        ; implicit-def: $vgpr4
	s_branch .LBB46_2580
.LBB46_2512:
	s_mov_b64 s[24:25], -1
	s_mov_b64 s[10:11], 0
	s_mov_b64 s[0:1], 0
                                        ; implicit-def: $vgpr4
	s_branch .LBB46_2545
.LBB46_2513:
	s_mov_b64 s[24:25], -1
	s_mov_b64 s[10:11], 0
	s_mov_b64 s[0:1], 0
                                        ; implicit-def: $vgpr4
	s_branch .LBB46_2528
.LBB46_2514:
	s_mov_b64 s[24:25], -1
	s_mov_b64 s[10:11], 0
	s_mov_b64 s[0:1], 0
                                        ; implicit-def: $vgpr4
	s_branch .LBB46_2523
.LBB46_2515:
	s_trap 2
	s_or_b64 s[18:19], s[18:19], exec
	s_cbranch_execz .LBB46_2452
	s_branch .LBB46_2453
.LBB46_2516:
	s_mov_b64 s[24:25], -1
	s_mov_b64 s[10:11], 0
	s_mov_b64 s[0:1], 0
                                        ; implicit-def: $vgpr4
	s_branch .LBB46_2518
.LBB46_2517:
	s_mov_b64 s[0:1], -1
                                        ; implicit-def: $vgpr4
	s_mov_b64 s[10:11], 0
.LBB46_2518:
	s_and_b64 vcc, exec, s[24:25]
	s_cbranch_vccz .LBB46_2522
; %bb.2519:
	s_cmp_eq_u32 s13, 44
	s_cbranch_scc0 .LBB46_2521
; %bb.2520:
	global_load_ubyte v4, v[0:1], off
	s_mov_b64 s[0:1], 0
	s_mov_b64 s[10:11], -1
	s_waitcnt vmcnt(0)
	v_lshlrev_b32_e32 v5, 23, v4
	v_cvt_i32_f32_e32 v5, v5
	v_cmp_ne_u32_e32 vcc, 0, v4
	v_cndmask_b32_e32 v4, 0, v5, vcc
	s_branch .LBB46_2522
.LBB46_2521:
	s_mov_b64 s[0:1], -1
                                        ; implicit-def: $vgpr4
.LBB46_2522:
	s_mov_b64 s[24:25], 0
.LBB46_2523:
	s_and_b64 vcc, exec, s[24:25]
	s_cbranch_vccz .LBB46_2527
; %bb.2524:
	s_cmp_eq_u32 s13, 29
	s_cbranch_scc0 .LBB46_2526
; %bb.2525:
	global_load_dword v4, v[0:1], off
	s_mov_b64 s[0:1], 0
	s_mov_b64 s[10:11], -1
	s_branch .LBB46_2527
.LBB46_2526:
	s_mov_b64 s[0:1], -1
                                        ; implicit-def: $vgpr4
.LBB46_2527:
	s_mov_b64 s[24:25], 0
.LBB46_2528:
	s_and_b64 vcc, exec, s[24:25]
	s_cbranch_vccz .LBB46_2544
; %bb.2529:
	s_cmp_lt_i32 s13, 27
	s_cbranch_scc1 .LBB46_2532
; %bb.2530:
	s_cmp_gt_i32 s13, 27
	s_cbranch_scc0 .LBB46_2533
; %bb.2531:
	global_load_dword v4, v[0:1], off
	s_mov_b64 s[10:11], 0
	s_branch .LBB46_2534
.LBB46_2532:
	s_mov_b64 s[10:11], -1
                                        ; implicit-def: $vgpr4
	s_branch .LBB46_2537
.LBB46_2533:
	s_mov_b64 s[10:11], -1
                                        ; implicit-def: $vgpr4
.LBB46_2534:
	s_andn2_b64 vcc, exec, s[10:11]
	s_cbranch_vccnz .LBB46_2536
; %bb.2535:
	global_load_ushort v4, v[0:1], off
.LBB46_2536:
	s_mov_b64 s[10:11], 0
.LBB46_2537:
	s_andn2_b64 vcc, exec, s[10:11]
	s_cbranch_vccnz .LBB46_2543
; %bb.2538:
	global_load_ubyte v5, v[0:1], off
	s_movk_i32 s10, 0x7f
	s_mov_b64 s[24:25], 0
	s_waitcnt vmcnt(0)
	v_cmp_lt_i16_e32 vcc, s10, v5
	s_and_saveexec_b64 s[10:11], vcc
	s_xor_b64 s[10:11], exec, s[10:11]
	s_cbranch_execz .LBB46_2555
; %bb.2539:
	s_movk_i32 s14, 0x80
	v_cmp_ne_u16_e32 vcc, s14, v5
	s_and_b64 s[24:25], vcc, exec
	s_andn2_saveexec_b64 s[10:11], s[10:11]
	s_cbranch_execnz .LBB46_2556
.LBB46_2540:
	s_or_b64 exec, exec, s[10:11]
	v_mov_b32_e32 v4, 0
	s_and_saveexec_b64 s[10:11], s[24:25]
	s_cbranch_execz .LBB46_2542
.LBB46_2541:
	v_lshlrev_b32_e32 v4, 24, v5
	v_and_b32_e32 v5, 0xffff, v5
	v_and_b32_e32 v6, 7, v5
	v_ffbh_u32_e32 v8, v6
	v_min_u32_e32 v8, 32, v8
	v_subrev_u32_e32 v9, 28, v8
	v_bfe_u32 v7, v5, 3, 4
	v_lshlrev_b32_e32 v5, v9, v5
	v_sub_u32_e32 v8, 29, v8
	v_and_b32_e32 v5, 7, v5
	v_cmp_eq_u32_e32 vcc, 0, v7
	v_cndmask_b32_e32 v7, v7, v8, vcc
	v_cndmask_b32_e32 v5, v6, v5, vcc
	v_mov_b32_e32 v6, 0x3b800000
	v_lshlrev_b32_e32 v5, 20, v5
	v_and_b32_e32 v4, 0x80000000, v4
	v_lshl_add_u32 v6, v7, 23, v6
	v_or3_b32 v4, v4, v6, v5
	v_cvt_i32_f32_e32 v4, v4
.LBB46_2542:
	s_or_b64 exec, exec, s[10:11]
.LBB46_2543:
	s_mov_b64 s[10:11], -1
.LBB46_2544:
	s_mov_b64 s[24:25], 0
.LBB46_2545:
	s_and_b64 vcc, exec, s[24:25]
	s_cbranch_vccz .LBB46_2576
; %bb.2546:
	s_cmp_gt_i32 s13, 22
	s_cbranch_scc0 .LBB46_2554
; %bb.2547:
	s_cmp_lt_i32 s13, 24
	s_cbranch_scc1 .LBB46_2557
; %bb.2548:
	s_cmp_gt_i32 s13, 24
	s_cbranch_scc0 .LBB46_2558
; %bb.2549:
	global_load_ubyte v5, v[0:1], off
	s_movk_i32 s2, 0x7f
	s_mov_b64 s[10:11], 0
	s_waitcnt vmcnt(0)
	v_cmp_lt_i16_e32 vcc, s2, v5
	s_and_saveexec_b64 s[2:3], vcc
	s_xor_b64 s[2:3], exec, s[2:3]
	s_cbranch_execz .LBB46_2570
; %bb.2550:
	s_movk_i32 s10, 0x80
	v_cmp_ne_u16_e32 vcc, s10, v5
	s_and_b64 s[10:11], vcc, exec
	s_andn2_saveexec_b64 s[2:3], s[2:3]
	s_cbranch_execnz .LBB46_2571
.LBB46_2551:
	s_or_b64 exec, exec, s[2:3]
	v_mov_b32_e32 v4, 0
	s_and_saveexec_b64 s[2:3], s[10:11]
	s_cbranch_execz .LBB46_2553
.LBB46_2552:
	v_lshlrev_b32_e32 v4, 24, v5
	v_and_b32_e32 v5, 0xffff, v5
	v_and_b32_e32 v6, 3, v5
	v_ffbh_u32_e32 v8, v6
	v_min_u32_e32 v8, 32, v8
	v_subrev_u32_e32 v9, 29, v8
	v_bfe_u32 v7, v5, 2, 5
	v_lshlrev_b32_e32 v5, v9, v5
	v_sub_u32_e32 v8, 30, v8
	v_and_b32_e32 v5, 3, v5
	v_cmp_eq_u32_e32 vcc, 0, v7
	v_cndmask_b32_e32 v7, v7, v8, vcc
	v_cndmask_b32_e32 v5, v6, v5, vcc
	v_mov_b32_e32 v6, 0x37800000
	v_lshlrev_b32_e32 v5, 21, v5
	v_and_b32_e32 v4, 0x80000000, v4
	v_lshl_add_u32 v6, v7, 23, v6
	v_or3_b32 v4, v4, v6, v5
	v_cvt_i32_f32_e32 v4, v4
.LBB46_2553:
	s_or_b64 exec, exec, s[2:3]
	s_mov_b64 s[2:3], 0
	s_branch .LBB46_2559
.LBB46_2554:
	s_mov_b64 s[2:3], -1
                                        ; implicit-def: $vgpr4
	s_branch .LBB46_2565
.LBB46_2555:
	s_andn2_saveexec_b64 s[10:11], s[10:11]
	s_cbranch_execz .LBB46_2540
.LBB46_2556:
	v_cmp_ne_u16_e32 vcc, 0, v5
	s_andn2_b64 s[24:25], s[24:25], exec
	s_and_b64 s[26:27], vcc, exec
	s_or_b64 s[24:25], s[24:25], s[26:27]
	s_or_b64 exec, exec, s[10:11]
	v_mov_b32_e32 v4, 0
	s_and_saveexec_b64 s[10:11], s[24:25]
	s_cbranch_execnz .LBB46_2541
	s_branch .LBB46_2542
.LBB46_2557:
	s_mov_b64 s[2:3], -1
                                        ; implicit-def: $vgpr4
	s_branch .LBB46_2562
.LBB46_2558:
	s_mov_b64 s[2:3], -1
                                        ; implicit-def: $vgpr4
.LBB46_2559:
	s_and_b64 vcc, exec, s[2:3]
	s_cbranch_vccz .LBB46_2561
; %bb.2560:
	global_load_ubyte v4, v[0:1], off
	s_mov_b32 s2, 0x7f800000
	s_waitcnt vmcnt(0)
	v_lshlrev_b32_e32 v4, 24, v4
	v_and_b32_e32 v5, 0x7f000000, v4
	v_ffbh_u32_e32 v6, v5
	v_min_u32_e32 v6, 32, v6
	v_sub_u32_e64 v6, v6, 4 clamp
	v_lshlrev_b32_e32 v8, v6, v5
	v_lshlrev_b32_e32 v6, 23, v6
	v_lshrrev_b32_e32 v8, 4, v8
	v_add_u32_e32 v7, 0x1000000, v5
	v_sub_u32_e32 v6, v8, v6
	v_ashrrev_i32_e32 v7, 8, v7
	v_add_u32_e32 v6, 0x3c000000, v6
	v_and_or_b32 v6, v7, s2, v6
	v_cmp_ne_u32_e32 vcc, 0, v5
	v_cndmask_b32_e32 v5, 0, v6, vcc
	s_brev_b32 s2, 1
	v_and_or_b32 v4, v4, s2, v5
	v_cvt_i32_f32_e32 v4, v4
.LBB46_2561:
	s_mov_b64 s[2:3], 0
.LBB46_2562:
	s_andn2_b64 vcc, exec, s[2:3]
	s_cbranch_vccnz .LBB46_2564
; %bb.2563:
	global_load_ubyte v4, v[0:1], off
	s_movk_i32 s2, 0x7f00
	s_brev_b32 s3, 16
	s_waitcnt vmcnt(0)
	v_lshlrev_b16_e32 v5, 8, v4
	v_lshlrev_b32_e32 v4, 25, v4
	v_lshrrev_b32_e32 v6, 4, v4
	v_and_or_b32 v7, v5, s2, 0.5
	v_or_b32_e32 v6, 0x70000000, v6
	v_add_f32_e32 v7, -0.5, v7
	v_mul_f32_e32 v6, 0x7800000, v6
	v_cmp_gt_u32_e32 vcc, s3, v4
	v_bfe_i32 v5, v5, 0, 16
	v_cndmask_b32_e32 v4, v6, v7, vcc
	s_brev_b32 s2, 1
	v_and_or_b32 v4, v5, s2, v4
	v_cvt_i32_f32_e32 v4, v4
.LBB46_2564:
	s_mov_b64 s[2:3], 0
	s_mov_b64 s[10:11], -1
.LBB46_2565:
	s_andn2_b64 vcc, exec, s[2:3]
	s_mov_b64 s[2:3], 0
	s_cbranch_vccnz .LBB46_2576
; %bb.2566:
	s_cmp_gt_i32 s13, 14
	s_cbranch_scc0 .LBB46_2569
; %bb.2567:
	s_cmp_eq_u32 s13, 15
	s_cbranch_scc0 .LBB46_2572
; %bb.2568:
	global_load_ushort v4, v[0:1], off
	s_mov_b64 s[0:1], 0
	s_mov_b64 s[10:11], -1
	s_waitcnt vmcnt(0)
	v_lshlrev_b32_e32 v4, 16, v4
	v_cvt_i32_f32_e32 v4, v4
	s_branch .LBB46_2573
.LBB46_2569:
	s_mov_b64 s[24:25], -1
                                        ; implicit-def: $vgpr4
	s_branch .LBB46_2574
.LBB46_2570:
	s_andn2_saveexec_b64 s[2:3], s[2:3]
	s_cbranch_execz .LBB46_2551
.LBB46_2571:
	v_cmp_ne_u16_e32 vcc, 0, v5
	s_andn2_b64 s[10:11], s[10:11], exec
	s_and_b64 s[24:25], vcc, exec
	s_or_b64 s[10:11], s[10:11], s[24:25]
	s_or_b64 exec, exec, s[2:3]
	v_mov_b32_e32 v4, 0
	s_and_saveexec_b64 s[2:3], s[10:11]
	s_cbranch_execnz .LBB46_2552
	s_branch .LBB46_2553
.LBB46_2572:
	s_mov_b64 s[0:1], -1
                                        ; implicit-def: $vgpr4
.LBB46_2573:
	s_mov_b64 s[24:25], 0
.LBB46_2574:
	s_and_b64 vcc, exec, s[24:25]
	s_cbranch_vccz .LBB46_2576
; %bb.2575:
	s_cmp_lg_u32 s13, 11
	s_mov_b64 s[2:3], -1
	s_cselect_b64 s[0:1], -1, 0
.LBB46_2576:
	s_and_b64 vcc, exec, s[0:1]
	s_cbranch_vccnz .LBB46_3128
; %bb.2577:
	s_andn2_b64 vcc, exec, s[2:3]
	s_cbranch_vccnz .LBB46_2579
.LBB46_2578:
	global_load_ubyte v4, v[0:1], off
	s_mov_b64 s[10:11], -1
	s_waitcnt vmcnt(0)
	v_cmp_ne_u16_e32 vcc, 0, v4
	v_cndmask_b32_e64 v4, 0, 1, vcc
.LBB46_2579:
	s_mov_b64 s[0:1], 0
.LBB46_2580:
	s_and_b64 vcc, exec, s[0:1]
	s_cbranch_vccz .LBB46_2629
; %bb.2581:
	s_and_b32 s2, 0xffff, s29
	s_cmp_lt_i32 s2, 5
	s_cbranch_scc1 .LBB46_2586
; %bb.2582:
	s_cmp_lt_i32 s2, 8
	s_cbranch_scc1 .LBB46_2587
; %bb.2583:
	;; [unrolled: 3-line block ×3, first 2 shown]
	s_cmp_gt_i32 s2, 9
	s_cbranch_scc0 .LBB46_2589
; %bb.2585:
	global_load_dwordx2 v[4:5], v[0:1], off
	s_mov_b64 s[0:1], 0
	s_waitcnt vmcnt(0)
	v_cvt_i32_f64_e32 v4, v[4:5]
	s_branch .LBB46_2590
.LBB46_2586:
	s_mov_b64 s[0:1], -1
                                        ; implicit-def: $vgpr4
	s_branch .LBB46_2608
.LBB46_2587:
	s_mov_b64 s[0:1], -1
                                        ; implicit-def: $vgpr4
	s_branch .LBB46_2596
.LBB46_2588:
	s_mov_b64 s[0:1], -1
                                        ; implicit-def: $vgpr4
	s_branch .LBB46_2593
.LBB46_2589:
	s_mov_b64 s[0:1], -1
                                        ; implicit-def: $vgpr4
.LBB46_2590:
	s_andn2_b64 vcc, exec, s[0:1]
	s_cbranch_vccnz .LBB46_2592
; %bb.2591:
	global_load_dword v4, v[0:1], off
	s_waitcnt vmcnt(0)
	v_cvt_i32_f32_e32 v4, v4
.LBB46_2592:
	s_mov_b64 s[0:1], 0
.LBB46_2593:
	s_andn2_b64 vcc, exec, s[0:1]
	s_cbranch_vccnz .LBB46_2595
; %bb.2594:
	global_load_dword v4, v[0:1], off
	s_waitcnt vmcnt(0)
	v_cvt_f32_f16_e32 v4, v4
	v_cvt_i32_f32_e32 v4, v4
.LBB46_2595:
	s_mov_b64 s[0:1], 0
.LBB46_2596:
	s_andn2_b64 vcc, exec, s[0:1]
	s_cbranch_vccnz .LBB46_2607
; %bb.2597:
	s_cmp_lt_i32 s2, 6
	s_cbranch_scc1 .LBB46_2600
; %bb.2598:
	s_cmp_gt_i32 s2, 6
	s_cbranch_scc0 .LBB46_2601
; %bb.2599:
	global_load_dwordx2 v[4:5], v[0:1], off
	s_mov_b64 s[0:1], 0
	s_waitcnt vmcnt(0)
	v_cvt_i32_f64_e32 v4, v[4:5]
	s_branch .LBB46_2602
.LBB46_2600:
	s_mov_b64 s[0:1], -1
                                        ; implicit-def: $vgpr4
	s_branch .LBB46_2605
.LBB46_2601:
	s_mov_b64 s[0:1], -1
                                        ; implicit-def: $vgpr4
.LBB46_2602:
	s_andn2_b64 vcc, exec, s[0:1]
	s_cbranch_vccnz .LBB46_2604
; %bb.2603:
	global_load_dword v4, v[0:1], off
	s_waitcnt vmcnt(0)
	v_cvt_i32_f32_e32 v4, v4
.LBB46_2604:
	s_mov_b64 s[0:1], 0
.LBB46_2605:
	s_andn2_b64 vcc, exec, s[0:1]
	s_cbranch_vccnz .LBB46_2607
; %bb.2606:
	global_load_ushort v4, v[0:1], off
	s_waitcnt vmcnt(0)
	v_cvt_f32_f16_e32 v4, v4
	v_cvt_i32_f32_e32 v4, v4
.LBB46_2607:
	s_mov_b64 s[0:1], 0
.LBB46_2608:
	s_andn2_b64 vcc, exec, s[0:1]
	s_cbranch_vccnz .LBB46_2628
; %bb.2609:
	s_cmp_lt_i32 s2, 2
	s_cbranch_scc1 .LBB46_2613
; %bb.2610:
	s_cmp_lt_i32 s2, 3
	s_cbranch_scc1 .LBB46_2614
; %bb.2611:
	s_cmp_gt_i32 s2, 3
	s_cbranch_scc0 .LBB46_2615
; %bb.2612:
	global_load_dword v4, v[0:1], off
	s_mov_b64 s[0:1], 0
	s_branch .LBB46_2616
.LBB46_2613:
	s_mov_b64 s[0:1], -1
                                        ; implicit-def: $vgpr4
	s_branch .LBB46_2622
.LBB46_2614:
	s_mov_b64 s[0:1], -1
                                        ; implicit-def: $vgpr4
	s_branch .LBB46_2619
.LBB46_2615:
	s_mov_b64 s[0:1], -1
                                        ; implicit-def: $vgpr4
.LBB46_2616:
	s_andn2_b64 vcc, exec, s[0:1]
	s_cbranch_vccnz .LBB46_2618
; %bb.2617:
	global_load_dword v4, v[0:1], off
.LBB46_2618:
	s_mov_b64 s[0:1], 0
.LBB46_2619:
	s_andn2_b64 vcc, exec, s[0:1]
	s_cbranch_vccnz .LBB46_2621
; %bb.2620:
	global_load_sshort v4, v[0:1], off
.LBB46_2621:
	s_mov_b64 s[0:1], 0
.LBB46_2622:
	s_andn2_b64 vcc, exec, s[0:1]
	s_cbranch_vccnz .LBB46_2628
; %bb.2623:
	s_cmp_gt_i32 s2, 0
	s_cbranch_scc0 .LBB46_2625
; %bb.2624:
	global_load_sbyte v4, v[0:1], off
	s_mov_b64 s[0:1], 0
	s_branch .LBB46_2626
.LBB46_2625:
	s_mov_b64 s[0:1], -1
                                        ; implicit-def: $vgpr4
.LBB46_2626:
	s_andn2_b64 vcc, exec, s[0:1]
	s_cbranch_vccnz .LBB46_2628
; %bb.2627:
	global_load_ubyte v4, v[0:1], off
.LBB46_2628:
	s_mov_b64 s[10:11], -1
.LBB46_2629:
	s_andn2_b64 vcc, exec, s[10:11]
	s_cbranch_vccnz .LBB46_2634
; %bb.2630:
	s_cmp_lt_i32 s15, 1
	s_mov_b64 s[0:1], 0
	s_cbranch_scc1 .LBB46_2680
; %bb.2631:
	s_cmp_gt_i32 s15, 1
	s_cbranch_scc0 .LBB46_2681
; %bb.2632:
	s_cmp_eq_u32 s15, 2
	s_cbranch_scc0 .LBB46_2682
; %bb.2633:
	s_waitcnt vmcnt(0)
	v_cmp_le_i32_e64 s[24:25], v3, v4
	s_mov_b64 s[2:3], 0
	s_branch .LBB46_2683
.LBB46_2634:
	s_mov_b64 s[0:1], 0
                                        ; implicit-def: $sgpr24_sgpr25
.LBB46_2635:
	s_mov_b64 s[2:3], 0
                                        ; implicit-def: $sgpr28
                                        ; implicit-def: $vgpr0_vgpr1
.LBB46_2636:
	s_and_b64 s[4:5], s[2:3], exec
	s_andn2_b64 s[2:3], s[16:17], exec
	s_and_b64 s[8:9], s[18:19], exec
	s_and_b64 s[0:1], s[0:1], exec
	s_or_b64 s[16:17], s[2:3], s[8:9]
.LBB46_2637:
	s_or_b64 exec, exec, s[6:7]
	s_and_saveexec_b64 s[2:3], s[16:17]
	s_cbranch_execz .LBB46_2640
; %bb.2638:
	; divergent unreachable
	s_or_b64 exec, exec, s[2:3]
	s_and_saveexec_b64 s[2:3], s[4:5]
	s_xor_b64 s[2:3], exec, s[2:3]
	s_cbranch_execnz .LBB46_2641
.LBB46_2639:
	s_or_b64 exec, exec, s[2:3]
	s_and_saveexec_b64 s[2:3], s[0:1]
	s_cbranch_execnz .LBB46_2642
	s_branch .LBB46_2679
.LBB46_2640:
	s_or_b64 exec, exec, s[2:3]
	s_and_saveexec_b64 s[2:3], s[4:5]
	s_xor_b64 s[2:3], exec, s[2:3]
	s_cbranch_execz .LBB46_2639
.LBB46_2641:
	v_cndmask_b32_e64 v2, 0, 1, s[24:25]
	global_store_byte v[0:1], v2, off
	s_or_b64 exec, exec, s[2:3]
	s_and_saveexec_b64 s[2:3], s[0:1]
	s_cbranch_execz .LBB46_2679
.LBB46_2642:
	s_sext_i32_i16 s2, s28
	s_cmp_lt_i32 s2, 5
	s_mov_b64 s[0:1], -1
	s_cbranch_scc1 .LBB46_2663
; %bb.2643:
	s_cmp_lt_i32 s2, 8
	s_cbranch_scc1 .LBB46_2653
; %bb.2644:
	s_cmp_lt_i32 s2, 9
	s_cbranch_scc1 .LBB46_2650
; %bb.2645:
	s_cmp_gt_i32 s2, 9
	s_cbranch_scc0 .LBB46_2647
; %bb.2646:
	v_cndmask_b32_e64 v2, 0, 1, s[24:25]
	s_waitcnt vmcnt(0)
	v_cvt_f64_u32_e32 v[2:3], v2
	v_mov_b32_e32 v4, 0
	v_mov_b32_e32 v5, v4
	s_mov_b64 s[0:1], 0
	global_store_dwordx4 v[0:1], v[2:5], off
.LBB46_2647:
	s_andn2_b64 vcc, exec, s[0:1]
	s_cbranch_vccnz .LBB46_2649
; %bb.2648:
	v_cndmask_b32_e64 v2, 0, 1.0, s[24:25]
	s_waitcnt vmcnt(0)
	v_mov_b32_e32 v3, 0
	global_store_dwordx2 v[0:1], v[2:3], off
.LBB46_2649:
	s_mov_b64 s[0:1], 0
.LBB46_2650:
	s_andn2_b64 vcc, exec, s[0:1]
	s_cbranch_vccnz .LBB46_2652
; %bb.2651:
	v_cndmask_b32_e64 v2, 0, 1.0, s[24:25]
	v_cvt_f16_f32_e32 v2, v2
	global_store_dword v[0:1], v2, off
.LBB46_2652:
	s_mov_b64 s[0:1], 0
.LBB46_2653:
	s_andn2_b64 vcc, exec, s[0:1]
	s_cbranch_vccnz .LBB46_2662
; %bb.2654:
	s_sext_i32_i16 s2, s28
	s_cmp_lt_i32 s2, 6
	s_mov_b64 s[0:1], -1
	s_cbranch_scc1 .LBB46_2660
; %bb.2655:
	s_cmp_gt_i32 s2, 6
	s_cbranch_scc0 .LBB46_2657
; %bb.2656:
	v_cndmask_b32_e64 v2, 0, 1, s[24:25]
	s_waitcnt vmcnt(0)
	v_cvt_f64_u32_e32 v[2:3], v2
	s_mov_b64 s[0:1], 0
	global_store_dwordx2 v[0:1], v[2:3], off
.LBB46_2657:
	s_andn2_b64 vcc, exec, s[0:1]
	s_cbranch_vccnz .LBB46_2659
; %bb.2658:
	v_cndmask_b32_e64 v2, 0, 1.0, s[24:25]
	global_store_dword v[0:1], v2, off
.LBB46_2659:
	s_mov_b64 s[0:1], 0
.LBB46_2660:
	s_andn2_b64 vcc, exec, s[0:1]
	s_cbranch_vccnz .LBB46_2662
; %bb.2661:
	v_cndmask_b32_e64 v2, 0, 1.0, s[24:25]
	v_cvt_f16_f32_e32 v2, v2
	global_store_short v[0:1], v2, off
.LBB46_2662:
	s_mov_b64 s[0:1], 0
.LBB46_2663:
	s_andn2_b64 vcc, exec, s[0:1]
	s_cbranch_vccnz .LBB46_2679
; %bb.2664:
	s_sext_i32_i16 s2, s28
	s_cmp_lt_i32 s2, 2
	s_mov_b64 s[0:1], -1
	s_cbranch_scc1 .LBB46_2674
; %bb.2665:
	s_cmp_lt_i32 s2, 3
	s_cbranch_scc1 .LBB46_2671
; %bb.2666:
	s_cmp_gt_i32 s2, 3
	s_cbranch_scc0 .LBB46_2668
; %bb.2667:
	s_mov_b32 s0, 0
	v_cndmask_b32_e64 v2, 0, 1, s[24:25]
	s_waitcnt vmcnt(0)
	v_mov_b32_e32 v3, s0
	global_store_dwordx2 v[0:1], v[2:3], off
	s_mov_b64 s[0:1], 0
.LBB46_2668:
	s_andn2_b64 vcc, exec, s[0:1]
	s_cbranch_vccnz .LBB46_2670
; %bb.2669:
	v_cndmask_b32_e64 v2, 0, 1, s[24:25]
	global_store_dword v[0:1], v2, off
.LBB46_2670:
	s_mov_b64 s[0:1], 0
.LBB46_2671:
	s_andn2_b64 vcc, exec, s[0:1]
	s_cbranch_vccnz .LBB46_2673
; %bb.2672:
	v_cndmask_b32_e64 v2, 0, 1, s[24:25]
	global_store_short v[0:1], v2, off
.LBB46_2673:
	s_mov_b64 s[0:1], 0
.LBB46_2674:
	s_andn2_b64 vcc, exec, s[0:1]
	s_cbranch_vccnz .LBB46_2679
; %bb.2675:
	s_sext_i32_i16 s2, s28
	s_mov_b64 s[0:1], -1
	s_cmp_gt_i32 s2, 0
	v_cndmask_b32_e64 v2, 0, 1, s[24:25]
	s_cbranch_scc0 .LBB46_2677
; %bb.2676:
	global_store_byte v[0:1], v2, off
	s_mov_b64 s[0:1], 0
.LBB46_2677:
	s_andn2_b64 vcc, exec, s[0:1]
	s_cbranch_vccnz .LBB46_2679
; %bb.2678:
	global_store_byte v[0:1], v2, off
	s_endpgm
.LBB46_2679:
	s_endpgm
.LBB46_2680:
	s_mov_b64 s[10:11], -1
                                        ; implicit-def: $sgpr24_sgpr25
	s_mov_b64 s[2:3], 0
	s_branch .LBB46_2687
.LBB46_2681:
	s_mov_b64 s[10:11], -1
	s_mov_b64 s[2:3], 0
                                        ; implicit-def: $sgpr24_sgpr25
	s_branch .LBB46_2684
.LBB46_2682:
	s_mov_b64 s[2:3], -1
                                        ; implicit-def: $sgpr24_sgpr25
.LBB46_2683:
	s_mov_b64 s[10:11], 0
.LBB46_2684:
	s_and_b64 vcc, exec, s[10:11]
	s_cbranch_vccz .LBB46_2686
; %bb.2685:
	s_waitcnt vmcnt(0)
	v_cmp_gt_i32_e32 vcc, v3, v4
	s_andn2_b64 s[10:11], s[24:25], exec
	s_and_b64 s[24:25], vcc, exec
	s_or_b64 s[24:25], s[10:11], s[24:25]
.LBB46_2686:
	s_mov_b64 s[10:11], 0
.LBB46_2687:
	s_and_b64 vcc, exec, s[10:11]
	s_cbranch_vccz .LBB46_2769
; %bb.2688:
	s_cmp_lg_u32 s15, 0
	s_mov_b64 s[0:1], -1
	s_cselect_b64 s[2:3], -1, 0
	s_andn2_b64 vcc, exec, s[2:3]
	s_cbranch_vccz .LBB46_2770
.LBB46_2689:
	s_andn2_b64 vcc, exec, s[0:1]
	s_cbranch_vccnz .LBB46_2691
.LBB46_2690:
	s_waitcnt vmcnt(0)
	v_cmp_ge_i32_e32 vcc, v3, v4
	s_andn2_b64 s[0:1], s[24:25], exec
	s_and_b64 s[2:3], vcc, exec
	s_or_b64 s[24:25], s[0:1], s[2:3]
.LBB46_2691:
	v_mul_lo_u32 v2, s12, v2
	v_mov_b32_e32 v1, s9
	s_and_b32 s28, s33, 0xff
	s_cmp_lt_i32 s28, 11
	s_waitcnt vmcnt(0)
	v_ashrrev_i32_e32 v3, 31, v2
	v_add_co_u32_e32 v0, vcc, s8, v2
	v_addc_co_u32_e32 v1, vcc, v1, v3, vcc
	s_cbranch_scc1 .LBB46_2771
; %bb.2692:
	s_and_b32 s13, 0xffff, s28
	s_mov_b64 s[14:15], -1
	s_mov_b64 s[2:3], 0
	s_cmp_gt_i32 s13, 25
	s_mov_b64 s[10:11], 0
	s_mov_b64 s[0:1], 0
	s_cbranch_scc0 .LBB46_2725
; %bb.2693:
	s_cmp_gt_i32 s13, 28
	s_cbranch_scc0 .LBB46_2708
; %bb.2694:
	s_cmp_gt_i32 s13, 43
	;; [unrolled: 3-line block ×3, first 2 shown]
	s_cbranch_scc0 .LBB46_2698
; %bb.2696:
	s_mov_b64 s[0:1], -1
	s_mov_b64 s[14:15], 0
	s_cmp_eq_u32 s13, 46
	s_cbranch_scc0 .LBB46_2698
; %bb.2697:
	v_cndmask_b32_e64 v3, 0, 1.0, s[4:5]
	v_bfe_u32 v4, v3, 16, 1
	s_movk_i32 s0, 0x7fff
	v_add3_u32 v3, v3, v4, s0
	v_lshrrev_b32_e32 v3, 16, v3
	global_store_dword v[0:1], v3, off
	s_mov_b64 s[0:1], 0
	s_mov_b64 s[10:11], -1
.LBB46_2698:
	s_and_b64 vcc, exec, s[14:15]
	s_cbranch_vccz .LBB46_2703
; %bb.2699:
	s_cmp_eq_u32 s13, 44
	s_mov_b64 s[0:1], -1
	s_cbranch_scc0 .LBB46_2703
; %bb.2700:
	v_cndmask_b32_e64 v4, 0, 1.0, s[4:5]
	v_lshrrev_b32_e32 v3, 23, v4
	s_movk_i32 s0, 0xff
	v_cmp_ne_u32_e32 vcc, s0, v3
	v_mov_b32_e32 v5, 0xff
	s_and_saveexec_b64 s[10:11], vcc
; %bb.2701:
	s_mov_b32 s0, 0x3fffff
	v_and_b32_e32 v5, 0x400000, v4
	v_and_or_b32 v4, v4, s0, v3
	v_cmp_ne_u32_e32 vcc, 0, v5
	v_cmp_ne_u32_e64 s[0:1], 0, v4
	s_and_b64 s[0:1], vcc, s[0:1]
	v_cndmask_b32_e64 v4, 0, 1, s[0:1]
	v_add_u32_e32 v5, v3, v4
; %bb.2702:
	s_or_b64 exec, exec, s[10:11]
	s_mov_b64 s[0:1], 0
	s_mov_b64 s[10:11], -1
	global_store_byte v[0:1], v5, off
.LBB46_2703:
	s_mov_b64 s[14:15], 0
.LBB46_2704:
	s_and_b64 vcc, exec, s[14:15]
	s_cbranch_vccz .LBB46_2707
; %bb.2705:
	s_cmp_eq_u32 s13, 29
	s_mov_b64 s[0:1], -1
	s_cbranch_scc0 .LBB46_2707
; %bb.2706:
	s_mov_b32 s0, 0
	v_cndmask_b32_e64 v3, 0, 1, s[4:5]
	v_mov_b32_e32 v4, s0
	global_store_dwordx2 v[0:1], v[3:4], off
	s_mov_b64 s[0:1], 0
	s_mov_b64 s[10:11], -1
.LBB46_2707:
	s_mov_b64 s[14:15], 0
.LBB46_2708:
	s_and_b64 vcc, exec, s[14:15]
	s_cbranch_vccz .LBB46_2724
; %bb.2709:
	s_cmp_lt_i32 s13, 27
	s_mov_b64 s[10:11], -1
	s_cbranch_scc1 .LBB46_2715
; %bb.2710:
	s_cmp_gt_i32 s13, 27
	s_cbranch_scc0 .LBB46_2712
; %bb.2711:
	v_cndmask_b32_e64 v3, 0, 1, s[4:5]
	s_mov_b64 s[10:11], 0
	global_store_dword v[0:1], v3, off
.LBB46_2712:
	s_andn2_b64 vcc, exec, s[10:11]
	s_cbranch_vccnz .LBB46_2714
; %bb.2713:
	v_cndmask_b32_e64 v3, 0, 1, s[4:5]
	global_store_short v[0:1], v3, off
.LBB46_2714:
	s_mov_b64 s[10:11], 0
.LBB46_2715:
	s_andn2_b64 vcc, exec, s[10:11]
	s_cbranch_vccnz .LBB46_2723
; %bb.2716:
	v_cndmask_b32_e64 v4, 0, 1.0, s[4:5]
	s_mov_b32 s10, 0x43800000
	v_cmp_gt_u32_e32 vcc, s10, v4
	v_mov_b32_e32 v5, 0x80
	s_and_saveexec_b64 s[10:11], vcc
	s_cbranch_execz .LBB46_2722
; %bb.2717:
	s_mov_b32 s14, 0x3bffffff
	v_cmp_lt_u32_e32 vcc, s14, v4
	s_mov_b64 s[14:15], 0
                                        ; implicit-def: $vgpr3
	s_and_saveexec_b64 s[26:27], vcc
	s_xor_b64 s[26:27], exec, s[26:27]
	s_cbranch_execz .LBB46_3129
; %bb.2718:
	v_bfe_u32 v3, v4, 20, 1
	s_mov_b32 s29, 0x487ffff
	v_add3_u32 v3, v4, v3, s29
	s_mov_b64 s[14:15], exec
	v_lshrrev_b32_e32 v3, 20, v3
                                        ; implicit-def: $vgpr4
	s_andn2_saveexec_b64 s[26:27], s[26:27]
	s_cbranch_execnz .LBB46_3130
.LBB46_2719:
	s_or_b64 exec, exec, s[26:27]
	v_mov_b32_e32 v5, 0
	s_and_saveexec_b64 s[26:27], s[14:15]
.LBB46_2720:
	v_mov_b32_e32 v5, v3
.LBB46_2721:
	s_or_b64 exec, exec, s[26:27]
.LBB46_2722:
	s_or_b64 exec, exec, s[10:11]
	global_store_byte v[0:1], v5, off
.LBB46_2723:
	s_mov_b64 s[10:11], -1
.LBB46_2724:
	s_mov_b64 s[14:15], 0
.LBB46_2725:
	s_and_b64 vcc, exec, s[14:15]
	s_cbranch_vccz .LBB46_2765
; %bb.2726:
	s_cmp_gt_i32 s13, 22
	s_mov_b64 s[2:3], -1
	s_cbranch_scc0 .LBB46_2758
; %bb.2727:
	s_cmp_lt_i32 s13, 24
	s_cbranch_scc1 .LBB46_2747
; %bb.2728:
	s_cmp_gt_i32 s13, 24
	s_cbranch_scc0 .LBB46_2736
; %bb.2729:
	v_cndmask_b32_e64 v4, 0, 1.0, s[4:5]
	s_mov_b32 s2, 0x47800000
	v_cmp_gt_u32_e32 vcc, s2, v4
	v_mov_b32_e32 v5, 0x80
	s_and_saveexec_b64 s[2:3], vcc
	s_cbranch_execz .LBB46_2735
; %bb.2730:
	s_mov_b32 s10, 0x37ffffff
	v_cmp_lt_u32_e32 vcc, s10, v4
	s_mov_b64 s[10:11], 0
                                        ; implicit-def: $vgpr3
	s_and_saveexec_b64 s[14:15], vcc
	s_xor_b64 s[14:15], exec, s[14:15]
	s_cbranch_execz .LBB46_3132
; %bb.2731:
	v_bfe_u32 v3, v4, 21, 1
	s_mov_b32 s26, 0x88fffff
	v_add3_u32 v3, v4, v3, s26
	s_mov_b64 s[10:11], exec
	v_lshrrev_b32_e32 v3, 21, v3
                                        ; implicit-def: $vgpr4
	s_andn2_saveexec_b64 s[14:15], s[14:15]
	s_cbranch_execnz .LBB46_3133
.LBB46_2732:
	s_or_b64 exec, exec, s[14:15]
	v_mov_b32_e32 v5, 0
	s_and_saveexec_b64 s[14:15], s[10:11]
.LBB46_2733:
	v_mov_b32_e32 v5, v3
.LBB46_2734:
	s_or_b64 exec, exec, s[14:15]
.LBB46_2735:
	s_or_b64 exec, exec, s[2:3]
	s_mov_b64 s[2:3], 0
	global_store_byte v[0:1], v5, off
.LBB46_2736:
	s_and_b64 vcc, exec, s[2:3]
	s_cbranch_vccz .LBB46_2746
; %bb.2737:
	v_cndmask_b32_e64 v3, 0, 1.0, s[4:5]
	s_mov_b32 s2, 0x43f00000
	v_cmp_gt_u32_e32 vcc, s2, v3
                                        ; implicit-def: $vgpr4
	s_and_saveexec_b64 s[2:3], vcc
	s_xor_b64 s[2:3], exec, s[2:3]
	s_cbranch_execz .LBB46_2743
; %bb.2738:
	s_mov_b32 s10, 0x3c7fffff
	v_cmp_lt_u32_e32 vcc, s10, v3
                                        ; implicit-def: $vgpr4
	s_and_saveexec_b64 s[10:11], vcc
	s_xor_b64 s[10:11], exec, s[10:11]
; %bb.2739:
	v_bfe_u32 v4, v3, 20, 1
	s_mov_b32 s14, 0x407ffff
	v_add3_u32 v3, v3, v4, s14
	v_lshrrev_b32_e32 v4, 20, v3
	v_and_b32_e32 v3, 0xff00000, v3
	s_mov_b32 s14, 0x7f00000
	v_mov_b32_e32 v5, 0x7e
	v_cmp_ne_u32_e32 vcc, s14, v3
	v_cndmask_b32_e32 v4, v5, v4, vcc
                                        ; implicit-def: $vgpr3
; %bb.2740:
	s_andn2_saveexec_b64 s[10:11], s[10:11]
; %bb.2741:
	v_add_f32_e32 v4, 0x46800000, v3
; %bb.2742:
	s_or_b64 exec, exec, s[10:11]
                                        ; implicit-def: $vgpr3
.LBB46_2743:
	s_andn2_saveexec_b64 s[2:3], s[2:3]
; %bb.2744:
	s_mov_b32 s10, 0x7f800000
	v_mov_b32_e32 v4, 0x7e
	v_mov_b32_e32 v5, 0x7f
	v_cmp_lt_u32_e32 vcc, s10, v3
	v_cndmask_b32_e32 v4, v4, v5, vcc
; %bb.2745:
	s_or_b64 exec, exec, s[2:3]
	global_store_byte v[0:1], v4, off
.LBB46_2746:
	s_mov_b64 s[2:3], 0
.LBB46_2747:
	s_andn2_b64 vcc, exec, s[2:3]
	s_cbranch_vccnz .LBB46_2757
; %bb.2748:
	v_cndmask_b32_e64 v3, 0, 1.0, s[4:5]
	s_mov_b32 s2, 0x47800000
	v_cmp_gt_u32_e32 vcc, s2, v3
                                        ; implicit-def: $vgpr4
	s_and_saveexec_b64 s[2:3], vcc
	s_xor_b64 s[2:3], exec, s[2:3]
	s_cbranch_execz .LBB46_2754
; %bb.2749:
	s_mov_b32 s10, 0x387fffff
	v_cmp_lt_u32_e32 vcc, s10, v3
                                        ; implicit-def: $vgpr4
	s_and_saveexec_b64 s[10:11], vcc
	s_xor_b64 s[10:11], exec, s[10:11]
; %bb.2750:
	v_bfe_u32 v4, v3, 21, 1
	s_mov_b32 s14, 0x80fffff
	v_add3_u32 v3, v3, v4, s14
	v_lshrrev_b32_e32 v4, 21, v3
                                        ; implicit-def: $vgpr3
; %bb.2751:
	s_andn2_saveexec_b64 s[10:11], s[10:11]
; %bb.2752:
	v_add_f32_e32 v4, 0x43000000, v3
; %bb.2753:
	s_or_b64 exec, exec, s[10:11]
                                        ; implicit-def: $vgpr3
.LBB46_2754:
	s_andn2_saveexec_b64 s[2:3], s[2:3]
; %bb.2755:
	s_mov_b32 s10, 0x7f800000
	v_mov_b32_e32 v4, 0x7c
	v_mov_b32_e32 v5, 0x7f
	v_cmp_lt_u32_e32 vcc, s10, v3
	v_cndmask_b32_e32 v4, v4, v5, vcc
; %bb.2756:
	s_or_b64 exec, exec, s[2:3]
	global_store_byte v[0:1], v4, off
.LBB46_2757:
	s_mov_b64 s[2:3], 0
	s_mov_b64 s[10:11], -1
.LBB46_2758:
	s_andn2_b64 vcc, exec, s[2:3]
	s_mov_b64 s[2:3], 0
	s_cbranch_vccnz .LBB46_2765
; %bb.2759:
	s_cmp_gt_i32 s13, 14
	s_mov_b64 s[14:15], -1
	s_cbranch_scc0 .LBB46_2763
; %bb.2760:
	s_cmp_eq_u32 s13, 15
	s_mov_b64 s[0:1], -1
	s_cbranch_scc0 .LBB46_2762
; %bb.2761:
	v_cndmask_b32_e64 v3, 0, 1.0, s[4:5]
	v_bfe_u32 v4, v3, 16, 1
	s_movk_i32 s0, 0x7fff
	v_add3_u32 v3, v3, v4, s0
	global_store_short_d16_hi v[0:1], v3, off
	s_mov_b64 s[0:1], 0
	s_mov_b64 s[10:11], -1
.LBB46_2762:
	s_mov_b64 s[14:15], 0
.LBB46_2763:
	s_and_b64 vcc, exec, s[14:15]
	s_cbranch_vccz .LBB46_2765
; %bb.2764:
	s_cmp_lg_u32 s13, 11
	s_mov_b64 s[2:3], -1
	s_cselect_b64 s[0:1], -1, 0
.LBB46_2765:
	s_and_b64 vcc, exec, s[0:1]
	s_cbranch_vccnz .LBB46_3131
; %bb.2766:
	s_andn2_b64 vcc, exec, s[2:3]
	s_cbranch_vccnz .LBB46_2768
.LBB46_2767:
	v_cndmask_b32_e64 v3, 0, 1, s[4:5]
	s_mov_b64 s[10:11], -1
	global_store_byte v[0:1], v3, off
.LBB46_2768:
	s_mov_b64 s[0:1], 0
	s_branch .LBB46_2772
.LBB46_2769:
	s_andn2_b64 vcc, exec, s[2:3]
	s_cbranch_vccnz .LBB46_2689
.LBB46_2770:
	s_waitcnt vmcnt(0)
	v_cmp_lt_i32_e32 vcc, v3, v4
	s_andn2_b64 s[2:3], s[24:25], exec
	s_and_b64 s[10:11], vcc, exec
	s_or_b64 s[24:25], s[2:3], s[10:11]
	s_cbranch_execz .LBB46_2690
	s_branch .LBB46_2691
.LBB46_2771:
	s_mov_b64 s[0:1], -1
	s_mov_b64 s[10:11], 0
.LBB46_2772:
	s_and_b64 vcc, exec, s[0:1]
	s_cbranch_vccz .LBB46_2811
; %bb.2773:
	s_and_b32 s2, 0xffff, s28
	s_cmp_lt_i32 s2, 5
	s_mov_b64 s[0:1], -1
	s_cbranch_scc1 .LBB46_2794
; %bb.2774:
	s_cmp_lt_i32 s2, 8
	s_cbranch_scc1 .LBB46_2784
; %bb.2775:
	s_cmp_lt_i32 s2, 9
	s_cbranch_scc1 .LBB46_2781
; %bb.2776:
	s_cmp_gt_i32 s2, 9
	s_cbranch_scc0 .LBB46_2778
; %bb.2777:
	v_cndmask_b32_e64 v3, 0, 1, s[4:5]
	v_cvt_f64_u32_e32 v[3:4], v3
	v_mov_b32_e32 v5, 0
	v_mov_b32_e32 v6, v5
	s_mov_b64 s[0:1], 0
	global_store_dwordx4 v[0:1], v[3:6], off
.LBB46_2778:
	s_andn2_b64 vcc, exec, s[0:1]
	s_cbranch_vccnz .LBB46_2780
; %bb.2779:
	v_cndmask_b32_e64 v3, 0, 1.0, s[4:5]
	v_mov_b32_e32 v4, 0
	global_store_dwordx2 v[0:1], v[3:4], off
.LBB46_2780:
	s_mov_b64 s[0:1], 0
.LBB46_2781:
	s_andn2_b64 vcc, exec, s[0:1]
	s_cbranch_vccnz .LBB46_2783
; %bb.2782:
	v_cndmask_b32_e64 v3, 0, 1.0, s[4:5]
	v_cvt_f16_f32_e32 v3, v3
	global_store_dword v[0:1], v3, off
.LBB46_2783:
	s_mov_b64 s[0:1], 0
.LBB46_2784:
	s_andn2_b64 vcc, exec, s[0:1]
	s_cbranch_vccnz .LBB46_2793
; %bb.2785:
	s_cmp_lt_i32 s2, 6
	s_mov_b64 s[0:1], -1
	s_cbranch_scc1 .LBB46_2791
; %bb.2786:
	s_cmp_gt_i32 s2, 6
	s_cbranch_scc0 .LBB46_2788
; %bb.2787:
	v_cndmask_b32_e64 v3, 0, 1, s[4:5]
	v_cvt_f64_u32_e32 v[3:4], v3
	s_mov_b64 s[0:1], 0
	global_store_dwordx2 v[0:1], v[3:4], off
.LBB46_2788:
	s_andn2_b64 vcc, exec, s[0:1]
	s_cbranch_vccnz .LBB46_2790
; %bb.2789:
	v_cndmask_b32_e64 v3, 0, 1.0, s[4:5]
	global_store_dword v[0:1], v3, off
.LBB46_2790:
	s_mov_b64 s[0:1], 0
.LBB46_2791:
	s_andn2_b64 vcc, exec, s[0:1]
	s_cbranch_vccnz .LBB46_2793
; %bb.2792:
	v_cndmask_b32_e64 v3, 0, 1.0, s[4:5]
	v_cvt_f16_f32_e32 v3, v3
	global_store_short v[0:1], v3, off
.LBB46_2793:
	s_mov_b64 s[0:1], 0
.LBB46_2794:
	s_andn2_b64 vcc, exec, s[0:1]
	s_cbranch_vccnz .LBB46_2810
; %bb.2795:
	s_cmp_lt_i32 s2, 2
	s_mov_b64 s[0:1], -1
	s_cbranch_scc1 .LBB46_2805
; %bb.2796:
	s_cmp_lt_i32 s2, 3
	s_cbranch_scc1 .LBB46_2802
; %bb.2797:
	s_cmp_gt_i32 s2, 3
	s_cbranch_scc0 .LBB46_2799
; %bb.2798:
	s_mov_b32 s0, 0
	v_cndmask_b32_e64 v3, 0, 1, s[4:5]
	v_mov_b32_e32 v4, s0
	global_store_dwordx2 v[0:1], v[3:4], off
	s_mov_b64 s[0:1], 0
.LBB46_2799:
	s_andn2_b64 vcc, exec, s[0:1]
	s_cbranch_vccnz .LBB46_2801
; %bb.2800:
	v_cndmask_b32_e64 v3, 0, 1, s[4:5]
	global_store_dword v[0:1], v3, off
.LBB46_2801:
	s_mov_b64 s[0:1], 0
.LBB46_2802:
	s_andn2_b64 vcc, exec, s[0:1]
	s_cbranch_vccnz .LBB46_2804
; %bb.2803:
	v_cndmask_b32_e64 v3, 0, 1, s[4:5]
	global_store_short v[0:1], v3, off
.LBB46_2804:
	s_mov_b64 s[0:1], 0
.LBB46_2805:
	s_andn2_b64 vcc, exec, s[0:1]
	s_cbranch_vccnz .LBB46_2810
; %bb.2806:
	s_mov_b64 s[0:1], -1
	s_cmp_gt_i32 s2, 0
	v_cndmask_b32_e64 v3, 0, 1, s[4:5]
	s_cbranch_scc0 .LBB46_2808
; %bb.2807:
	global_store_byte v[0:1], v3, off
	s_mov_b64 s[0:1], 0
.LBB46_2808:
	s_andn2_b64 vcc, exec, s[0:1]
	s_cbranch_vccnz .LBB46_2810
; %bb.2809:
	global_store_byte v[0:1], v3, off
.LBB46_2810:
	s_mov_b64 s[10:11], -1
.LBB46_2811:
	s_andn2_b64 vcc, exec, s[10:11]
	s_cbranch_vccnz .LBB46_3126
; %bb.2812:
	s_lshl_b32 s14, s12, 7
	v_add_u32_e32 v2, s14, v2
	v_ashrrev_i32_e32 v1, 31, v2
	v_mov_b32_e32 v3, s9
	v_add_co_u32_e32 v0, vcc, s8, v2
	s_cmp_lt_i32 s28, 11
	v_addc_co_u32_e32 v1, vcc, v3, v1, vcc
	s_cbranch_scc1 .LBB46_2890
; %bb.2813:
	s_and_b32 s15, 0xffff, s28
	s_mov_b64 s[10:11], -1
	s_mov_b64 s[2:3], 0
	s_cmp_gt_i32 s15, 25
	s_mov_b64 s[4:5], 0
	s_mov_b64 s[0:1], 0
	s_cbranch_scc0 .LBB46_2846
; %bb.2814:
	s_cmp_gt_i32 s15, 28
	s_cbranch_scc0 .LBB46_2829
; %bb.2815:
	s_cmp_gt_i32 s15, 43
	;; [unrolled: 3-line block ×3, first 2 shown]
	s_cbranch_scc0 .LBB46_2819
; %bb.2817:
	s_mov_b64 s[0:1], -1
	s_mov_b64 s[10:11], 0
	s_cmp_eq_u32 s15, 46
	s_cbranch_scc0 .LBB46_2819
; %bb.2818:
	v_cndmask_b32_e64 v3, 0, 1.0, s[20:21]
	v_bfe_u32 v4, v3, 16, 1
	s_movk_i32 s0, 0x7fff
	v_add3_u32 v3, v3, v4, s0
	v_lshrrev_b32_e32 v3, 16, v3
	global_store_dword v[0:1], v3, off
	s_mov_b64 s[0:1], 0
	s_mov_b64 s[4:5], -1
.LBB46_2819:
	s_and_b64 vcc, exec, s[10:11]
	s_cbranch_vccz .LBB46_2824
; %bb.2820:
	s_cmp_eq_u32 s15, 44
	s_mov_b64 s[0:1], -1
	s_cbranch_scc0 .LBB46_2824
; %bb.2821:
	v_cndmask_b32_e64 v4, 0, 1.0, s[20:21]
	v_lshrrev_b32_e32 v3, 23, v4
	s_movk_i32 s0, 0xff
	v_cmp_ne_u32_e32 vcc, s0, v3
	v_mov_b32_e32 v5, 0xff
	s_and_saveexec_b64 s[4:5], vcc
; %bb.2822:
	s_mov_b32 s0, 0x3fffff
	v_and_b32_e32 v5, 0x400000, v4
	v_and_or_b32 v4, v4, s0, v3
	v_cmp_ne_u32_e32 vcc, 0, v5
	v_cmp_ne_u32_e64 s[0:1], 0, v4
	s_and_b64 s[0:1], vcc, s[0:1]
	v_cndmask_b32_e64 v4, 0, 1, s[0:1]
	v_add_u32_e32 v5, v3, v4
; %bb.2823:
	s_or_b64 exec, exec, s[4:5]
	s_mov_b64 s[0:1], 0
	s_mov_b64 s[4:5], -1
	global_store_byte v[0:1], v5, off
.LBB46_2824:
	s_mov_b64 s[10:11], 0
.LBB46_2825:
	s_and_b64 vcc, exec, s[10:11]
	s_cbranch_vccz .LBB46_2828
; %bb.2826:
	s_cmp_eq_u32 s15, 29
	s_mov_b64 s[0:1], -1
	s_cbranch_scc0 .LBB46_2828
; %bb.2827:
	s_mov_b32 s0, 0
	v_cndmask_b32_e64 v3, 0, 1, s[20:21]
	v_mov_b32_e32 v4, s0
	global_store_dwordx2 v[0:1], v[3:4], off
	s_mov_b64 s[0:1], 0
	s_mov_b64 s[4:5], -1
.LBB46_2828:
	s_mov_b64 s[10:11], 0
.LBB46_2829:
	s_and_b64 vcc, exec, s[10:11]
	s_cbranch_vccz .LBB46_2845
; %bb.2830:
	s_cmp_lt_i32 s15, 27
	s_mov_b64 s[4:5], -1
	s_cbranch_scc1 .LBB46_2836
; %bb.2831:
	s_cmp_gt_i32 s15, 27
	s_cbranch_scc0 .LBB46_2833
; %bb.2832:
	v_cndmask_b32_e64 v3, 0, 1, s[20:21]
	s_mov_b64 s[4:5], 0
	global_store_dword v[0:1], v3, off
.LBB46_2833:
	s_andn2_b64 vcc, exec, s[4:5]
	s_cbranch_vccnz .LBB46_2835
; %bb.2834:
	v_cndmask_b32_e64 v3, 0, 1, s[20:21]
	global_store_short v[0:1], v3, off
.LBB46_2835:
	s_mov_b64 s[4:5], 0
.LBB46_2836:
	s_andn2_b64 vcc, exec, s[4:5]
	s_cbranch_vccnz .LBB46_2844
; %bb.2837:
	v_cndmask_b32_e64 v4, 0, 1.0, s[20:21]
	s_mov_b32 s4, 0x43800000
	v_cmp_gt_u32_e32 vcc, s4, v4
	v_mov_b32_e32 v5, 0x80
	s_and_saveexec_b64 s[4:5], vcc
	s_cbranch_execz .LBB46_2843
; %bb.2838:
	s_mov_b32 s10, 0x3bffffff
	v_cmp_lt_u32_e32 vcc, s10, v4
	s_mov_b64 s[10:11], 0
                                        ; implicit-def: $vgpr3
	s_and_saveexec_b64 s[12:13], vcc
	s_xor_b64 s[12:13], exec, s[12:13]
	s_cbranch_execz .LBB46_3134
; %bb.2839:
	v_bfe_u32 v3, v4, 20, 1
	s_mov_b32 s26, 0x487ffff
	v_add3_u32 v3, v4, v3, s26
	s_mov_b64 s[10:11], exec
	v_lshrrev_b32_e32 v3, 20, v3
                                        ; implicit-def: $vgpr4
	s_andn2_saveexec_b64 s[12:13], s[12:13]
	s_cbranch_execnz .LBB46_3135
.LBB46_2840:
	s_or_b64 exec, exec, s[12:13]
	v_mov_b32_e32 v5, 0
	s_and_saveexec_b64 s[12:13], s[10:11]
.LBB46_2841:
	v_mov_b32_e32 v5, v3
.LBB46_2842:
	s_or_b64 exec, exec, s[12:13]
.LBB46_2843:
	s_or_b64 exec, exec, s[4:5]
	global_store_byte v[0:1], v5, off
.LBB46_2844:
	s_mov_b64 s[4:5], -1
.LBB46_2845:
	s_mov_b64 s[10:11], 0
.LBB46_2846:
	s_and_b64 vcc, exec, s[10:11]
	s_cbranch_vccz .LBB46_2886
; %bb.2847:
	s_cmp_gt_i32 s15, 22
	s_mov_b64 s[2:3], -1
	s_cbranch_scc0 .LBB46_2879
; %bb.2848:
	s_cmp_lt_i32 s15, 24
	s_cbranch_scc1 .LBB46_2868
; %bb.2849:
	s_cmp_gt_i32 s15, 24
	s_cbranch_scc0 .LBB46_2857
; %bb.2850:
	v_cndmask_b32_e64 v4, 0, 1.0, s[20:21]
	s_mov_b32 s2, 0x47800000
	v_cmp_gt_u32_e32 vcc, s2, v4
	v_mov_b32_e32 v5, 0x80
	s_and_saveexec_b64 s[2:3], vcc
	s_cbranch_execz .LBB46_2856
; %bb.2851:
	s_mov_b32 s4, 0x37ffffff
	v_cmp_lt_u32_e32 vcc, s4, v4
	s_mov_b64 s[4:5], 0
                                        ; implicit-def: $vgpr3
	s_and_saveexec_b64 s[10:11], vcc
	s_xor_b64 s[10:11], exec, s[10:11]
	s_cbranch_execz .LBB46_3137
; %bb.2852:
	v_bfe_u32 v3, v4, 21, 1
	s_mov_b32 s12, 0x88fffff
	v_add3_u32 v3, v4, v3, s12
	s_mov_b64 s[4:5], exec
	v_lshrrev_b32_e32 v3, 21, v3
                                        ; implicit-def: $vgpr4
	s_andn2_saveexec_b64 s[10:11], s[10:11]
	s_cbranch_execnz .LBB46_3138
.LBB46_2853:
	s_or_b64 exec, exec, s[10:11]
	v_mov_b32_e32 v5, 0
	s_and_saveexec_b64 s[10:11], s[4:5]
.LBB46_2854:
	v_mov_b32_e32 v5, v3
.LBB46_2855:
	s_or_b64 exec, exec, s[10:11]
.LBB46_2856:
	s_or_b64 exec, exec, s[2:3]
	s_mov_b64 s[2:3], 0
	global_store_byte v[0:1], v5, off
.LBB46_2857:
	s_and_b64 vcc, exec, s[2:3]
	s_cbranch_vccz .LBB46_2867
; %bb.2858:
	v_cndmask_b32_e64 v3, 0, 1.0, s[20:21]
	s_mov_b32 s2, 0x43f00000
	v_cmp_gt_u32_e32 vcc, s2, v3
                                        ; implicit-def: $vgpr4
	s_and_saveexec_b64 s[2:3], vcc
	s_xor_b64 s[2:3], exec, s[2:3]
	s_cbranch_execz .LBB46_2864
; %bb.2859:
	s_mov_b32 s4, 0x3c7fffff
	v_cmp_lt_u32_e32 vcc, s4, v3
                                        ; implicit-def: $vgpr4
	s_and_saveexec_b64 s[4:5], vcc
	s_xor_b64 s[4:5], exec, s[4:5]
; %bb.2860:
	v_bfe_u32 v4, v3, 20, 1
	s_mov_b32 s10, 0x407ffff
	v_add3_u32 v3, v3, v4, s10
	v_lshrrev_b32_e32 v4, 20, v3
	v_and_b32_e32 v3, 0xff00000, v3
	s_mov_b32 s10, 0x7f00000
	v_mov_b32_e32 v5, 0x7e
	v_cmp_ne_u32_e32 vcc, s10, v3
	v_cndmask_b32_e32 v4, v5, v4, vcc
                                        ; implicit-def: $vgpr3
; %bb.2861:
	s_andn2_saveexec_b64 s[4:5], s[4:5]
; %bb.2862:
	v_add_f32_e32 v4, 0x46800000, v3
; %bb.2863:
	s_or_b64 exec, exec, s[4:5]
                                        ; implicit-def: $vgpr3
.LBB46_2864:
	s_andn2_saveexec_b64 s[2:3], s[2:3]
; %bb.2865:
	s_mov_b32 s4, 0x7f800000
	v_mov_b32_e32 v4, 0x7e
	v_mov_b32_e32 v5, 0x7f
	v_cmp_lt_u32_e32 vcc, s4, v3
	v_cndmask_b32_e32 v4, v4, v5, vcc
; %bb.2866:
	s_or_b64 exec, exec, s[2:3]
	global_store_byte v[0:1], v4, off
.LBB46_2867:
	s_mov_b64 s[2:3], 0
.LBB46_2868:
	s_andn2_b64 vcc, exec, s[2:3]
	s_cbranch_vccnz .LBB46_2878
; %bb.2869:
	v_cndmask_b32_e64 v3, 0, 1.0, s[20:21]
	s_mov_b32 s2, 0x47800000
	v_cmp_gt_u32_e32 vcc, s2, v3
                                        ; implicit-def: $vgpr4
	s_and_saveexec_b64 s[2:3], vcc
	s_xor_b64 s[2:3], exec, s[2:3]
	s_cbranch_execz .LBB46_2875
; %bb.2870:
	s_mov_b32 s4, 0x387fffff
	v_cmp_lt_u32_e32 vcc, s4, v3
                                        ; implicit-def: $vgpr4
	s_and_saveexec_b64 s[4:5], vcc
	s_xor_b64 s[4:5], exec, s[4:5]
; %bb.2871:
	v_bfe_u32 v4, v3, 21, 1
	s_mov_b32 s10, 0x80fffff
	v_add3_u32 v3, v3, v4, s10
	v_lshrrev_b32_e32 v4, 21, v3
                                        ; implicit-def: $vgpr3
; %bb.2872:
	s_andn2_saveexec_b64 s[4:5], s[4:5]
; %bb.2873:
	v_add_f32_e32 v4, 0x43000000, v3
; %bb.2874:
	s_or_b64 exec, exec, s[4:5]
                                        ; implicit-def: $vgpr3
.LBB46_2875:
	s_andn2_saveexec_b64 s[2:3], s[2:3]
; %bb.2876:
	s_mov_b32 s4, 0x7f800000
	v_mov_b32_e32 v4, 0x7c
	v_mov_b32_e32 v5, 0x7f
	v_cmp_lt_u32_e32 vcc, s4, v3
	v_cndmask_b32_e32 v4, v4, v5, vcc
; %bb.2877:
	s_or_b64 exec, exec, s[2:3]
	global_store_byte v[0:1], v4, off
.LBB46_2878:
	s_mov_b64 s[2:3], 0
	s_mov_b64 s[4:5], -1
.LBB46_2879:
	s_andn2_b64 vcc, exec, s[2:3]
	s_mov_b64 s[2:3], 0
	s_cbranch_vccnz .LBB46_2886
; %bb.2880:
	s_cmp_gt_i32 s15, 14
	s_mov_b64 s[10:11], -1
	s_cbranch_scc0 .LBB46_2884
; %bb.2881:
	s_cmp_eq_u32 s15, 15
	s_mov_b64 s[0:1], -1
	s_cbranch_scc0 .LBB46_2883
; %bb.2882:
	v_cndmask_b32_e64 v3, 0, 1.0, s[20:21]
	v_bfe_u32 v4, v3, 16, 1
	s_movk_i32 s0, 0x7fff
	v_add3_u32 v3, v3, v4, s0
	global_store_short_d16_hi v[0:1], v3, off
	s_mov_b64 s[0:1], 0
	s_mov_b64 s[4:5], -1
.LBB46_2883:
	s_mov_b64 s[10:11], 0
.LBB46_2884:
	s_and_b64 vcc, exec, s[10:11]
	s_cbranch_vccz .LBB46_2886
; %bb.2885:
	s_cmp_lg_u32 s15, 11
	s_mov_b64 s[2:3], -1
	s_cselect_b64 s[0:1], -1, 0
.LBB46_2886:
	s_and_b64 vcc, exec, s[0:1]
	s_cbranch_vccnz .LBB46_3136
; %bb.2887:
	s_andn2_b64 vcc, exec, s[2:3]
	s_cbranch_vccnz .LBB46_2889
.LBB46_2888:
	v_cndmask_b32_e64 v3, 0, 1, s[20:21]
	s_mov_b64 s[4:5], -1
	global_store_byte v[0:1], v3, off
.LBB46_2889:
	s_mov_b64 s[0:1], 0
	s_branch .LBB46_2891
.LBB46_2890:
	s_mov_b64 s[0:1], -1
	s_mov_b64 s[4:5], 0
.LBB46_2891:
	s_and_b64 vcc, exec, s[0:1]
	s_cbranch_vccz .LBB46_2930
; %bb.2892:
	s_and_b32 s2, 0xffff, s28
	s_cmp_lt_i32 s2, 5
	s_mov_b64 s[0:1], -1
	s_cbranch_scc1 .LBB46_2913
; %bb.2893:
	s_cmp_lt_i32 s2, 8
	s_cbranch_scc1 .LBB46_2903
; %bb.2894:
	s_cmp_lt_i32 s2, 9
	s_cbranch_scc1 .LBB46_2900
; %bb.2895:
	s_cmp_gt_i32 s2, 9
	s_cbranch_scc0 .LBB46_2897
; %bb.2896:
	v_cndmask_b32_e64 v3, 0, 1, s[20:21]
	v_cvt_f64_u32_e32 v[3:4], v3
	v_mov_b32_e32 v5, 0
	v_mov_b32_e32 v6, v5
	s_mov_b64 s[0:1], 0
	global_store_dwordx4 v[0:1], v[3:6], off
.LBB46_2897:
	s_andn2_b64 vcc, exec, s[0:1]
	s_cbranch_vccnz .LBB46_2899
; %bb.2898:
	v_cndmask_b32_e64 v3, 0, 1.0, s[20:21]
	v_mov_b32_e32 v4, 0
	global_store_dwordx2 v[0:1], v[3:4], off
.LBB46_2899:
	s_mov_b64 s[0:1], 0
.LBB46_2900:
	s_andn2_b64 vcc, exec, s[0:1]
	s_cbranch_vccnz .LBB46_2902
; %bb.2901:
	v_cndmask_b32_e64 v3, 0, 1.0, s[20:21]
	v_cvt_f16_f32_e32 v3, v3
	global_store_dword v[0:1], v3, off
.LBB46_2902:
	s_mov_b64 s[0:1], 0
.LBB46_2903:
	s_andn2_b64 vcc, exec, s[0:1]
	s_cbranch_vccnz .LBB46_2912
; %bb.2904:
	s_cmp_lt_i32 s2, 6
	s_mov_b64 s[0:1], -1
	s_cbranch_scc1 .LBB46_2910
; %bb.2905:
	s_cmp_gt_i32 s2, 6
	s_cbranch_scc0 .LBB46_2907
; %bb.2906:
	v_cndmask_b32_e64 v3, 0, 1, s[20:21]
	v_cvt_f64_u32_e32 v[3:4], v3
	s_mov_b64 s[0:1], 0
	global_store_dwordx2 v[0:1], v[3:4], off
.LBB46_2907:
	s_andn2_b64 vcc, exec, s[0:1]
	s_cbranch_vccnz .LBB46_2909
; %bb.2908:
	v_cndmask_b32_e64 v3, 0, 1.0, s[20:21]
	global_store_dword v[0:1], v3, off
.LBB46_2909:
	s_mov_b64 s[0:1], 0
.LBB46_2910:
	s_andn2_b64 vcc, exec, s[0:1]
	s_cbranch_vccnz .LBB46_2912
; %bb.2911:
	v_cndmask_b32_e64 v3, 0, 1.0, s[20:21]
	v_cvt_f16_f32_e32 v3, v3
	global_store_short v[0:1], v3, off
.LBB46_2912:
	s_mov_b64 s[0:1], 0
.LBB46_2913:
	s_andn2_b64 vcc, exec, s[0:1]
	s_cbranch_vccnz .LBB46_2929
; %bb.2914:
	s_cmp_lt_i32 s2, 2
	s_mov_b64 s[0:1], -1
	s_cbranch_scc1 .LBB46_2924
; %bb.2915:
	s_cmp_lt_i32 s2, 3
	s_cbranch_scc1 .LBB46_2921
; %bb.2916:
	s_cmp_gt_i32 s2, 3
	s_cbranch_scc0 .LBB46_2918
; %bb.2917:
	s_mov_b32 s0, 0
	v_cndmask_b32_e64 v3, 0, 1, s[20:21]
	v_mov_b32_e32 v4, s0
	global_store_dwordx2 v[0:1], v[3:4], off
	s_mov_b64 s[0:1], 0
.LBB46_2918:
	s_andn2_b64 vcc, exec, s[0:1]
	s_cbranch_vccnz .LBB46_2920
; %bb.2919:
	v_cndmask_b32_e64 v3, 0, 1, s[20:21]
	global_store_dword v[0:1], v3, off
.LBB46_2920:
	s_mov_b64 s[0:1], 0
.LBB46_2921:
	s_andn2_b64 vcc, exec, s[0:1]
	s_cbranch_vccnz .LBB46_2923
; %bb.2922:
	v_cndmask_b32_e64 v3, 0, 1, s[20:21]
	global_store_short v[0:1], v3, off
.LBB46_2923:
	s_mov_b64 s[0:1], 0
.LBB46_2924:
	s_andn2_b64 vcc, exec, s[0:1]
	s_cbranch_vccnz .LBB46_2929
; %bb.2925:
	s_mov_b64 s[0:1], -1
	s_cmp_gt_i32 s2, 0
	v_cndmask_b32_e64 v3, 0, 1, s[20:21]
	s_cbranch_scc0 .LBB46_2927
; %bb.2926:
	global_store_byte v[0:1], v3, off
	s_mov_b64 s[0:1], 0
.LBB46_2927:
	s_andn2_b64 vcc, exec, s[0:1]
	s_cbranch_vccnz .LBB46_2929
; %bb.2928:
	global_store_byte v[0:1], v3, off
.LBB46_2929:
	s_mov_b64 s[4:5], -1
.LBB46_2930:
	s_andn2_b64 vcc, exec, s[4:5]
	s_cbranch_vccnz .LBB46_3126
; %bb.2931:
	v_add_u32_e32 v2, s14, v2
	v_ashrrev_i32_e32 v1, 31, v2
	v_mov_b32_e32 v3, s9
	v_add_co_u32_e32 v0, vcc, s8, v2
	s_cmp_lt_i32 s28, 11
	v_addc_co_u32_e32 v1, vcc, v3, v1, vcc
	s_cbranch_scc1 .LBB46_3009
; %bb.2932:
	s_and_b32 s15, 0xffff, s28
	s_mov_b64 s[10:11], -1
	s_mov_b64 s[2:3], 0
	s_cmp_gt_i32 s15, 25
	s_mov_b64 s[4:5], 0
	s_mov_b64 s[0:1], 0
	s_cbranch_scc0 .LBB46_2965
; %bb.2933:
	s_cmp_gt_i32 s15, 28
	s_cbranch_scc0 .LBB46_2948
; %bb.2934:
	s_cmp_gt_i32 s15, 43
	;; [unrolled: 3-line block ×3, first 2 shown]
	s_cbranch_scc0 .LBB46_2938
; %bb.2936:
	s_mov_b64 s[0:1], -1
	s_mov_b64 s[10:11], 0
	s_cmp_eq_u32 s15, 46
	s_cbranch_scc0 .LBB46_2938
; %bb.2937:
	v_cndmask_b32_e64 v3, 0, 1.0, s[22:23]
	v_bfe_u32 v4, v3, 16, 1
	s_movk_i32 s0, 0x7fff
	v_add3_u32 v3, v3, v4, s0
	v_lshrrev_b32_e32 v3, 16, v3
	global_store_dword v[0:1], v3, off
	s_mov_b64 s[0:1], 0
	s_mov_b64 s[4:5], -1
.LBB46_2938:
	s_and_b64 vcc, exec, s[10:11]
	s_cbranch_vccz .LBB46_2943
; %bb.2939:
	s_cmp_eq_u32 s15, 44
	s_mov_b64 s[0:1], -1
	s_cbranch_scc0 .LBB46_2943
; %bb.2940:
	v_cndmask_b32_e64 v4, 0, 1.0, s[22:23]
	v_lshrrev_b32_e32 v3, 23, v4
	s_movk_i32 s0, 0xff
	v_cmp_ne_u32_e32 vcc, s0, v3
	v_mov_b32_e32 v5, 0xff
	s_and_saveexec_b64 s[4:5], vcc
; %bb.2941:
	s_mov_b32 s0, 0x3fffff
	v_and_b32_e32 v5, 0x400000, v4
	v_and_or_b32 v4, v4, s0, v3
	v_cmp_ne_u32_e32 vcc, 0, v5
	v_cmp_ne_u32_e64 s[0:1], 0, v4
	s_and_b64 s[0:1], vcc, s[0:1]
	v_cndmask_b32_e64 v4, 0, 1, s[0:1]
	v_add_u32_e32 v5, v3, v4
; %bb.2942:
	s_or_b64 exec, exec, s[4:5]
	s_mov_b64 s[0:1], 0
	s_mov_b64 s[4:5], -1
	global_store_byte v[0:1], v5, off
.LBB46_2943:
	s_mov_b64 s[10:11], 0
.LBB46_2944:
	s_and_b64 vcc, exec, s[10:11]
	s_cbranch_vccz .LBB46_2947
; %bb.2945:
	s_cmp_eq_u32 s15, 29
	s_mov_b64 s[0:1], -1
	s_cbranch_scc0 .LBB46_2947
; %bb.2946:
	s_mov_b32 s0, 0
	v_cndmask_b32_e64 v3, 0, 1, s[22:23]
	v_mov_b32_e32 v4, s0
	global_store_dwordx2 v[0:1], v[3:4], off
	s_mov_b64 s[0:1], 0
	s_mov_b64 s[4:5], -1
.LBB46_2947:
	s_mov_b64 s[10:11], 0
.LBB46_2948:
	s_and_b64 vcc, exec, s[10:11]
	s_cbranch_vccz .LBB46_2964
; %bb.2949:
	s_cmp_lt_i32 s15, 27
	s_mov_b64 s[4:5], -1
	s_cbranch_scc1 .LBB46_2955
; %bb.2950:
	s_cmp_gt_i32 s15, 27
	s_cbranch_scc0 .LBB46_2952
; %bb.2951:
	v_cndmask_b32_e64 v3, 0, 1, s[22:23]
	s_mov_b64 s[4:5], 0
	global_store_dword v[0:1], v3, off
.LBB46_2952:
	s_andn2_b64 vcc, exec, s[4:5]
	s_cbranch_vccnz .LBB46_2954
; %bb.2953:
	v_cndmask_b32_e64 v3, 0, 1, s[22:23]
	global_store_short v[0:1], v3, off
.LBB46_2954:
	s_mov_b64 s[4:5], 0
.LBB46_2955:
	s_andn2_b64 vcc, exec, s[4:5]
	s_cbranch_vccnz .LBB46_2963
; %bb.2956:
	v_cndmask_b32_e64 v4, 0, 1.0, s[22:23]
	s_mov_b32 s4, 0x43800000
	v_cmp_gt_u32_e32 vcc, s4, v4
	v_mov_b32_e32 v5, 0x80
	s_and_saveexec_b64 s[4:5], vcc
	s_cbranch_execz .LBB46_2962
; %bb.2957:
	s_mov_b32 s10, 0x3bffffff
	v_cmp_lt_u32_e32 vcc, s10, v4
	s_mov_b64 s[10:11], 0
                                        ; implicit-def: $vgpr3
	s_and_saveexec_b64 s[12:13], vcc
	s_xor_b64 s[12:13], exec, s[12:13]
	s_cbranch_execz .LBB46_3139
; %bb.2958:
	v_bfe_u32 v3, v4, 20, 1
	s_mov_b32 s20, 0x487ffff
	v_add3_u32 v3, v4, v3, s20
	s_mov_b64 s[10:11], exec
	v_lshrrev_b32_e32 v3, 20, v3
                                        ; implicit-def: $vgpr4
	s_andn2_saveexec_b64 s[12:13], s[12:13]
	s_cbranch_execnz .LBB46_3140
.LBB46_2959:
	s_or_b64 exec, exec, s[12:13]
	v_mov_b32_e32 v5, 0
	s_and_saveexec_b64 s[12:13], s[10:11]
.LBB46_2960:
	v_mov_b32_e32 v5, v3
.LBB46_2961:
	s_or_b64 exec, exec, s[12:13]
.LBB46_2962:
	s_or_b64 exec, exec, s[4:5]
	global_store_byte v[0:1], v5, off
.LBB46_2963:
	s_mov_b64 s[4:5], -1
.LBB46_2964:
	s_mov_b64 s[10:11], 0
.LBB46_2965:
	s_and_b64 vcc, exec, s[10:11]
	s_cbranch_vccz .LBB46_3005
; %bb.2966:
	s_cmp_gt_i32 s15, 22
	s_mov_b64 s[2:3], -1
	s_cbranch_scc0 .LBB46_2998
; %bb.2967:
	s_cmp_lt_i32 s15, 24
	s_cbranch_scc1 .LBB46_2987
; %bb.2968:
	s_cmp_gt_i32 s15, 24
	s_cbranch_scc0 .LBB46_2976
; %bb.2969:
	v_cndmask_b32_e64 v4, 0, 1.0, s[22:23]
	s_mov_b32 s2, 0x47800000
	v_cmp_gt_u32_e32 vcc, s2, v4
	v_mov_b32_e32 v5, 0x80
	s_and_saveexec_b64 s[2:3], vcc
	s_cbranch_execz .LBB46_2975
; %bb.2970:
	s_mov_b32 s4, 0x37ffffff
	v_cmp_lt_u32_e32 vcc, s4, v4
	s_mov_b64 s[4:5], 0
                                        ; implicit-def: $vgpr3
	s_and_saveexec_b64 s[10:11], vcc
	s_xor_b64 s[10:11], exec, s[10:11]
	s_cbranch_execz .LBB46_3142
; %bb.2971:
	v_bfe_u32 v3, v4, 21, 1
	s_mov_b32 s12, 0x88fffff
	v_add3_u32 v3, v4, v3, s12
	s_mov_b64 s[4:5], exec
	v_lshrrev_b32_e32 v3, 21, v3
                                        ; implicit-def: $vgpr4
	s_andn2_saveexec_b64 s[10:11], s[10:11]
	s_cbranch_execnz .LBB46_3143
.LBB46_2972:
	s_or_b64 exec, exec, s[10:11]
	v_mov_b32_e32 v5, 0
	s_and_saveexec_b64 s[10:11], s[4:5]
.LBB46_2973:
	v_mov_b32_e32 v5, v3
.LBB46_2974:
	s_or_b64 exec, exec, s[10:11]
.LBB46_2975:
	s_or_b64 exec, exec, s[2:3]
	s_mov_b64 s[2:3], 0
	global_store_byte v[0:1], v5, off
.LBB46_2976:
	s_and_b64 vcc, exec, s[2:3]
	s_cbranch_vccz .LBB46_2986
; %bb.2977:
	v_cndmask_b32_e64 v3, 0, 1.0, s[22:23]
	s_mov_b32 s2, 0x43f00000
	v_cmp_gt_u32_e32 vcc, s2, v3
                                        ; implicit-def: $vgpr4
	s_and_saveexec_b64 s[2:3], vcc
	s_xor_b64 s[2:3], exec, s[2:3]
	s_cbranch_execz .LBB46_2983
; %bb.2978:
	s_mov_b32 s4, 0x3c7fffff
	v_cmp_lt_u32_e32 vcc, s4, v3
                                        ; implicit-def: $vgpr4
	s_and_saveexec_b64 s[4:5], vcc
	s_xor_b64 s[4:5], exec, s[4:5]
; %bb.2979:
	v_bfe_u32 v4, v3, 20, 1
	s_mov_b32 s10, 0x407ffff
	v_add3_u32 v3, v3, v4, s10
	v_lshrrev_b32_e32 v4, 20, v3
	v_and_b32_e32 v3, 0xff00000, v3
	s_mov_b32 s10, 0x7f00000
	v_mov_b32_e32 v5, 0x7e
	v_cmp_ne_u32_e32 vcc, s10, v3
	v_cndmask_b32_e32 v4, v5, v4, vcc
                                        ; implicit-def: $vgpr3
; %bb.2980:
	s_andn2_saveexec_b64 s[4:5], s[4:5]
; %bb.2981:
	v_add_f32_e32 v4, 0x46800000, v3
; %bb.2982:
	s_or_b64 exec, exec, s[4:5]
                                        ; implicit-def: $vgpr3
.LBB46_2983:
	s_andn2_saveexec_b64 s[2:3], s[2:3]
; %bb.2984:
	s_mov_b32 s4, 0x7f800000
	v_mov_b32_e32 v4, 0x7e
	v_mov_b32_e32 v5, 0x7f
	v_cmp_lt_u32_e32 vcc, s4, v3
	v_cndmask_b32_e32 v4, v4, v5, vcc
; %bb.2985:
	s_or_b64 exec, exec, s[2:3]
	global_store_byte v[0:1], v4, off
.LBB46_2986:
	s_mov_b64 s[2:3], 0
.LBB46_2987:
	s_andn2_b64 vcc, exec, s[2:3]
	s_cbranch_vccnz .LBB46_2997
; %bb.2988:
	v_cndmask_b32_e64 v3, 0, 1.0, s[22:23]
	s_mov_b32 s2, 0x47800000
	v_cmp_gt_u32_e32 vcc, s2, v3
                                        ; implicit-def: $vgpr4
	s_and_saveexec_b64 s[2:3], vcc
	s_xor_b64 s[2:3], exec, s[2:3]
	s_cbranch_execz .LBB46_2994
; %bb.2989:
	s_mov_b32 s4, 0x387fffff
	v_cmp_lt_u32_e32 vcc, s4, v3
                                        ; implicit-def: $vgpr4
	s_and_saveexec_b64 s[4:5], vcc
	s_xor_b64 s[4:5], exec, s[4:5]
; %bb.2990:
	v_bfe_u32 v4, v3, 21, 1
	s_mov_b32 s10, 0x80fffff
	v_add3_u32 v3, v3, v4, s10
	v_lshrrev_b32_e32 v4, 21, v3
                                        ; implicit-def: $vgpr3
; %bb.2991:
	s_andn2_saveexec_b64 s[4:5], s[4:5]
; %bb.2992:
	v_add_f32_e32 v4, 0x43000000, v3
; %bb.2993:
	s_or_b64 exec, exec, s[4:5]
                                        ; implicit-def: $vgpr3
.LBB46_2994:
	s_andn2_saveexec_b64 s[2:3], s[2:3]
; %bb.2995:
	s_mov_b32 s4, 0x7f800000
	v_mov_b32_e32 v4, 0x7c
	v_mov_b32_e32 v5, 0x7f
	v_cmp_lt_u32_e32 vcc, s4, v3
	v_cndmask_b32_e32 v4, v4, v5, vcc
; %bb.2996:
	s_or_b64 exec, exec, s[2:3]
	global_store_byte v[0:1], v4, off
.LBB46_2997:
	s_mov_b64 s[2:3], 0
	s_mov_b64 s[4:5], -1
.LBB46_2998:
	s_andn2_b64 vcc, exec, s[2:3]
	s_mov_b64 s[2:3], 0
	s_cbranch_vccnz .LBB46_3005
; %bb.2999:
	s_cmp_gt_i32 s15, 14
	s_mov_b64 s[10:11], -1
	s_cbranch_scc0 .LBB46_3003
; %bb.3000:
	s_cmp_eq_u32 s15, 15
	s_mov_b64 s[0:1], -1
	s_cbranch_scc0 .LBB46_3002
; %bb.3001:
	v_cndmask_b32_e64 v3, 0, 1.0, s[22:23]
	v_bfe_u32 v4, v3, 16, 1
	s_movk_i32 s0, 0x7fff
	v_add3_u32 v3, v3, v4, s0
	global_store_short_d16_hi v[0:1], v3, off
	s_mov_b64 s[0:1], 0
	s_mov_b64 s[4:5], -1
.LBB46_3002:
	s_mov_b64 s[10:11], 0
.LBB46_3003:
	s_and_b64 vcc, exec, s[10:11]
	s_cbranch_vccz .LBB46_3005
; %bb.3004:
	s_cmp_lg_u32 s15, 11
	s_mov_b64 s[2:3], -1
	s_cselect_b64 s[0:1], -1, 0
.LBB46_3005:
	s_and_b64 vcc, exec, s[0:1]
	s_cbranch_vccnz .LBB46_3141
; %bb.3006:
	s_andn2_b64 vcc, exec, s[2:3]
	s_cbranch_vccnz .LBB46_3008
.LBB46_3007:
	v_cndmask_b32_e64 v3, 0, 1, s[22:23]
	s_mov_b64 s[4:5], -1
	global_store_byte v[0:1], v3, off
.LBB46_3008:
	s_mov_b64 s[0:1], 0
	s_branch .LBB46_3010
.LBB46_3009:
	s_mov_b64 s[0:1], -1
	s_mov_b64 s[4:5], 0
.LBB46_3010:
	s_and_b64 vcc, exec, s[0:1]
	s_cbranch_vccz .LBB46_3049
; %bb.3011:
	s_and_b32 s2, 0xffff, s28
	s_cmp_lt_i32 s2, 5
	s_mov_b64 s[0:1], -1
	s_cbranch_scc1 .LBB46_3032
; %bb.3012:
	s_cmp_lt_i32 s2, 8
	s_cbranch_scc1 .LBB46_3022
; %bb.3013:
	s_cmp_lt_i32 s2, 9
	s_cbranch_scc1 .LBB46_3019
; %bb.3014:
	s_cmp_gt_i32 s2, 9
	s_cbranch_scc0 .LBB46_3016
; %bb.3015:
	v_cndmask_b32_e64 v3, 0, 1, s[22:23]
	v_cvt_f64_u32_e32 v[3:4], v3
	v_mov_b32_e32 v5, 0
	v_mov_b32_e32 v6, v5
	s_mov_b64 s[0:1], 0
	global_store_dwordx4 v[0:1], v[3:6], off
.LBB46_3016:
	s_andn2_b64 vcc, exec, s[0:1]
	s_cbranch_vccnz .LBB46_3018
; %bb.3017:
	v_cndmask_b32_e64 v3, 0, 1.0, s[22:23]
	v_mov_b32_e32 v4, 0
	global_store_dwordx2 v[0:1], v[3:4], off
.LBB46_3018:
	s_mov_b64 s[0:1], 0
.LBB46_3019:
	s_andn2_b64 vcc, exec, s[0:1]
	s_cbranch_vccnz .LBB46_3021
; %bb.3020:
	v_cndmask_b32_e64 v3, 0, 1.0, s[22:23]
	v_cvt_f16_f32_e32 v3, v3
	global_store_dword v[0:1], v3, off
.LBB46_3021:
	s_mov_b64 s[0:1], 0
.LBB46_3022:
	s_andn2_b64 vcc, exec, s[0:1]
	s_cbranch_vccnz .LBB46_3031
; %bb.3023:
	s_cmp_lt_i32 s2, 6
	s_mov_b64 s[0:1], -1
	s_cbranch_scc1 .LBB46_3029
; %bb.3024:
	s_cmp_gt_i32 s2, 6
	s_cbranch_scc0 .LBB46_3026
; %bb.3025:
	v_cndmask_b32_e64 v3, 0, 1, s[22:23]
	v_cvt_f64_u32_e32 v[3:4], v3
	s_mov_b64 s[0:1], 0
	global_store_dwordx2 v[0:1], v[3:4], off
.LBB46_3026:
	s_andn2_b64 vcc, exec, s[0:1]
	s_cbranch_vccnz .LBB46_3028
; %bb.3027:
	v_cndmask_b32_e64 v3, 0, 1.0, s[22:23]
	global_store_dword v[0:1], v3, off
.LBB46_3028:
	s_mov_b64 s[0:1], 0
.LBB46_3029:
	s_andn2_b64 vcc, exec, s[0:1]
	s_cbranch_vccnz .LBB46_3031
; %bb.3030:
	v_cndmask_b32_e64 v3, 0, 1.0, s[22:23]
	v_cvt_f16_f32_e32 v3, v3
	global_store_short v[0:1], v3, off
.LBB46_3031:
	s_mov_b64 s[0:1], 0
.LBB46_3032:
	s_andn2_b64 vcc, exec, s[0:1]
	s_cbranch_vccnz .LBB46_3048
; %bb.3033:
	s_cmp_lt_i32 s2, 2
	s_mov_b64 s[0:1], -1
	s_cbranch_scc1 .LBB46_3043
; %bb.3034:
	s_cmp_lt_i32 s2, 3
	s_cbranch_scc1 .LBB46_3040
; %bb.3035:
	s_cmp_gt_i32 s2, 3
	s_cbranch_scc0 .LBB46_3037
; %bb.3036:
	s_mov_b32 s0, 0
	v_cndmask_b32_e64 v3, 0, 1, s[22:23]
	v_mov_b32_e32 v4, s0
	global_store_dwordx2 v[0:1], v[3:4], off
	s_mov_b64 s[0:1], 0
.LBB46_3037:
	s_andn2_b64 vcc, exec, s[0:1]
	s_cbranch_vccnz .LBB46_3039
; %bb.3038:
	v_cndmask_b32_e64 v3, 0, 1, s[22:23]
	global_store_dword v[0:1], v3, off
.LBB46_3039:
	s_mov_b64 s[0:1], 0
.LBB46_3040:
	s_andn2_b64 vcc, exec, s[0:1]
	s_cbranch_vccnz .LBB46_3042
; %bb.3041:
	v_cndmask_b32_e64 v3, 0, 1, s[22:23]
	global_store_short v[0:1], v3, off
.LBB46_3042:
	s_mov_b64 s[0:1], 0
.LBB46_3043:
	s_andn2_b64 vcc, exec, s[0:1]
	s_cbranch_vccnz .LBB46_3048
; %bb.3044:
	s_mov_b64 s[0:1], -1
	s_cmp_gt_i32 s2, 0
	v_cndmask_b32_e64 v3, 0, 1, s[22:23]
	s_cbranch_scc0 .LBB46_3046
; %bb.3045:
	global_store_byte v[0:1], v3, off
	s_mov_b64 s[0:1], 0
.LBB46_3046:
	s_andn2_b64 vcc, exec, s[0:1]
	s_cbranch_vccnz .LBB46_3048
; %bb.3047:
	global_store_byte v[0:1], v3, off
.LBB46_3048:
	s_mov_b64 s[4:5], -1
.LBB46_3049:
	s_andn2_b64 vcc, exec, s[4:5]
	s_cbranch_vccnz .LBB46_3126
; %bb.3050:
	v_add_u32_e32 v0, s14, v2
	v_ashrrev_i32_e32 v1, 31, v0
	v_mov_b32_e32 v2, s9
	v_add_co_u32_e32 v0, vcc, s8, v0
	s_cmp_lt_i32 s28, 11
	v_addc_co_u32_e32 v1, vcc, v2, v1, vcc
	s_cbranch_scc1 .LBB46_3127
; %bb.3051:
	s_and_b32 s12, 0xffff, s28
	s_mov_b64 s[4:5], -1
	s_mov_b64 s[2:3], 0
	s_cmp_gt_i32 s12, 25
	s_mov_b64 s[0:1], 0
	s_cbranch_scc0 .LBB46_3084
; %bb.3052:
	s_cmp_gt_i32 s12, 28
	s_cbranch_scc0 .LBB46_3068
; %bb.3053:
	s_cmp_gt_i32 s12, 43
	;; [unrolled: 3-line block ×3, first 2 shown]
	s_cbranch_scc0 .LBB46_3058
; %bb.3055:
	s_cmp_eq_u32 s12, 46
	s_mov_b64 s[0:1], -1
	s_cbranch_scc0 .LBB46_3057
; %bb.3056:
	v_cndmask_b32_e64 v2, 0, 1.0, s[24:25]
	v_bfe_u32 v3, v2, 16, 1
	s_movk_i32 s0, 0x7fff
	v_add3_u32 v2, v2, v3, s0
	v_lshrrev_b32_e32 v2, 16, v2
	global_store_dword v[0:1], v2, off
	s_mov_b64 s[0:1], 0
.LBB46_3057:
	s_mov_b64 s[4:5], 0
.LBB46_3058:
	s_and_b64 vcc, exec, s[4:5]
	s_cbranch_vccz .LBB46_3063
; %bb.3059:
	s_cmp_eq_u32 s12, 44
	s_mov_b64 s[0:1], -1
	s_cbranch_scc0 .LBB46_3063
; %bb.3060:
	v_cndmask_b32_e64 v3, 0, 1.0, s[24:25]
	v_lshrrev_b32_e32 v2, 23, v3
	s_movk_i32 s0, 0xff
	v_cmp_ne_u32_e32 vcc, s0, v2
	v_mov_b32_e32 v4, 0xff
	s_and_saveexec_b64 s[4:5], vcc
; %bb.3061:
	s_mov_b32 s0, 0x3fffff
	v_and_b32_e32 v4, 0x400000, v3
	v_and_or_b32 v3, v3, s0, v2
	v_cmp_ne_u32_e32 vcc, 0, v4
	v_cmp_ne_u32_e64 s[0:1], 0, v3
	s_and_b64 s[0:1], vcc, s[0:1]
	v_cndmask_b32_e64 v3, 0, 1, s[0:1]
	v_add_u32_e32 v4, v2, v3
; %bb.3062:
	s_or_b64 exec, exec, s[4:5]
	s_mov_b64 s[0:1], 0
	global_store_byte v[0:1], v4, off
.LBB46_3063:
	s_mov_b64 s[4:5], 0
.LBB46_3064:
	s_and_b64 vcc, exec, s[4:5]
	s_cbranch_vccz .LBB46_3067
; %bb.3065:
	s_cmp_eq_u32 s12, 29
	s_mov_b64 s[0:1], -1
	s_cbranch_scc0 .LBB46_3067
; %bb.3066:
	s_mov_b32 s0, 0
	v_cndmask_b32_e64 v2, 0, 1, s[24:25]
	v_mov_b32_e32 v3, s0
	global_store_dwordx2 v[0:1], v[2:3], off
	s_mov_b64 s[0:1], 0
.LBB46_3067:
	s_mov_b64 s[4:5], 0
.LBB46_3068:
	s_and_b64 vcc, exec, s[4:5]
	s_cbranch_vccz .LBB46_3083
; %bb.3069:
	s_cmp_lt_i32 s12, 27
	s_mov_b64 s[4:5], -1
	s_cbranch_scc1 .LBB46_3075
; %bb.3070:
	s_cmp_gt_i32 s12, 27
	v_cndmask_b32_e64 v2, 0, 1, s[24:25]
	s_cbranch_scc0 .LBB46_3072
; %bb.3071:
	global_store_dword v[0:1], v2, off
	s_mov_b64 s[4:5], 0
.LBB46_3072:
	s_andn2_b64 vcc, exec, s[4:5]
	s_cbranch_vccnz .LBB46_3074
; %bb.3073:
	global_store_short v[0:1], v2, off
.LBB46_3074:
	s_mov_b64 s[4:5], 0
.LBB46_3075:
	s_andn2_b64 vcc, exec, s[4:5]
	s_cbranch_vccnz .LBB46_3083
; %bb.3076:
	v_cndmask_b32_e64 v3, 0, 1.0, s[24:25]
	s_mov_b32 s4, 0x43800000
	v_cmp_gt_u32_e32 vcc, s4, v3
	v_mov_b32_e32 v4, 0x80
	s_and_saveexec_b64 s[4:5], vcc
	s_cbranch_execz .LBB46_3082
; %bb.3077:
	s_mov_b32 s8, 0x3bffffff
	v_cmp_lt_u32_e32 vcc, s8, v3
	s_mov_b64 s[8:9], 0
                                        ; implicit-def: $vgpr2
	s_and_saveexec_b64 s[10:11], vcc
	s_xor_b64 s[10:11], exec, s[10:11]
	s_cbranch_execz .LBB46_3144
; %bb.3078:
	v_bfe_u32 v2, v3, 20, 1
	s_mov_b32 s13, 0x487ffff
	v_add3_u32 v2, v3, v2, s13
	s_mov_b64 s[8:9], exec
	v_lshrrev_b32_e32 v2, 20, v2
                                        ; implicit-def: $vgpr3
	s_andn2_saveexec_b64 s[10:11], s[10:11]
	s_cbranch_execnz .LBB46_3145
.LBB46_3079:
	s_or_b64 exec, exec, s[10:11]
	v_mov_b32_e32 v4, 0
	s_and_saveexec_b64 s[10:11], s[8:9]
.LBB46_3080:
	v_mov_b32_e32 v4, v2
.LBB46_3081:
	s_or_b64 exec, exec, s[10:11]
.LBB46_3082:
	s_or_b64 exec, exec, s[4:5]
	global_store_byte v[0:1], v4, off
.LBB46_3083:
	s_mov_b64 s[4:5], 0
.LBB46_3084:
	s_and_b64 vcc, exec, s[4:5]
	s_cbranch_vccz .LBB46_3124
; %bb.3085:
	s_cmp_gt_i32 s12, 22
	s_mov_b64 s[2:3], -1
	s_cbranch_scc0 .LBB46_3117
; %bb.3086:
	s_cmp_lt_i32 s12, 24
	s_cbranch_scc1 .LBB46_3106
; %bb.3087:
	s_cmp_gt_i32 s12, 24
	s_cbranch_scc0 .LBB46_3095
; %bb.3088:
	v_cndmask_b32_e64 v3, 0, 1.0, s[24:25]
	s_mov_b32 s2, 0x47800000
	v_cmp_gt_u32_e32 vcc, s2, v3
	v_mov_b32_e32 v4, 0x80
	s_and_saveexec_b64 s[2:3], vcc
	s_cbranch_execz .LBB46_3094
; %bb.3089:
	s_mov_b32 s4, 0x37ffffff
	v_cmp_lt_u32_e32 vcc, s4, v3
	s_mov_b64 s[4:5], 0
                                        ; implicit-def: $vgpr2
	s_and_saveexec_b64 s[8:9], vcc
	s_xor_b64 s[8:9], exec, s[8:9]
	s_cbranch_execz .LBB46_3147
; %bb.3090:
	v_bfe_u32 v2, v3, 21, 1
	s_mov_b32 s10, 0x88fffff
	v_add3_u32 v2, v3, v2, s10
	s_mov_b64 s[4:5], exec
	v_lshrrev_b32_e32 v2, 21, v2
                                        ; implicit-def: $vgpr3
	s_andn2_saveexec_b64 s[8:9], s[8:9]
	s_cbranch_execnz .LBB46_3148
.LBB46_3091:
	s_or_b64 exec, exec, s[8:9]
	v_mov_b32_e32 v4, 0
	s_and_saveexec_b64 s[8:9], s[4:5]
.LBB46_3092:
	v_mov_b32_e32 v4, v2
.LBB46_3093:
	s_or_b64 exec, exec, s[8:9]
.LBB46_3094:
	s_or_b64 exec, exec, s[2:3]
	s_mov_b64 s[2:3], 0
	global_store_byte v[0:1], v4, off
.LBB46_3095:
	s_and_b64 vcc, exec, s[2:3]
	s_cbranch_vccz .LBB46_3105
; %bb.3096:
	v_cndmask_b32_e64 v2, 0, 1.0, s[24:25]
	s_mov_b32 s2, 0x43f00000
	v_cmp_gt_u32_e32 vcc, s2, v2
                                        ; implicit-def: $vgpr3
	s_and_saveexec_b64 s[2:3], vcc
	s_xor_b64 s[2:3], exec, s[2:3]
	s_cbranch_execz .LBB46_3102
; %bb.3097:
	s_mov_b32 s4, 0x3c7fffff
	v_cmp_lt_u32_e32 vcc, s4, v2
                                        ; implicit-def: $vgpr3
	s_and_saveexec_b64 s[4:5], vcc
	s_xor_b64 s[4:5], exec, s[4:5]
; %bb.3098:
	v_bfe_u32 v3, v2, 20, 1
	s_mov_b32 s8, 0x407ffff
	v_add3_u32 v2, v2, v3, s8
	v_lshrrev_b32_e32 v3, 20, v2
	v_and_b32_e32 v2, 0xff00000, v2
	s_mov_b32 s8, 0x7f00000
	v_mov_b32_e32 v4, 0x7e
	v_cmp_ne_u32_e32 vcc, s8, v2
	v_cndmask_b32_e32 v3, v4, v3, vcc
                                        ; implicit-def: $vgpr2
; %bb.3099:
	s_andn2_saveexec_b64 s[4:5], s[4:5]
; %bb.3100:
	v_add_f32_e32 v3, 0x46800000, v2
; %bb.3101:
	s_or_b64 exec, exec, s[4:5]
                                        ; implicit-def: $vgpr2
.LBB46_3102:
	s_andn2_saveexec_b64 s[2:3], s[2:3]
; %bb.3103:
	s_mov_b32 s4, 0x7f800000
	v_mov_b32_e32 v3, 0x7e
	v_mov_b32_e32 v4, 0x7f
	v_cmp_lt_u32_e32 vcc, s4, v2
	v_cndmask_b32_e32 v3, v3, v4, vcc
; %bb.3104:
	s_or_b64 exec, exec, s[2:3]
	global_store_byte v[0:1], v3, off
.LBB46_3105:
	s_mov_b64 s[2:3], 0
.LBB46_3106:
	s_andn2_b64 vcc, exec, s[2:3]
	s_cbranch_vccnz .LBB46_3116
; %bb.3107:
	v_cndmask_b32_e64 v2, 0, 1.0, s[24:25]
	s_mov_b32 s2, 0x47800000
	v_cmp_gt_u32_e32 vcc, s2, v2
                                        ; implicit-def: $vgpr3
	s_and_saveexec_b64 s[2:3], vcc
	s_xor_b64 s[2:3], exec, s[2:3]
	s_cbranch_execz .LBB46_3113
; %bb.3108:
	s_mov_b32 s4, 0x387fffff
	v_cmp_lt_u32_e32 vcc, s4, v2
                                        ; implicit-def: $vgpr3
	s_and_saveexec_b64 s[4:5], vcc
	s_xor_b64 s[4:5], exec, s[4:5]
; %bb.3109:
	v_bfe_u32 v3, v2, 21, 1
	s_mov_b32 s8, 0x80fffff
	v_add3_u32 v2, v2, v3, s8
	v_lshrrev_b32_e32 v3, 21, v2
                                        ; implicit-def: $vgpr2
; %bb.3110:
	s_andn2_saveexec_b64 s[4:5], s[4:5]
; %bb.3111:
	v_add_f32_e32 v3, 0x43000000, v2
; %bb.3112:
	s_or_b64 exec, exec, s[4:5]
                                        ; implicit-def: $vgpr2
.LBB46_3113:
	s_andn2_saveexec_b64 s[2:3], s[2:3]
; %bb.3114:
	s_mov_b32 s4, 0x7f800000
	v_mov_b32_e32 v3, 0x7c
	v_mov_b32_e32 v4, 0x7f
	v_cmp_lt_u32_e32 vcc, s4, v2
	v_cndmask_b32_e32 v3, v3, v4, vcc
; %bb.3115:
	s_or_b64 exec, exec, s[2:3]
	global_store_byte v[0:1], v3, off
.LBB46_3116:
	s_mov_b64 s[2:3], 0
.LBB46_3117:
	s_andn2_b64 vcc, exec, s[2:3]
	s_mov_b64 s[2:3], 0
	s_cbranch_vccnz .LBB46_3124
; %bb.3118:
	s_cmp_gt_i32 s12, 14
	s_mov_b64 s[4:5], -1
	s_cbranch_scc0 .LBB46_3122
; %bb.3119:
	s_cmp_eq_u32 s12, 15
	s_mov_b64 s[0:1], -1
	s_cbranch_scc0 .LBB46_3121
; %bb.3120:
	v_cndmask_b32_e64 v2, 0, 1.0, s[24:25]
	v_bfe_u32 v3, v2, 16, 1
	s_movk_i32 s0, 0x7fff
	v_add3_u32 v2, v2, v3, s0
	global_store_short_d16_hi v[0:1], v2, off
	s_mov_b64 s[0:1], 0
.LBB46_3121:
	s_mov_b64 s[4:5], 0
.LBB46_3122:
	s_and_b64 vcc, exec, s[4:5]
	s_cbranch_vccz .LBB46_3124
; %bb.3123:
	s_cmp_lg_u32 s12, 11
	s_mov_b64 s[2:3], -1
	s_cselect_b64 s[0:1], -1, 0
.LBB46_3124:
	s_and_b64 vcc, exec, s[0:1]
	s_cbranch_vccnz .LBB46_3146
.LBB46_3125:
	s_mov_b64 s[0:1], 0
	s_branch .LBB46_2636
.LBB46_3126:
	s_mov_b64 s[0:1], 0
	s_branch .LBB46_2635
.LBB46_3127:
	s_mov_b64 s[2:3], 0
	s_mov_b64 s[0:1], -1
	s_branch .LBB46_2636
.LBB46_3128:
	s_trap 2
	s_or_b64 s[18:19], s[18:19], exec
	s_cbranch_execz .LBB46_2578
	s_branch .LBB46_2579
.LBB46_3129:
	s_andn2_saveexec_b64 s[26:27], s[26:27]
	s_cbranch_execz .LBB46_2719
.LBB46_3130:
	v_add_f32_e32 v3, 0x46000000, v4
	v_and_b32_e32 v3, 0xff, v3
	v_cmp_ne_u32_e32 vcc, 0, v3
	s_andn2_b64 s[14:15], s[14:15], exec
	s_and_b64 s[30:31], vcc, exec
	s_or_b64 s[14:15], s[14:15], s[30:31]
	s_or_b64 exec, exec, s[26:27]
	v_mov_b32_e32 v5, 0
	s_and_saveexec_b64 s[26:27], s[14:15]
	s_cbranch_execnz .LBB46_2720
	s_branch .LBB46_2721
.LBB46_3131:
	s_trap 2
	s_or_b64 s[18:19], s[18:19], exec
	s_cbranch_execz .LBB46_2767
	s_branch .LBB46_2768
.LBB46_3132:
	s_andn2_saveexec_b64 s[14:15], s[14:15]
	s_cbranch_execz .LBB46_2732
.LBB46_3133:
	v_add_f32_e32 v3, 0x42800000, v4
	v_and_b32_e32 v3, 0xff, v3
	v_cmp_ne_u32_e32 vcc, 0, v3
	s_andn2_b64 s[10:11], s[10:11], exec
	s_and_b64 s[26:27], vcc, exec
	s_or_b64 s[10:11], s[10:11], s[26:27]
	s_or_b64 exec, exec, s[14:15]
	v_mov_b32_e32 v5, 0
	s_and_saveexec_b64 s[14:15], s[10:11]
	s_cbranch_execnz .LBB46_2733
	s_branch .LBB46_2734
.LBB46_3134:
	s_andn2_saveexec_b64 s[12:13], s[12:13]
	s_cbranch_execz .LBB46_2840
.LBB46_3135:
	v_add_f32_e32 v3, 0x46000000, v4
	v_and_b32_e32 v3, 0xff, v3
	v_cmp_ne_u32_e32 vcc, 0, v3
	s_andn2_b64 s[10:11], s[10:11], exec
	s_and_b64 s[26:27], vcc, exec
	s_or_b64 s[10:11], s[10:11], s[26:27]
	s_or_b64 exec, exec, s[12:13]
	v_mov_b32_e32 v5, 0
	s_and_saveexec_b64 s[12:13], s[10:11]
	s_cbranch_execnz .LBB46_2841
	s_branch .LBB46_2842
.LBB46_3136:
	s_trap 2
	s_or_b64 s[18:19], s[18:19], exec
	s_cbranch_execz .LBB46_2888
	s_branch .LBB46_2889
.LBB46_3137:
	s_andn2_saveexec_b64 s[10:11], s[10:11]
	s_cbranch_execz .LBB46_2853
.LBB46_3138:
	v_add_f32_e32 v3, 0x42800000, v4
	v_and_b32_e32 v3, 0xff, v3
	v_cmp_ne_u32_e32 vcc, 0, v3
	s_andn2_b64 s[4:5], s[4:5], exec
	s_and_b64 s[12:13], vcc, exec
	s_or_b64 s[4:5], s[4:5], s[12:13]
	s_or_b64 exec, exec, s[10:11]
	v_mov_b32_e32 v5, 0
	s_and_saveexec_b64 s[10:11], s[4:5]
	s_cbranch_execnz .LBB46_2854
	s_branch .LBB46_2855
.LBB46_3139:
	s_andn2_saveexec_b64 s[12:13], s[12:13]
	s_cbranch_execz .LBB46_2959
.LBB46_3140:
	v_add_f32_e32 v3, 0x46000000, v4
	v_and_b32_e32 v3, 0xff, v3
	v_cmp_ne_u32_e32 vcc, 0, v3
	s_andn2_b64 s[10:11], s[10:11], exec
	s_and_b64 s[20:21], vcc, exec
	s_or_b64 s[10:11], s[10:11], s[20:21]
	s_or_b64 exec, exec, s[12:13]
	v_mov_b32_e32 v5, 0
	s_and_saveexec_b64 s[12:13], s[10:11]
	s_cbranch_execnz .LBB46_2960
	s_branch .LBB46_2961
.LBB46_3141:
	s_trap 2
	s_or_b64 s[18:19], s[18:19], exec
	s_cbranch_execz .LBB46_3007
	s_branch .LBB46_3008
.LBB46_3142:
	s_andn2_saveexec_b64 s[10:11], s[10:11]
	s_cbranch_execz .LBB46_2972
.LBB46_3143:
	v_add_f32_e32 v3, 0x42800000, v4
	v_and_b32_e32 v3, 0xff, v3
	v_cmp_ne_u32_e32 vcc, 0, v3
	s_andn2_b64 s[4:5], s[4:5], exec
	s_and_b64 s[12:13], vcc, exec
	s_or_b64 s[4:5], s[4:5], s[12:13]
	s_or_b64 exec, exec, s[10:11]
	v_mov_b32_e32 v5, 0
	s_and_saveexec_b64 s[10:11], s[4:5]
	s_cbranch_execnz .LBB46_2973
	s_branch .LBB46_2974
.LBB46_3144:
	s_andn2_saveexec_b64 s[10:11], s[10:11]
	s_cbranch_execz .LBB46_3079
.LBB46_3145:
	v_add_f32_e32 v2, 0x46000000, v3
	v_and_b32_e32 v2, 0xff, v2
	v_cmp_ne_u32_e32 vcc, 0, v2
	s_andn2_b64 s[8:9], s[8:9], exec
	s_and_b64 s[14:15], vcc, exec
	s_or_b64 s[8:9], s[8:9], s[14:15]
	s_or_b64 exec, exec, s[10:11]
	v_mov_b32_e32 v4, 0
	s_and_saveexec_b64 s[10:11], s[8:9]
	s_cbranch_execnz .LBB46_3080
	s_branch .LBB46_3081
.LBB46_3146:
	s_mov_b64 s[2:3], 0
	s_or_b64 s[18:19], s[18:19], exec
	s_trap 2
	s_branch .LBB46_3125
.LBB46_3147:
	s_andn2_saveexec_b64 s[8:9], s[8:9]
	s_cbranch_execz .LBB46_3091
.LBB46_3148:
	v_add_f32_e32 v2, 0x42800000, v3
	v_and_b32_e32 v2, 0xff, v2
	v_cmp_ne_u32_e32 vcc, 0, v2
	s_andn2_b64 s[4:5], s[4:5], exec
	s_and_b64 s[10:11], vcc, exec
	s_or_b64 s[4:5], s[4:5], s[10:11]
	s_or_b64 exec, exec, s[8:9]
	v_mov_b32_e32 v4, 0
	s_and_saveexec_b64 s[8:9], s[4:5]
	s_cbranch_execnz .LBB46_3092
	s_branch .LBB46_3093
	.section	.rodata,"a",@progbits
	.p2align	6, 0x0
	.amdhsa_kernel _ZN2at6native32elementwise_kernel_manual_unrollILi128ELi4EZNS0_15gpu_kernel_implINS0_12_GLOBAL__N_114CompareFunctorIiEEEEvRNS_18TensorIteratorBaseERKT_EUlibE_EEviT1_
		.amdhsa_group_segment_fixed_size 0
		.amdhsa_private_segment_fixed_size 0
		.amdhsa_kernarg_size 56
		.amdhsa_user_sgpr_count 6
		.amdhsa_user_sgpr_private_segment_buffer 1
		.amdhsa_user_sgpr_dispatch_ptr 0
		.amdhsa_user_sgpr_queue_ptr 0
		.amdhsa_user_sgpr_kernarg_segment_ptr 1
		.amdhsa_user_sgpr_dispatch_id 0
		.amdhsa_user_sgpr_flat_scratch_init 0
		.amdhsa_user_sgpr_private_segment_size 0
		.amdhsa_uses_dynamic_stack 0
		.amdhsa_system_sgpr_private_segment_wavefront_offset 0
		.amdhsa_system_sgpr_workgroup_id_x 1
		.amdhsa_system_sgpr_workgroup_id_y 0
		.amdhsa_system_sgpr_workgroup_id_z 0
		.amdhsa_system_sgpr_workgroup_info 0
		.amdhsa_system_vgpr_workitem_id 0
		.amdhsa_next_free_vgpr 12
		.amdhsa_next_free_sgpr 57
		.amdhsa_reserve_vcc 1
		.amdhsa_reserve_flat_scratch 0
		.amdhsa_float_round_mode_32 0
		.amdhsa_float_round_mode_16_64 0
		.amdhsa_float_denorm_mode_32 3
		.amdhsa_float_denorm_mode_16_64 3
		.amdhsa_dx10_clamp 1
		.amdhsa_ieee_mode 1
		.amdhsa_fp16_overflow 0
		.amdhsa_exception_fp_ieee_invalid_op 0
		.amdhsa_exception_fp_denorm_src 0
		.amdhsa_exception_fp_ieee_div_zero 0
		.amdhsa_exception_fp_ieee_overflow 0
		.amdhsa_exception_fp_ieee_underflow 0
		.amdhsa_exception_fp_ieee_inexact 0
		.amdhsa_exception_int_div_zero 0
	.end_amdhsa_kernel
	.section	.text._ZN2at6native32elementwise_kernel_manual_unrollILi128ELi4EZNS0_15gpu_kernel_implINS0_12_GLOBAL__N_114CompareFunctorIiEEEEvRNS_18TensorIteratorBaseERKT_EUlibE_EEviT1_,"axG",@progbits,_ZN2at6native32elementwise_kernel_manual_unrollILi128ELi4EZNS0_15gpu_kernel_implINS0_12_GLOBAL__N_114CompareFunctorIiEEEEvRNS_18TensorIteratorBaseERKT_EUlibE_EEviT1_,comdat
.Lfunc_end46:
	.size	_ZN2at6native32elementwise_kernel_manual_unrollILi128ELi4EZNS0_15gpu_kernel_implINS0_12_GLOBAL__N_114CompareFunctorIiEEEEvRNS_18TensorIteratorBaseERKT_EUlibE_EEviT1_, .Lfunc_end46-_ZN2at6native32elementwise_kernel_manual_unrollILi128ELi4EZNS0_15gpu_kernel_implINS0_12_GLOBAL__N_114CompareFunctorIiEEEEvRNS_18TensorIteratorBaseERKT_EUlibE_EEviT1_
                                        ; -- End function
	.set _ZN2at6native32elementwise_kernel_manual_unrollILi128ELi4EZNS0_15gpu_kernel_implINS0_12_GLOBAL__N_114CompareFunctorIiEEEEvRNS_18TensorIteratorBaseERKT_EUlibE_EEviT1_.num_vgpr, 12
	.set _ZN2at6native32elementwise_kernel_manual_unrollILi128ELi4EZNS0_15gpu_kernel_implINS0_12_GLOBAL__N_114CompareFunctorIiEEEEvRNS_18TensorIteratorBaseERKT_EUlibE_EEviT1_.num_agpr, 0
	.set _ZN2at6native32elementwise_kernel_manual_unrollILi128ELi4EZNS0_15gpu_kernel_implINS0_12_GLOBAL__N_114CompareFunctorIiEEEEvRNS_18TensorIteratorBaseERKT_EUlibE_EEviT1_.numbered_sgpr, 57
	.set _ZN2at6native32elementwise_kernel_manual_unrollILi128ELi4EZNS0_15gpu_kernel_implINS0_12_GLOBAL__N_114CompareFunctorIiEEEEvRNS_18TensorIteratorBaseERKT_EUlibE_EEviT1_.num_named_barrier, 0
	.set _ZN2at6native32elementwise_kernel_manual_unrollILi128ELi4EZNS0_15gpu_kernel_implINS0_12_GLOBAL__N_114CompareFunctorIiEEEEvRNS_18TensorIteratorBaseERKT_EUlibE_EEviT1_.private_seg_size, 0
	.set _ZN2at6native32elementwise_kernel_manual_unrollILi128ELi4EZNS0_15gpu_kernel_implINS0_12_GLOBAL__N_114CompareFunctorIiEEEEvRNS_18TensorIteratorBaseERKT_EUlibE_EEviT1_.uses_vcc, 1
	.set _ZN2at6native32elementwise_kernel_manual_unrollILi128ELi4EZNS0_15gpu_kernel_implINS0_12_GLOBAL__N_114CompareFunctorIiEEEEvRNS_18TensorIteratorBaseERKT_EUlibE_EEviT1_.uses_flat_scratch, 0
	.set _ZN2at6native32elementwise_kernel_manual_unrollILi128ELi4EZNS0_15gpu_kernel_implINS0_12_GLOBAL__N_114CompareFunctorIiEEEEvRNS_18TensorIteratorBaseERKT_EUlibE_EEviT1_.has_dyn_sized_stack, 0
	.set _ZN2at6native32elementwise_kernel_manual_unrollILi128ELi4EZNS0_15gpu_kernel_implINS0_12_GLOBAL__N_114CompareFunctorIiEEEEvRNS_18TensorIteratorBaseERKT_EUlibE_EEviT1_.has_recursion, 0
	.set _ZN2at6native32elementwise_kernel_manual_unrollILi128ELi4EZNS0_15gpu_kernel_implINS0_12_GLOBAL__N_114CompareFunctorIiEEEEvRNS_18TensorIteratorBaseERKT_EUlibE_EEviT1_.has_indirect_call, 0
	.section	.AMDGPU.csdata,"",@progbits
; Kernel info:
; codeLenInByte = 44996
; TotalNumSgprs: 61
; NumVgprs: 12
; ScratchSize: 0
; MemoryBound: 1
; FloatMode: 240
; IeeeMode: 1
; LDSByteSize: 0 bytes/workgroup (compile time only)
; SGPRBlocks: 7
; VGPRBlocks: 2
; NumSGPRsForWavesPerEU: 61
; NumVGPRsForWavesPerEU: 12
; Occupancy: 10
; WaveLimiterHint : 0
; COMPUTE_PGM_RSRC2:SCRATCH_EN: 0
; COMPUTE_PGM_RSRC2:USER_SGPR: 6
; COMPUTE_PGM_RSRC2:TRAP_HANDLER: 0
; COMPUTE_PGM_RSRC2:TGID_X_EN: 1
; COMPUTE_PGM_RSRC2:TGID_Y_EN: 0
; COMPUTE_PGM_RSRC2:TGID_Z_EN: 0
; COMPUTE_PGM_RSRC2:TIDIG_COMP_CNT: 0
	.section	.text._ZN2at6native32elementwise_kernel_manual_unrollILi128ELi4EZNS0_15gpu_kernel_implINS0_12_GLOBAL__N_114CompareFunctorIiEEEEvRNS_18TensorIteratorBaseERKT_EUlibE0_EEviT1_,"axG",@progbits,_ZN2at6native32elementwise_kernel_manual_unrollILi128ELi4EZNS0_15gpu_kernel_implINS0_12_GLOBAL__N_114CompareFunctorIiEEEEvRNS_18TensorIteratorBaseERKT_EUlibE0_EEviT1_,comdat
	.globl	_ZN2at6native32elementwise_kernel_manual_unrollILi128ELi4EZNS0_15gpu_kernel_implINS0_12_GLOBAL__N_114CompareFunctorIiEEEEvRNS_18TensorIteratorBaseERKT_EUlibE0_EEviT1_ ; -- Begin function _ZN2at6native32elementwise_kernel_manual_unrollILi128ELi4EZNS0_15gpu_kernel_implINS0_12_GLOBAL__N_114CompareFunctorIiEEEEvRNS_18TensorIteratorBaseERKT_EUlibE0_EEviT1_
	.p2align	8
	.type	_ZN2at6native32elementwise_kernel_manual_unrollILi128ELi4EZNS0_15gpu_kernel_implINS0_12_GLOBAL__N_114CompareFunctorIiEEEEvRNS_18TensorIteratorBaseERKT_EUlibE0_EEviT1_,@function
_ZN2at6native32elementwise_kernel_manual_unrollILi128ELi4EZNS0_15gpu_kernel_implINS0_12_GLOBAL__N_114CompareFunctorIiEEEEvRNS_18TensorIteratorBaseERKT_EUlibE0_EEviT1_: ; @_ZN2at6native32elementwise_kernel_manual_unrollILi128ELi4EZNS0_15gpu_kernel_implINS0_12_GLOBAL__N_114CompareFunctorIiEEEEvRNS_18TensorIteratorBaseERKT_EUlibE0_EEviT1_
; %bb.0:
	s_load_dword s68, s[4:5], 0x0
	s_load_dword s33, s[4:5], 0x8
	s_add_u32 s2, s4, 8
	s_addc_u32 s3, s5, 0
	v_lshl_or_b32 v8, s6, 9, v0
	v_or_b32_e32 v23, 0x180, v8
	s_waitcnt lgkmcnt(0)
	s_add_i32 s70, s33, -1
	s_cmp_gt_u32 s70, 1
	v_cmp_le_i32_e32 vcc, s68, v23
	s_cselect_b64 s[24:25], -1, 0
	s_mov_b64 s[6:7], 0
	s_mov_b64 s[12:13], 0
	s_and_saveexec_b64 s[0:1], vcc
	s_xor_b64 s[26:27], exec, s[0:1]
	s_cbranch_execz .LBB47_1623
; %bb.1:
	s_cmp_lg_u32 s33, 0
	s_load_dwordx4 s[16:19], s[2:3], 0x4
	s_load_dwordx2 s[30:31], s[2:3], 0x14
	s_load_dwordx8 s[8:15], s[2:3], 0x188
	s_load_dwordx4 s[20:23], s[2:3], 0xc4
	s_load_dwordx2 s[28:29], s[2:3], 0xd4
	s_cselect_b64 s[36:37], -1, 0
	s_min_u32 s73, s70, 15
	s_cmp_gt_u32 s33, 1
	s_cselect_b64 s[34:35], -1, 0
	s_waitcnt lgkmcnt(0)
	s_lshr_b32 s72, s15, 8
	s_lshr_b32 s71, s15, 16
	v_cmp_gt_i32_e32 vcc, s68, v8
	s_mov_b64 s[0:1], -1
	s_mov_b64 s[48:49], 0
	s_mov_b64 s[42:43], 0
	;; [unrolled: 1-line block ×4, first 2 shown]
	s_and_saveexec_b64 s[44:45], vcc
	s_cbranch_execz .LBB47_402
; %bb.2:
	s_andn2_b64 vcc, exec, s[24:25]
	s_cbranch_vccnz .LBB47_8
; %bb.3:
	s_andn2_b64 vcc, exec, s[36:37]
	s_cbranch_vccnz .LBB47_9
; %bb.4:
	s_add_i32 s0, s73, 1
	s_and_b32 s38, s0, 30
	s_add_u32 s0, s2, 0xffffffe8
	s_addc_u32 s1, s3, -1
	v_mov_b32_e32 v2, 0
	v_mov_b32_e32 v4, 0
	;; [unrolled: 1-line block ×4, first 2 shown]
.LBB47_5:                               ; =>This Inner Loop Header: Depth=1
	s_load_dwordx4 s[40:43], s[0:1], 0x1c
	s_load_dwordx2 s[46:47], s[0:1], 0x2c
	s_load_dwordx2 s[50:51], s[0:1], 0xec
	s_load_dwordx4 s[52:55], s[0:1], 0xdc
	s_add_u32 s0, s0, 24
	s_waitcnt lgkmcnt(0)
	v_mul_hi_u32 v3, s41, v1
	s_addc_u32 s1, s1, 0
	s_add_i32 s38, s38, -2
	s_cmp_lg_u32 s38, 0
	v_add_u32_e32 v3, v1, v3
	v_lshrrev_b32_e32 v3, s42, v3
	v_mul_lo_u32 v5, v3, s40
	v_mul_hi_u32 v6, s46, v3
	v_sub_u32_e32 v5, v1, v5
	v_add_u32_e32 v1, v3, v6
	v_lshrrev_b32_e32 v1, s47, v1
	v_mul_lo_u32 v9, v1, s43
	v_mul_lo_u32 v6, v5, s52
	;; [unrolled: 1-line block ×4, first 2 shown]
	v_sub_u32_e32 v3, v3, v9
	v_mul_lo_u32 v9, v3, s55
	v_mul_lo_u32 v10, v3, s50
	;; [unrolled: 1-line block ×3, first 2 shown]
	v_add3_u32 v0, v6, v0, v9
	v_add3_u32 v4, v7, v4, v10
	;; [unrolled: 1-line block ×3, first 2 shown]
	s_cbranch_scc1 .LBB47_5
; %bb.6:
	s_bitcmp1_b32 s73, 0
	s_cselect_b64 s[38:39], -1, 0
	s_and_b64 vcc, exec, s[38:39]
	s_cbranch_vccnz .LBB47_10
; %bb.7:
	s_load_dwordx2 s[38:39], s[0:1], 0x1c
	s_load_dword s42, s[0:1], 0x24
	s_load_dwordx2 s[40:41], s[0:1], 0xdc
	s_waitcnt lgkmcnt(0)
	v_mul_hi_u32 v3, s39, v1
	v_add_u32_e32 v3, v1, v3
	v_lshrrev_b32_e32 v3, s42, v3
	v_mul_lo_u32 v3, v3, s38
	s_load_dword s38, s[0:1], 0xe4
	v_sub_u32_e32 v3, v1, v3
	v_mad_u64_u32 v[0:1], s[0:1], v3, s40, v[0:1]
	v_mad_u64_u32 v[4:5], s[0:1], v3, s41, v[4:5]
	s_waitcnt lgkmcnt(0)
	v_mad_u64_u32 v[2:3], s[0:1], v3, s38, v[2:3]
	s_cbranch_execz .LBB47_11
	s_branch .LBB47_13
.LBB47_8:
                                        ; implicit-def: $vgpr0
                                        ; implicit-def: $vgpr4
                                        ; implicit-def: $vgpr2
	s_andn2_b64 vcc, exec, s[0:1]
	s_cbranch_vccz .LBB47_11
	s_branch .LBB47_13
.LBB47_9:
	v_mov_b32_e32 v0, 0
	v_mov_b32_e32 v4, 0
	;; [unrolled: 1-line block ×3, first 2 shown]
.LBB47_10:
	s_cbranch_execnz .LBB47_13
.LBB47_11:
	v_mul_hi_u32 v0, s17, v8
	s_andn2_b64 vcc, exec, s[34:35]
	v_add_u32_e32 v0, v8, v0
	v_lshrrev_b32_e32 v1, s18, v0
	v_mul_lo_u32 v0, v1, s16
	v_sub_u32_e32 v2, v8, v0
	v_mul_lo_u32 v0, v2, s20
	v_mul_lo_u32 v4, v2, s21
	;; [unrolled: 1-line block ×3, first 2 shown]
	s_cbranch_vccnz .LBB47_13
; %bb.12:
	v_mul_hi_u32 v3, s30, v1
	v_add_u32_e32 v3, v1, v3
	v_lshrrev_b32_e32 v3, s31, v3
	v_mul_lo_u32 v3, v3, s19
	v_sub_u32_e32 v3, v1, v3
	v_mad_u64_u32 v[0:1], s[0:1], v3, s23, v[0:1]
	v_mad_u64_u32 v[4:5], s[0:1], v3, s28, v[4:5]
	;; [unrolled: 1-line block ×3, first 2 shown]
.LBB47_13:
	v_mov_b32_e32 v1, s11
	s_and_b32 s40, s72, 0xff
	v_add_co_u32_e32 v3, vcc, s10, v4
	s_cmp_lt_i32 s40, 11
	v_addc_co_u32_e32 v4, vcc, 0, v1, vcc
	s_cbranch_scc1 .LBB47_20
; %bb.14:
	s_and_b32 s41, 0xffff, s40
	s_cmp_gt_i32 s41, 25
	s_cbranch_scc0 .LBB47_29
; %bb.15:
	s_cmp_gt_i32 s41, 28
	s_cbranch_scc0 .LBB47_36
; %bb.16:
	;; [unrolled: 3-line block ×4, first 2 shown]
	s_cmp_eq_u32 s41, 46
	s_mov_b64 s[38:39], 0
	s_cbranch_scc0 .LBB47_64
; %bb.19:
	global_load_dword v1, v[3:4], off
	s_mov_b64 s[0:1], -1
	s_mov_b64 s[42:43], 0
	s_waitcnt vmcnt(0)
	v_lshlrev_b32_e32 v1, 16, v1
	v_cvt_i32_f32_e32 v5, v1
	s_branch .LBB47_66
.LBB47_20:
	s_mov_b64 s[42:43], 0
                                        ; implicit-def: $vgpr5
	s_mov_b64 s[0:1], 0
	s_cbranch_execnz .LBB47_128
.LBB47_21:
	s_andn2_b64 vcc, exec, s[0:1]
	s_cbranch_vccnz .LBB47_175
.LBB47_22:
	v_mov_b32_e32 v3, s13
	s_and_b32 s46, s71, 0xff
	v_add_co_u32_e32 v1, vcc, s12, v2
	s_cmp_lt_i32 s46, 11
	v_addc_co_u32_e32 v2, vcc, 0, v3, vcc
	s_cbranch_scc1 .LBB47_30
; %bb.23:
	s_and_b32 s47, 0xffff, s46
	s_cmp_gt_i32 s47, 25
	s_cbranch_scc0 .LBB47_37
; %bb.24:
	s_cmp_gt_i32 s47, 28
	s_cbranch_scc0 .LBB47_42
; %bb.25:
	;; [unrolled: 3-line block ×4, first 2 shown]
	s_cmp_eq_u32 s47, 46
	s_mov_b64 s[38:39], 0
	s_cbranch_scc0 .LBB47_176
; %bb.28:
	global_load_dword v3, v[1:2], off
	s_mov_b64 s[0:1], -1
	s_mov_b64 s[40:41], 0
	s_waitcnt vmcnt(0)
	v_lshlrev_b32_e32 v3, 16, v3
	v_cvt_i32_f32_e32 v3, v3
	s_branch .LBB47_178
.LBB47_29:
	s_mov_b64 s[42:43], 0
	s_mov_b64 s[0:1], 0
                                        ; implicit-def: $vgpr5
	s_cbranch_execnz .LBB47_95
	s_branch .LBB47_127
.LBB47_30:
	s_mov_b64 s[40:41], 0
                                        ; implicit-def: $vgpr3
	s_mov_b64 s[0:1], 0
	s_cbranch_execnz .LBB47_351
.LBB47_31:
	s_andn2_b64 vcc, exec, s[0:1]
	s_cbranch_vccnz .LBB47_399
.LBB47_32:
	s_cmp_lt_i32 s14, 1
	s_mov_b64 s[0:1], 0
	s_cbranch_scc1 .LBB47_38
; %bb.33:
	s_cmp_gt_i32 s14, 1
	s_cbranch_scc0 .LBB47_43
; %bb.34:
	s_cmp_eq_u32 s14, 2
	s_cbranch_scc0 .LBB47_46
; %bb.35:
	s_waitcnt vmcnt(0)
	v_cmp_le_i32_e64 s[38:39], v5, v3
	s_mov_b64 s[46:47], 0
	s_branch .LBB47_47
.LBB47_36:
	s_mov_b64 s[38:39], -1
	s_mov_b64 s[42:43], 0
	s_mov_b64 s[0:1], 0
                                        ; implicit-def: $vgpr5
	s_branch .LBB47_78
.LBB47_37:
	s_mov_b64 s[38:39], -1
	s_mov_b64 s[40:41], 0
	s_mov_b64 s[0:1], 0
                                        ; implicit-def: $vgpr3
	s_branch .LBB47_317
.LBB47_38:
                                        ; implicit-def: $sgpr38_sgpr39
	s_mov_b64 s[46:47], 0
	s_cbranch_execnz .LBB47_51
.LBB47_39:
	s_andn2_b64 vcc, exec, s[46:47]
	s_cbranch_vccnz .LBB47_52
.LBB47_40:
	s_waitcnt vmcnt(0)
	v_cmp_lt_i32_e32 vcc, v5, v3
	s_andn2_b64 s[38:39], s[38:39], exec
	s_and_b64 s[46:47], vcc, exec
	s_or_b64 s[38:39], s[38:39], s[46:47]
	s_cbranch_execz .LBB47_53
	s_branch .LBB47_54
.LBB47_41:
	s_mov_b64 s[38:39], -1
	s_mov_b64 s[42:43], 0
	s_mov_b64 s[0:1], 0
                                        ; implicit-def: $vgpr5
	s_branch .LBB47_73
.LBB47_42:
	s_mov_b64 s[38:39], -1
	s_mov_b64 s[40:41], 0
	s_mov_b64 s[0:1], 0
                                        ; implicit-def: $vgpr3
	s_branch .LBB47_300
.LBB47_43:
	s_mov_b64 s[50:51], -1
	s_mov_b64 s[46:47], 0
                                        ; implicit-def: $sgpr38_sgpr39
	s_branch .LBB47_48
.LBB47_44:
	s_mov_b64 s[38:39], -1
	s_mov_b64 s[42:43], 0
	s_branch .LBB47_65
.LBB47_45:
	s_mov_b64 s[38:39], -1
	s_mov_b64 s[40:41], 0
	s_mov_b64 s[0:1], 0
                                        ; implicit-def: $vgpr3
	s_branch .LBB47_295
.LBB47_46:
	s_mov_b64 s[46:47], -1
                                        ; implicit-def: $sgpr38_sgpr39
.LBB47_47:
	s_mov_b64 s[50:51], 0
.LBB47_48:
	s_and_b64 vcc, exec, s[50:51]
	s_cbranch_vccz .LBB47_50
; %bb.49:
	s_waitcnt vmcnt(0)
	v_cmp_gt_i32_e32 vcc, v5, v3
	s_andn2_b64 s[38:39], s[38:39], exec
	s_and_b64 s[50:51], vcc, exec
	s_or_b64 s[38:39], s[38:39], s[50:51]
.LBB47_50:
	s_branch .LBB47_39
.LBB47_51:
	s_cmp_lg_u32 s14, 0
	s_mov_b64 s[0:1], -1
	s_cselect_b64 s[46:47], -1, 0
	s_andn2_b64 vcc, exec, s[46:47]
	s_cbranch_vccz .LBB47_40
.LBB47_52:
	s_andn2_b64 vcc, exec, s[0:1]
	s_cbranch_vccnz .LBB47_54
.LBB47_53:
	s_waitcnt vmcnt(0)
	v_cmp_ge_i32_e32 vcc, v5, v3
	s_andn2_b64 s[0:1], s[38:39], exec
	s_and_b64 s[38:39], vcc, exec
	s_or_b64 s[38:39], s[0:1], s[38:39]
.LBB47_54:
	v_mov_b32_e32 v1, s9
	s_and_b32 s54, s15, 0xff
	v_add_co_u32_e32 v0, vcc, s8, v0
	s_cmp_lt_i32 s54, 11
	v_addc_co_u32_e32 v1, vcc, 0, v1, vcc
	s_cbranch_scc1 .LBB47_61
; %bb.55:
	s_and_b32 s55, 0xffff, s54
	s_cmp_gt_i32 s55, 25
	s_cbranch_scc0 .LBB47_62
; %bb.56:
	s_cmp_gt_i32 s55, 28
	s_cbranch_scc0 .LBB47_63
; %bb.57:
	;; [unrolled: 3-line block ×4, first 2 shown]
	s_mov_b64 s[50:51], 0
	s_mov_b64 s[0:1], -1
	s_cmp_eq_u32 s55, 46
	s_mov_b64 s[46:47], 0
	s_cbranch_scc0 .LBB47_182
; %bb.60:
	v_cndmask_b32_e64 v2, 0, 1.0, s[38:39]
	s_waitcnt vmcnt(0)
	v_bfe_u32 v3, v2, 16, 1
	s_movk_i32 s0, 0x7fff
	v_add3_u32 v2, v2, v3, s0
	v_lshrrev_b32_e32 v2, 16, v2
	global_store_dword v[0:1], v2, off
	s_mov_b64 s[46:47], -1
	s_mov_b64 s[0:1], 0
	s_branch .LBB47_182
.LBB47_61:
	s_mov_b64 s[50:51], -1
	s_mov_b64 s[0:1], 0
	s_mov_b64 s[46:47], 0
	s_branch .LBB47_251
.LBB47_62:
	s_mov_b64 s[50:51], -1
	s_mov_b64 s[0:1], 0
	s_mov_b64 s[46:47], 0
	s_branch .LBB47_209
.LBB47_63:
	s_mov_b64 s[50:51], -1
	s_mov_b64 s[0:1], 0
	s_mov_b64 s[46:47], 0
	s_branch .LBB47_192
.LBB47_64:
	s_mov_b64 s[42:43], -1
.LBB47_65:
	s_mov_b64 s[0:1], 0
                                        ; implicit-def: $vgpr5
.LBB47_66:
	s_and_b64 vcc, exec, s[38:39]
	s_cbranch_vccz .LBB47_72
; %bb.67:
	s_cmp_eq_u32 s41, 44
	s_cbranch_scc0 .LBB47_71
; %bb.68:
	global_load_ubyte v1, v[3:4], off
	s_mov_b64 s[0:1], -1
	s_mov_b64 s[42:43], 0
	s_waitcnt vmcnt(0)
	v_lshlrev_b32_e32 v5, 23, v1
	v_cvt_i32_f32_e32 v5, v5
	v_cmp_ne_u32_e32 vcc, 0, v1
	v_cndmask_b32_e32 v5, 0, v5, vcc
	s_branch .LBB47_72
.LBB47_69:
	s_mov_b64 s[38:39], -1
	s_mov_b64 s[40:41], 0
	s_branch .LBB47_177
.LBB47_70:
	s_mov_b64 s[50:51], -1
	s_mov_b64 s[0:1], 0
	s_mov_b64 s[46:47], 0
	s_branch .LBB47_188
.LBB47_71:
	s_mov_b64 s[42:43], -1
                                        ; implicit-def: $vgpr5
.LBB47_72:
	s_mov_b64 s[38:39], 0
.LBB47_73:
	s_and_b64 vcc, exec, s[38:39]
	s_cbranch_vccz .LBB47_77
; %bb.74:
	s_cmp_eq_u32 s41, 29
	s_cbranch_scc0 .LBB47_76
; %bb.75:
	global_load_dword v5, v[3:4], off
	s_mov_b64 s[0:1], -1
	s_mov_b64 s[42:43], 0
	s_branch .LBB47_77
.LBB47_76:
	s_mov_b64 s[42:43], -1
                                        ; implicit-def: $vgpr5
.LBB47_77:
	s_mov_b64 s[38:39], 0
.LBB47_78:
	s_and_b64 vcc, exec, s[38:39]
	s_cbranch_vccz .LBB47_94
; %bb.79:
	s_cmp_lt_i32 s41, 27
	s_cbranch_scc1 .LBB47_82
; %bb.80:
	s_cmp_gt_i32 s41, 27
	s_cbranch_scc0 .LBB47_83
; %bb.81:
	global_load_dword v5, v[3:4], off
	s_mov_b64 s[0:1], 0
	s_branch .LBB47_84
.LBB47_82:
	s_mov_b64 s[0:1], -1
                                        ; implicit-def: $vgpr5
	s_branch .LBB47_87
.LBB47_83:
	s_mov_b64 s[0:1], -1
                                        ; implicit-def: $vgpr5
.LBB47_84:
	s_andn2_b64 vcc, exec, s[0:1]
	s_cbranch_vccnz .LBB47_86
; %bb.85:
	global_load_ushort v5, v[3:4], off
.LBB47_86:
	s_mov_b64 s[0:1], 0
.LBB47_87:
	s_andn2_b64 vcc, exec, s[0:1]
	s_cbranch_vccnz .LBB47_93
; %bb.88:
	global_load_ubyte v1, v[3:4], off
	s_movk_i32 s0, 0x7f
	s_mov_b64 s[38:39], 0
	s_waitcnt vmcnt(0)
	v_cmp_lt_i16_e32 vcc, s0, v1
	s_and_saveexec_b64 s[0:1], vcc
	s_xor_b64 s[0:1], exec, s[0:1]
	s_cbranch_execz .LBB47_104
; %bb.89:
	s_movk_i32 s38, 0x80
	v_cmp_ne_u16_e32 vcc, s38, v1
	s_and_b64 s[38:39], vcc, exec
	s_andn2_saveexec_b64 s[0:1], s[0:1]
	s_cbranch_execnz .LBB47_105
.LBB47_90:
	s_or_b64 exec, exec, s[0:1]
	v_mov_b32_e32 v5, 0
	s_and_saveexec_b64 s[0:1], s[38:39]
	s_cbranch_execz .LBB47_92
.LBB47_91:
	v_lshlrev_b32_e32 v5, 24, v1
	v_and_b32_e32 v1, 0xffff, v1
	v_and_b32_e32 v6, 7, v1
	v_ffbh_u32_e32 v9, v6
	v_min_u32_e32 v9, 32, v9
	v_subrev_u32_e32 v10, 28, v9
	v_bfe_u32 v7, v1, 3, 4
	v_lshlrev_b32_e32 v1, v10, v1
	v_sub_u32_e32 v9, 29, v9
	v_and_b32_e32 v1, 7, v1
	v_cmp_eq_u32_e32 vcc, 0, v7
	v_cndmask_b32_e32 v7, v7, v9, vcc
	v_cndmask_b32_e32 v1, v6, v1, vcc
	v_mov_b32_e32 v6, 0x3b800000
	v_lshlrev_b32_e32 v1, 20, v1
	v_and_b32_e32 v5, 0x80000000, v5
	v_lshl_add_u32 v6, v7, 23, v6
	v_or3_b32 v1, v5, v6, v1
	v_cvt_i32_f32_e32 v5, v1
.LBB47_92:
	s_or_b64 exec, exec, s[0:1]
.LBB47_93:
	s_mov_b64 s[0:1], -1
.LBB47_94:
	s_branch .LBB47_127
.LBB47_95:
	s_cmp_gt_i32 s41, 22
	s_cbranch_scc0 .LBB47_103
; %bb.96:
	s_cmp_lt_i32 s41, 24
	s_cbranch_scc1 .LBB47_106
; %bb.97:
	s_cmp_gt_i32 s41, 24
	s_cbranch_scc0 .LBB47_107
; %bb.98:
	global_load_ubyte v1, v[3:4], off
	s_movk_i32 s0, 0x7f
	s_mov_b64 s[38:39], 0
	s_waitcnt vmcnt(0)
	v_cmp_lt_i16_e32 vcc, s0, v1
	s_and_saveexec_b64 s[0:1], vcc
	s_xor_b64 s[0:1], exec, s[0:1]
	s_cbranch_execz .LBB47_119
; %bb.99:
	s_movk_i32 s38, 0x80
	v_cmp_ne_u16_e32 vcc, s38, v1
	s_and_b64 s[38:39], vcc, exec
	s_andn2_saveexec_b64 s[0:1], s[0:1]
	s_cbranch_execnz .LBB47_120
.LBB47_100:
	s_or_b64 exec, exec, s[0:1]
	v_mov_b32_e32 v5, 0
	s_and_saveexec_b64 s[0:1], s[38:39]
	s_cbranch_execz .LBB47_102
.LBB47_101:
	v_lshlrev_b32_e32 v5, 24, v1
	v_and_b32_e32 v1, 0xffff, v1
	v_and_b32_e32 v6, 3, v1
	v_ffbh_u32_e32 v9, v6
	v_min_u32_e32 v9, 32, v9
	v_subrev_u32_e32 v10, 29, v9
	v_bfe_u32 v7, v1, 2, 5
	v_lshlrev_b32_e32 v1, v10, v1
	v_sub_u32_e32 v9, 30, v9
	v_and_b32_e32 v1, 3, v1
	v_cmp_eq_u32_e32 vcc, 0, v7
	v_cndmask_b32_e32 v7, v7, v9, vcc
	v_cndmask_b32_e32 v1, v6, v1, vcc
	v_mov_b32_e32 v6, 0x37800000
	v_lshlrev_b32_e32 v1, 21, v1
	v_and_b32_e32 v5, 0x80000000, v5
	v_lshl_add_u32 v6, v7, 23, v6
	v_or3_b32 v1, v5, v6, v1
	v_cvt_i32_f32_e32 v5, v1
.LBB47_102:
	s_or_b64 exec, exec, s[0:1]
	s_mov_b64 s[0:1], 0
	s_branch .LBB47_108
.LBB47_103:
	s_mov_b64 s[38:39], -1
                                        ; implicit-def: $vgpr5
	s_branch .LBB47_114
.LBB47_104:
	s_andn2_saveexec_b64 s[0:1], s[0:1]
	s_cbranch_execz .LBB47_90
.LBB47_105:
	v_cmp_ne_u16_e32 vcc, 0, v1
	s_andn2_b64 s[38:39], s[38:39], exec
	s_and_b64 s[46:47], vcc, exec
	s_or_b64 s[38:39], s[38:39], s[46:47]
	s_or_b64 exec, exec, s[0:1]
	v_mov_b32_e32 v5, 0
	s_and_saveexec_b64 s[0:1], s[38:39]
	s_cbranch_execnz .LBB47_91
	s_branch .LBB47_92
.LBB47_106:
	s_mov_b64 s[0:1], -1
                                        ; implicit-def: $vgpr5
	s_branch .LBB47_111
.LBB47_107:
	s_mov_b64 s[0:1], -1
                                        ; implicit-def: $vgpr5
.LBB47_108:
	s_and_b64 vcc, exec, s[0:1]
	s_cbranch_vccz .LBB47_110
; %bb.109:
	global_load_ubyte v1, v[3:4], off
	s_mov_b32 s0, 0x7f800000
	s_waitcnt vmcnt(0)
	v_lshlrev_b32_e32 v1, 24, v1
	v_and_b32_e32 v5, 0x7f000000, v1
	v_ffbh_u32_e32 v6, v5
	v_min_u32_e32 v6, 32, v6
	v_sub_u32_e64 v6, v6, 4 clamp
	v_lshlrev_b32_e32 v9, v6, v5
	v_lshlrev_b32_e32 v6, 23, v6
	v_lshrrev_b32_e32 v9, 4, v9
	v_add_u32_e32 v7, 0x1000000, v5
	v_sub_u32_e32 v6, v9, v6
	v_ashrrev_i32_e32 v7, 8, v7
	v_add_u32_e32 v6, 0x3c000000, v6
	v_and_or_b32 v6, v7, s0, v6
	v_cmp_ne_u32_e32 vcc, 0, v5
	v_cndmask_b32_e32 v5, 0, v6, vcc
	s_brev_b32 s0, 1
	v_and_or_b32 v1, v1, s0, v5
	v_cvt_i32_f32_e32 v5, v1
.LBB47_110:
	s_mov_b64 s[0:1], 0
.LBB47_111:
	s_andn2_b64 vcc, exec, s[0:1]
	s_cbranch_vccnz .LBB47_113
; %bb.112:
	global_load_ubyte v1, v[3:4], off
	s_movk_i32 s0, 0x7f00
	s_brev_b32 s1, 16
	s_waitcnt vmcnt(0)
	v_lshlrev_b16_e32 v5, 8, v1
	v_lshlrev_b32_e32 v1, 25, v1
	v_lshrrev_b32_e32 v6, 4, v1
	v_and_or_b32 v7, v5, s0, 0.5
	v_or_b32_e32 v6, 0x70000000, v6
	v_add_f32_e32 v7, -0.5, v7
	v_mul_f32_e32 v6, 0x7800000, v6
	v_cmp_gt_u32_e32 vcc, s1, v1
	v_bfe_i32 v5, v5, 0, 16
	v_cndmask_b32_e32 v1, v6, v7, vcc
	s_brev_b32 s0, 1
	v_and_or_b32 v1, v5, s0, v1
	v_cvt_i32_f32_e32 v5, v1
.LBB47_113:
	s_mov_b64 s[38:39], 0
	s_mov_b64 s[0:1], -1
.LBB47_114:
	s_andn2_b64 vcc, exec, s[38:39]
	s_cbranch_vccnz .LBB47_127
; %bb.115:
	s_cmp_gt_i32 s41, 14
	s_cbranch_scc0 .LBB47_118
; %bb.116:
	s_cmp_eq_u32 s41, 15
	s_cbranch_scc0 .LBB47_121
; %bb.117:
	global_load_ushort v1, v[3:4], off
	s_mov_b64 s[0:1], -1
	s_mov_b64 s[42:43], 0
	s_waitcnt vmcnt(0)
	v_lshlrev_b32_e32 v1, 16, v1
	v_cvt_i32_f32_e32 v5, v1
	s_branch .LBB47_122
.LBB47_118:
	s_mov_b64 s[38:39], -1
                                        ; implicit-def: $vgpr5
	s_branch .LBB47_123
.LBB47_119:
	s_andn2_saveexec_b64 s[0:1], s[0:1]
	s_cbranch_execz .LBB47_100
.LBB47_120:
	v_cmp_ne_u16_e32 vcc, 0, v1
	s_andn2_b64 s[38:39], s[38:39], exec
	s_and_b64 s[46:47], vcc, exec
	s_or_b64 s[38:39], s[38:39], s[46:47]
	s_or_b64 exec, exec, s[0:1]
	v_mov_b32_e32 v5, 0
	s_and_saveexec_b64 s[0:1], s[38:39]
	s_cbranch_execnz .LBB47_101
	s_branch .LBB47_102
.LBB47_121:
	s_mov_b64 s[42:43], -1
                                        ; implicit-def: $vgpr5
.LBB47_122:
	s_mov_b64 s[38:39], 0
.LBB47_123:
	s_and_b64 vcc, exec, s[38:39]
	s_cbranch_vccz .LBB47_127
; %bb.124:
	s_cmp_eq_u32 s41, 11
	s_cbranch_scc0 .LBB47_126
; %bb.125:
	global_load_ubyte v1, v[3:4], off
	s_mov_b64 s[0:1], -1
	s_mov_b64 s[42:43], 0
	s_waitcnt vmcnt(0)
	v_cmp_ne_u16_e32 vcc, 0, v1
	v_cndmask_b32_e64 v5, 0, 1, vcc
	s_branch .LBB47_127
.LBB47_126:
	s_mov_b64 s[42:43], -1
                                        ; implicit-def: $vgpr5
.LBB47_127:
	s_branch .LBB47_21
.LBB47_128:
	s_and_b32 s38, 0xffff, s40
	s_cmp_lt_i32 s38, 5
	s_cbranch_scc1 .LBB47_133
; %bb.129:
	s_cmp_lt_i32 s38, 8
	s_cbranch_scc1 .LBB47_134
; %bb.130:
	;; [unrolled: 3-line block ×3, first 2 shown]
	s_cmp_gt_i32 s38, 9
	s_cbranch_scc0 .LBB47_136
; %bb.132:
	global_load_dwordx2 v[5:6], v[3:4], off
	s_mov_b64 s[0:1], 0
	s_waitcnt vmcnt(0)
	v_cvt_i32_f64_e32 v5, v[5:6]
	s_branch .LBB47_137
.LBB47_133:
                                        ; implicit-def: $vgpr5
	s_branch .LBB47_155
.LBB47_134:
	s_mov_b64 s[0:1], -1
                                        ; implicit-def: $vgpr5
	s_branch .LBB47_143
.LBB47_135:
	s_mov_b64 s[0:1], -1
                                        ; implicit-def: $vgpr5
	s_branch .LBB47_140
.LBB47_136:
	s_mov_b64 s[0:1], -1
                                        ; implicit-def: $vgpr5
.LBB47_137:
	s_andn2_b64 vcc, exec, s[0:1]
	s_cbranch_vccnz .LBB47_139
; %bb.138:
	global_load_dword v1, v[3:4], off
	s_waitcnt vmcnt(0)
	v_cvt_i32_f32_e32 v5, v1
.LBB47_139:
	s_mov_b64 s[0:1], 0
.LBB47_140:
	s_andn2_b64 vcc, exec, s[0:1]
	s_cbranch_vccnz .LBB47_142
; %bb.141:
	global_load_dword v1, v[3:4], off
	s_waitcnt vmcnt(0)
	v_cvt_f32_f16_e32 v1, v1
	v_cvt_i32_f32_e32 v5, v1
.LBB47_142:
	s_mov_b64 s[0:1], 0
.LBB47_143:
	s_andn2_b64 vcc, exec, s[0:1]
	s_cbranch_vccnz .LBB47_154
; %bb.144:
	s_cmp_lt_i32 s38, 6
	s_cbranch_scc1 .LBB47_147
; %bb.145:
	s_cmp_gt_i32 s38, 6
	s_cbranch_scc0 .LBB47_148
; %bb.146:
	global_load_dwordx2 v[5:6], v[3:4], off
	s_mov_b64 s[0:1], 0
	s_waitcnt vmcnt(0)
	v_cvt_i32_f64_e32 v5, v[5:6]
	s_branch .LBB47_149
.LBB47_147:
	s_mov_b64 s[0:1], -1
                                        ; implicit-def: $vgpr5
	s_branch .LBB47_152
.LBB47_148:
	s_mov_b64 s[0:1], -1
                                        ; implicit-def: $vgpr5
.LBB47_149:
	s_andn2_b64 vcc, exec, s[0:1]
	s_cbranch_vccnz .LBB47_151
; %bb.150:
	global_load_dword v1, v[3:4], off
	s_waitcnt vmcnt(0)
	v_cvt_i32_f32_e32 v5, v1
.LBB47_151:
	s_mov_b64 s[0:1], 0
.LBB47_152:
	s_andn2_b64 vcc, exec, s[0:1]
	s_cbranch_vccnz .LBB47_154
; %bb.153:
	global_load_ushort v1, v[3:4], off
	s_waitcnt vmcnt(0)
	v_cvt_f32_f16_e32 v1, v1
	v_cvt_i32_f32_e32 v5, v1
.LBB47_154:
	s_cbranch_execnz .LBB47_174
.LBB47_155:
	s_cmp_lt_i32 s38, 2
	s_cbranch_scc1 .LBB47_159
; %bb.156:
	s_cmp_lt_i32 s38, 3
	s_cbranch_scc1 .LBB47_160
; %bb.157:
	s_cmp_gt_i32 s38, 3
	s_cbranch_scc0 .LBB47_161
; %bb.158:
	global_load_dword v5, v[3:4], off
	s_mov_b64 s[0:1], 0
	s_branch .LBB47_162
.LBB47_159:
	s_mov_b64 s[0:1], -1
                                        ; implicit-def: $vgpr5
	s_branch .LBB47_168
.LBB47_160:
	s_mov_b64 s[0:1], -1
                                        ; implicit-def: $vgpr5
	s_branch .LBB47_165
.LBB47_161:
	s_mov_b64 s[0:1], -1
                                        ; implicit-def: $vgpr5
.LBB47_162:
	s_andn2_b64 vcc, exec, s[0:1]
	s_cbranch_vccnz .LBB47_164
; %bb.163:
	global_load_dword v5, v[3:4], off
.LBB47_164:
	s_mov_b64 s[0:1], 0
.LBB47_165:
	s_andn2_b64 vcc, exec, s[0:1]
	s_cbranch_vccnz .LBB47_167
; %bb.166:
	global_load_sshort v5, v[3:4], off
.LBB47_167:
	s_mov_b64 s[0:1], 0
.LBB47_168:
	s_andn2_b64 vcc, exec, s[0:1]
	s_cbranch_vccnz .LBB47_174
; %bb.169:
	s_cmp_gt_i32 s38, 0
	s_cbranch_scc0 .LBB47_171
; %bb.170:
	global_load_sbyte v5, v[3:4], off
	s_mov_b64 s[0:1], 0
	s_branch .LBB47_172
.LBB47_171:
	s_mov_b64 s[0:1], -1
                                        ; implicit-def: $vgpr5
.LBB47_172:
	s_andn2_b64 vcc, exec, s[0:1]
	s_cbranch_vccnz .LBB47_174
; %bb.173:
	global_load_ubyte v5, v[3:4], off
.LBB47_174:
	s_branch .LBB47_22
.LBB47_175:
	s_mov_b64 s[0:1], 0
	s_mov_b64 s[40:41], 0
	s_branch .LBB47_400
.LBB47_176:
	s_mov_b64 s[40:41], -1
.LBB47_177:
	s_mov_b64 s[0:1], 0
                                        ; implicit-def: $vgpr3
.LBB47_178:
	s_and_b64 vcc, exec, s[38:39]
	s_cbranch_vccz .LBB47_294
; %bb.179:
	s_cmp_eq_u32 s47, 44
	s_cbranch_scc0 .LBB47_293
; %bb.180:
	global_load_ubyte v3, v[1:2], off
	s_mov_b64 s[0:1], -1
	s_mov_b64 s[40:41], 0
	s_waitcnt vmcnt(0)
	v_lshlrev_b32_e32 v4, 23, v3
	v_cvt_i32_f32_e32 v4, v4
	v_cmp_ne_u32_e32 vcc, 0, v3
	v_cndmask_b32_e32 v3, 0, v4, vcc
	s_branch .LBB47_294
.LBB47_181:
	s_mov_b64 s[50:51], -1
	s_mov_b64 s[0:1], 0
	s_mov_b64 s[46:47], 0
.LBB47_182:
	s_and_b64 vcc, exec, s[50:51]
	s_cbranch_vccz .LBB47_187
; %bb.183:
	s_cmp_eq_u32 s55, 44
	s_mov_b64 s[0:1], -1
	s_cbranch_scc0 .LBB47_187
; %bb.184:
	s_waitcnt vmcnt(0)
	v_cndmask_b32_e64 v3, 0, 1.0, s[38:39]
	v_lshrrev_b32_e32 v2, 23, v3
	s_movk_i32 s0, 0xff
	v_cmp_ne_u32_e32 vcc, s0, v2
	v_mov_b32_e32 v4, 0xff
	s_and_saveexec_b64 s[46:47], vcc
; %bb.185:
	s_mov_b32 s0, 0x3fffff
	v_and_b32_e32 v4, 0x400000, v3
	v_and_or_b32 v3, v3, s0, v2
	v_cmp_ne_u32_e32 vcc, 0, v4
	v_cmp_ne_u32_e64 s[0:1], 0, v3
	s_and_b64 s[0:1], vcc, s[0:1]
	v_cndmask_b32_e64 v3, 0, 1, s[0:1]
	v_add_u32_e32 v4, v2, v3
; %bb.186:
	s_or_b64 exec, exec, s[46:47]
	s_mov_b64 s[46:47], -1
	s_mov_b64 s[0:1], 0
	global_store_byte v[0:1], v4, off
.LBB47_187:
	s_mov_b64 s[50:51], 0
.LBB47_188:
	s_and_b64 vcc, exec, s[50:51]
	s_cbranch_vccz .LBB47_191
; %bb.189:
	s_cmp_eq_u32 s55, 29
	s_mov_b64 s[0:1], -1
	s_cbranch_scc0 .LBB47_191
; %bb.190:
	s_mov_b32 s0, 0
	v_cndmask_b32_e64 v2, 0, 1, s[38:39]
	s_waitcnt vmcnt(0)
	v_mov_b32_e32 v3, s0
	global_store_dwordx2 v[0:1], v[2:3], off
	s_mov_b64 s[46:47], -1
	s_mov_b64 s[0:1], 0
.LBB47_191:
	s_mov_b64 s[50:51], 0
.LBB47_192:
	s_and_b64 vcc, exec, s[50:51]
	s_cbranch_vccz .LBB47_208
; %bb.193:
	s_cmp_lt_i32 s55, 27
	s_mov_b64 s[46:47], -1
	s_cbranch_scc1 .LBB47_199
; %bb.194:
	s_cmp_gt_i32 s55, 27
	s_cbranch_scc0 .LBB47_196
; %bb.195:
	v_cndmask_b32_e64 v2, 0, 1, s[38:39]
	s_mov_b64 s[46:47], 0
	global_store_dword v[0:1], v2, off
.LBB47_196:
	s_andn2_b64 vcc, exec, s[46:47]
	s_cbranch_vccnz .LBB47_198
; %bb.197:
	v_cndmask_b32_e64 v2, 0, 1, s[38:39]
	global_store_short v[0:1], v2, off
.LBB47_198:
	s_mov_b64 s[46:47], 0
.LBB47_199:
	s_andn2_b64 vcc, exec, s[46:47]
	s_cbranch_vccnz .LBB47_207
; %bb.200:
	s_waitcnt vmcnt(0)
	v_cndmask_b32_e64 v3, 0, 1.0, s[38:39]
	s_mov_b32 s46, 0x43800000
	v_cmp_gt_u32_e32 vcc, s46, v3
	v_mov_b32_e32 v4, 0x80
	s_and_saveexec_b64 s[46:47], vcc
	s_cbranch_execz .LBB47_206
; %bb.201:
	s_mov_b32 s50, 0x3bffffff
	v_cmp_lt_u32_e32 vcc, s50, v3
	s_mov_b64 s[50:51], 0
                                        ; implicit-def: $vgpr2
	s_and_saveexec_b64 s[52:53], vcc
	s_xor_b64 s[52:53], exec, s[52:53]
	s_cbranch_execz .LBB47_442
; %bb.202:
	v_bfe_u32 v2, v3, 20, 1
	s_mov_b32 s56, 0x487ffff
	v_add3_u32 v2, v3, v2, s56
	s_mov_b64 s[50:51], exec
	v_lshrrev_b32_e32 v2, 20, v2
                                        ; implicit-def: $vgpr3
	s_andn2_saveexec_b64 s[52:53], s[52:53]
	s_cbranch_execnz .LBB47_443
.LBB47_203:
	s_or_b64 exec, exec, s[52:53]
	v_mov_b32_e32 v4, 0
	s_and_saveexec_b64 s[52:53], s[50:51]
.LBB47_204:
	v_mov_b32_e32 v4, v2
.LBB47_205:
	s_or_b64 exec, exec, s[52:53]
.LBB47_206:
	s_or_b64 exec, exec, s[46:47]
	global_store_byte v[0:1], v4, off
.LBB47_207:
	s_mov_b64 s[46:47], -1
.LBB47_208:
	s_mov_b64 s[50:51], 0
.LBB47_209:
	s_and_b64 vcc, exec, s[50:51]
	s_cbranch_vccz .LBB47_250
; %bb.210:
	s_cmp_gt_i32 s55, 22
	s_mov_b64 s[50:51], -1
	s_cbranch_scc0 .LBB47_242
; %bb.211:
	s_cmp_lt_i32 s55, 24
	s_mov_b64 s[46:47], -1
	s_cbranch_scc1 .LBB47_231
; %bb.212:
	s_cmp_gt_i32 s55, 24
	s_cbranch_scc0 .LBB47_220
; %bb.213:
	s_waitcnt vmcnt(0)
	v_cndmask_b32_e64 v3, 0, 1.0, s[38:39]
	s_mov_b32 s46, 0x47800000
	v_cmp_gt_u32_e32 vcc, s46, v3
	v_mov_b32_e32 v4, 0x80
	s_and_saveexec_b64 s[46:47], vcc
	s_cbranch_execz .LBB47_219
; %bb.214:
	s_mov_b32 s50, 0x37ffffff
	v_cmp_lt_u32_e32 vcc, s50, v3
	s_mov_b64 s[50:51], 0
                                        ; implicit-def: $vgpr2
	s_and_saveexec_b64 s[52:53], vcc
	s_xor_b64 s[52:53], exec, s[52:53]
	s_cbranch_execz .LBB47_557
; %bb.215:
	v_bfe_u32 v2, v3, 21, 1
	s_mov_b32 s56, 0x88fffff
	v_add3_u32 v2, v3, v2, s56
	s_mov_b64 s[50:51], exec
	v_lshrrev_b32_e32 v2, 21, v2
                                        ; implicit-def: $vgpr3
	s_andn2_saveexec_b64 s[52:53], s[52:53]
	s_cbranch_execnz .LBB47_558
.LBB47_216:
	s_or_b64 exec, exec, s[52:53]
	v_mov_b32_e32 v4, 0
	s_and_saveexec_b64 s[52:53], s[50:51]
.LBB47_217:
	v_mov_b32_e32 v4, v2
.LBB47_218:
	s_or_b64 exec, exec, s[52:53]
.LBB47_219:
	s_or_b64 exec, exec, s[46:47]
	s_mov_b64 s[46:47], 0
	global_store_byte v[0:1], v4, off
.LBB47_220:
	s_and_b64 vcc, exec, s[46:47]
	s_cbranch_vccz .LBB47_230
; %bb.221:
	v_cndmask_b32_e64 v2, 0, 1.0, s[38:39]
	s_mov_b32 s46, 0x43f00000
	v_cmp_gt_u32_e32 vcc, s46, v2
                                        ; implicit-def: $vgpr3
	s_and_saveexec_b64 s[46:47], vcc
	s_xor_b64 s[46:47], exec, s[46:47]
	s_cbranch_execz .LBB47_227
; %bb.222:
	s_mov_b32 s50, 0x3c7fffff
	v_cmp_lt_u32_e32 vcc, s50, v2
                                        ; implicit-def: $vgpr3
	s_and_saveexec_b64 s[50:51], vcc
	s_xor_b64 s[50:51], exec, s[50:51]
	s_cbranch_execz .LBB47_224
; %bb.223:
	s_waitcnt vmcnt(0)
	v_bfe_u32 v3, v2, 20, 1
	s_mov_b32 s52, 0x407ffff
	v_add3_u32 v2, v2, v3, s52
	v_lshrrev_b32_e32 v3, 20, v2
	v_and_b32_e32 v2, 0xff00000, v2
	s_mov_b32 s52, 0x7f00000
	v_mov_b32_e32 v4, 0x7e
	v_cmp_ne_u32_e32 vcc, s52, v2
	v_cndmask_b32_e32 v3, v4, v3, vcc
                                        ; implicit-def: $vgpr2
.LBB47_224:
	s_andn2_saveexec_b64 s[50:51], s[50:51]
	s_cbranch_execz .LBB47_226
; %bb.225:
	s_waitcnt vmcnt(0)
	v_add_f32_e32 v3, 0x46800000, v2
.LBB47_226:
	s_or_b64 exec, exec, s[50:51]
                                        ; implicit-def: $vgpr2
.LBB47_227:
	s_andn2_saveexec_b64 s[46:47], s[46:47]
	s_cbranch_execz .LBB47_229
; %bb.228:
	s_mov_b32 s50, 0x7f800000
	s_waitcnt vmcnt(0)
	v_mov_b32_e32 v3, 0x7e
	v_mov_b32_e32 v4, 0x7f
	v_cmp_lt_u32_e32 vcc, s50, v2
	v_cndmask_b32_e32 v3, v3, v4, vcc
.LBB47_229:
	s_or_b64 exec, exec, s[46:47]
	s_waitcnt vmcnt(0)
	global_store_byte v[0:1], v3, off
.LBB47_230:
	s_mov_b64 s[46:47], 0
.LBB47_231:
	s_andn2_b64 vcc, exec, s[46:47]
	s_cbranch_vccnz .LBB47_241
; %bb.232:
	v_cndmask_b32_e64 v2, 0, 1.0, s[38:39]
	s_mov_b32 s46, 0x47800000
	v_cmp_gt_u32_e32 vcc, s46, v2
                                        ; implicit-def: $vgpr3
	s_and_saveexec_b64 s[46:47], vcc
	s_xor_b64 s[46:47], exec, s[46:47]
	s_cbranch_execz .LBB47_238
; %bb.233:
	s_mov_b32 s50, 0x387fffff
	v_cmp_lt_u32_e32 vcc, s50, v2
                                        ; implicit-def: $vgpr3
	s_and_saveexec_b64 s[50:51], vcc
	s_xor_b64 s[50:51], exec, s[50:51]
	s_cbranch_execz .LBB47_235
; %bb.234:
	s_waitcnt vmcnt(0)
	v_bfe_u32 v3, v2, 21, 1
	s_mov_b32 s52, 0x80fffff
	v_add3_u32 v2, v2, v3, s52
	v_lshrrev_b32_e32 v3, 21, v2
                                        ; implicit-def: $vgpr2
.LBB47_235:
	s_andn2_saveexec_b64 s[50:51], s[50:51]
	s_cbranch_execz .LBB47_237
; %bb.236:
	s_waitcnt vmcnt(0)
	v_add_f32_e32 v3, 0x43000000, v2
.LBB47_237:
	s_or_b64 exec, exec, s[50:51]
                                        ; implicit-def: $vgpr2
.LBB47_238:
	s_andn2_saveexec_b64 s[46:47], s[46:47]
	s_cbranch_execz .LBB47_240
; %bb.239:
	s_mov_b32 s50, 0x7f800000
	s_waitcnt vmcnt(0)
	v_mov_b32_e32 v3, 0x7c
	v_mov_b32_e32 v4, 0x7f
	v_cmp_lt_u32_e32 vcc, s50, v2
	v_cndmask_b32_e32 v3, v3, v4, vcc
.LBB47_240:
	s_or_b64 exec, exec, s[46:47]
	s_waitcnt vmcnt(0)
	global_store_byte v[0:1], v3, off
.LBB47_241:
	s_mov_b64 s[50:51], 0
	s_mov_b64 s[46:47], -1
.LBB47_242:
	s_andn2_b64 vcc, exec, s[50:51]
	s_cbranch_vccnz .LBB47_250
; %bb.243:
	s_cmp_gt_i32 s55, 14
	s_mov_b64 s[50:51], -1
	s_cbranch_scc0 .LBB47_247
; %bb.244:
	s_cmp_eq_u32 s55, 15
	s_mov_b64 s[0:1], -1
	s_cbranch_scc0 .LBB47_246
; %bb.245:
	v_cndmask_b32_e64 v2, 0, 1.0, s[38:39]
	s_waitcnt vmcnt(0)
	v_bfe_u32 v3, v2, 16, 1
	s_movk_i32 s0, 0x7fff
	v_add3_u32 v2, v2, v3, s0
	global_store_short_d16_hi v[0:1], v2, off
	s_mov_b64 s[46:47], -1
	s_mov_b64 s[0:1], 0
.LBB47_246:
	s_mov_b64 s[50:51], 0
.LBB47_247:
	s_and_b64 vcc, exec, s[50:51]
	s_cbranch_vccz .LBB47_250
; %bb.248:
	s_cmp_eq_u32 s55, 11
	s_mov_b64 s[0:1], -1
	s_cbranch_scc0 .LBB47_250
; %bb.249:
	v_cndmask_b32_e64 v2, 0, 1, s[38:39]
	s_mov_b64 s[46:47], -1
	s_mov_b64 s[0:1], 0
	global_store_byte v[0:1], v2, off
.LBB47_250:
	s_mov_b64 s[50:51], 0
.LBB47_251:
	s_and_b64 vcc, exec, s[50:51]
	s_cbranch_vccz .LBB47_290
; %bb.252:
	s_and_b32 s50, 0xffff, s54
	s_cmp_lt_i32 s50, 5
	s_mov_b64 s[46:47], -1
	s_cbranch_scc1 .LBB47_273
; %bb.253:
	s_cmp_lt_i32 s50, 8
	s_cbranch_scc1 .LBB47_263
; %bb.254:
	s_cmp_lt_i32 s50, 9
	s_cbranch_scc1 .LBB47_260
; %bb.255:
	s_cmp_gt_i32 s50, 9
	s_cbranch_scc0 .LBB47_257
; %bb.256:
	v_cndmask_b32_e64 v2, 0, 1, s[38:39]
	s_waitcnt vmcnt(0)
	v_cvt_f64_u32_e32 v[2:3], v2
	v_mov_b32_e32 v4, 0
	v_mov_b32_e32 v5, v4
	s_mov_b64 s[46:47], 0
	global_store_dwordx4 v[0:1], v[2:5], off
.LBB47_257:
	s_andn2_b64 vcc, exec, s[46:47]
	s_cbranch_vccnz .LBB47_259
; %bb.258:
	v_cndmask_b32_e64 v2, 0, 1.0, s[38:39]
	s_waitcnt vmcnt(0)
	v_mov_b32_e32 v3, 0
	global_store_dwordx2 v[0:1], v[2:3], off
.LBB47_259:
	s_mov_b64 s[46:47], 0
.LBB47_260:
	s_andn2_b64 vcc, exec, s[46:47]
	s_cbranch_vccnz .LBB47_262
; %bb.261:
	v_cndmask_b32_e64 v2, 0, 1.0, s[38:39]
	v_cvt_f16_f32_e32 v2, v2
	global_store_dword v[0:1], v2, off
.LBB47_262:
	s_mov_b64 s[46:47], 0
.LBB47_263:
	s_andn2_b64 vcc, exec, s[46:47]
	s_cbranch_vccnz .LBB47_272
; %bb.264:
	s_cmp_lt_i32 s50, 6
	s_mov_b64 s[46:47], -1
	s_cbranch_scc1 .LBB47_270
; %bb.265:
	s_cmp_gt_i32 s50, 6
	s_cbranch_scc0 .LBB47_267
; %bb.266:
	v_cndmask_b32_e64 v2, 0, 1, s[38:39]
	s_waitcnt vmcnt(0)
	v_cvt_f64_u32_e32 v[2:3], v2
	s_mov_b64 s[46:47], 0
	global_store_dwordx2 v[0:1], v[2:3], off
.LBB47_267:
	s_andn2_b64 vcc, exec, s[46:47]
	s_cbranch_vccnz .LBB47_269
; %bb.268:
	v_cndmask_b32_e64 v2, 0, 1.0, s[38:39]
	global_store_dword v[0:1], v2, off
.LBB47_269:
	s_mov_b64 s[46:47], 0
.LBB47_270:
	s_andn2_b64 vcc, exec, s[46:47]
	s_cbranch_vccnz .LBB47_272
; %bb.271:
	v_cndmask_b32_e64 v2, 0, 1.0, s[38:39]
	v_cvt_f16_f32_e32 v2, v2
	global_store_short v[0:1], v2, off
.LBB47_272:
	s_mov_b64 s[46:47], 0
.LBB47_273:
	s_andn2_b64 vcc, exec, s[46:47]
	s_cbranch_vccnz .LBB47_289
; %bb.274:
	s_cmp_lt_i32 s50, 2
	s_mov_b64 s[46:47], -1
	s_cbranch_scc1 .LBB47_284
; %bb.275:
	s_cmp_lt_i32 s50, 3
	s_cbranch_scc1 .LBB47_281
; %bb.276:
	s_cmp_gt_i32 s50, 3
	s_cbranch_scc0 .LBB47_278
; %bb.277:
	s_mov_b32 s46, 0
	v_cndmask_b32_e64 v2, 0, 1, s[38:39]
	s_waitcnt vmcnt(0)
	v_mov_b32_e32 v3, s46
	global_store_dwordx2 v[0:1], v[2:3], off
	s_mov_b64 s[46:47], 0
.LBB47_278:
	s_andn2_b64 vcc, exec, s[46:47]
	s_cbranch_vccnz .LBB47_280
; %bb.279:
	v_cndmask_b32_e64 v2, 0, 1, s[38:39]
	global_store_dword v[0:1], v2, off
.LBB47_280:
	s_mov_b64 s[46:47], 0
.LBB47_281:
	s_andn2_b64 vcc, exec, s[46:47]
	s_cbranch_vccnz .LBB47_283
; %bb.282:
	v_cndmask_b32_e64 v2, 0, 1, s[38:39]
	global_store_short v[0:1], v2, off
.LBB47_283:
	s_mov_b64 s[46:47], 0
.LBB47_284:
	s_andn2_b64 vcc, exec, s[46:47]
	s_cbranch_vccnz .LBB47_289
; %bb.285:
	s_cmp_gt_i32 s50, 0
	s_mov_b64 s[46:47], -1
	s_cbranch_scc0 .LBB47_287
; %bb.286:
	v_cndmask_b32_e64 v2, 0, 1, s[38:39]
	global_store_byte v[0:1], v2, off
	s_mov_b64 s[46:47], 0
.LBB47_287:
	s_andn2_b64 vcc, exec, s[46:47]
	s_cbranch_vccnz .LBB47_289
; %bb.288:
	v_cndmask_b32_e64 v2, 0, 1, s[38:39]
	global_store_byte v[0:1], v2, off
.LBB47_289:
	s_mov_b64 s[46:47], -1
.LBB47_290:
	s_andn2_b64 vcc, exec, s[46:47]
	s_cbranch_vccnz .LBB47_292
; %bb.291:
	v_add_u32_e32 v8, 0x80, v8
	s_mov_b64 s[46:47], -1
	s_branch .LBB47_401
.LBB47_292:
	s_mov_b64 s[46:47], 0
                                        ; implicit-def: $vgpr8
	s_branch .LBB47_401
.LBB47_293:
	s_mov_b64 s[40:41], -1
                                        ; implicit-def: $vgpr3
.LBB47_294:
	s_mov_b64 s[38:39], 0
.LBB47_295:
	s_and_b64 vcc, exec, s[38:39]
	s_cbranch_vccz .LBB47_299
; %bb.296:
	s_cmp_eq_u32 s47, 29
	s_cbranch_scc0 .LBB47_298
; %bb.297:
	global_load_dword v3, v[1:2], off
	s_mov_b64 s[0:1], -1
	s_mov_b64 s[40:41], 0
	s_branch .LBB47_299
.LBB47_298:
	s_mov_b64 s[40:41], -1
                                        ; implicit-def: $vgpr3
.LBB47_299:
	s_mov_b64 s[38:39], 0
.LBB47_300:
	s_and_b64 vcc, exec, s[38:39]
	s_cbranch_vccz .LBB47_316
; %bb.301:
	s_cmp_lt_i32 s47, 27
	s_cbranch_scc1 .LBB47_304
; %bb.302:
	s_cmp_gt_i32 s47, 27
	s_cbranch_scc0 .LBB47_305
; %bb.303:
	global_load_dword v3, v[1:2], off
	s_mov_b64 s[0:1], 0
	s_branch .LBB47_306
.LBB47_304:
	s_mov_b64 s[0:1], -1
                                        ; implicit-def: $vgpr3
	s_branch .LBB47_309
.LBB47_305:
	s_mov_b64 s[0:1], -1
                                        ; implicit-def: $vgpr3
.LBB47_306:
	s_andn2_b64 vcc, exec, s[0:1]
	s_cbranch_vccnz .LBB47_308
; %bb.307:
	global_load_ushort v3, v[1:2], off
.LBB47_308:
	s_mov_b64 s[0:1], 0
.LBB47_309:
	s_andn2_b64 vcc, exec, s[0:1]
	s_cbranch_vccnz .LBB47_315
; %bb.310:
	global_load_ubyte v4, v[1:2], off
	s_movk_i32 s0, 0x7f
	s_mov_b64 s[38:39], 0
	s_waitcnt vmcnt(0)
	v_cmp_lt_i16_e32 vcc, s0, v4
	s_and_saveexec_b64 s[0:1], vcc
	s_xor_b64 s[0:1], exec, s[0:1]
	s_cbranch_execz .LBB47_327
; %bb.311:
	s_movk_i32 s38, 0x80
	v_cmp_ne_u16_e32 vcc, s38, v4
	s_and_b64 s[38:39], vcc, exec
	s_andn2_saveexec_b64 s[0:1], s[0:1]
	s_cbranch_execnz .LBB47_328
.LBB47_312:
	s_or_b64 exec, exec, s[0:1]
	v_mov_b32_e32 v3, 0
	s_and_saveexec_b64 s[0:1], s[38:39]
	s_cbranch_execz .LBB47_314
.LBB47_313:
	v_lshlrev_b32_e32 v3, 24, v4
	v_and_b32_e32 v4, 0xffff, v4
	v_and_b32_e32 v6, 7, v4
	v_ffbh_u32_e32 v9, v6
	v_min_u32_e32 v9, 32, v9
	v_subrev_u32_e32 v10, 28, v9
	v_bfe_u32 v7, v4, 3, 4
	v_lshlrev_b32_e32 v4, v10, v4
	v_sub_u32_e32 v9, 29, v9
	v_and_b32_e32 v4, 7, v4
	v_cmp_eq_u32_e32 vcc, 0, v7
	v_cndmask_b32_e32 v7, v7, v9, vcc
	v_cndmask_b32_e32 v4, v6, v4, vcc
	v_mov_b32_e32 v6, 0x3b800000
	v_lshlrev_b32_e32 v4, 20, v4
	v_and_b32_e32 v3, 0x80000000, v3
	v_lshl_add_u32 v6, v7, 23, v6
	v_or3_b32 v3, v3, v6, v4
	v_cvt_i32_f32_e32 v3, v3
.LBB47_314:
	s_or_b64 exec, exec, s[0:1]
.LBB47_315:
	s_mov_b64 s[0:1], -1
.LBB47_316:
	s_mov_b64 s[38:39], 0
.LBB47_317:
	s_and_b64 vcc, exec, s[38:39]
	s_cbranch_vccz .LBB47_350
; %bb.318:
	s_cmp_gt_i32 s47, 22
	s_cbranch_scc0 .LBB47_326
; %bb.319:
	s_cmp_lt_i32 s47, 24
	s_cbranch_scc1 .LBB47_329
; %bb.320:
	s_cmp_gt_i32 s47, 24
	s_cbranch_scc0 .LBB47_330
; %bb.321:
	global_load_ubyte v4, v[1:2], off
	s_movk_i32 s0, 0x7f
	s_mov_b64 s[38:39], 0
	s_waitcnt vmcnt(0)
	v_cmp_lt_i16_e32 vcc, s0, v4
	s_and_saveexec_b64 s[0:1], vcc
	s_xor_b64 s[0:1], exec, s[0:1]
	s_cbranch_execz .LBB47_342
; %bb.322:
	s_movk_i32 s38, 0x80
	v_cmp_ne_u16_e32 vcc, s38, v4
	s_and_b64 s[38:39], vcc, exec
	s_andn2_saveexec_b64 s[0:1], s[0:1]
	s_cbranch_execnz .LBB47_343
.LBB47_323:
	s_or_b64 exec, exec, s[0:1]
	v_mov_b32_e32 v3, 0
	s_and_saveexec_b64 s[0:1], s[38:39]
	s_cbranch_execz .LBB47_325
.LBB47_324:
	v_lshlrev_b32_e32 v3, 24, v4
	v_and_b32_e32 v4, 0xffff, v4
	v_and_b32_e32 v6, 3, v4
	v_ffbh_u32_e32 v9, v6
	v_min_u32_e32 v9, 32, v9
	v_subrev_u32_e32 v10, 29, v9
	v_bfe_u32 v7, v4, 2, 5
	v_lshlrev_b32_e32 v4, v10, v4
	v_sub_u32_e32 v9, 30, v9
	v_and_b32_e32 v4, 3, v4
	v_cmp_eq_u32_e32 vcc, 0, v7
	v_cndmask_b32_e32 v7, v7, v9, vcc
	v_cndmask_b32_e32 v4, v6, v4, vcc
	v_mov_b32_e32 v6, 0x37800000
	v_lshlrev_b32_e32 v4, 21, v4
	v_and_b32_e32 v3, 0x80000000, v3
	v_lshl_add_u32 v6, v7, 23, v6
	v_or3_b32 v3, v3, v6, v4
	v_cvt_i32_f32_e32 v3, v3
.LBB47_325:
	s_or_b64 exec, exec, s[0:1]
	s_mov_b64 s[0:1], 0
	s_branch .LBB47_331
.LBB47_326:
	s_mov_b64 s[38:39], -1
                                        ; implicit-def: $vgpr3
	s_branch .LBB47_337
.LBB47_327:
	s_andn2_saveexec_b64 s[0:1], s[0:1]
	s_cbranch_execz .LBB47_312
.LBB47_328:
	v_cmp_ne_u16_e32 vcc, 0, v4
	s_andn2_b64 s[38:39], s[38:39], exec
	s_and_b64 s[50:51], vcc, exec
	s_or_b64 s[38:39], s[38:39], s[50:51]
	s_or_b64 exec, exec, s[0:1]
	v_mov_b32_e32 v3, 0
	s_and_saveexec_b64 s[0:1], s[38:39]
	s_cbranch_execnz .LBB47_313
	s_branch .LBB47_314
.LBB47_329:
	s_mov_b64 s[0:1], -1
                                        ; implicit-def: $vgpr3
	s_branch .LBB47_334
.LBB47_330:
	s_mov_b64 s[0:1], -1
                                        ; implicit-def: $vgpr3
.LBB47_331:
	s_and_b64 vcc, exec, s[0:1]
	s_cbranch_vccz .LBB47_333
; %bb.332:
	global_load_ubyte v3, v[1:2], off
	s_mov_b32 s0, 0x7f800000
	s_waitcnt vmcnt(0)
	v_lshlrev_b32_e32 v3, 24, v3
	v_and_b32_e32 v4, 0x7f000000, v3
	v_ffbh_u32_e32 v6, v4
	v_min_u32_e32 v6, 32, v6
	v_sub_u32_e64 v6, v6, 4 clamp
	v_lshlrev_b32_e32 v9, v6, v4
	v_lshlrev_b32_e32 v6, 23, v6
	v_lshrrev_b32_e32 v9, 4, v9
	v_add_u32_e32 v7, 0x1000000, v4
	v_sub_u32_e32 v6, v9, v6
	v_ashrrev_i32_e32 v7, 8, v7
	v_add_u32_e32 v6, 0x3c000000, v6
	v_and_or_b32 v6, v7, s0, v6
	v_cmp_ne_u32_e32 vcc, 0, v4
	v_cndmask_b32_e32 v4, 0, v6, vcc
	s_brev_b32 s0, 1
	v_and_or_b32 v3, v3, s0, v4
	v_cvt_i32_f32_e32 v3, v3
.LBB47_333:
	s_mov_b64 s[0:1], 0
.LBB47_334:
	s_andn2_b64 vcc, exec, s[0:1]
	s_cbranch_vccnz .LBB47_336
; %bb.335:
	global_load_ubyte v3, v[1:2], off
	s_movk_i32 s0, 0x7f00
	s_brev_b32 s1, 16
	s_waitcnt vmcnt(0)
	v_lshlrev_b16_e32 v4, 8, v3
	v_lshlrev_b32_e32 v3, 25, v3
	v_lshrrev_b32_e32 v6, 4, v3
	v_and_or_b32 v7, v4, s0, 0.5
	v_or_b32_e32 v6, 0x70000000, v6
	v_add_f32_e32 v7, -0.5, v7
	v_mul_f32_e32 v6, 0x7800000, v6
	v_cmp_gt_u32_e32 vcc, s1, v3
	v_bfe_i32 v4, v4, 0, 16
	v_cndmask_b32_e32 v3, v6, v7, vcc
	s_brev_b32 s0, 1
	v_and_or_b32 v3, v4, s0, v3
	v_cvt_i32_f32_e32 v3, v3
.LBB47_336:
	s_mov_b64 s[38:39], 0
	s_mov_b64 s[0:1], -1
.LBB47_337:
	s_andn2_b64 vcc, exec, s[38:39]
	s_cbranch_vccnz .LBB47_350
; %bb.338:
	s_cmp_gt_i32 s47, 14
	s_cbranch_scc0 .LBB47_341
; %bb.339:
	s_cmp_eq_u32 s47, 15
	s_cbranch_scc0 .LBB47_344
; %bb.340:
	global_load_ushort v3, v[1:2], off
	s_mov_b64 s[0:1], -1
	s_mov_b64 s[40:41], 0
	s_waitcnt vmcnt(0)
	v_lshlrev_b32_e32 v3, 16, v3
	v_cvt_i32_f32_e32 v3, v3
	s_branch .LBB47_345
.LBB47_341:
	s_mov_b64 s[38:39], -1
                                        ; implicit-def: $vgpr3
	s_branch .LBB47_346
.LBB47_342:
	s_andn2_saveexec_b64 s[0:1], s[0:1]
	s_cbranch_execz .LBB47_323
.LBB47_343:
	v_cmp_ne_u16_e32 vcc, 0, v4
	s_andn2_b64 s[38:39], s[38:39], exec
	s_and_b64 s[50:51], vcc, exec
	s_or_b64 s[38:39], s[38:39], s[50:51]
	s_or_b64 exec, exec, s[0:1]
	v_mov_b32_e32 v3, 0
	s_and_saveexec_b64 s[0:1], s[38:39]
	s_cbranch_execnz .LBB47_324
	s_branch .LBB47_325
.LBB47_344:
	s_mov_b64 s[40:41], -1
                                        ; implicit-def: $vgpr3
.LBB47_345:
	s_mov_b64 s[38:39], 0
.LBB47_346:
	s_and_b64 vcc, exec, s[38:39]
	s_cbranch_vccz .LBB47_350
; %bb.347:
	s_cmp_eq_u32 s47, 11
	s_cbranch_scc0 .LBB47_349
; %bb.348:
	global_load_ubyte v3, v[1:2], off
	s_mov_b64 s[0:1], -1
	s_mov_b64 s[40:41], 0
	s_waitcnt vmcnt(0)
	v_cmp_ne_u16_e32 vcc, 0, v3
	v_cndmask_b32_e64 v3, 0, 1, vcc
	s_branch .LBB47_350
.LBB47_349:
	s_mov_b64 s[40:41], -1
                                        ; implicit-def: $vgpr3
.LBB47_350:
	s_branch .LBB47_31
.LBB47_351:
	s_and_b32 s38, 0xffff, s46
	s_cmp_lt_i32 s38, 5
	s_cbranch_scc1 .LBB47_356
; %bb.352:
	s_cmp_lt_i32 s38, 8
	s_cbranch_scc1 .LBB47_357
; %bb.353:
	;; [unrolled: 3-line block ×3, first 2 shown]
	s_cmp_gt_i32 s38, 9
	s_cbranch_scc0 .LBB47_359
; %bb.355:
	global_load_dwordx2 v[3:4], v[1:2], off
	s_mov_b64 s[0:1], 0
	s_waitcnt vmcnt(0)
	v_cvt_i32_f64_e32 v3, v[3:4]
	s_branch .LBB47_360
.LBB47_356:
	s_mov_b64 s[0:1], -1
                                        ; implicit-def: $vgpr3
	s_branch .LBB47_378
.LBB47_357:
	s_mov_b64 s[0:1], -1
                                        ; implicit-def: $vgpr3
	s_branch .LBB47_366
.LBB47_358:
	s_mov_b64 s[0:1], -1
                                        ; implicit-def: $vgpr3
	s_branch .LBB47_363
.LBB47_359:
	s_mov_b64 s[0:1], -1
                                        ; implicit-def: $vgpr3
.LBB47_360:
	s_andn2_b64 vcc, exec, s[0:1]
	s_cbranch_vccnz .LBB47_362
; %bb.361:
	global_load_dword v3, v[1:2], off
	s_waitcnt vmcnt(0)
	v_cvt_i32_f32_e32 v3, v3
.LBB47_362:
	s_mov_b64 s[0:1], 0
.LBB47_363:
	s_andn2_b64 vcc, exec, s[0:1]
	s_cbranch_vccnz .LBB47_365
; %bb.364:
	global_load_dword v3, v[1:2], off
	s_waitcnt vmcnt(0)
	v_cvt_f32_f16_e32 v3, v3
	v_cvt_i32_f32_e32 v3, v3
.LBB47_365:
	s_mov_b64 s[0:1], 0
.LBB47_366:
	s_andn2_b64 vcc, exec, s[0:1]
	s_cbranch_vccnz .LBB47_377
; %bb.367:
	s_cmp_lt_i32 s38, 6
	s_cbranch_scc1 .LBB47_370
; %bb.368:
	s_cmp_gt_i32 s38, 6
	s_cbranch_scc0 .LBB47_371
; %bb.369:
	global_load_dwordx2 v[3:4], v[1:2], off
	s_mov_b64 s[0:1], 0
	s_waitcnt vmcnt(0)
	v_cvt_i32_f64_e32 v3, v[3:4]
	s_branch .LBB47_372
.LBB47_370:
	s_mov_b64 s[0:1], -1
                                        ; implicit-def: $vgpr3
	s_branch .LBB47_375
.LBB47_371:
	s_mov_b64 s[0:1], -1
                                        ; implicit-def: $vgpr3
.LBB47_372:
	s_andn2_b64 vcc, exec, s[0:1]
	s_cbranch_vccnz .LBB47_374
; %bb.373:
	global_load_dword v3, v[1:2], off
	s_waitcnt vmcnt(0)
	v_cvt_i32_f32_e32 v3, v3
.LBB47_374:
	s_mov_b64 s[0:1], 0
.LBB47_375:
	s_andn2_b64 vcc, exec, s[0:1]
	s_cbranch_vccnz .LBB47_377
; %bb.376:
	global_load_ushort v3, v[1:2], off
	s_waitcnt vmcnt(0)
	v_cvt_f32_f16_e32 v3, v3
	v_cvt_i32_f32_e32 v3, v3
.LBB47_377:
	s_mov_b64 s[0:1], 0
.LBB47_378:
	s_andn2_b64 vcc, exec, s[0:1]
	s_cbranch_vccnz .LBB47_398
; %bb.379:
	s_cmp_lt_i32 s38, 2
	s_cbranch_scc1 .LBB47_383
; %bb.380:
	s_cmp_lt_i32 s38, 3
	s_cbranch_scc1 .LBB47_384
; %bb.381:
	s_cmp_gt_i32 s38, 3
	s_cbranch_scc0 .LBB47_385
; %bb.382:
	global_load_dword v3, v[1:2], off
	s_mov_b64 s[0:1], 0
	s_branch .LBB47_386
.LBB47_383:
	s_mov_b64 s[0:1], -1
                                        ; implicit-def: $vgpr3
	s_branch .LBB47_392
.LBB47_384:
	s_mov_b64 s[0:1], -1
                                        ; implicit-def: $vgpr3
	s_branch .LBB47_389
.LBB47_385:
	s_mov_b64 s[0:1], -1
                                        ; implicit-def: $vgpr3
.LBB47_386:
	s_andn2_b64 vcc, exec, s[0:1]
	s_cbranch_vccnz .LBB47_388
; %bb.387:
	global_load_dword v3, v[1:2], off
.LBB47_388:
	s_mov_b64 s[0:1], 0
.LBB47_389:
	s_andn2_b64 vcc, exec, s[0:1]
	s_cbranch_vccnz .LBB47_391
; %bb.390:
	global_load_sshort v3, v[1:2], off
.LBB47_391:
	s_mov_b64 s[0:1], 0
.LBB47_392:
	s_andn2_b64 vcc, exec, s[0:1]
	s_cbranch_vccnz .LBB47_398
; %bb.393:
	s_cmp_gt_i32 s38, 0
	s_cbranch_scc0 .LBB47_395
; %bb.394:
	global_load_sbyte v3, v[1:2], off
	s_mov_b64 s[0:1], 0
	s_branch .LBB47_396
.LBB47_395:
	s_mov_b64 s[0:1], -1
                                        ; implicit-def: $vgpr3
.LBB47_396:
	s_andn2_b64 vcc, exec, s[0:1]
	s_cbranch_vccnz .LBB47_398
; %bb.397:
	global_load_ubyte v3, v[1:2], off
.LBB47_398:
	s_branch .LBB47_32
.LBB47_399:
	s_mov_b64 s[0:1], 0
.LBB47_400:
                                        ; implicit-def: $vgpr8
	s_mov_b64 s[46:47], 0
.LBB47_401:
	s_and_b64 s[38:39], s[0:1], exec
	s_and_b64 s[40:41], s[40:41], exec
	;; [unrolled: 1-line block ×3, first 2 shown]
	s_orn2_b64 s[0:1], s[46:47], exec
.LBB47_402:
	s_or_b64 exec, exec, s[44:45]
	s_mov_b64 s[52:53], 0
	s_mov_b64 s[50:51], 0
                                        ; implicit-def: $sgpr74
                                        ; implicit-def: $vgpr3_vgpr4
                                        ; implicit-def: $vgpr0
                                        ; implicit-def: $vgpr2
                                        ; implicit-def: $vgpr5
	s_and_saveexec_b64 s[44:45], s[0:1]
	s_cbranch_execz .LBB47_410
; %bb.403:
	v_cmp_gt_i32_e32 vcc, s68, v8
	s_mov_b64 s[0:1], -1
	s_mov_b64 s[46:47], s[42:43]
	s_mov_b64 s[48:49], s[40:41]
	;; [unrolled: 1-line block ×3, first 2 shown]
	s_and_saveexec_b64 s[52:53], vcc
	s_cbranch_execz .LBB47_812
; %bb.404:
	s_andn2_b64 vcc, exec, s[24:25]
	s_cbranch_vccnz .LBB47_413
; %bb.405:
	s_andn2_b64 vcc, exec, s[36:37]
	s_cbranch_vccnz .LBB47_414
; %bb.406:
	s_add_i32 s0, s73, 1
	s_and_b32 s46, s0, 30
	s_add_u32 s0, s2, 0xffffffe8
	s_addc_u32 s1, s3, -1
	v_mov_b32_e32 v2, 0
	v_mov_b32_e32 v4, 0
	;; [unrolled: 1-line block ×4, first 2 shown]
.LBB47_407:                             ; =>This Inner Loop Header: Depth=1
	s_load_dwordx4 s[48:51], s[0:1], 0x1c
	s_load_dwordx2 s[54:55], s[0:1], 0x2c
	s_load_dwordx2 s[60:61], s[0:1], 0xec
	s_load_dwordx4 s[56:59], s[0:1], 0xdc
	s_add_u32 s0, s0, 24
	s_waitcnt vmcnt(0) lgkmcnt(0)
	v_mul_hi_u32 v3, s49, v1
	s_addc_u32 s1, s1, 0
	s_add_i32 s46, s46, -2
	s_cmp_eq_u32 s46, 0
	v_add_u32_e32 v3, v1, v3
	v_lshrrev_b32_e32 v3, s50, v3
	v_mul_lo_u32 v5, v3, s48
	v_mul_hi_u32 v6, s54, v3
	v_sub_u32_e32 v5, v1, v5
	v_add_u32_e32 v1, v3, v6
	v_lshrrev_b32_e32 v1, s55, v1
	v_mul_lo_u32 v9, v1, s51
	v_mul_lo_u32 v6, v5, s56
	;; [unrolled: 1-line block ×4, first 2 shown]
	v_sub_u32_e32 v3, v3, v9
	v_mul_lo_u32 v9, v3, s59
	v_mul_lo_u32 v10, v3, s60
	;; [unrolled: 1-line block ×3, first 2 shown]
	v_add3_u32 v0, v6, v0, v9
	v_add3_u32 v4, v7, v4, v10
	;; [unrolled: 1-line block ×3, first 2 shown]
	s_cbranch_scc0 .LBB47_407
; %bb.408:
	s_bitcmp1_b32 s73, 0
	s_cselect_b64 s[46:47], -1, 0
	s_and_b64 vcc, exec, s[46:47]
	s_cbranch_vccnz .LBB47_415
; %bb.409:
	s_load_dwordx2 s[46:47], s[0:1], 0x1c
	s_load_dword s50, s[0:1], 0x24
	s_load_dwordx2 s[48:49], s[0:1], 0xdc
	s_waitcnt lgkmcnt(0)
	v_mul_hi_u32 v3, s47, v1
	v_add_u32_e32 v3, v1, v3
	v_lshrrev_b32_e32 v3, s50, v3
	v_mul_lo_u32 v3, v3, s46
	s_load_dword s46, s[0:1], 0xe4
	v_sub_u32_e32 v3, v1, v3
	v_mad_u64_u32 v[0:1], s[0:1], v3, s48, v[0:1]
	v_mad_u64_u32 v[4:5], s[0:1], v3, s49, v[4:5]
	s_waitcnt lgkmcnt(0)
	v_mad_u64_u32 v[2:3], s[0:1], v3, s46, v[2:3]
	s_branch .LBB47_415
.LBB47_410:
	s_or_b64 exec, exec, s[44:45]
	s_mov_b64 s[10:11], 0
	s_and_saveexec_b64 s[0:1], s[42:43]
	s_cbranch_execnz .LBB47_1315
.LBB47_411:
	s_or_b64 exec, exec, s[0:1]
	s_and_saveexec_b64 s[0:1], s[48:49]
	s_xor_b64 s[0:1], exec, s[0:1]
	s_cbranch_execz .LBB47_1316
.LBB47_412:
	s_waitcnt vmcnt(0)
	global_load_ubyte v1, v[3:4], off
	s_or_b64 s[50:51], s[50:51], exec
	s_waitcnt vmcnt(0)
	v_cmp_ne_u16_e32 vcc, 0, v1
	v_cndmask_b32_e64 v5, 0, 1, vcc
	s_or_b64 exec, exec, s[0:1]
	s_and_saveexec_b64 s[0:1], s[52:53]
	s_cbranch_execz .LBB47_1362
	s_branch .LBB47_1317
.LBB47_413:
                                        ; implicit-def: $vgpr0
                                        ; implicit-def: $vgpr4
                                        ; implicit-def: $vgpr2
	s_andn2_b64 vcc, exec, s[0:1]
	s_cbranch_vccz .LBB47_416
	s_branch .LBB47_418
.LBB47_414:
	v_mov_b32_e32 v0, 0
	v_mov_b32_e32 v4, 0
	;; [unrolled: 1-line block ×3, first 2 shown]
.LBB47_415:
	s_cbranch_execnz .LBB47_418
.LBB47_416:
	v_mul_hi_u32 v0, s17, v8
	s_andn2_b64 vcc, exec, s[34:35]
	v_add_u32_e32 v0, v8, v0
	v_lshrrev_b32_e32 v1, s18, v0
	v_mul_lo_u32 v0, v1, s16
	v_sub_u32_e32 v2, v8, v0
	v_mul_lo_u32 v0, v2, s20
	v_mul_lo_u32 v4, v2, s21
	v_mul_lo_u32 v2, v2, s22
	s_cbranch_vccnz .LBB47_418
; %bb.417:
	s_waitcnt vmcnt(0)
	v_mul_hi_u32 v3, s30, v1
	v_add_u32_e32 v3, v1, v3
	v_lshrrev_b32_e32 v3, s31, v3
	v_mul_lo_u32 v3, v3, s19
	v_sub_u32_e32 v3, v1, v3
	v_mad_u64_u32 v[0:1], s[0:1], v3, s23, v[0:1]
	v_mad_u64_u32 v[4:5], s[0:1], v3, s28, v[4:5]
	;; [unrolled: 1-line block ×3, first 2 shown]
.LBB47_418:
	v_mov_b32_e32 v1, s11
	s_and_b32 s50, s72, 0xff
	s_waitcnt vmcnt(0)
	v_add_co_u32_e32 v3, vcc, s10, v4
	s_cmp_lt_i32 s50, 11
	v_addc_co_u32_e32 v4, vcc, 0, v1, vcc
	s_cbranch_scc1 .LBB47_425
; %bb.419:
	s_and_b32 s51, 0xffff, s50
	s_cmp_gt_i32 s51, 25
	s_cbranch_scc0 .LBB47_434
; %bb.420:
	s_cmp_gt_i32 s51, 28
	s_cbranch_scc0 .LBB47_436
; %bb.421:
	;; [unrolled: 3-line block ×4, first 2 shown]
	s_cmp_eq_u32 s51, 46
	s_mov_b64 s[48:49], 0
	s_cbranch_scc0 .LBB47_444
; %bb.424:
	global_load_dword v1, v[3:4], off
	s_mov_b64 s[0:1], -1
	s_mov_b64 s[46:47], 0
	s_waitcnt vmcnt(0)
	v_lshlrev_b32_e32 v1, 16, v1
	v_cvt_i32_f32_e32 v5, v1
	s_branch .LBB47_445
.LBB47_425:
	s_mov_b64 s[0:1], 0
                                        ; implicit-def: $vgpr5
	s_mov_b64 s[46:47], s[42:43]
	s_cbranch_execnz .LBB47_507
.LBB47_426:
	s_andn2_b64 vcc, exec, s[0:1]
	s_cbranch_vccnz .LBB47_555
.LBB47_427:
	v_mov_b32_e32 v3, s13
	s_and_b32 s54, s71, 0xff
	v_add_co_u32_e32 v1, vcc, s12, v2
	s_cmp_lt_i32 s54, 11
	v_addc_co_u32_e32 v2, vcc, 0, v3, vcc
	s_cbranch_scc1 .LBB47_435
; %bb.428:
	s_and_b32 s55, 0xffff, s54
	s_cmp_gt_i32 s55, 25
	s_cbranch_scc0 .LBB47_437
; %bb.429:
	s_cmp_gt_i32 s55, 28
	s_cbranch_scc0 .LBB47_439
; %bb.430:
	;; [unrolled: 3-line block ×4, first 2 shown]
	s_cmp_eq_u32 s55, 46
	s_mov_b64 s[50:51], 0
	s_cbranch_scc0 .LBB47_559
; %bb.433:
	global_load_dword v3, v[1:2], off
	s_mov_b64 s[0:1], -1
	s_mov_b64 s[48:49], 0
	s_waitcnt vmcnt(0)
	v_lshlrev_b32_e32 v3, 16, v3
	v_cvt_i32_f32_e32 v3, v3
	s_branch .LBB47_560
.LBB47_434:
	s_mov_b64 s[48:49], -1
	s_mov_b64 s[0:1], 0
	s_mov_b64 s[46:47], s[42:43]
                                        ; implicit-def: $vgpr5
	s_branch .LBB47_473
.LBB47_435:
	s_mov_b64 s[50:51], -1
	s_mov_b64 s[0:1], 0
                                        ; implicit-def: $vgpr3
	s_mov_b64 s[48:49], s[40:41]
	s_branch .LBB47_621
.LBB47_436:
	s_mov_b64 s[48:49], -1
	s_mov_b64 s[0:1], 0
	s_mov_b64 s[46:47], s[42:43]
                                        ; implicit-def: $vgpr5
	s_branch .LBB47_456
.LBB47_437:
	s_mov_b64 s[50:51], -1
	s_mov_b64 s[0:1], 0
	s_mov_b64 s[48:49], s[40:41]
                                        ; implicit-def: $vgpr3
	s_branch .LBB47_587
.LBB47_438:
	s_mov_b64 s[48:49], -1
	s_mov_b64 s[0:1], 0
	s_mov_b64 s[46:47], s[42:43]
                                        ; implicit-def: $vgpr5
	s_branch .LBB47_451
.LBB47_439:
	s_mov_b64 s[50:51], -1
	s_mov_b64 s[0:1], 0
	s_mov_b64 s[48:49], s[40:41]
                                        ; implicit-def: $vgpr3
	s_branch .LBB47_570
.LBB47_440:
	s_mov_b64 s[48:49], -1
	s_mov_b64 s[0:1], 0
	s_mov_b64 s[46:47], s[42:43]
                                        ; implicit-def: $vgpr5
	s_branch .LBB47_445
.LBB47_441:
	s_mov_b64 s[50:51], -1
	s_mov_b64 s[0:1], 0
	s_mov_b64 s[48:49], s[40:41]
                                        ; implicit-def: $vgpr3
	s_branch .LBB47_565
.LBB47_442:
	s_andn2_saveexec_b64 s[52:53], s[52:53]
	s_cbranch_execz .LBB47_203
.LBB47_443:
	v_add_f32_e32 v2, 0x46000000, v3
	v_and_b32_e32 v2, 0xff, v2
	v_cmp_ne_u32_e32 vcc, 0, v2
	s_andn2_b64 s[50:51], s[50:51], exec
	s_and_b64 s[56:57], vcc, exec
	s_or_b64 s[50:51], s[50:51], s[56:57]
	s_or_b64 exec, exec, s[52:53]
	v_mov_b32_e32 v4, 0
	s_and_saveexec_b64 s[52:53], s[50:51]
	s_cbranch_execnz .LBB47_204
	s_branch .LBB47_205
.LBB47_444:
	s_mov_b64 s[46:47], -1
                                        ; implicit-def: $vgpr5
	s_mov_b64 s[0:1], 0
.LBB47_445:
	s_and_b64 vcc, exec, s[48:49]
	s_cbranch_vccz .LBB47_450
; %bb.446:
	s_cmp_eq_u32 s51, 44
	s_cbranch_scc0 .LBB47_449
; %bb.447:
	global_load_ubyte v1, v[3:4], off
	s_mov_b64 s[0:1], -1
	s_mov_b64 s[46:47], 0
	s_waitcnt vmcnt(0)
	v_lshlrev_b32_e32 v5, 23, v1
	v_cvt_i32_f32_e32 v5, v5
	v_cmp_ne_u32_e32 vcc, 0, v1
	v_cndmask_b32_e32 v5, 0, v5, vcc
	s_branch .LBB47_450
.LBB47_448:
	s_mov_b64 s[50:51], -1
	s_mov_b64 s[0:1], 0
	s_mov_b64 s[48:49], s[40:41]
                                        ; implicit-def: $vgpr3
	s_branch .LBB47_560
.LBB47_449:
	s_mov_b64 s[46:47], -1
                                        ; implicit-def: $vgpr5
.LBB47_450:
	s_mov_b64 s[48:49], 0
.LBB47_451:
	s_and_b64 vcc, exec, s[48:49]
	s_cbranch_vccz .LBB47_455
; %bb.452:
	s_cmp_eq_u32 s51, 29
	s_cbranch_scc0 .LBB47_454
; %bb.453:
	global_load_dword v5, v[3:4], off
	s_mov_b64 s[0:1], -1
	s_mov_b64 s[46:47], 0
	s_branch .LBB47_455
.LBB47_454:
	s_mov_b64 s[46:47], -1
                                        ; implicit-def: $vgpr5
.LBB47_455:
	s_mov_b64 s[48:49], 0
.LBB47_456:
	s_and_b64 vcc, exec, s[48:49]
	s_cbranch_vccz .LBB47_472
; %bb.457:
	s_cmp_lt_i32 s51, 27
	s_cbranch_scc1 .LBB47_460
; %bb.458:
	s_cmp_gt_i32 s51, 27
	s_cbranch_scc0 .LBB47_461
; %bb.459:
	global_load_dword v5, v[3:4], off
	s_mov_b64 s[0:1], 0
	s_branch .LBB47_462
.LBB47_460:
	s_mov_b64 s[0:1], -1
                                        ; implicit-def: $vgpr5
	s_branch .LBB47_465
.LBB47_461:
	s_mov_b64 s[0:1], -1
                                        ; implicit-def: $vgpr5
.LBB47_462:
	s_andn2_b64 vcc, exec, s[0:1]
	s_cbranch_vccnz .LBB47_464
; %bb.463:
	global_load_ushort v5, v[3:4], off
.LBB47_464:
	s_mov_b64 s[0:1], 0
.LBB47_465:
	s_andn2_b64 vcc, exec, s[0:1]
	s_cbranch_vccnz .LBB47_471
; %bb.466:
	global_load_ubyte v1, v[3:4], off
	s_movk_i32 s0, 0x7f
	s_mov_b64 s[48:49], 0
	s_waitcnt vmcnt(0)
	v_cmp_lt_i16_e32 vcc, s0, v1
	s_and_saveexec_b64 s[0:1], vcc
	s_xor_b64 s[0:1], exec, s[0:1]
	s_cbranch_execz .LBB47_483
; %bb.467:
	s_movk_i32 s48, 0x80
	v_cmp_ne_u16_e32 vcc, s48, v1
	s_and_b64 s[48:49], vcc, exec
	s_andn2_saveexec_b64 s[0:1], s[0:1]
	s_cbranch_execnz .LBB47_484
.LBB47_468:
	s_or_b64 exec, exec, s[0:1]
	v_mov_b32_e32 v5, 0
	s_and_saveexec_b64 s[0:1], s[48:49]
	s_cbranch_execz .LBB47_470
.LBB47_469:
	v_lshlrev_b32_e32 v5, 24, v1
	v_and_b32_e32 v1, 0xffff, v1
	v_and_b32_e32 v6, 7, v1
	v_ffbh_u32_e32 v9, v6
	v_min_u32_e32 v9, 32, v9
	v_subrev_u32_e32 v10, 28, v9
	v_bfe_u32 v7, v1, 3, 4
	v_lshlrev_b32_e32 v1, v10, v1
	v_sub_u32_e32 v9, 29, v9
	v_and_b32_e32 v1, 7, v1
	v_cmp_eq_u32_e32 vcc, 0, v7
	v_cndmask_b32_e32 v7, v7, v9, vcc
	v_cndmask_b32_e32 v1, v6, v1, vcc
	v_mov_b32_e32 v6, 0x3b800000
	v_lshlrev_b32_e32 v1, 20, v1
	v_and_b32_e32 v5, 0x80000000, v5
	v_lshl_add_u32 v6, v7, 23, v6
	v_or3_b32 v1, v5, v6, v1
	v_cvt_i32_f32_e32 v5, v1
.LBB47_470:
	s_or_b64 exec, exec, s[0:1]
.LBB47_471:
	s_mov_b64 s[0:1], -1
.LBB47_472:
	s_mov_b64 s[48:49], 0
.LBB47_473:
	s_and_b64 vcc, exec, s[48:49]
	s_cbranch_vccz .LBB47_506
; %bb.474:
	s_cmp_gt_i32 s51, 22
	s_cbranch_scc0 .LBB47_482
; %bb.475:
	s_cmp_lt_i32 s51, 24
	s_cbranch_scc1 .LBB47_485
; %bb.476:
	s_cmp_gt_i32 s51, 24
	s_cbranch_scc0 .LBB47_486
; %bb.477:
	global_load_ubyte v1, v[3:4], off
	s_movk_i32 s0, 0x7f
	s_mov_b64 s[48:49], 0
	s_waitcnt vmcnt(0)
	v_cmp_lt_i16_e32 vcc, s0, v1
	s_and_saveexec_b64 s[0:1], vcc
	s_xor_b64 s[0:1], exec, s[0:1]
	s_cbranch_execz .LBB47_498
; %bb.478:
	s_movk_i32 s48, 0x80
	v_cmp_ne_u16_e32 vcc, s48, v1
	s_and_b64 s[48:49], vcc, exec
	s_andn2_saveexec_b64 s[0:1], s[0:1]
	s_cbranch_execnz .LBB47_499
.LBB47_479:
	s_or_b64 exec, exec, s[0:1]
	v_mov_b32_e32 v5, 0
	s_and_saveexec_b64 s[0:1], s[48:49]
	s_cbranch_execz .LBB47_481
.LBB47_480:
	v_lshlrev_b32_e32 v5, 24, v1
	v_and_b32_e32 v1, 0xffff, v1
	v_and_b32_e32 v6, 3, v1
	v_ffbh_u32_e32 v9, v6
	v_min_u32_e32 v9, 32, v9
	v_subrev_u32_e32 v10, 29, v9
	v_bfe_u32 v7, v1, 2, 5
	v_lshlrev_b32_e32 v1, v10, v1
	v_sub_u32_e32 v9, 30, v9
	v_and_b32_e32 v1, 3, v1
	v_cmp_eq_u32_e32 vcc, 0, v7
	v_cndmask_b32_e32 v7, v7, v9, vcc
	v_cndmask_b32_e32 v1, v6, v1, vcc
	v_mov_b32_e32 v6, 0x37800000
	v_lshlrev_b32_e32 v1, 21, v1
	v_and_b32_e32 v5, 0x80000000, v5
	v_lshl_add_u32 v6, v7, 23, v6
	v_or3_b32 v1, v5, v6, v1
	v_cvt_i32_f32_e32 v5, v1
.LBB47_481:
	s_or_b64 exec, exec, s[0:1]
	s_mov_b64 s[0:1], 0
	s_branch .LBB47_487
.LBB47_482:
	s_mov_b64 s[48:49], -1
                                        ; implicit-def: $vgpr5
	s_branch .LBB47_493
.LBB47_483:
	s_andn2_saveexec_b64 s[0:1], s[0:1]
	s_cbranch_execz .LBB47_468
.LBB47_484:
	v_cmp_ne_u16_e32 vcc, 0, v1
	s_andn2_b64 s[48:49], s[48:49], exec
	s_and_b64 s[54:55], vcc, exec
	s_or_b64 s[48:49], s[48:49], s[54:55]
	s_or_b64 exec, exec, s[0:1]
	v_mov_b32_e32 v5, 0
	s_and_saveexec_b64 s[0:1], s[48:49]
	s_cbranch_execnz .LBB47_469
	s_branch .LBB47_470
.LBB47_485:
	s_mov_b64 s[0:1], -1
                                        ; implicit-def: $vgpr5
	s_branch .LBB47_490
.LBB47_486:
	s_mov_b64 s[0:1], -1
                                        ; implicit-def: $vgpr5
.LBB47_487:
	s_and_b64 vcc, exec, s[0:1]
	s_cbranch_vccz .LBB47_489
; %bb.488:
	global_load_ubyte v1, v[3:4], off
	s_mov_b32 s0, 0x7f800000
	s_waitcnt vmcnt(0)
	v_lshlrev_b32_e32 v1, 24, v1
	v_and_b32_e32 v5, 0x7f000000, v1
	v_ffbh_u32_e32 v6, v5
	v_min_u32_e32 v6, 32, v6
	v_sub_u32_e64 v6, v6, 4 clamp
	v_lshlrev_b32_e32 v9, v6, v5
	v_lshlrev_b32_e32 v6, 23, v6
	v_lshrrev_b32_e32 v9, 4, v9
	v_add_u32_e32 v7, 0x1000000, v5
	v_sub_u32_e32 v6, v9, v6
	v_ashrrev_i32_e32 v7, 8, v7
	v_add_u32_e32 v6, 0x3c000000, v6
	v_and_or_b32 v6, v7, s0, v6
	v_cmp_ne_u32_e32 vcc, 0, v5
	v_cndmask_b32_e32 v5, 0, v6, vcc
	s_brev_b32 s0, 1
	v_and_or_b32 v1, v1, s0, v5
	v_cvt_i32_f32_e32 v5, v1
.LBB47_489:
	s_mov_b64 s[0:1], 0
.LBB47_490:
	s_andn2_b64 vcc, exec, s[0:1]
	s_cbranch_vccnz .LBB47_492
; %bb.491:
	global_load_ubyte v1, v[3:4], off
	s_movk_i32 s0, 0x7f00
	s_brev_b32 s1, 16
	s_waitcnt vmcnt(0)
	v_lshlrev_b16_e32 v5, 8, v1
	v_lshlrev_b32_e32 v1, 25, v1
	v_lshrrev_b32_e32 v6, 4, v1
	v_and_or_b32 v7, v5, s0, 0.5
	v_or_b32_e32 v6, 0x70000000, v6
	v_add_f32_e32 v7, -0.5, v7
	v_mul_f32_e32 v6, 0x7800000, v6
	v_cmp_gt_u32_e32 vcc, s1, v1
	v_bfe_i32 v5, v5, 0, 16
	v_cndmask_b32_e32 v1, v6, v7, vcc
	s_brev_b32 s0, 1
	v_and_or_b32 v1, v5, s0, v1
	v_cvt_i32_f32_e32 v5, v1
.LBB47_492:
	s_mov_b64 s[48:49], 0
	s_mov_b64 s[0:1], -1
.LBB47_493:
	s_andn2_b64 vcc, exec, s[48:49]
	s_cbranch_vccnz .LBB47_506
; %bb.494:
	s_cmp_gt_i32 s51, 14
	s_cbranch_scc0 .LBB47_497
; %bb.495:
	s_cmp_eq_u32 s51, 15
	s_cbranch_scc0 .LBB47_500
; %bb.496:
	global_load_ushort v1, v[3:4], off
	s_mov_b64 s[0:1], -1
	s_mov_b64 s[46:47], 0
	s_waitcnt vmcnt(0)
	v_lshlrev_b32_e32 v1, 16, v1
	v_cvt_i32_f32_e32 v5, v1
	s_branch .LBB47_501
.LBB47_497:
	s_mov_b64 s[48:49], -1
                                        ; implicit-def: $vgpr5
	s_branch .LBB47_502
.LBB47_498:
	s_andn2_saveexec_b64 s[0:1], s[0:1]
	s_cbranch_execz .LBB47_479
.LBB47_499:
	v_cmp_ne_u16_e32 vcc, 0, v1
	s_andn2_b64 s[48:49], s[48:49], exec
	s_and_b64 s[54:55], vcc, exec
	s_or_b64 s[48:49], s[48:49], s[54:55]
	s_or_b64 exec, exec, s[0:1]
	v_mov_b32_e32 v5, 0
	s_and_saveexec_b64 s[0:1], s[48:49]
	s_cbranch_execnz .LBB47_480
	s_branch .LBB47_481
.LBB47_500:
	s_mov_b64 s[46:47], -1
                                        ; implicit-def: $vgpr5
.LBB47_501:
	s_mov_b64 s[48:49], 0
.LBB47_502:
	s_and_b64 vcc, exec, s[48:49]
	s_cbranch_vccz .LBB47_506
; %bb.503:
	s_cmp_eq_u32 s51, 11
	s_cbranch_scc0 .LBB47_505
; %bb.504:
	global_load_ubyte v1, v[3:4], off
	s_mov_b64 s[0:1], -1
	s_mov_b64 s[46:47], 0
	s_waitcnt vmcnt(0)
	v_cmp_ne_u16_e32 vcc, 0, v1
	v_cndmask_b32_e64 v5, 0, 1, vcc
	s_branch .LBB47_506
.LBB47_505:
	s_mov_b64 s[46:47], -1
                                        ; implicit-def: $vgpr5
.LBB47_506:
	s_branch .LBB47_426
.LBB47_507:
	s_and_b32 s48, 0xffff, s50
	s_cmp_lt_i32 s48, 5
	s_cbranch_scc1 .LBB47_512
; %bb.508:
	s_cmp_lt_i32 s48, 8
	s_cbranch_scc1 .LBB47_513
; %bb.509:
	;; [unrolled: 3-line block ×3, first 2 shown]
	s_cmp_gt_i32 s48, 9
	s_cbranch_scc0 .LBB47_515
; %bb.511:
	global_load_dwordx2 v[5:6], v[3:4], off
	s_mov_b64 s[0:1], 0
	s_waitcnt vmcnt(0)
	v_cvt_i32_f64_e32 v5, v[5:6]
	s_branch .LBB47_516
.LBB47_512:
	s_mov_b64 s[0:1], -1
                                        ; implicit-def: $vgpr5
	s_branch .LBB47_534
.LBB47_513:
	s_mov_b64 s[0:1], -1
                                        ; implicit-def: $vgpr5
	s_branch .LBB47_522
.LBB47_514:
	s_mov_b64 s[0:1], -1
                                        ; implicit-def: $vgpr5
	s_branch .LBB47_519
.LBB47_515:
	s_mov_b64 s[0:1], -1
                                        ; implicit-def: $vgpr5
.LBB47_516:
	s_andn2_b64 vcc, exec, s[0:1]
	s_cbranch_vccnz .LBB47_518
; %bb.517:
	global_load_dword v1, v[3:4], off
	s_waitcnt vmcnt(0)
	v_cvt_i32_f32_e32 v5, v1
.LBB47_518:
	s_mov_b64 s[0:1], 0
.LBB47_519:
	s_andn2_b64 vcc, exec, s[0:1]
	s_cbranch_vccnz .LBB47_521
; %bb.520:
	global_load_dword v1, v[3:4], off
	s_waitcnt vmcnt(0)
	v_cvt_f32_f16_e32 v1, v1
	v_cvt_i32_f32_e32 v5, v1
.LBB47_521:
	s_mov_b64 s[0:1], 0
.LBB47_522:
	s_andn2_b64 vcc, exec, s[0:1]
	s_cbranch_vccnz .LBB47_533
; %bb.523:
	s_cmp_lt_i32 s48, 6
	s_cbranch_scc1 .LBB47_526
; %bb.524:
	s_cmp_gt_i32 s48, 6
	s_cbranch_scc0 .LBB47_527
; %bb.525:
	global_load_dwordx2 v[5:6], v[3:4], off
	s_mov_b64 s[0:1], 0
	s_waitcnt vmcnt(0)
	v_cvt_i32_f64_e32 v5, v[5:6]
	s_branch .LBB47_528
.LBB47_526:
	s_mov_b64 s[0:1], -1
                                        ; implicit-def: $vgpr5
	s_branch .LBB47_531
.LBB47_527:
	s_mov_b64 s[0:1], -1
                                        ; implicit-def: $vgpr5
.LBB47_528:
	s_andn2_b64 vcc, exec, s[0:1]
	s_cbranch_vccnz .LBB47_530
; %bb.529:
	global_load_dword v1, v[3:4], off
	s_waitcnt vmcnt(0)
	v_cvt_i32_f32_e32 v5, v1
.LBB47_530:
	s_mov_b64 s[0:1], 0
.LBB47_531:
	s_andn2_b64 vcc, exec, s[0:1]
	s_cbranch_vccnz .LBB47_533
; %bb.532:
	global_load_ushort v1, v[3:4], off
	s_waitcnt vmcnt(0)
	v_cvt_f32_f16_e32 v1, v1
	v_cvt_i32_f32_e32 v5, v1
.LBB47_533:
	s_mov_b64 s[0:1], 0
.LBB47_534:
	s_andn2_b64 vcc, exec, s[0:1]
	s_cbranch_vccnz .LBB47_554
; %bb.535:
	s_cmp_lt_i32 s48, 2
	s_cbranch_scc1 .LBB47_539
; %bb.536:
	s_cmp_lt_i32 s48, 3
	s_cbranch_scc1 .LBB47_540
; %bb.537:
	s_cmp_gt_i32 s48, 3
	s_cbranch_scc0 .LBB47_541
; %bb.538:
	global_load_dword v5, v[3:4], off
	s_mov_b64 s[0:1], 0
	s_branch .LBB47_542
.LBB47_539:
	s_mov_b64 s[0:1], -1
                                        ; implicit-def: $vgpr5
	s_branch .LBB47_548
.LBB47_540:
	s_mov_b64 s[0:1], -1
                                        ; implicit-def: $vgpr5
	s_branch .LBB47_545
.LBB47_541:
	s_mov_b64 s[0:1], -1
                                        ; implicit-def: $vgpr5
.LBB47_542:
	s_andn2_b64 vcc, exec, s[0:1]
	s_cbranch_vccnz .LBB47_544
; %bb.543:
	global_load_dword v5, v[3:4], off
.LBB47_544:
	s_mov_b64 s[0:1], 0
.LBB47_545:
	s_andn2_b64 vcc, exec, s[0:1]
	s_cbranch_vccnz .LBB47_547
; %bb.546:
	global_load_sshort v5, v[3:4], off
.LBB47_547:
	s_mov_b64 s[0:1], 0
.LBB47_548:
	s_andn2_b64 vcc, exec, s[0:1]
	s_cbranch_vccnz .LBB47_554
; %bb.549:
	s_cmp_gt_i32 s48, 0
	s_cbranch_scc0 .LBB47_551
; %bb.550:
	global_load_sbyte v5, v[3:4], off
	s_mov_b64 s[0:1], 0
	s_branch .LBB47_552
.LBB47_551:
	s_mov_b64 s[0:1], -1
                                        ; implicit-def: $vgpr5
.LBB47_552:
	s_andn2_b64 vcc, exec, s[0:1]
	s_cbranch_vccnz .LBB47_554
; %bb.553:
	global_load_ubyte v5, v[3:4], off
.LBB47_554:
	s_branch .LBB47_427
.LBB47_555:
	s_mov_b64 s[54:55], 0
	s_mov_b64 s[0:1], s[38:39]
	s_mov_b64 s[48:49], s[40:41]
.LBB47_556:
                                        ; implicit-def: $vgpr8
	s_branch .LBB47_811
.LBB47_557:
	s_andn2_saveexec_b64 s[52:53], s[52:53]
	s_cbranch_execz .LBB47_216
.LBB47_558:
	v_add_f32_e32 v2, 0x42800000, v3
	v_and_b32_e32 v2, 0xff, v2
	v_cmp_ne_u32_e32 vcc, 0, v2
	s_andn2_b64 s[50:51], s[50:51], exec
	s_and_b64 s[56:57], vcc, exec
	s_or_b64 s[50:51], s[50:51], s[56:57]
	s_or_b64 exec, exec, s[52:53]
	v_mov_b32_e32 v4, 0
	s_and_saveexec_b64 s[52:53], s[50:51]
	s_cbranch_execnz .LBB47_217
	s_branch .LBB47_218
.LBB47_559:
	s_mov_b64 s[48:49], -1
                                        ; implicit-def: $vgpr3
	s_mov_b64 s[0:1], 0
.LBB47_560:
	s_and_b64 vcc, exec, s[50:51]
	s_cbranch_vccz .LBB47_564
; %bb.561:
	s_cmp_eq_u32 s55, 44
	s_cbranch_scc0 .LBB47_563
; %bb.562:
	global_load_ubyte v3, v[1:2], off
	s_mov_b64 s[0:1], -1
	s_mov_b64 s[48:49], 0
	s_waitcnt vmcnt(0)
	v_lshlrev_b32_e32 v4, 23, v3
	v_cvt_i32_f32_e32 v4, v4
	v_cmp_ne_u32_e32 vcc, 0, v3
	v_cndmask_b32_e32 v3, 0, v4, vcc
	s_branch .LBB47_564
.LBB47_563:
	s_mov_b64 s[48:49], -1
                                        ; implicit-def: $vgpr3
.LBB47_564:
	s_mov_b64 s[50:51], 0
.LBB47_565:
	s_and_b64 vcc, exec, s[50:51]
	s_cbranch_vccz .LBB47_569
; %bb.566:
	s_cmp_eq_u32 s55, 29
	s_cbranch_scc0 .LBB47_568
; %bb.567:
	global_load_dword v3, v[1:2], off
	s_mov_b64 s[0:1], -1
	s_mov_b64 s[48:49], 0
	s_branch .LBB47_569
.LBB47_568:
	s_mov_b64 s[48:49], -1
                                        ; implicit-def: $vgpr3
.LBB47_569:
	s_mov_b64 s[50:51], 0
.LBB47_570:
	s_and_b64 vcc, exec, s[50:51]
	s_cbranch_vccz .LBB47_586
; %bb.571:
	s_cmp_lt_i32 s55, 27
	s_cbranch_scc1 .LBB47_574
; %bb.572:
	s_cmp_gt_i32 s55, 27
	s_cbranch_scc0 .LBB47_575
; %bb.573:
	global_load_dword v3, v[1:2], off
	s_mov_b64 s[0:1], 0
	s_branch .LBB47_576
.LBB47_574:
	s_mov_b64 s[0:1], -1
                                        ; implicit-def: $vgpr3
	s_branch .LBB47_579
.LBB47_575:
	s_mov_b64 s[0:1], -1
                                        ; implicit-def: $vgpr3
.LBB47_576:
	s_andn2_b64 vcc, exec, s[0:1]
	s_cbranch_vccnz .LBB47_578
; %bb.577:
	global_load_ushort v3, v[1:2], off
.LBB47_578:
	s_mov_b64 s[0:1], 0
.LBB47_579:
	s_andn2_b64 vcc, exec, s[0:1]
	s_cbranch_vccnz .LBB47_585
; %bb.580:
	global_load_ubyte v4, v[1:2], off
	s_movk_i32 s0, 0x7f
	s_mov_b64 s[50:51], 0
	s_waitcnt vmcnt(0)
	v_cmp_lt_i16_e32 vcc, s0, v4
	s_and_saveexec_b64 s[0:1], vcc
	s_xor_b64 s[0:1], exec, s[0:1]
	s_cbranch_execz .LBB47_597
; %bb.581:
	s_movk_i32 s50, 0x80
	v_cmp_ne_u16_e32 vcc, s50, v4
	s_and_b64 s[50:51], vcc, exec
	s_andn2_saveexec_b64 s[0:1], s[0:1]
	s_cbranch_execnz .LBB47_598
.LBB47_582:
	s_or_b64 exec, exec, s[0:1]
	v_mov_b32_e32 v3, 0
	s_and_saveexec_b64 s[0:1], s[50:51]
	s_cbranch_execz .LBB47_584
.LBB47_583:
	v_lshlrev_b32_e32 v3, 24, v4
	v_and_b32_e32 v4, 0xffff, v4
	v_and_b32_e32 v6, 7, v4
	v_ffbh_u32_e32 v9, v6
	v_min_u32_e32 v9, 32, v9
	v_subrev_u32_e32 v10, 28, v9
	v_bfe_u32 v7, v4, 3, 4
	v_lshlrev_b32_e32 v4, v10, v4
	v_sub_u32_e32 v9, 29, v9
	v_and_b32_e32 v4, 7, v4
	v_cmp_eq_u32_e32 vcc, 0, v7
	v_cndmask_b32_e32 v7, v7, v9, vcc
	v_cndmask_b32_e32 v4, v6, v4, vcc
	v_mov_b32_e32 v6, 0x3b800000
	v_lshlrev_b32_e32 v4, 20, v4
	v_and_b32_e32 v3, 0x80000000, v3
	v_lshl_add_u32 v6, v7, 23, v6
	v_or3_b32 v3, v3, v6, v4
	v_cvt_i32_f32_e32 v3, v3
.LBB47_584:
	s_or_b64 exec, exec, s[0:1]
.LBB47_585:
	s_mov_b64 s[0:1], -1
.LBB47_586:
	s_mov_b64 s[50:51], 0
.LBB47_587:
	s_and_b64 vcc, exec, s[50:51]
	s_cbranch_vccz .LBB47_620
; %bb.588:
	s_cmp_gt_i32 s55, 22
	s_cbranch_scc0 .LBB47_596
; %bb.589:
	s_cmp_lt_i32 s55, 24
	s_cbranch_scc1 .LBB47_599
; %bb.590:
	s_cmp_gt_i32 s55, 24
	s_cbranch_scc0 .LBB47_600
; %bb.591:
	global_load_ubyte v4, v[1:2], off
	s_movk_i32 s0, 0x7f
	s_mov_b64 s[50:51], 0
	s_waitcnt vmcnt(0)
	v_cmp_lt_i16_e32 vcc, s0, v4
	s_and_saveexec_b64 s[0:1], vcc
	s_xor_b64 s[0:1], exec, s[0:1]
	s_cbranch_execz .LBB47_612
; %bb.592:
	s_movk_i32 s50, 0x80
	v_cmp_ne_u16_e32 vcc, s50, v4
	s_and_b64 s[50:51], vcc, exec
	s_andn2_saveexec_b64 s[0:1], s[0:1]
	s_cbranch_execnz .LBB47_613
.LBB47_593:
	s_or_b64 exec, exec, s[0:1]
	v_mov_b32_e32 v3, 0
	s_and_saveexec_b64 s[0:1], s[50:51]
	s_cbranch_execz .LBB47_595
.LBB47_594:
	v_lshlrev_b32_e32 v3, 24, v4
	v_and_b32_e32 v4, 0xffff, v4
	v_and_b32_e32 v6, 3, v4
	v_ffbh_u32_e32 v9, v6
	v_min_u32_e32 v9, 32, v9
	v_subrev_u32_e32 v10, 29, v9
	v_bfe_u32 v7, v4, 2, 5
	v_lshlrev_b32_e32 v4, v10, v4
	v_sub_u32_e32 v9, 30, v9
	v_and_b32_e32 v4, 3, v4
	v_cmp_eq_u32_e32 vcc, 0, v7
	v_cndmask_b32_e32 v7, v7, v9, vcc
	v_cndmask_b32_e32 v4, v6, v4, vcc
	v_mov_b32_e32 v6, 0x37800000
	v_lshlrev_b32_e32 v4, 21, v4
	v_and_b32_e32 v3, 0x80000000, v3
	v_lshl_add_u32 v6, v7, 23, v6
	v_or3_b32 v3, v3, v6, v4
	v_cvt_i32_f32_e32 v3, v3
.LBB47_595:
	s_or_b64 exec, exec, s[0:1]
	s_mov_b64 s[0:1], 0
	s_branch .LBB47_601
.LBB47_596:
	s_mov_b64 s[50:51], -1
                                        ; implicit-def: $vgpr3
	s_branch .LBB47_607
.LBB47_597:
	s_andn2_saveexec_b64 s[0:1], s[0:1]
	s_cbranch_execz .LBB47_582
.LBB47_598:
	v_cmp_ne_u16_e32 vcc, 0, v4
	s_andn2_b64 s[50:51], s[50:51], exec
	s_and_b64 s[56:57], vcc, exec
	s_or_b64 s[50:51], s[50:51], s[56:57]
	s_or_b64 exec, exec, s[0:1]
	v_mov_b32_e32 v3, 0
	s_and_saveexec_b64 s[0:1], s[50:51]
	s_cbranch_execnz .LBB47_583
	s_branch .LBB47_584
.LBB47_599:
	s_mov_b64 s[0:1], -1
                                        ; implicit-def: $vgpr3
	s_branch .LBB47_604
.LBB47_600:
	s_mov_b64 s[0:1], -1
                                        ; implicit-def: $vgpr3
.LBB47_601:
	s_and_b64 vcc, exec, s[0:1]
	s_cbranch_vccz .LBB47_603
; %bb.602:
	global_load_ubyte v3, v[1:2], off
	s_mov_b32 s0, 0x7f800000
	s_waitcnt vmcnt(0)
	v_lshlrev_b32_e32 v3, 24, v3
	v_and_b32_e32 v4, 0x7f000000, v3
	v_ffbh_u32_e32 v6, v4
	v_min_u32_e32 v6, 32, v6
	v_sub_u32_e64 v6, v6, 4 clamp
	v_lshlrev_b32_e32 v9, v6, v4
	v_lshlrev_b32_e32 v6, 23, v6
	v_lshrrev_b32_e32 v9, 4, v9
	v_add_u32_e32 v7, 0x1000000, v4
	v_sub_u32_e32 v6, v9, v6
	v_ashrrev_i32_e32 v7, 8, v7
	v_add_u32_e32 v6, 0x3c000000, v6
	v_and_or_b32 v6, v7, s0, v6
	v_cmp_ne_u32_e32 vcc, 0, v4
	v_cndmask_b32_e32 v4, 0, v6, vcc
	s_brev_b32 s0, 1
	v_and_or_b32 v3, v3, s0, v4
	v_cvt_i32_f32_e32 v3, v3
.LBB47_603:
	s_mov_b64 s[0:1], 0
.LBB47_604:
	s_andn2_b64 vcc, exec, s[0:1]
	s_cbranch_vccnz .LBB47_606
; %bb.605:
	global_load_ubyte v3, v[1:2], off
	s_movk_i32 s0, 0x7f00
	s_brev_b32 s1, 16
	s_waitcnt vmcnt(0)
	v_lshlrev_b16_e32 v4, 8, v3
	v_lshlrev_b32_e32 v3, 25, v3
	v_lshrrev_b32_e32 v6, 4, v3
	v_and_or_b32 v7, v4, s0, 0.5
	v_or_b32_e32 v6, 0x70000000, v6
	v_add_f32_e32 v7, -0.5, v7
	v_mul_f32_e32 v6, 0x7800000, v6
	v_cmp_gt_u32_e32 vcc, s1, v3
	v_bfe_i32 v4, v4, 0, 16
	v_cndmask_b32_e32 v3, v6, v7, vcc
	s_brev_b32 s0, 1
	v_and_or_b32 v3, v4, s0, v3
	v_cvt_i32_f32_e32 v3, v3
.LBB47_606:
	s_mov_b64 s[50:51], 0
	s_mov_b64 s[0:1], -1
.LBB47_607:
	s_andn2_b64 vcc, exec, s[50:51]
	s_cbranch_vccnz .LBB47_620
; %bb.608:
	s_cmp_gt_i32 s55, 14
	s_cbranch_scc0 .LBB47_611
; %bb.609:
	s_cmp_eq_u32 s55, 15
	s_cbranch_scc0 .LBB47_614
; %bb.610:
	global_load_ushort v3, v[1:2], off
	s_mov_b64 s[0:1], -1
	s_mov_b64 s[48:49], 0
	s_waitcnt vmcnt(0)
	v_lshlrev_b32_e32 v3, 16, v3
	v_cvt_i32_f32_e32 v3, v3
	s_branch .LBB47_615
.LBB47_611:
	s_mov_b64 s[50:51], -1
                                        ; implicit-def: $vgpr3
	s_branch .LBB47_616
.LBB47_612:
	s_andn2_saveexec_b64 s[0:1], s[0:1]
	s_cbranch_execz .LBB47_593
.LBB47_613:
	v_cmp_ne_u16_e32 vcc, 0, v4
	s_andn2_b64 s[50:51], s[50:51], exec
	s_and_b64 s[56:57], vcc, exec
	s_or_b64 s[50:51], s[50:51], s[56:57]
	s_or_b64 exec, exec, s[0:1]
	v_mov_b32_e32 v3, 0
	s_and_saveexec_b64 s[0:1], s[50:51]
	s_cbranch_execnz .LBB47_594
	s_branch .LBB47_595
.LBB47_614:
	s_mov_b64 s[48:49], -1
                                        ; implicit-def: $vgpr3
.LBB47_615:
	s_mov_b64 s[50:51], 0
.LBB47_616:
	s_and_b64 vcc, exec, s[50:51]
	s_cbranch_vccz .LBB47_620
; %bb.617:
	s_cmp_eq_u32 s55, 11
	s_cbranch_scc0 .LBB47_619
; %bb.618:
	global_load_ubyte v3, v[1:2], off
	s_mov_b64 s[0:1], -1
	s_mov_b64 s[48:49], 0
	s_waitcnt vmcnt(0)
	v_cmp_ne_u16_e32 vcc, 0, v3
	v_cndmask_b32_e64 v3, 0, 1, vcc
	s_branch .LBB47_620
.LBB47_619:
	s_mov_b64 s[48:49], -1
                                        ; implicit-def: $vgpr3
.LBB47_620:
	s_mov_b64 s[50:51], 0
.LBB47_621:
	s_and_b64 vcc, exec, s[50:51]
	s_cbranch_vccz .LBB47_670
; %bb.622:
	s_and_b32 s50, 0xffff, s54
	s_cmp_lt_i32 s50, 5
	s_cbranch_scc1 .LBB47_627
; %bb.623:
	s_cmp_lt_i32 s50, 8
	s_cbranch_scc1 .LBB47_628
; %bb.624:
	;; [unrolled: 3-line block ×3, first 2 shown]
	s_cmp_gt_i32 s50, 9
	s_cbranch_scc0 .LBB47_630
; %bb.626:
	global_load_dwordx2 v[3:4], v[1:2], off
	s_mov_b64 s[0:1], 0
	s_waitcnt vmcnt(0)
	v_cvt_i32_f64_e32 v3, v[3:4]
	s_branch .LBB47_631
.LBB47_627:
	s_mov_b64 s[0:1], -1
                                        ; implicit-def: $vgpr3
	s_branch .LBB47_649
.LBB47_628:
	s_mov_b64 s[0:1], -1
                                        ; implicit-def: $vgpr3
	s_branch .LBB47_637
.LBB47_629:
	s_mov_b64 s[0:1], -1
                                        ; implicit-def: $vgpr3
	s_branch .LBB47_634
.LBB47_630:
	s_mov_b64 s[0:1], -1
                                        ; implicit-def: $vgpr3
.LBB47_631:
	s_andn2_b64 vcc, exec, s[0:1]
	s_cbranch_vccnz .LBB47_633
; %bb.632:
	global_load_dword v3, v[1:2], off
	s_waitcnt vmcnt(0)
	v_cvt_i32_f32_e32 v3, v3
.LBB47_633:
	s_mov_b64 s[0:1], 0
.LBB47_634:
	s_andn2_b64 vcc, exec, s[0:1]
	s_cbranch_vccnz .LBB47_636
; %bb.635:
	global_load_dword v3, v[1:2], off
	s_waitcnt vmcnt(0)
	v_cvt_f32_f16_e32 v3, v3
	v_cvt_i32_f32_e32 v3, v3
.LBB47_636:
	s_mov_b64 s[0:1], 0
.LBB47_637:
	s_andn2_b64 vcc, exec, s[0:1]
	s_cbranch_vccnz .LBB47_648
; %bb.638:
	s_cmp_lt_i32 s50, 6
	s_cbranch_scc1 .LBB47_641
; %bb.639:
	s_cmp_gt_i32 s50, 6
	s_cbranch_scc0 .LBB47_642
; %bb.640:
	global_load_dwordx2 v[3:4], v[1:2], off
	s_mov_b64 s[0:1], 0
	s_waitcnt vmcnt(0)
	v_cvt_i32_f64_e32 v3, v[3:4]
	s_branch .LBB47_643
.LBB47_641:
	s_mov_b64 s[0:1], -1
                                        ; implicit-def: $vgpr3
	s_branch .LBB47_646
.LBB47_642:
	s_mov_b64 s[0:1], -1
                                        ; implicit-def: $vgpr3
.LBB47_643:
	s_andn2_b64 vcc, exec, s[0:1]
	s_cbranch_vccnz .LBB47_645
; %bb.644:
	global_load_dword v3, v[1:2], off
	s_waitcnt vmcnt(0)
	v_cvt_i32_f32_e32 v3, v3
.LBB47_645:
	s_mov_b64 s[0:1], 0
.LBB47_646:
	s_andn2_b64 vcc, exec, s[0:1]
	s_cbranch_vccnz .LBB47_648
; %bb.647:
	global_load_ushort v3, v[1:2], off
	s_waitcnt vmcnt(0)
	v_cvt_f32_f16_e32 v3, v3
	v_cvt_i32_f32_e32 v3, v3
.LBB47_648:
	s_mov_b64 s[0:1], 0
.LBB47_649:
	s_andn2_b64 vcc, exec, s[0:1]
	s_cbranch_vccnz .LBB47_669
; %bb.650:
	s_cmp_lt_i32 s50, 2
	s_cbranch_scc1 .LBB47_654
; %bb.651:
	s_cmp_lt_i32 s50, 3
	s_cbranch_scc1 .LBB47_655
; %bb.652:
	s_cmp_gt_i32 s50, 3
	s_cbranch_scc0 .LBB47_656
; %bb.653:
	global_load_dword v3, v[1:2], off
	s_mov_b64 s[0:1], 0
	s_branch .LBB47_657
.LBB47_654:
	s_mov_b64 s[0:1], -1
                                        ; implicit-def: $vgpr3
	s_branch .LBB47_663
.LBB47_655:
	s_mov_b64 s[0:1], -1
                                        ; implicit-def: $vgpr3
	s_branch .LBB47_660
.LBB47_656:
	s_mov_b64 s[0:1], -1
                                        ; implicit-def: $vgpr3
.LBB47_657:
	s_andn2_b64 vcc, exec, s[0:1]
	s_cbranch_vccnz .LBB47_659
; %bb.658:
	global_load_dword v3, v[1:2], off
.LBB47_659:
	s_mov_b64 s[0:1], 0
.LBB47_660:
	s_andn2_b64 vcc, exec, s[0:1]
	s_cbranch_vccnz .LBB47_662
; %bb.661:
	global_load_sshort v3, v[1:2], off
.LBB47_662:
	s_mov_b64 s[0:1], 0
.LBB47_663:
	s_andn2_b64 vcc, exec, s[0:1]
	s_cbranch_vccnz .LBB47_669
; %bb.664:
	s_cmp_gt_i32 s50, 0
	s_cbranch_scc0 .LBB47_666
; %bb.665:
	global_load_sbyte v3, v[1:2], off
	s_mov_b64 s[0:1], 0
	s_branch .LBB47_667
.LBB47_666:
	s_mov_b64 s[0:1], -1
                                        ; implicit-def: $vgpr3
.LBB47_667:
	s_andn2_b64 vcc, exec, s[0:1]
	s_cbranch_vccnz .LBB47_669
; %bb.668:
	global_load_ubyte v3, v[1:2], off
.LBB47_669:
	s_mov_b64 s[0:1], -1
.LBB47_670:
	s_andn2_b64 vcc, exec, s[0:1]
	s_cbranch_vccnz .LBB47_675
; %bb.671:
	s_cmp_lt_i32 s14, 1
	s_mov_b64 s[0:1], 0
	s_cbranch_scc1 .LBB47_676
; %bb.672:
	s_cmp_gt_i32 s14, 1
	s_cbranch_scc0 .LBB47_677
; %bb.673:
	s_cmp_eq_u32 s14, 2
	s_cbranch_scc0 .LBB47_678
; %bb.674:
	s_waitcnt vmcnt(0)
	v_cmp_le_i32_e64 s[50:51], v5, v3
	s_mov_b64 s[54:55], 0
	s_branch .LBB47_679
.LBB47_675:
	s_mov_b64 s[54:55], 0
                                        ; implicit-def: $vgpr8
	s_mov_b64 s[0:1], s[38:39]
	s_branch .LBB47_811
.LBB47_676:
	s_mov_b64 s[56:57], -1
                                        ; implicit-def: $sgpr50_sgpr51
	s_mov_b64 s[54:55], 0
	s_branch .LBB47_683
.LBB47_677:
	s_mov_b64 s[56:57], -1
	s_mov_b64 s[54:55], 0
                                        ; implicit-def: $sgpr50_sgpr51
	s_branch .LBB47_680
.LBB47_678:
	s_mov_b64 s[54:55], -1
                                        ; implicit-def: $sgpr50_sgpr51
.LBB47_679:
	s_mov_b64 s[56:57], 0
.LBB47_680:
	s_and_b64 vcc, exec, s[56:57]
	s_cbranch_vccz .LBB47_682
; %bb.681:
	s_waitcnt vmcnt(0)
	v_cmp_gt_i32_e32 vcc, v5, v3
	s_andn2_b64 s[50:51], s[50:51], exec
	s_and_b64 s[56:57], vcc, exec
	s_or_b64 s[50:51], s[50:51], s[56:57]
.LBB47_682:
	s_mov_b64 s[56:57], 0
.LBB47_683:
	s_and_b64 vcc, exec, s[56:57]
	s_cbranch_vccz .LBB47_694
; %bb.684:
	s_cmp_lg_u32 s14, 0
	s_mov_b64 s[0:1], -1
	s_cselect_b64 s[54:55], -1, 0
	s_andn2_b64 vcc, exec, s[54:55]
	s_cbranch_vccz .LBB47_695
.LBB47_685:
	s_andn2_b64 vcc, exec, s[0:1]
	s_cbranch_vccnz .LBB47_687
.LBB47_686:
	s_waitcnt vmcnt(0)
	v_cmp_ge_i32_e32 vcc, v5, v3
	s_andn2_b64 s[0:1], s[50:51], exec
	s_and_b64 s[50:51], vcc, exec
	s_or_b64 s[50:51], s[0:1], s[50:51]
.LBB47_687:
	v_mov_b32_e32 v1, s9
	s_and_b32 s60, s15, 0xff
	v_add_co_u32_e32 v0, vcc, s8, v0
	s_cmp_lt_i32 s60, 11
	v_addc_co_u32_e32 v1, vcc, 0, v1, vcc
	s_cbranch_scc1 .LBB47_696
; %bb.688:
	s_and_b32 s61, 0xffff, s60
	s_cmp_gt_i32 s61, 25
	s_cbranch_scc0 .LBB47_697
; %bb.689:
	s_cmp_gt_i32 s61, 28
	s_cbranch_scc0 .LBB47_698
; %bb.690:
	;; [unrolled: 3-line block ×4, first 2 shown]
	s_mov_b64 s[56:57], 0
	s_mov_b64 s[0:1], -1
	s_cmp_eq_u32 s61, 46
	s_mov_b64 s[54:55], 0
	s_cbranch_scc0 .LBB47_701
; %bb.693:
	v_cndmask_b32_e64 v2, 0, 1.0, s[50:51]
	s_waitcnt vmcnt(0)
	v_bfe_u32 v3, v2, 16, 1
	s_movk_i32 s0, 0x7fff
	v_add3_u32 v2, v2, v3, s0
	v_lshrrev_b32_e32 v2, 16, v2
	global_store_dword v[0:1], v2, off
	s_mov_b64 s[54:55], -1
	s_mov_b64 s[0:1], 0
	s_branch .LBB47_701
.LBB47_694:
	s_andn2_b64 vcc, exec, s[54:55]
	s_cbranch_vccnz .LBB47_685
.LBB47_695:
	s_waitcnt vmcnt(0)
	v_cmp_lt_i32_e32 vcc, v5, v3
	s_andn2_b64 s[50:51], s[50:51], exec
	s_and_b64 s[54:55], vcc, exec
	s_or_b64 s[50:51], s[50:51], s[54:55]
	s_cbranch_execz .LBB47_686
	s_branch .LBB47_687
.LBB47_696:
	s_mov_b64 s[56:57], -1
	s_mov_b64 s[54:55], 0
	s_mov_b64 s[0:1], s[38:39]
	s_branch .LBB47_770
.LBB47_697:
	s_mov_b64 s[56:57], -1
	s_mov_b64 s[54:55], 0
	s_mov_b64 s[0:1], s[38:39]
	s_branch .LBB47_728
.LBB47_698:
	s_mov_b64 s[56:57], -1
	s_mov_b64 s[54:55], 0
	s_mov_b64 s[0:1], s[38:39]
	s_branch .LBB47_711
.LBB47_699:
	s_mov_b64 s[56:57], -1
	s_mov_b64 s[54:55], 0
	s_mov_b64 s[0:1], s[38:39]
	s_branch .LBB47_707
.LBB47_700:
	s_mov_b64 s[56:57], -1
	s_mov_b64 s[54:55], 0
	s_mov_b64 s[0:1], s[38:39]
.LBB47_701:
	s_and_b64 vcc, exec, s[56:57]
	s_cbranch_vccz .LBB47_706
; %bb.702:
	s_cmp_eq_u32 s61, 44
	s_mov_b64 s[0:1], -1
	s_cbranch_scc0 .LBB47_706
; %bb.703:
	s_waitcnt vmcnt(0)
	v_cndmask_b32_e64 v3, 0, 1.0, s[50:51]
	v_lshrrev_b32_e32 v2, 23, v3
	s_movk_i32 s0, 0xff
	v_cmp_ne_u32_e32 vcc, s0, v2
	v_mov_b32_e32 v4, 0xff
	s_and_saveexec_b64 s[54:55], vcc
; %bb.704:
	s_mov_b32 s0, 0x3fffff
	v_and_b32_e32 v4, 0x400000, v3
	v_and_or_b32 v3, v3, s0, v2
	v_cmp_ne_u32_e32 vcc, 0, v4
	v_cmp_ne_u32_e64 s[0:1], 0, v3
	s_and_b64 s[0:1], vcc, s[0:1]
	v_cndmask_b32_e64 v3, 0, 1, s[0:1]
	v_add_u32_e32 v4, v2, v3
; %bb.705:
	s_or_b64 exec, exec, s[54:55]
	s_mov_b64 s[54:55], -1
	s_mov_b64 s[0:1], 0
	global_store_byte v[0:1], v4, off
.LBB47_706:
	s_mov_b64 s[56:57], 0
.LBB47_707:
	s_and_b64 vcc, exec, s[56:57]
	s_cbranch_vccz .LBB47_710
; %bb.708:
	s_cmp_eq_u32 s61, 29
	s_mov_b64 s[0:1], -1
	s_cbranch_scc0 .LBB47_710
; %bb.709:
	s_mov_b32 s0, 0
	v_cndmask_b32_e64 v2, 0, 1, s[50:51]
	s_waitcnt vmcnt(0)
	v_mov_b32_e32 v3, s0
	global_store_dwordx2 v[0:1], v[2:3], off
	s_mov_b64 s[54:55], -1
	s_mov_b64 s[0:1], 0
.LBB47_710:
	s_mov_b64 s[56:57], 0
.LBB47_711:
	s_and_b64 vcc, exec, s[56:57]
	s_cbranch_vccz .LBB47_727
; %bb.712:
	s_cmp_lt_i32 s61, 27
	s_mov_b64 s[54:55], -1
	s_cbranch_scc1 .LBB47_718
; %bb.713:
	s_cmp_gt_i32 s61, 27
	s_cbranch_scc0 .LBB47_715
; %bb.714:
	v_cndmask_b32_e64 v2, 0, 1, s[50:51]
	s_mov_b64 s[54:55], 0
	global_store_dword v[0:1], v2, off
.LBB47_715:
	s_andn2_b64 vcc, exec, s[54:55]
	s_cbranch_vccnz .LBB47_717
; %bb.716:
	v_cndmask_b32_e64 v2, 0, 1, s[50:51]
	global_store_short v[0:1], v2, off
.LBB47_717:
	s_mov_b64 s[54:55], 0
.LBB47_718:
	s_andn2_b64 vcc, exec, s[54:55]
	s_cbranch_vccnz .LBB47_726
; %bb.719:
	s_waitcnt vmcnt(0)
	v_cndmask_b32_e64 v3, 0, 1.0, s[50:51]
	s_mov_b32 s54, 0x43800000
	v_cmp_gt_u32_e32 vcc, s54, v3
	v_mov_b32_e32 v4, 0x80
	s_and_saveexec_b64 s[54:55], vcc
	s_cbranch_execz .LBB47_725
; %bb.720:
	s_mov_b32 s56, 0x3bffffff
	v_cmp_lt_u32_e32 vcc, s56, v3
	s_mov_b64 s[56:57], 0
                                        ; implicit-def: $vgpr2
	s_and_saveexec_b64 s[58:59], vcc
	s_xor_b64 s[58:59], exec, s[58:59]
	s_cbranch_execz .LBB47_839
; %bb.721:
	v_bfe_u32 v2, v3, 20, 1
	s_mov_b32 s62, 0x487ffff
	v_add3_u32 v2, v3, v2, s62
	s_mov_b64 s[56:57], exec
	v_lshrrev_b32_e32 v2, 20, v2
                                        ; implicit-def: $vgpr3
	s_andn2_saveexec_b64 s[58:59], s[58:59]
	s_cbranch_execnz .LBB47_840
.LBB47_722:
	s_or_b64 exec, exec, s[58:59]
	v_mov_b32_e32 v4, 0
	s_and_saveexec_b64 s[58:59], s[56:57]
.LBB47_723:
	v_mov_b32_e32 v4, v2
.LBB47_724:
	s_or_b64 exec, exec, s[58:59]
.LBB47_725:
	s_or_b64 exec, exec, s[54:55]
	global_store_byte v[0:1], v4, off
.LBB47_726:
	s_mov_b64 s[54:55], -1
.LBB47_727:
	s_mov_b64 s[56:57], 0
.LBB47_728:
	s_and_b64 vcc, exec, s[56:57]
	s_cbranch_vccz .LBB47_769
; %bb.729:
	s_cmp_gt_i32 s61, 22
	s_mov_b64 s[56:57], -1
	s_cbranch_scc0 .LBB47_761
; %bb.730:
	s_cmp_lt_i32 s61, 24
	s_mov_b64 s[54:55], -1
	s_cbranch_scc1 .LBB47_750
; %bb.731:
	s_cmp_gt_i32 s61, 24
	s_cbranch_scc0 .LBB47_739
; %bb.732:
	s_waitcnt vmcnt(0)
	v_cndmask_b32_e64 v3, 0, 1.0, s[50:51]
	s_mov_b32 s54, 0x47800000
	v_cmp_gt_u32_e32 vcc, s54, v3
	v_mov_b32_e32 v4, 0x80
	s_and_saveexec_b64 s[54:55], vcc
	s_cbranch_execz .LBB47_738
; %bb.733:
	s_mov_b32 s56, 0x37ffffff
	v_cmp_lt_u32_e32 vcc, s56, v3
	s_mov_b64 s[56:57], 0
                                        ; implicit-def: $vgpr2
	s_and_saveexec_b64 s[58:59], vcc
	s_xor_b64 s[58:59], exec, s[58:59]
	s_cbranch_execz .LBB47_967
; %bb.734:
	v_bfe_u32 v2, v3, 21, 1
	s_mov_b32 s62, 0x88fffff
	v_add3_u32 v2, v3, v2, s62
	s_mov_b64 s[56:57], exec
	v_lshrrev_b32_e32 v2, 21, v2
                                        ; implicit-def: $vgpr3
	s_andn2_saveexec_b64 s[58:59], s[58:59]
	s_cbranch_execnz .LBB47_968
.LBB47_735:
	s_or_b64 exec, exec, s[58:59]
	v_mov_b32_e32 v4, 0
	s_and_saveexec_b64 s[58:59], s[56:57]
.LBB47_736:
	v_mov_b32_e32 v4, v2
.LBB47_737:
	s_or_b64 exec, exec, s[58:59]
.LBB47_738:
	s_or_b64 exec, exec, s[54:55]
	s_mov_b64 s[54:55], 0
	global_store_byte v[0:1], v4, off
.LBB47_739:
	s_and_b64 vcc, exec, s[54:55]
	s_cbranch_vccz .LBB47_749
; %bb.740:
	v_cndmask_b32_e64 v2, 0, 1.0, s[50:51]
	s_mov_b32 s54, 0x43f00000
	v_cmp_gt_u32_e32 vcc, s54, v2
                                        ; implicit-def: $vgpr3
	s_and_saveexec_b64 s[54:55], vcc
	s_xor_b64 s[54:55], exec, s[54:55]
	s_cbranch_execz .LBB47_746
; %bb.741:
	s_mov_b32 s56, 0x3c7fffff
	v_cmp_lt_u32_e32 vcc, s56, v2
                                        ; implicit-def: $vgpr3
	s_and_saveexec_b64 s[56:57], vcc
	s_xor_b64 s[56:57], exec, s[56:57]
	s_cbranch_execz .LBB47_743
; %bb.742:
	s_waitcnt vmcnt(0)
	v_bfe_u32 v3, v2, 20, 1
	s_mov_b32 s58, 0x407ffff
	v_add3_u32 v2, v2, v3, s58
	v_lshrrev_b32_e32 v3, 20, v2
	v_and_b32_e32 v2, 0xff00000, v2
	s_mov_b32 s58, 0x7f00000
	v_mov_b32_e32 v4, 0x7e
	v_cmp_ne_u32_e32 vcc, s58, v2
	v_cndmask_b32_e32 v3, v4, v3, vcc
                                        ; implicit-def: $vgpr2
.LBB47_743:
	s_andn2_saveexec_b64 s[56:57], s[56:57]
	s_cbranch_execz .LBB47_745
; %bb.744:
	s_waitcnt vmcnt(0)
	v_add_f32_e32 v3, 0x46800000, v2
.LBB47_745:
	s_or_b64 exec, exec, s[56:57]
                                        ; implicit-def: $vgpr2
.LBB47_746:
	s_andn2_saveexec_b64 s[54:55], s[54:55]
	s_cbranch_execz .LBB47_748
; %bb.747:
	s_mov_b32 s56, 0x7f800000
	s_waitcnt vmcnt(0)
	v_mov_b32_e32 v3, 0x7e
	v_mov_b32_e32 v4, 0x7f
	v_cmp_lt_u32_e32 vcc, s56, v2
	v_cndmask_b32_e32 v3, v3, v4, vcc
.LBB47_748:
	s_or_b64 exec, exec, s[54:55]
	s_waitcnt vmcnt(0)
	global_store_byte v[0:1], v3, off
.LBB47_749:
	s_mov_b64 s[54:55], 0
.LBB47_750:
	s_andn2_b64 vcc, exec, s[54:55]
	s_cbranch_vccnz .LBB47_760
; %bb.751:
	v_cndmask_b32_e64 v2, 0, 1.0, s[50:51]
	s_mov_b32 s54, 0x47800000
	v_cmp_gt_u32_e32 vcc, s54, v2
                                        ; implicit-def: $vgpr3
	s_and_saveexec_b64 s[54:55], vcc
	s_xor_b64 s[54:55], exec, s[54:55]
	s_cbranch_execz .LBB47_757
; %bb.752:
	s_mov_b32 s56, 0x387fffff
	v_cmp_lt_u32_e32 vcc, s56, v2
                                        ; implicit-def: $vgpr3
	s_and_saveexec_b64 s[56:57], vcc
	s_xor_b64 s[56:57], exec, s[56:57]
	s_cbranch_execz .LBB47_754
; %bb.753:
	s_waitcnt vmcnt(0)
	v_bfe_u32 v3, v2, 21, 1
	s_mov_b32 s58, 0x80fffff
	v_add3_u32 v2, v2, v3, s58
	v_lshrrev_b32_e32 v3, 21, v2
                                        ; implicit-def: $vgpr2
.LBB47_754:
	s_andn2_saveexec_b64 s[56:57], s[56:57]
	s_cbranch_execz .LBB47_756
; %bb.755:
	s_waitcnt vmcnt(0)
	v_add_f32_e32 v3, 0x43000000, v2
.LBB47_756:
	s_or_b64 exec, exec, s[56:57]
                                        ; implicit-def: $vgpr2
.LBB47_757:
	s_andn2_saveexec_b64 s[54:55], s[54:55]
	s_cbranch_execz .LBB47_759
; %bb.758:
	s_mov_b32 s56, 0x7f800000
	s_waitcnt vmcnt(0)
	v_mov_b32_e32 v3, 0x7c
	v_mov_b32_e32 v4, 0x7f
	v_cmp_lt_u32_e32 vcc, s56, v2
	v_cndmask_b32_e32 v3, v3, v4, vcc
.LBB47_759:
	s_or_b64 exec, exec, s[54:55]
	s_waitcnt vmcnt(0)
	global_store_byte v[0:1], v3, off
.LBB47_760:
	s_mov_b64 s[56:57], 0
	s_mov_b64 s[54:55], -1
.LBB47_761:
	s_andn2_b64 vcc, exec, s[56:57]
	s_cbranch_vccnz .LBB47_769
; %bb.762:
	s_cmp_gt_i32 s61, 14
	s_mov_b64 s[56:57], -1
	s_cbranch_scc0 .LBB47_766
; %bb.763:
	s_cmp_eq_u32 s61, 15
	s_mov_b64 s[0:1], -1
	s_cbranch_scc0 .LBB47_765
; %bb.764:
	v_cndmask_b32_e64 v2, 0, 1.0, s[50:51]
	s_waitcnt vmcnt(0)
	v_bfe_u32 v3, v2, 16, 1
	s_movk_i32 s0, 0x7fff
	v_add3_u32 v2, v2, v3, s0
	global_store_short_d16_hi v[0:1], v2, off
	s_mov_b64 s[54:55], -1
	s_mov_b64 s[0:1], 0
.LBB47_765:
	s_mov_b64 s[56:57], 0
.LBB47_766:
	s_and_b64 vcc, exec, s[56:57]
	s_cbranch_vccz .LBB47_769
; %bb.767:
	s_cmp_eq_u32 s61, 11
	s_mov_b64 s[0:1], -1
	s_cbranch_scc0 .LBB47_769
; %bb.768:
	v_cndmask_b32_e64 v2, 0, 1, s[50:51]
	s_mov_b64 s[54:55], -1
	s_mov_b64 s[0:1], 0
	global_store_byte v[0:1], v2, off
.LBB47_769:
	s_mov_b64 s[56:57], 0
.LBB47_770:
	s_and_b64 vcc, exec, s[56:57]
	s_cbranch_vccz .LBB47_809
; %bb.771:
	s_and_b32 s56, 0xffff, s60
	s_cmp_lt_i32 s56, 5
	s_mov_b64 s[54:55], -1
	s_cbranch_scc1 .LBB47_792
; %bb.772:
	s_cmp_lt_i32 s56, 8
	s_cbranch_scc1 .LBB47_782
; %bb.773:
	s_cmp_lt_i32 s56, 9
	s_cbranch_scc1 .LBB47_779
; %bb.774:
	s_cmp_gt_i32 s56, 9
	s_cbranch_scc0 .LBB47_776
; %bb.775:
	v_cndmask_b32_e64 v2, 0, 1, s[50:51]
	s_waitcnt vmcnt(0)
	v_cvt_f64_u32_e32 v[2:3], v2
	v_mov_b32_e32 v4, 0
	v_mov_b32_e32 v5, v4
	s_mov_b64 s[54:55], 0
	global_store_dwordx4 v[0:1], v[2:5], off
.LBB47_776:
	s_andn2_b64 vcc, exec, s[54:55]
	s_cbranch_vccnz .LBB47_778
; %bb.777:
	v_cndmask_b32_e64 v2, 0, 1.0, s[50:51]
	s_waitcnt vmcnt(0)
	v_mov_b32_e32 v3, 0
	global_store_dwordx2 v[0:1], v[2:3], off
.LBB47_778:
	s_mov_b64 s[54:55], 0
.LBB47_779:
	s_andn2_b64 vcc, exec, s[54:55]
	s_cbranch_vccnz .LBB47_781
; %bb.780:
	v_cndmask_b32_e64 v2, 0, 1.0, s[50:51]
	v_cvt_f16_f32_e32 v2, v2
	global_store_dword v[0:1], v2, off
.LBB47_781:
	s_mov_b64 s[54:55], 0
.LBB47_782:
	s_andn2_b64 vcc, exec, s[54:55]
	s_cbranch_vccnz .LBB47_791
; %bb.783:
	s_cmp_lt_i32 s56, 6
	s_mov_b64 s[54:55], -1
	s_cbranch_scc1 .LBB47_789
; %bb.784:
	s_cmp_gt_i32 s56, 6
	s_cbranch_scc0 .LBB47_786
; %bb.785:
	v_cndmask_b32_e64 v2, 0, 1, s[50:51]
	s_waitcnt vmcnt(0)
	v_cvt_f64_u32_e32 v[2:3], v2
	s_mov_b64 s[54:55], 0
	global_store_dwordx2 v[0:1], v[2:3], off
.LBB47_786:
	s_andn2_b64 vcc, exec, s[54:55]
	s_cbranch_vccnz .LBB47_788
; %bb.787:
	v_cndmask_b32_e64 v2, 0, 1.0, s[50:51]
	global_store_dword v[0:1], v2, off
.LBB47_788:
	s_mov_b64 s[54:55], 0
.LBB47_789:
	s_andn2_b64 vcc, exec, s[54:55]
	s_cbranch_vccnz .LBB47_791
; %bb.790:
	v_cndmask_b32_e64 v2, 0, 1.0, s[50:51]
	v_cvt_f16_f32_e32 v2, v2
	global_store_short v[0:1], v2, off
.LBB47_791:
	s_mov_b64 s[54:55], 0
.LBB47_792:
	s_andn2_b64 vcc, exec, s[54:55]
	s_cbranch_vccnz .LBB47_808
; %bb.793:
	s_cmp_lt_i32 s56, 2
	s_mov_b64 s[54:55], -1
	s_cbranch_scc1 .LBB47_803
; %bb.794:
	s_cmp_lt_i32 s56, 3
	s_cbranch_scc1 .LBB47_800
; %bb.795:
	s_cmp_gt_i32 s56, 3
	s_cbranch_scc0 .LBB47_797
; %bb.796:
	s_mov_b32 s54, 0
	v_cndmask_b32_e64 v2, 0, 1, s[50:51]
	s_waitcnt vmcnt(0)
	v_mov_b32_e32 v3, s54
	s_mov_b64 s[54:55], 0
	global_store_dwordx2 v[0:1], v[2:3], off
.LBB47_797:
	s_andn2_b64 vcc, exec, s[54:55]
	s_cbranch_vccnz .LBB47_799
; %bb.798:
	v_cndmask_b32_e64 v2, 0, 1, s[50:51]
	global_store_dword v[0:1], v2, off
.LBB47_799:
	s_mov_b64 s[54:55], 0
.LBB47_800:
	s_andn2_b64 vcc, exec, s[54:55]
	s_cbranch_vccnz .LBB47_802
; %bb.801:
	v_cndmask_b32_e64 v2, 0, 1, s[50:51]
	global_store_short v[0:1], v2, off
.LBB47_802:
	s_mov_b64 s[54:55], 0
.LBB47_803:
	s_andn2_b64 vcc, exec, s[54:55]
	s_cbranch_vccnz .LBB47_808
; %bb.804:
	s_mov_b64 s[54:55], -1
	s_cmp_gt_i32 s56, 0
	v_cndmask_b32_e64 v2, 0, 1, s[50:51]
	s_cbranch_scc0 .LBB47_806
; %bb.805:
	s_mov_b64 s[54:55], 0
	global_store_byte v[0:1], v2, off
.LBB47_806:
	s_andn2_b64 vcc, exec, s[54:55]
	s_cbranch_vccnz .LBB47_808
; %bb.807:
	global_store_byte v[0:1], v2, off
.LBB47_808:
	s_mov_b64 s[54:55], -1
.LBB47_809:
	s_andn2_b64 vcc, exec, s[54:55]
	s_cbranch_vccnz .LBB47_821
; %bb.810:
	v_add_u32_e32 v8, 0x80, v8
	s_mov_b64 s[54:55], -1
.LBB47_811:
	s_andn2_b64 s[50:51], s[38:39], exec
	s_and_b64 s[0:1], s[0:1], exec
	s_or_b64 s[50:51], s[50:51], s[0:1]
	s_andn2_b64 s[0:1], s[40:41], exec
	s_and_b64 s[48:49], s[48:49], exec
	s_or_b64 s[48:49], s[0:1], s[48:49]
	;; [unrolled: 3-line block ×3, first 2 shown]
	s_orn2_b64 s[0:1], s[54:55], exec
.LBB47_812:
	s_or_b64 exec, exec, s[52:53]
	s_mov_b64 s[54:55], 0
	s_mov_b64 s[56:57], 0
	;; [unrolled: 1-line block ×3, first 2 shown]
                                        ; implicit-def: $sgpr74
                                        ; implicit-def: $vgpr3_vgpr4
                                        ; implicit-def: $vgpr0
                                        ; implicit-def: $vgpr2
                                        ; implicit-def: $vgpr5
	s_and_saveexec_b64 s[52:53], s[0:1]
	s_cbranch_execz .LBB47_1314
; %bb.813:
	v_cmp_gt_i32_e32 vcc, s68, v8
	s_mov_b64 s[66:67], -1
	s_mov_b64 s[0:1], s[46:47]
	s_mov_b64 s[58:59], s[48:49]
	;; [unrolled: 1-line block ×3, first 2 shown]
	s_and_saveexec_b64 s[54:55], vcc
	s_cbranch_execz .LBB47_1222
; %bb.814:
	s_andn2_b64 vcc, exec, s[24:25]
	s_cbranch_vccnz .LBB47_820
; %bb.815:
	s_andn2_b64 vcc, exec, s[36:37]
	s_cbranch_vccnz .LBB47_822
; %bb.816:
	s_add_i32 s0, s73, 1
	s_and_b32 s56, s0, 30
	s_add_u32 s0, s2, 0xffffffe8
	s_addc_u32 s1, s3, -1
	v_mov_b32_e32 v2, 0
	v_mov_b32_e32 v4, 0
	v_mov_b32_e32 v0, 0
	v_mov_b32_e32 v1, v8
.LBB47_817:                             ; =>This Inner Loop Header: Depth=1
	s_load_dwordx4 s[60:63], s[0:1], 0x1c
	s_load_dwordx2 s[58:59], s[0:1], 0x2c
	s_load_dwordx2 s[74:75], s[0:1], 0xec
	s_load_dwordx4 s[64:67], s[0:1], 0xdc
	s_add_u32 s0, s0, 24
	s_waitcnt vmcnt(0) lgkmcnt(0)
	v_mul_hi_u32 v3, s61, v1
	s_addc_u32 s1, s1, 0
	s_add_i32 s56, s56, -2
	s_cmp_eq_u32 s56, 0
	v_add_u32_e32 v3, v1, v3
	v_lshrrev_b32_e32 v3, s62, v3
	v_mul_lo_u32 v5, v3, s60
	v_mul_hi_u32 v6, s58, v3
	v_sub_u32_e32 v5, v1, v5
	v_add_u32_e32 v1, v3, v6
	v_lshrrev_b32_e32 v1, s59, v1
	v_mul_lo_u32 v9, v1, s63
	v_mul_lo_u32 v6, v5, s64
	;; [unrolled: 1-line block ×4, first 2 shown]
	v_sub_u32_e32 v3, v3, v9
	v_mul_lo_u32 v9, v3, s67
	v_mul_lo_u32 v10, v3, s74
	;; [unrolled: 1-line block ×3, first 2 shown]
	v_add3_u32 v0, v6, v0, v9
	v_add3_u32 v4, v7, v4, v10
	;; [unrolled: 1-line block ×3, first 2 shown]
	s_cbranch_scc0 .LBB47_817
; %bb.818:
	s_bitcmp1_b32 s73, 0
	s_cselect_b64 s[56:57], -1, 0
	s_and_b64 vcc, exec, s[56:57]
	s_cbranch_vccnz .LBB47_823
; %bb.819:
	s_load_dwordx2 s[56:57], s[0:1], 0x1c
	s_load_dword s60, s[0:1], 0x24
	s_load_dwordx2 s[58:59], s[0:1], 0xdc
	s_waitcnt lgkmcnt(0)
	v_mul_hi_u32 v3, s57, v1
	v_add_u32_e32 v3, v1, v3
	v_lshrrev_b32_e32 v3, s60, v3
	v_mul_lo_u32 v3, v3, s56
	s_load_dword s56, s[0:1], 0xe4
	v_sub_u32_e32 v3, v1, v3
	v_mad_u64_u32 v[0:1], s[0:1], v3, s58, v[0:1]
	v_mad_u64_u32 v[4:5], s[0:1], v3, s59, v[4:5]
	s_waitcnt lgkmcnt(0)
	v_mad_u64_u32 v[2:3], s[0:1], v3, s56, v[2:3]
	s_branch .LBB47_823
.LBB47_820:
	s_mov_b64 s[0:1], -1
                                        ; implicit-def: $vgpr0
                                        ; implicit-def: $vgpr4
                                        ; implicit-def: $vgpr2
	s_branch .LBB47_824
.LBB47_821:
	s_mov_b64 s[54:55], 0
	s_branch .LBB47_556
.LBB47_822:
	v_mov_b32_e32 v0, 0
	v_mov_b32_e32 v4, 0
	;; [unrolled: 1-line block ×3, first 2 shown]
.LBB47_823:
	s_mov_b64 s[0:1], 0
.LBB47_824:
	s_andn2_b64 vcc, exec, s[0:1]
	s_cbranch_vccnz .LBB47_827
; %bb.825:
	v_mul_hi_u32 v0, s17, v8
	s_andn2_b64 vcc, exec, s[34:35]
	v_add_u32_e32 v0, v8, v0
	v_lshrrev_b32_e32 v1, s18, v0
	v_mul_lo_u32 v0, v1, s16
	v_sub_u32_e32 v2, v8, v0
	v_mul_lo_u32 v0, v2, s20
	v_mul_lo_u32 v4, v2, s21
	;; [unrolled: 1-line block ×3, first 2 shown]
	s_cbranch_vccnz .LBB47_827
; %bb.826:
	s_waitcnt vmcnt(0)
	v_mul_hi_u32 v3, s30, v1
	v_add_u32_e32 v3, v1, v3
	v_lshrrev_b32_e32 v3, s31, v3
	v_mul_lo_u32 v3, v3, s19
	v_sub_u32_e32 v3, v1, v3
	v_mad_u64_u32 v[0:1], s[0:1], v3, s23, v[0:1]
	v_mad_u64_u32 v[4:5], s[0:1], v3, s28, v[4:5]
	;; [unrolled: 1-line block ×3, first 2 shown]
.LBB47_827:
	v_mov_b32_e32 v1, s11
	s_and_b32 s60, s72, 0xff
	s_waitcnt vmcnt(0)
	v_add_co_u32_e32 v3, vcc, s10, v4
	s_cmp_lt_i32 s60, 11
	v_addc_co_u32_e32 v4, vcc, 0, v1, vcc
	s_cbranch_scc1 .LBB47_834
; %bb.828:
	s_and_b32 s61, 0xffff, s60
	s_cmp_gt_i32 s61, 25
	s_cbranch_scc0 .LBB47_835
; %bb.829:
	s_cmp_gt_i32 s61, 28
	s_cbranch_scc0 .LBB47_836
; %bb.830:
	;; [unrolled: 3-line block ×4, first 2 shown]
	s_cmp_eq_u32 s61, 46
	s_mov_b64 s[58:59], 0
	s_cbranch_scc0 .LBB47_841
; %bb.833:
	global_load_dword v1, v[3:4], off
	s_mov_b64 s[0:1], -1
	s_mov_b64 s[56:57], 0
	s_waitcnt vmcnt(0)
	v_lshlrev_b32_e32 v1, 16, v1
	v_cvt_i32_f32_e32 v5, v1
	s_branch .LBB47_842
.LBB47_834:
	s_mov_b64 s[58:59], -1
	s_mov_b64 s[0:1], 0
                                        ; implicit-def: $vgpr5
	s_mov_b64 s[56:57], s[46:47]
	s_branch .LBB47_903
.LBB47_835:
	s_mov_b64 s[58:59], -1
	s_mov_b64 s[0:1], 0
	s_mov_b64 s[56:57], s[46:47]
                                        ; implicit-def: $vgpr5
	s_branch .LBB47_869
.LBB47_836:
	s_mov_b64 s[58:59], -1
	s_mov_b64 s[0:1], 0
	s_mov_b64 s[56:57], s[46:47]
                                        ; implicit-def: $vgpr5
	s_branch .LBB47_852
.LBB47_837:
	s_mov_b64 s[58:59], -1
	s_mov_b64 s[0:1], 0
	s_mov_b64 s[56:57], s[46:47]
                                        ; implicit-def: $vgpr5
	s_branch .LBB47_847
.LBB47_838:
	s_mov_b64 s[58:59], -1
	s_mov_b64 s[0:1], 0
	s_mov_b64 s[56:57], s[46:47]
                                        ; implicit-def: $vgpr5
	s_branch .LBB47_842
.LBB47_839:
	s_andn2_saveexec_b64 s[58:59], s[58:59]
	s_cbranch_execz .LBB47_722
.LBB47_840:
	v_add_f32_e32 v2, 0x46000000, v3
	v_and_b32_e32 v2, 0xff, v2
	v_cmp_ne_u32_e32 vcc, 0, v2
	s_andn2_b64 s[56:57], s[56:57], exec
	s_and_b64 s[62:63], vcc, exec
	s_or_b64 s[56:57], s[56:57], s[62:63]
	s_or_b64 exec, exec, s[58:59]
	v_mov_b32_e32 v4, 0
	s_and_saveexec_b64 s[58:59], s[56:57]
	s_cbranch_execnz .LBB47_723
	s_branch .LBB47_724
.LBB47_841:
	s_mov_b64 s[56:57], -1
                                        ; implicit-def: $vgpr5
	s_mov_b64 s[0:1], 0
.LBB47_842:
	s_and_b64 vcc, exec, s[58:59]
	s_cbranch_vccz .LBB47_846
; %bb.843:
	s_cmp_eq_u32 s61, 44
	s_cbranch_scc0 .LBB47_845
; %bb.844:
	global_load_ubyte v1, v[3:4], off
	s_mov_b64 s[0:1], -1
	s_mov_b64 s[56:57], 0
	s_waitcnt vmcnt(0)
	v_lshlrev_b32_e32 v5, 23, v1
	v_cvt_i32_f32_e32 v5, v5
	v_cmp_ne_u32_e32 vcc, 0, v1
	v_cndmask_b32_e32 v5, 0, v5, vcc
	s_branch .LBB47_846
.LBB47_845:
	s_mov_b64 s[56:57], -1
                                        ; implicit-def: $vgpr5
.LBB47_846:
	s_mov_b64 s[58:59], 0
.LBB47_847:
	s_and_b64 vcc, exec, s[58:59]
	s_cbranch_vccz .LBB47_851
; %bb.848:
	s_cmp_eq_u32 s61, 29
	s_cbranch_scc0 .LBB47_850
; %bb.849:
	global_load_dword v5, v[3:4], off
	s_mov_b64 s[0:1], -1
	s_mov_b64 s[56:57], 0
	s_branch .LBB47_851
.LBB47_850:
	s_mov_b64 s[56:57], -1
                                        ; implicit-def: $vgpr5
.LBB47_851:
	s_mov_b64 s[58:59], 0
.LBB47_852:
	s_and_b64 vcc, exec, s[58:59]
	s_cbranch_vccz .LBB47_868
; %bb.853:
	s_cmp_lt_i32 s61, 27
	s_cbranch_scc1 .LBB47_856
; %bb.854:
	s_cmp_gt_i32 s61, 27
	s_cbranch_scc0 .LBB47_857
; %bb.855:
	global_load_dword v5, v[3:4], off
	s_mov_b64 s[0:1], 0
	s_branch .LBB47_858
.LBB47_856:
	s_mov_b64 s[0:1], -1
                                        ; implicit-def: $vgpr5
	s_branch .LBB47_861
.LBB47_857:
	s_mov_b64 s[0:1], -1
                                        ; implicit-def: $vgpr5
.LBB47_858:
	s_andn2_b64 vcc, exec, s[0:1]
	s_cbranch_vccnz .LBB47_860
; %bb.859:
	global_load_ushort v5, v[3:4], off
.LBB47_860:
	s_mov_b64 s[0:1], 0
.LBB47_861:
	s_andn2_b64 vcc, exec, s[0:1]
	s_cbranch_vccnz .LBB47_867
; %bb.862:
	global_load_ubyte v1, v[3:4], off
	s_movk_i32 s0, 0x7f
	s_mov_b64 s[58:59], 0
	s_waitcnt vmcnt(0)
	v_cmp_lt_i16_e32 vcc, s0, v1
	s_and_saveexec_b64 s[0:1], vcc
	s_xor_b64 s[0:1], exec, s[0:1]
	s_cbranch_execz .LBB47_879
; %bb.863:
	s_movk_i32 s58, 0x80
	v_cmp_ne_u16_e32 vcc, s58, v1
	s_and_b64 s[58:59], vcc, exec
	s_andn2_saveexec_b64 s[0:1], s[0:1]
	s_cbranch_execnz .LBB47_880
.LBB47_864:
	s_or_b64 exec, exec, s[0:1]
	v_mov_b32_e32 v5, 0
	s_and_saveexec_b64 s[0:1], s[58:59]
	s_cbranch_execz .LBB47_866
.LBB47_865:
	v_lshlrev_b32_e32 v5, 24, v1
	v_and_b32_e32 v1, 0xffff, v1
	v_and_b32_e32 v6, 7, v1
	v_ffbh_u32_e32 v9, v6
	v_min_u32_e32 v9, 32, v9
	v_subrev_u32_e32 v10, 28, v9
	v_bfe_u32 v7, v1, 3, 4
	v_lshlrev_b32_e32 v1, v10, v1
	v_sub_u32_e32 v9, 29, v9
	v_and_b32_e32 v1, 7, v1
	v_cmp_eq_u32_e32 vcc, 0, v7
	v_cndmask_b32_e32 v7, v7, v9, vcc
	v_cndmask_b32_e32 v1, v6, v1, vcc
	v_mov_b32_e32 v6, 0x3b800000
	v_lshlrev_b32_e32 v1, 20, v1
	v_and_b32_e32 v5, 0x80000000, v5
	v_lshl_add_u32 v6, v7, 23, v6
	v_or3_b32 v1, v5, v6, v1
	v_cvt_i32_f32_e32 v5, v1
.LBB47_866:
	s_or_b64 exec, exec, s[0:1]
.LBB47_867:
	s_mov_b64 s[0:1], -1
.LBB47_868:
	s_mov_b64 s[58:59], 0
.LBB47_869:
	s_and_b64 vcc, exec, s[58:59]
	s_cbranch_vccz .LBB47_902
; %bb.870:
	s_cmp_gt_i32 s61, 22
	s_cbranch_scc0 .LBB47_878
; %bb.871:
	s_cmp_lt_i32 s61, 24
	s_cbranch_scc1 .LBB47_881
; %bb.872:
	s_cmp_gt_i32 s61, 24
	s_cbranch_scc0 .LBB47_882
; %bb.873:
	global_load_ubyte v1, v[3:4], off
	s_movk_i32 s0, 0x7f
	s_mov_b64 s[58:59], 0
	s_waitcnt vmcnt(0)
	v_cmp_lt_i16_e32 vcc, s0, v1
	s_and_saveexec_b64 s[0:1], vcc
	s_xor_b64 s[0:1], exec, s[0:1]
	s_cbranch_execz .LBB47_894
; %bb.874:
	s_movk_i32 s58, 0x80
	v_cmp_ne_u16_e32 vcc, s58, v1
	s_and_b64 s[58:59], vcc, exec
	s_andn2_saveexec_b64 s[0:1], s[0:1]
	s_cbranch_execnz .LBB47_895
.LBB47_875:
	s_or_b64 exec, exec, s[0:1]
	v_mov_b32_e32 v5, 0
	s_and_saveexec_b64 s[0:1], s[58:59]
	s_cbranch_execz .LBB47_877
.LBB47_876:
	v_lshlrev_b32_e32 v5, 24, v1
	v_and_b32_e32 v1, 0xffff, v1
	v_and_b32_e32 v6, 3, v1
	v_ffbh_u32_e32 v9, v6
	v_min_u32_e32 v9, 32, v9
	v_subrev_u32_e32 v10, 29, v9
	v_bfe_u32 v7, v1, 2, 5
	v_lshlrev_b32_e32 v1, v10, v1
	v_sub_u32_e32 v9, 30, v9
	v_and_b32_e32 v1, 3, v1
	v_cmp_eq_u32_e32 vcc, 0, v7
	v_cndmask_b32_e32 v7, v7, v9, vcc
	v_cndmask_b32_e32 v1, v6, v1, vcc
	v_mov_b32_e32 v6, 0x37800000
	v_lshlrev_b32_e32 v1, 21, v1
	v_and_b32_e32 v5, 0x80000000, v5
	v_lshl_add_u32 v6, v7, 23, v6
	v_or3_b32 v1, v5, v6, v1
	v_cvt_i32_f32_e32 v5, v1
.LBB47_877:
	s_or_b64 exec, exec, s[0:1]
	s_mov_b64 s[0:1], 0
	s_branch .LBB47_883
.LBB47_878:
	s_mov_b64 s[58:59], -1
                                        ; implicit-def: $vgpr5
	s_branch .LBB47_889
.LBB47_879:
	s_andn2_saveexec_b64 s[0:1], s[0:1]
	s_cbranch_execz .LBB47_864
.LBB47_880:
	v_cmp_ne_u16_e32 vcc, 0, v1
	s_andn2_b64 s[58:59], s[58:59], exec
	s_and_b64 s[62:63], vcc, exec
	s_or_b64 s[58:59], s[58:59], s[62:63]
	s_or_b64 exec, exec, s[0:1]
	v_mov_b32_e32 v5, 0
	s_and_saveexec_b64 s[0:1], s[58:59]
	s_cbranch_execnz .LBB47_865
	s_branch .LBB47_866
.LBB47_881:
	s_mov_b64 s[0:1], -1
                                        ; implicit-def: $vgpr5
	s_branch .LBB47_886
.LBB47_882:
	s_mov_b64 s[0:1], -1
                                        ; implicit-def: $vgpr5
.LBB47_883:
	s_and_b64 vcc, exec, s[0:1]
	s_cbranch_vccz .LBB47_885
; %bb.884:
	global_load_ubyte v1, v[3:4], off
	s_mov_b32 s0, 0x7f800000
	s_waitcnt vmcnt(0)
	v_lshlrev_b32_e32 v1, 24, v1
	v_and_b32_e32 v5, 0x7f000000, v1
	v_ffbh_u32_e32 v6, v5
	v_min_u32_e32 v6, 32, v6
	v_sub_u32_e64 v6, v6, 4 clamp
	v_lshlrev_b32_e32 v9, v6, v5
	v_lshlrev_b32_e32 v6, 23, v6
	v_lshrrev_b32_e32 v9, 4, v9
	v_add_u32_e32 v7, 0x1000000, v5
	v_sub_u32_e32 v6, v9, v6
	v_ashrrev_i32_e32 v7, 8, v7
	v_add_u32_e32 v6, 0x3c000000, v6
	v_and_or_b32 v6, v7, s0, v6
	v_cmp_ne_u32_e32 vcc, 0, v5
	v_cndmask_b32_e32 v5, 0, v6, vcc
	s_brev_b32 s0, 1
	v_and_or_b32 v1, v1, s0, v5
	v_cvt_i32_f32_e32 v5, v1
.LBB47_885:
	s_mov_b64 s[0:1], 0
.LBB47_886:
	s_andn2_b64 vcc, exec, s[0:1]
	s_cbranch_vccnz .LBB47_888
; %bb.887:
	global_load_ubyte v1, v[3:4], off
	s_movk_i32 s0, 0x7f00
	s_brev_b32 s1, 16
	s_waitcnt vmcnt(0)
	v_lshlrev_b16_e32 v5, 8, v1
	v_lshlrev_b32_e32 v1, 25, v1
	v_lshrrev_b32_e32 v6, 4, v1
	v_and_or_b32 v7, v5, s0, 0.5
	v_or_b32_e32 v6, 0x70000000, v6
	v_add_f32_e32 v7, -0.5, v7
	v_mul_f32_e32 v6, 0x7800000, v6
	v_cmp_gt_u32_e32 vcc, s1, v1
	v_bfe_i32 v5, v5, 0, 16
	v_cndmask_b32_e32 v1, v6, v7, vcc
	s_brev_b32 s0, 1
	v_and_or_b32 v1, v5, s0, v1
	v_cvt_i32_f32_e32 v5, v1
.LBB47_888:
	s_mov_b64 s[58:59], 0
	s_mov_b64 s[0:1], -1
.LBB47_889:
	s_andn2_b64 vcc, exec, s[58:59]
	s_cbranch_vccnz .LBB47_902
; %bb.890:
	s_cmp_gt_i32 s61, 14
	s_cbranch_scc0 .LBB47_893
; %bb.891:
	s_cmp_eq_u32 s61, 15
	s_cbranch_scc0 .LBB47_896
; %bb.892:
	global_load_ushort v1, v[3:4], off
	s_mov_b64 s[0:1], -1
	s_mov_b64 s[56:57], 0
	s_waitcnt vmcnt(0)
	v_lshlrev_b32_e32 v1, 16, v1
	v_cvt_i32_f32_e32 v5, v1
	s_branch .LBB47_897
.LBB47_893:
	s_mov_b64 s[58:59], -1
                                        ; implicit-def: $vgpr5
	s_branch .LBB47_898
.LBB47_894:
	s_andn2_saveexec_b64 s[0:1], s[0:1]
	s_cbranch_execz .LBB47_875
.LBB47_895:
	v_cmp_ne_u16_e32 vcc, 0, v1
	s_andn2_b64 s[58:59], s[58:59], exec
	s_and_b64 s[62:63], vcc, exec
	s_or_b64 s[58:59], s[58:59], s[62:63]
	s_or_b64 exec, exec, s[0:1]
	v_mov_b32_e32 v5, 0
	s_and_saveexec_b64 s[0:1], s[58:59]
	s_cbranch_execnz .LBB47_876
	s_branch .LBB47_877
.LBB47_896:
	s_mov_b64 s[56:57], -1
                                        ; implicit-def: $vgpr5
.LBB47_897:
	s_mov_b64 s[58:59], 0
.LBB47_898:
	s_and_b64 vcc, exec, s[58:59]
	s_cbranch_vccz .LBB47_902
; %bb.899:
	s_cmp_eq_u32 s61, 11
	s_cbranch_scc0 .LBB47_901
; %bb.900:
	global_load_ubyte v1, v[3:4], off
	s_mov_b64 s[0:1], -1
	s_mov_b64 s[56:57], 0
	s_waitcnt vmcnt(0)
	v_cmp_ne_u16_e32 vcc, 0, v1
	v_cndmask_b32_e64 v5, 0, 1, vcc
	s_branch .LBB47_902
.LBB47_901:
	s_mov_b64 s[56:57], -1
                                        ; implicit-def: $vgpr5
.LBB47_902:
	s_mov_b64 s[58:59], 0
.LBB47_903:
	s_and_b64 vcc, exec, s[58:59]
	s_cbranch_vccz .LBB47_952
; %bb.904:
	s_and_b32 s58, 0xffff, s60
	s_cmp_lt_i32 s58, 5
	s_cbranch_scc1 .LBB47_909
; %bb.905:
	s_cmp_lt_i32 s58, 8
	s_cbranch_scc1 .LBB47_910
; %bb.906:
	s_cmp_lt_i32 s58, 9
	s_cbranch_scc1 .LBB47_911
; %bb.907:
	s_cmp_gt_i32 s58, 9
	s_cbranch_scc0 .LBB47_912
; %bb.908:
	global_load_dwordx2 v[5:6], v[3:4], off
	s_mov_b64 s[0:1], 0
	s_waitcnt vmcnt(0)
	v_cvt_i32_f64_e32 v5, v[5:6]
	s_branch .LBB47_913
.LBB47_909:
	s_mov_b64 s[0:1], -1
                                        ; implicit-def: $vgpr5
	s_branch .LBB47_931
.LBB47_910:
	s_mov_b64 s[0:1], -1
                                        ; implicit-def: $vgpr5
	s_branch .LBB47_919
.LBB47_911:
	s_mov_b64 s[0:1], -1
                                        ; implicit-def: $vgpr5
	s_branch .LBB47_916
.LBB47_912:
	s_mov_b64 s[0:1], -1
                                        ; implicit-def: $vgpr5
.LBB47_913:
	s_andn2_b64 vcc, exec, s[0:1]
	s_cbranch_vccnz .LBB47_915
; %bb.914:
	global_load_dword v1, v[3:4], off
	s_waitcnt vmcnt(0)
	v_cvt_i32_f32_e32 v5, v1
.LBB47_915:
	s_mov_b64 s[0:1], 0
.LBB47_916:
	s_andn2_b64 vcc, exec, s[0:1]
	s_cbranch_vccnz .LBB47_918
; %bb.917:
	global_load_dword v1, v[3:4], off
	s_waitcnt vmcnt(0)
	v_cvt_f32_f16_e32 v1, v1
	v_cvt_i32_f32_e32 v5, v1
.LBB47_918:
	s_mov_b64 s[0:1], 0
.LBB47_919:
	s_andn2_b64 vcc, exec, s[0:1]
	s_cbranch_vccnz .LBB47_930
; %bb.920:
	s_cmp_lt_i32 s58, 6
	s_cbranch_scc1 .LBB47_923
; %bb.921:
	s_cmp_gt_i32 s58, 6
	s_cbranch_scc0 .LBB47_924
; %bb.922:
	global_load_dwordx2 v[5:6], v[3:4], off
	s_mov_b64 s[0:1], 0
	s_waitcnt vmcnt(0)
	v_cvt_i32_f64_e32 v5, v[5:6]
	s_branch .LBB47_925
.LBB47_923:
	s_mov_b64 s[0:1], -1
                                        ; implicit-def: $vgpr5
	s_branch .LBB47_928
.LBB47_924:
	s_mov_b64 s[0:1], -1
                                        ; implicit-def: $vgpr5
.LBB47_925:
	s_andn2_b64 vcc, exec, s[0:1]
	s_cbranch_vccnz .LBB47_927
; %bb.926:
	global_load_dword v1, v[3:4], off
	s_waitcnt vmcnt(0)
	v_cvt_i32_f32_e32 v5, v1
.LBB47_927:
	s_mov_b64 s[0:1], 0
.LBB47_928:
	s_andn2_b64 vcc, exec, s[0:1]
	s_cbranch_vccnz .LBB47_930
; %bb.929:
	global_load_ushort v1, v[3:4], off
	s_waitcnt vmcnt(0)
	v_cvt_f32_f16_e32 v1, v1
	v_cvt_i32_f32_e32 v5, v1
.LBB47_930:
	s_mov_b64 s[0:1], 0
.LBB47_931:
	s_andn2_b64 vcc, exec, s[0:1]
	s_cbranch_vccnz .LBB47_951
; %bb.932:
	s_cmp_lt_i32 s58, 2
	s_cbranch_scc1 .LBB47_936
; %bb.933:
	s_cmp_lt_i32 s58, 3
	s_cbranch_scc1 .LBB47_937
; %bb.934:
	s_cmp_gt_i32 s58, 3
	s_cbranch_scc0 .LBB47_938
; %bb.935:
	global_load_dword v5, v[3:4], off
	s_mov_b64 s[0:1], 0
	s_branch .LBB47_939
.LBB47_936:
	s_mov_b64 s[0:1], -1
                                        ; implicit-def: $vgpr5
	s_branch .LBB47_945
.LBB47_937:
	s_mov_b64 s[0:1], -1
                                        ; implicit-def: $vgpr5
	s_branch .LBB47_942
.LBB47_938:
	s_mov_b64 s[0:1], -1
                                        ; implicit-def: $vgpr5
.LBB47_939:
	s_andn2_b64 vcc, exec, s[0:1]
	s_cbranch_vccnz .LBB47_941
; %bb.940:
	global_load_dword v5, v[3:4], off
.LBB47_941:
	s_mov_b64 s[0:1], 0
.LBB47_942:
	s_andn2_b64 vcc, exec, s[0:1]
	s_cbranch_vccnz .LBB47_944
; %bb.943:
	global_load_sshort v5, v[3:4], off
.LBB47_944:
	s_mov_b64 s[0:1], 0
.LBB47_945:
	s_andn2_b64 vcc, exec, s[0:1]
	s_cbranch_vccnz .LBB47_951
; %bb.946:
	s_cmp_gt_i32 s58, 0
	s_cbranch_scc0 .LBB47_948
; %bb.947:
	global_load_sbyte v5, v[3:4], off
	s_mov_b64 s[0:1], 0
	s_branch .LBB47_949
.LBB47_948:
	s_mov_b64 s[0:1], -1
                                        ; implicit-def: $vgpr5
.LBB47_949:
	s_andn2_b64 vcc, exec, s[0:1]
	s_cbranch_vccnz .LBB47_951
; %bb.950:
	global_load_ubyte v5, v[3:4], off
.LBB47_951:
	s_mov_b64 s[0:1], -1
.LBB47_952:
	s_andn2_b64 vcc, exec, s[0:1]
	s_cbranch_vccnz .LBB47_960
; %bb.953:
	v_mov_b32_e32 v3, s13
	s_and_b32 s62, s71, 0xff
	v_add_co_u32_e32 v1, vcc, s12, v2
	s_cmp_lt_i32 s62, 11
	v_addc_co_u32_e32 v2, vcc, 0, v3, vcc
	s_cbranch_scc1 .LBB47_962
; %bb.954:
	s_and_b32 s63, 0xffff, s62
	s_cmp_gt_i32 s63, 25
	s_cbranch_scc0 .LBB47_963
; %bb.955:
	s_cmp_gt_i32 s63, 28
	s_cbranch_scc0 .LBB47_964
; %bb.956:
	;; [unrolled: 3-line block ×4, first 2 shown]
	s_cmp_eq_u32 s63, 46
	s_mov_b64 s[60:61], 0
	s_cbranch_scc0 .LBB47_969
; %bb.959:
	global_load_dword v3, v[1:2], off
	s_mov_b64 s[0:1], -1
	s_mov_b64 s[58:59], 0
	s_waitcnt vmcnt(0)
	v_lshlrev_b32_e32 v3, 16, v3
	v_cvt_i32_f32_e32 v3, v3
	s_branch .LBB47_970
.LBB47_960:
	s_mov_b64 s[62:63], 0
	s_mov_b64 s[0:1], s[50:51]
	;; [unrolled: 1-line block ×3, first 2 shown]
.LBB47_961:
                                        ; implicit-def: $vgpr8
	s_branch .LBB47_1221
.LBB47_962:
	s_mov_b64 s[60:61], -1
	s_mov_b64 s[0:1], 0
                                        ; implicit-def: $vgpr3
	s_mov_b64 s[58:59], s[48:49]
	s_branch .LBB47_1031
.LBB47_963:
	s_mov_b64 s[60:61], -1
	s_mov_b64 s[0:1], 0
	s_mov_b64 s[58:59], s[48:49]
                                        ; implicit-def: $vgpr3
	s_branch .LBB47_997
.LBB47_964:
	s_mov_b64 s[60:61], -1
	s_mov_b64 s[0:1], 0
	s_mov_b64 s[58:59], s[48:49]
                                        ; implicit-def: $vgpr3
	s_branch .LBB47_980
.LBB47_965:
	s_mov_b64 s[60:61], -1
	s_mov_b64 s[0:1], 0
	s_mov_b64 s[58:59], s[48:49]
                                        ; implicit-def: $vgpr3
	s_branch .LBB47_975
.LBB47_966:
	s_mov_b64 s[60:61], -1
	s_mov_b64 s[0:1], 0
	s_mov_b64 s[58:59], s[48:49]
                                        ; implicit-def: $vgpr3
	s_branch .LBB47_970
.LBB47_967:
	s_andn2_saveexec_b64 s[58:59], s[58:59]
	s_cbranch_execz .LBB47_735
.LBB47_968:
	v_add_f32_e32 v2, 0x42800000, v3
	v_and_b32_e32 v2, 0xff, v2
	v_cmp_ne_u32_e32 vcc, 0, v2
	s_andn2_b64 s[56:57], s[56:57], exec
	s_and_b64 s[62:63], vcc, exec
	s_or_b64 s[56:57], s[56:57], s[62:63]
	s_or_b64 exec, exec, s[58:59]
	v_mov_b32_e32 v4, 0
	s_and_saveexec_b64 s[58:59], s[56:57]
	s_cbranch_execnz .LBB47_736
	s_branch .LBB47_737
.LBB47_969:
	s_mov_b64 s[58:59], -1
                                        ; implicit-def: $vgpr3
	s_mov_b64 s[0:1], 0
.LBB47_970:
	s_and_b64 vcc, exec, s[60:61]
	s_cbranch_vccz .LBB47_974
; %bb.971:
	s_cmp_eq_u32 s63, 44
	s_cbranch_scc0 .LBB47_973
; %bb.972:
	global_load_ubyte v3, v[1:2], off
	s_mov_b64 s[0:1], -1
	s_mov_b64 s[58:59], 0
	s_waitcnt vmcnt(0)
	v_lshlrev_b32_e32 v4, 23, v3
	v_cvt_i32_f32_e32 v4, v4
	v_cmp_ne_u32_e32 vcc, 0, v3
	v_cndmask_b32_e32 v3, 0, v4, vcc
	s_branch .LBB47_974
.LBB47_973:
	s_mov_b64 s[58:59], -1
                                        ; implicit-def: $vgpr3
.LBB47_974:
	s_mov_b64 s[60:61], 0
.LBB47_975:
	s_and_b64 vcc, exec, s[60:61]
	s_cbranch_vccz .LBB47_979
; %bb.976:
	s_cmp_eq_u32 s63, 29
	s_cbranch_scc0 .LBB47_978
; %bb.977:
	global_load_dword v3, v[1:2], off
	s_mov_b64 s[0:1], -1
	s_mov_b64 s[58:59], 0
	s_branch .LBB47_979
.LBB47_978:
	s_mov_b64 s[58:59], -1
                                        ; implicit-def: $vgpr3
.LBB47_979:
	s_mov_b64 s[60:61], 0
.LBB47_980:
	s_and_b64 vcc, exec, s[60:61]
	s_cbranch_vccz .LBB47_996
; %bb.981:
	s_cmp_lt_i32 s63, 27
	s_cbranch_scc1 .LBB47_984
; %bb.982:
	s_cmp_gt_i32 s63, 27
	s_cbranch_scc0 .LBB47_985
; %bb.983:
	global_load_dword v3, v[1:2], off
	s_mov_b64 s[0:1], 0
	s_branch .LBB47_986
.LBB47_984:
	s_mov_b64 s[0:1], -1
                                        ; implicit-def: $vgpr3
	s_branch .LBB47_989
.LBB47_985:
	s_mov_b64 s[0:1], -1
                                        ; implicit-def: $vgpr3
.LBB47_986:
	s_andn2_b64 vcc, exec, s[0:1]
	s_cbranch_vccnz .LBB47_988
; %bb.987:
	global_load_ushort v3, v[1:2], off
.LBB47_988:
	s_mov_b64 s[0:1], 0
.LBB47_989:
	s_andn2_b64 vcc, exec, s[0:1]
	s_cbranch_vccnz .LBB47_995
; %bb.990:
	global_load_ubyte v4, v[1:2], off
	s_movk_i32 s0, 0x7f
	s_mov_b64 s[60:61], 0
	s_waitcnt vmcnt(0)
	v_cmp_lt_i16_e32 vcc, s0, v4
	s_and_saveexec_b64 s[0:1], vcc
	s_xor_b64 s[0:1], exec, s[0:1]
	s_cbranch_execz .LBB47_1007
; %bb.991:
	s_movk_i32 s60, 0x80
	v_cmp_ne_u16_e32 vcc, s60, v4
	s_and_b64 s[60:61], vcc, exec
	s_andn2_saveexec_b64 s[0:1], s[0:1]
	s_cbranch_execnz .LBB47_1008
.LBB47_992:
	s_or_b64 exec, exec, s[0:1]
	v_mov_b32_e32 v3, 0
	s_and_saveexec_b64 s[0:1], s[60:61]
	s_cbranch_execz .LBB47_994
.LBB47_993:
	v_lshlrev_b32_e32 v3, 24, v4
	v_and_b32_e32 v4, 0xffff, v4
	v_and_b32_e32 v6, 7, v4
	v_ffbh_u32_e32 v9, v6
	v_min_u32_e32 v9, 32, v9
	v_subrev_u32_e32 v10, 28, v9
	v_bfe_u32 v7, v4, 3, 4
	v_lshlrev_b32_e32 v4, v10, v4
	v_sub_u32_e32 v9, 29, v9
	v_and_b32_e32 v4, 7, v4
	v_cmp_eq_u32_e32 vcc, 0, v7
	v_cndmask_b32_e32 v7, v7, v9, vcc
	v_cndmask_b32_e32 v4, v6, v4, vcc
	v_mov_b32_e32 v6, 0x3b800000
	v_lshlrev_b32_e32 v4, 20, v4
	v_and_b32_e32 v3, 0x80000000, v3
	v_lshl_add_u32 v6, v7, 23, v6
	v_or3_b32 v3, v3, v6, v4
	v_cvt_i32_f32_e32 v3, v3
.LBB47_994:
	s_or_b64 exec, exec, s[0:1]
.LBB47_995:
	s_mov_b64 s[0:1], -1
.LBB47_996:
	s_mov_b64 s[60:61], 0
.LBB47_997:
	s_and_b64 vcc, exec, s[60:61]
	s_cbranch_vccz .LBB47_1030
; %bb.998:
	s_cmp_gt_i32 s63, 22
	s_cbranch_scc0 .LBB47_1006
; %bb.999:
	s_cmp_lt_i32 s63, 24
	s_cbranch_scc1 .LBB47_1009
; %bb.1000:
	s_cmp_gt_i32 s63, 24
	s_cbranch_scc0 .LBB47_1010
; %bb.1001:
	global_load_ubyte v4, v[1:2], off
	s_movk_i32 s0, 0x7f
	s_mov_b64 s[60:61], 0
	s_waitcnt vmcnt(0)
	v_cmp_lt_i16_e32 vcc, s0, v4
	s_and_saveexec_b64 s[0:1], vcc
	s_xor_b64 s[0:1], exec, s[0:1]
	s_cbranch_execz .LBB47_1022
; %bb.1002:
	s_movk_i32 s60, 0x80
	v_cmp_ne_u16_e32 vcc, s60, v4
	s_and_b64 s[60:61], vcc, exec
	s_andn2_saveexec_b64 s[0:1], s[0:1]
	s_cbranch_execnz .LBB47_1023
.LBB47_1003:
	s_or_b64 exec, exec, s[0:1]
	v_mov_b32_e32 v3, 0
	s_and_saveexec_b64 s[0:1], s[60:61]
	s_cbranch_execz .LBB47_1005
.LBB47_1004:
	v_lshlrev_b32_e32 v3, 24, v4
	v_and_b32_e32 v4, 0xffff, v4
	v_and_b32_e32 v6, 3, v4
	v_ffbh_u32_e32 v9, v6
	v_min_u32_e32 v9, 32, v9
	v_subrev_u32_e32 v10, 29, v9
	v_bfe_u32 v7, v4, 2, 5
	v_lshlrev_b32_e32 v4, v10, v4
	v_sub_u32_e32 v9, 30, v9
	v_and_b32_e32 v4, 3, v4
	v_cmp_eq_u32_e32 vcc, 0, v7
	v_cndmask_b32_e32 v7, v7, v9, vcc
	v_cndmask_b32_e32 v4, v6, v4, vcc
	v_mov_b32_e32 v6, 0x37800000
	v_lshlrev_b32_e32 v4, 21, v4
	v_and_b32_e32 v3, 0x80000000, v3
	v_lshl_add_u32 v6, v7, 23, v6
	v_or3_b32 v3, v3, v6, v4
	v_cvt_i32_f32_e32 v3, v3
.LBB47_1005:
	s_or_b64 exec, exec, s[0:1]
	s_mov_b64 s[0:1], 0
	s_branch .LBB47_1011
.LBB47_1006:
	s_mov_b64 s[60:61], -1
                                        ; implicit-def: $vgpr3
	s_branch .LBB47_1017
.LBB47_1007:
	s_andn2_saveexec_b64 s[0:1], s[0:1]
	s_cbranch_execz .LBB47_992
.LBB47_1008:
	v_cmp_ne_u16_e32 vcc, 0, v4
	s_andn2_b64 s[60:61], s[60:61], exec
	s_and_b64 s[64:65], vcc, exec
	s_or_b64 s[60:61], s[60:61], s[64:65]
	s_or_b64 exec, exec, s[0:1]
	v_mov_b32_e32 v3, 0
	s_and_saveexec_b64 s[0:1], s[60:61]
	s_cbranch_execnz .LBB47_993
	s_branch .LBB47_994
.LBB47_1009:
	s_mov_b64 s[0:1], -1
                                        ; implicit-def: $vgpr3
	s_branch .LBB47_1014
.LBB47_1010:
	s_mov_b64 s[0:1], -1
                                        ; implicit-def: $vgpr3
.LBB47_1011:
	s_and_b64 vcc, exec, s[0:1]
	s_cbranch_vccz .LBB47_1013
; %bb.1012:
	global_load_ubyte v3, v[1:2], off
	s_mov_b32 s0, 0x7f800000
	s_waitcnt vmcnt(0)
	v_lshlrev_b32_e32 v3, 24, v3
	v_and_b32_e32 v4, 0x7f000000, v3
	v_ffbh_u32_e32 v6, v4
	v_min_u32_e32 v6, 32, v6
	v_sub_u32_e64 v6, v6, 4 clamp
	v_lshlrev_b32_e32 v9, v6, v4
	v_lshlrev_b32_e32 v6, 23, v6
	v_lshrrev_b32_e32 v9, 4, v9
	v_add_u32_e32 v7, 0x1000000, v4
	v_sub_u32_e32 v6, v9, v6
	v_ashrrev_i32_e32 v7, 8, v7
	v_add_u32_e32 v6, 0x3c000000, v6
	v_and_or_b32 v6, v7, s0, v6
	v_cmp_ne_u32_e32 vcc, 0, v4
	v_cndmask_b32_e32 v4, 0, v6, vcc
	s_brev_b32 s0, 1
	v_and_or_b32 v3, v3, s0, v4
	v_cvt_i32_f32_e32 v3, v3
.LBB47_1013:
	s_mov_b64 s[0:1], 0
.LBB47_1014:
	s_andn2_b64 vcc, exec, s[0:1]
	s_cbranch_vccnz .LBB47_1016
; %bb.1015:
	global_load_ubyte v3, v[1:2], off
	s_movk_i32 s0, 0x7f00
	s_brev_b32 s1, 16
	s_waitcnt vmcnt(0)
	v_lshlrev_b16_e32 v4, 8, v3
	v_lshlrev_b32_e32 v3, 25, v3
	v_lshrrev_b32_e32 v6, 4, v3
	v_and_or_b32 v7, v4, s0, 0.5
	v_or_b32_e32 v6, 0x70000000, v6
	v_add_f32_e32 v7, -0.5, v7
	v_mul_f32_e32 v6, 0x7800000, v6
	v_cmp_gt_u32_e32 vcc, s1, v3
	v_bfe_i32 v4, v4, 0, 16
	v_cndmask_b32_e32 v3, v6, v7, vcc
	s_brev_b32 s0, 1
	v_and_or_b32 v3, v4, s0, v3
	v_cvt_i32_f32_e32 v3, v3
.LBB47_1016:
	s_mov_b64 s[60:61], 0
	s_mov_b64 s[0:1], -1
.LBB47_1017:
	s_andn2_b64 vcc, exec, s[60:61]
	s_cbranch_vccnz .LBB47_1030
; %bb.1018:
	s_cmp_gt_i32 s63, 14
	s_cbranch_scc0 .LBB47_1021
; %bb.1019:
	s_cmp_eq_u32 s63, 15
	s_cbranch_scc0 .LBB47_1024
; %bb.1020:
	global_load_ushort v3, v[1:2], off
	s_mov_b64 s[0:1], -1
	s_mov_b64 s[58:59], 0
	s_waitcnt vmcnt(0)
	v_lshlrev_b32_e32 v3, 16, v3
	v_cvt_i32_f32_e32 v3, v3
	s_branch .LBB47_1025
.LBB47_1021:
	s_mov_b64 s[60:61], -1
                                        ; implicit-def: $vgpr3
	s_branch .LBB47_1026
.LBB47_1022:
	s_andn2_saveexec_b64 s[0:1], s[0:1]
	s_cbranch_execz .LBB47_1003
.LBB47_1023:
	v_cmp_ne_u16_e32 vcc, 0, v4
	s_andn2_b64 s[60:61], s[60:61], exec
	s_and_b64 s[64:65], vcc, exec
	s_or_b64 s[60:61], s[60:61], s[64:65]
	s_or_b64 exec, exec, s[0:1]
	v_mov_b32_e32 v3, 0
	s_and_saveexec_b64 s[0:1], s[60:61]
	s_cbranch_execnz .LBB47_1004
	s_branch .LBB47_1005
.LBB47_1024:
	s_mov_b64 s[58:59], -1
                                        ; implicit-def: $vgpr3
.LBB47_1025:
	s_mov_b64 s[60:61], 0
.LBB47_1026:
	s_and_b64 vcc, exec, s[60:61]
	s_cbranch_vccz .LBB47_1030
; %bb.1027:
	s_cmp_eq_u32 s63, 11
	s_cbranch_scc0 .LBB47_1029
; %bb.1028:
	global_load_ubyte v3, v[1:2], off
	s_mov_b64 s[0:1], -1
	s_mov_b64 s[58:59], 0
	s_waitcnt vmcnt(0)
	v_cmp_ne_u16_e32 vcc, 0, v3
	v_cndmask_b32_e64 v3, 0, 1, vcc
	s_branch .LBB47_1030
.LBB47_1029:
	s_mov_b64 s[58:59], -1
                                        ; implicit-def: $vgpr3
.LBB47_1030:
	s_mov_b64 s[60:61], 0
.LBB47_1031:
	s_and_b64 vcc, exec, s[60:61]
	s_cbranch_vccz .LBB47_1080
; %bb.1032:
	s_and_b32 s60, 0xffff, s62
	s_cmp_lt_i32 s60, 5
	s_cbranch_scc1 .LBB47_1037
; %bb.1033:
	s_cmp_lt_i32 s60, 8
	s_cbranch_scc1 .LBB47_1038
; %bb.1034:
	;; [unrolled: 3-line block ×3, first 2 shown]
	s_cmp_gt_i32 s60, 9
	s_cbranch_scc0 .LBB47_1040
; %bb.1036:
	global_load_dwordx2 v[3:4], v[1:2], off
	s_mov_b64 s[0:1], 0
	s_waitcnt vmcnt(0)
	v_cvt_i32_f64_e32 v3, v[3:4]
	s_branch .LBB47_1041
.LBB47_1037:
	s_mov_b64 s[0:1], -1
                                        ; implicit-def: $vgpr3
	s_branch .LBB47_1059
.LBB47_1038:
	s_mov_b64 s[0:1], -1
                                        ; implicit-def: $vgpr3
	s_branch .LBB47_1047
.LBB47_1039:
	s_mov_b64 s[0:1], -1
                                        ; implicit-def: $vgpr3
	s_branch .LBB47_1044
.LBB47_1040:
	s_mov_b64 s[0:1], -1
                                        ; implicit-def: $vgpr3
.LBB47_1041:
	s_andn2_b64 vcc, exec, s[0:1]
	s_cbranch_vccnz .LBB47_1043
; %bb.1042:
	global_load_dword v3, v[1:2], off
	s_waitcnt vmcnt(0)
	v_cvt_i32_f32_e32 v3, v3
.LBB47_1043:
	s_mov_b64 s[0:1], 0
.LBB47_1044:
	s_andn2_b64 vcc, exec, s[0:1]
	s_cbranch_vccnz .LBB47_1046
; %bb.1045:
	global_load_dword v3, v[1:2], off
	s_waitcnt vmcnt(0)
	v_cvt_f32_f16_e32 v3, v3
	v_cvt_i32_f32_e32 v3, v3
.LBB47_1046:
	s_mov_b64 s[0:1], 0
.LBB47_1047:
	s_andn2_b64 vcc, exec, s[0:1]
	s_cbranch_vccnz .LBB47_1058
; %bb.1048:
	s_cmp_lt_i32 s60, 6
	s_cbranch_scc1 .LBB47_1051
; %bb.1049:
	s_cmp_gt_i32 s60, 6
	s_cbranch_scc0 .LBB47_1052
; %bb.1050:
	global_load_dwordx2 v[3:4], v[1:2], off
	s_mov_b64 s[0:1], 0
	s_waitcnt vmcnt(0)
	v_cvt_i32_f64_e32 v3, v[3:4]
	s_branch .LBB47_1053
.LBB47_1051:
	s_mov_b64 s[0:1], -1
                                        ; implicit-def: $vgpr3
	s_branch .LBB47_1056
.LBB47_1052:
	s_mov_b64 s[0:1], -1
                                        ; implicit-def: $vgpr3
.LBB47_1053:
	s_andn2_b64 vcc, exec, s[0:1]
	s_cbranch_vccnz .LBB47_1055
; %bb.1054:
	global_load_dword v3, v[1:2], off
	s_waitcnt vmcnt(0)
	v_cvt_i32_f32_e32 v3, v3
.LBB47_1055:
	s_mov_b64 s[0:1], 0
.LBB47_1056:
	s_andn2_b64 vcc, exec, s[0:1]
	s_cbranch_vccnz .LBB47_1058
; %bb.1057:
	global_load_ushort v3, v[1:2], off
	s_waitcnt vmcnt(0)
	v_cvt_f32_f16_e32 v3, v3
	v_cvt_i32_f32_e32 v3, v3
.LBB47_1058:
	s_mov_b64 s[0:1], 0
.LBB47_1059:
	s_andn2_b64 vcc, exec, s[0:1]
	s_cbranch_vccnz .LBB47_1079
; %bb.1060:
	s_cmp_lt_i32 s60, 2
	s_cbranch_scc1 .LBB47_1064
; %bb.1061:
	s_cmp_lt_i32 s60, 3
	s_cbranch_scc1 .LBB47_1065
; %bb.1062:
	s_cmp_gt_i32 s60, 3
	s_cbranch_scc0 .LBB47_1066
; %bb.1063:
	global_load_dword v3, v[1:2], off
	s_mov_b64 s[0:1], 0
	s_branch .LBB47_1067
.LBB47_1064:
	s_mov_b64 s[0:1], -1
                                        ; implicit-def: $vgpr3
	s_branch .LBB47_1073
.LBB47_1065:
	s_mov_b64 s[0:1], -1
                                        ; implicit-def: $vgpr3
	s_branch .LBB47_1070
.LBB47_1066:
	s_mov_b64 s[0:1], -1
                                        ; implicit-def: $vgpr3
.LBB47_1067:
	s_andn2_b64 vcc, exec, s[0:1]
	s_cbranch_vccnz .LBB47_1069
; %bb.1068:
	global_load_dword v3, v[1:2], off
.LBB47_1069:
	s_mov_b64 s[0:1], 0
.LBB47_1070:
	s_andn2_b64 vcc, exec, s[0:1]
	s_cbranch_vccnz .LBB47_1072
; %bb.1071:
	global_load_sshort v3, v[1:2], off
.LBB47_1072:
	s_mov_b64 s[0:1], 0
.LBB47_1073:
	s_andn2_b64 vcc, exec, s[0:1]
	s_cbranch_vccnz .LBB47_1079
; %bb.1074:
	s_cmp_gt_i32 s60, 0
	s_cbranch_scc0 .LBB47_1076
; %bb.1075:
	global_load_sbyte v3, v[1:2], off
	s_mov_b64 s[0:1], 0
	s_branch .LBB47_1077
.LBB47_1076:
	s_mov_b64 s[0:1], -1
                                        ; implicit-def: $vgpr3
.LBB47_1077:
	s_andn2_b64 vcc, exec, s[0:1]
	s_cbranch_vccnz .LBB47_1079
; %bb.1078:
	global_load_ubyte v3, v[1:2], off
.LBB47_1079:
	s_mov_b64 s[0:1], -1
.LBB47_1080:
	s_andn2_b64 vcc, exec, s[0:1]
	s_cbranch_vccnz .LBB47_1085
; %bb.1081:
	s_cmp_lt_i32 s14, 1
	s_mov_b64 s[0:1], 0
	s_cbranch_scc1 .LBB47_1086
; %bb.1082:
	s_cmp_gt_i32 s14, 1
	s_cbranch_scc0 .LBB47_1087
; %bb.1083:
	s_cmp_eq_u32 s14, 2
	s_cbranch_scc0 .LBB47_1088
; %bb.1084:
	s_waitcnt vmcnt(0)
	v_cmp_le_i32_e64 s[60:61], v5, v3
	s_mov_b64 s[62:63], 0
	s_branch .LBB47_1089
.LBB47_1085:
	s_mov_b64 s[62:63], 0
                                        ; implicit-def: $vgpr8
	s_mov_b64 s[0:1], s[50:51]
	s_branch .LBB47_1221
.LBB47_1086:
	s_mov_b64 s[64:65], -1
                                        ; implicit-def: $sgpr60_sgpr61
	s_mov_b64 s[62:63], 0
	s_branch .LBB47_1093
.LBB47_1087:
	s_mov_b64 s[64:65], -1
	s_mov_b64 s[62:63], 0
                                        ; implicit-def: $sgpr60_sgpr61
	s_branch .LBB47_1090
.LBB47_1088:
	s_mov_b64 s[62:63], -1
                                        ; implicit-def: $sgpr60_sgpr61
.LBB47_1089:
	s_mov_b64 s[64:65], 0
.LBB47_1090:
	s_and_b64 vcc, exec, s[64:65]
	s_cbranch_vccz .LBB47_1092
; %bb.1091:
	s_waitcnt vmcnt(0)
	v_cmp_gt_i32_e32 vcc, v5, v3
	s_andn2_b64 s[60:61], s[60:61], exec
	s_and_b64 s[64:65], vcc, exec
	s_or_b64 s[60:61], s[60:61], s[64:65]
.LBB47_1092:
	s_mov_b64 s[64:65], 0
.LBB47_1093:
	s_and_b64 vcc, exec, s[64:65]
	s_cbranch_vccz .LBB47_1104
; %bb.1094:
	s_cmp_lg_u32 s14, 0
	s_mov_b64 s[0:1], -1
	s_cselect_b64 s[62:63], -1, 0
	s_andn2_b64 vcc, exec, s[62:63]
	s_cbranch_vccz .LBB47_1105
.LBB47_1095:
	s_andn2_b64 vcc, exec, s[0:1]
	s_cbranch_vccnz .LBB47_1097
.LBB47_1096:
	s_waitcnt vmcnt(0)
	v_cmp_ge_i32_e32 vcc, v5, v3
	s_andn2_b64 s[0:1], s[60:61], exec
	s_and_b64 s[60:61], vcc, exec
	s_or_b64 s[60:61], s[0:1], s[60:61]
.LBB47_1097:
	v_mov_b32_e32 v1, s9
	s_and_b32 s69, s15, 0xff
	v_add_co_u32_e32 v0, vcc, s8, v0
	s_cmp_lt_i32 s69, 11
	v_addc_co_u32_e32 v1, vcc, 0, v1, vcc
	s_cbranch_scc1 .LBB47_1106
; %bb.1098:
	s_and_b32 s74, 0xffff, s69
	s_cmp_gt_i32 s74, 25
	s_cbranch_scc0 .LBB47_1107
; %bb.1099:
	s_cmp_gt_i32 s74, 28
	s_cbranch_scc0 .LBB47_1108
; %bb.1100:
	s_cmp_gt_i32 s74, 43
	s_cbranch_scc0 .LBB47_1109
; %bb.1101:
	s_cmp_gt_i32 s74, 45
	s_cbranch_scc0 .LBB47_1110
; %bb.1102:
	s_mov_b64 s[64:65], 0
	s_mov_b64 s[0:1], -1
	s_cmp_eq_u32 s74, 46
	s_mov_b64 s[62:63], 0
	s_cbranch_scc0 .LBB47_1111
; %bb.1103:
	v_cndmask_b32_e64 v2, 0, 1.0, s[60:61]
	s_waitcnt vmcnt(0)
	v_bfe_u32 v3, v2, 16, 1
	s_movk_i32 s0, 0x7fff
	v_add3_u32 v2, v2, v3, s0
	v_lshrrev_b32_e32 v2, 16, v2
	global_store_dword v[0:1], v2, off
	s_mov_b64 s[62:63], -1
	s_mov_b64 s[0:1], 0
	s_branch .LBB47_1111
.LBB47_1104:
	s_andn2_b64 vcc, exec, s[62:63]
	s_cbranch_vccnz .LBB47_1095
.LBB47_1105:
	s_waitcnt vmcnt(0)
	v_cmp_lt_i32_e32 vcc, v5, v3
	s_andn2_b64 s[60:61], s[60:61], exec
	s_and_b64 s[62:63], vcc, exec
	s_or_b64 s[60:61], s[60:61], s[62:63]
	s_cbranch_execz .LBB47_1096
	s_branch .LBB47_1097
.LBB47_1106:
	s_mov_b64 s[64:65], -1
	s_mov_b64 s[62:63], 0
	s_mov_b64 s[0:1], s[50:51]
	s_branch .LBB47_1180
.LBB47_1107:
	s_mov_b64 s[64:65], -1
	s_mov_b64 s[62:63], 0
	s_mov_b64 s[0:1], s[50:51]
	s_branch .LBB47_1138
.LBB47_1108:
	s_mov_b64 s[64:65], -1
	s_mov_b64 s[62:63], 0
	s_mov_b64 s[0:1], s[50:51]
	s_branch .LBB47_1121
.LBB47_1109:
	s_mov_b64 s[64:65], -1
	s_mov_b64 s[62:63], 0
	s_mov_b64 s[0:1], s[50:51]
	s_branch .LBB47_1117
.LBB47_1110:
	s_mov_b64 s[64:65], -1
	s_mov_b64 s[62:63], 0
	s_mov_b64 s[0:1], s[50:51]
.LBB47_1111:
	s_and_b64 vcc, exec, s[64:65]
	s_cbranch_vccz .LBB47_1116
; %bb.1112:
	s_cmp_eq_u32 s74, 44
	s_mov_b64 s[0:1], -1
	s_cbranch_scc0 .LBB47_1116
; %bb.1113:
	s_waitcnt vmcnt(0)
	v_cndmask_b32_e64 v3, 0, 1.0, s[60:61]
	v_lshrrev_b32_e32 v2, 23, v3
	s_movk_i32 s0, 0xff
	v_cmp_ne_u32_e32 vcc, s0, v2
	v_mov_b32_e32 v4, 0xff
	s_and_saveexec_b64 s[62:63], vcc
; %bb.1114:
	s_mov_b32 s0, 0x3fffff
	v_and_b32_e32 v4, 0x400000, v3
	v_and_or_b32 v3, v3, s0, v2
	v_cmp_ne_u32_e32 vcc, 0, v4
	v_cmp_ne_u32_e64 s[0:1], 0, v3
	s_and_b64 s[0:1], vcc, s[0:1]
	v_cndmask_b32_e64 v3, 0, 1, s[0:1]
	v_add_u32_e32 v4, v2, v3
; %bb.1115:
	s_or_b64 exec, exec, s[62:63]
	s_mov_b64 s[62:63], -1
	s_mov_b64 s[0:1], 0
	global_store_byte v[0:1], v4, off
.LBB47_1116:
	s_mov_b64 s[64:65], 0
.LBB47_1117:
	s_and_b64 vcc, exec, s[64:65]
	s_cbranch_vccz .LBB47_1120
; %bb.1118:
	s_cmp_eq_u32 s74, 29
	s_mov_b64 s[0:1], -1
	s_cbranch_scc0 .LBB47_1120
; %bb.1119:
	s_mov_b32 s0, 0
	v_cndmask_b32_e64 v2, 0, 1, s[60:61]
	s_waitcnt vmcnt(0)
	v_mov_b32_e32 v3, s0
	global_store_dwordx2 v[0:1], v[2:3], off
	s_mov_b64 s[62:63], -1
	s_mov_b64 s[0:1], 0
.LBB47_1120:
	s_mov_b64 s[64:65], 0
.LBB47_1121:
	s_and_b64 vcc, exec, s[64:65]
	s_cbranch_vccz .LBB47_1137
; %bb.1122:
	s_cmp_lt_i32 s74, 27
	s_mov_b64 s[62:63], -1
	s_cbranch_scc1 .LBB47_1128
; %bb.1123:
	s_cmp_gt_i32 s74, 27
	s_cbranch_scc0 .LBB47_1125
; %bb.1124:
	v_cndmask_b32_e64 v2, 0, 1, s[60:61]
	s_mov_b64 s[62:63], 0
	global_store_dword v[0:1], v2, off
.LBB47_1125:
	s_andn2_b64 vcc, exec, s[62:63]
	s_cbranch_vccnz .LBB47_1127
; %bb.1126:
	v_cndmask_b32_e64 v2, 0, 1, s[60:61]
	global_store_short v[0:1], v2, off
.LBB47_1127:
	s_mov_b64 s[62:63], 0
.LBB47_1128:
	s_andn2_b64 vcc, exec, s[62:63]
	s_cbranch_vccnz .LBB47_1136
; %bb.1129:
	s_waitcnt vmcnt(0)
	v_cndmask_b32_e64 v3, 0, 1.0, s[60:61]
	s_mov_b32 s62, 0x43800000
	v_cmp_gt_u32_e32 vcc, s62, v3
	v_mov_b32_e32 v4, 0x80
	s_and_saveexec_b64 s[62:63], vcc
	s_cbranch_execz .LBB47_1135
; %bb.1130:
	s_mov_b32 s64, 0x3bffffff
	v_cmp_lt_u32_e32 vcc, s64, v3
	s_mov_b64 s[64:65], 0
                                        ; implicit-def: $vgpr2
	s_and_saveexec_b64 s[66:67], vcc
	s_xor_b64 s[66:67], exec, s[66:67]
	s_cbranch_execz .LBB47_1249
; %bb.1131:
	v_bfe_u32 v2, v3, 20, 1
	s_mov_b32 s75, 0x487ffff
	v_add3_u32 v2, v3, v2, s75
	s_mov_b64 s[64:65], exec
	v_lshrrev_b32_e32 v2, 20, v2
                                        ; implicit-def: $vgpr3
	s_andn2_saveexec_b64 s[66:67], s[66:67]
	s_cbranch_execnz .LBB47_1250
.LBB47_1132:
	s_or_b64 exec, exec, s[66:67]
	v_mov_b32_e32 v4, 0
	s_and_saveexec_b64 s[66:67], s[64:65]
.LBB47_1133:
	v_mov_b32_e32 v4, v2
.LBB47_1134:
	s_or_b64 exec, exec, s[66:67]
.LBB47_1135:
	s_or_b64 exec, exec, s[62:63]
	global_store_byte v[0:1], v4, off
.LBB47_1136:
	s_mov_b64 s[62:63], -1
.LBB47_1137:
	s_mov_b64 s[64:65], 0
.LBB47_1138:
	s_and_b64 vcc, exec, s[64:65]
	s_cbranch_vccz .LBB47_1179
; %bb.1139:
	s_cmp_gt_i32 s74, 22
	s_mov_b64 s[64:65], -1
	s_cbranch_scc0 .LBB47_1171
; %bb.1140:
	s_cmp_lt_i32 s74, 24
	s_mov_b64 s[62:63], -1
	s_cbranch_scc1 .LBB47_1160
; %bb.1141:
	s_cmp_gt_i32 s74, 24
	s_cbranch_scc0 .LBB47_1149
; %bb.1142:
	s_waitcnt vmcnt(0)
	v_cndmask_b32_e64 v3, 0, 1.0, s[60:61]
	s_mov_b32 s62, 0x47800000
	v_cmp_gt_u32_e32 vcc, s62, v3
	v_mov_b32_e32 v4, 0x80
	s_and_saveexec_b64 s[62:63], vcc
	s_cbranch_execz .LBB47_1148
; %bb.1143:
	s_mov_b32 s64, 0x37ffffff
	v_cmp_lt_u32_e32 vcc, s64, v3
	s_mov_b64 s[64:65], 0
                                        ; implicit-def: $vgpr2
	s_and_saveexec_b64 s[66:67], vcc
	s_xor_b64 s[66:67], exec, s[66:67]
	s_cbranch_execz .LBB47_2335
; %bb.1144:
	v_bfe_u32 v2, v3, 21, 1
	s_mov_b32 s75, 0x88fffff
	v_add3_u32 v2, v3, v2, s75
	s_mov_b64 s[64:65], exec
	v_lshrrev_b32_e32 v2, 21, v2
                                        ; implicit-def: $vgpr3
	s_andn2_saveexec_b64 s[66:67], s[66:67]
	s_cbranch_execnz .LBB47_2336
.LBB47_1145:
	s_or_b64 exec, exec, s[66:67]
	v_mov_b32_e32 v4, 0
	s_and_saveexec_b64 s[66:67], s[64:65]
.LBB47_1146:
	v_mov_b32_e32 v4, v2
.LBB47_1147:
	s_or_b64 exec, exec, s[66:67]
.LBB47_1148:
	s_or_b64 exec, exec, s[62:63]
	s_mov_b64 s[62:63], 0
	global_store_byte v[0:1], v4, off
.LBB47_1149:
	s_and_b64 vcc, exec, s[62:63]
	s_cbranch_vccz .LBB47_1159
; %bb.1150:
	v_cndmask_b32_e64 v2, 0, 1.0, s[60:61]
	s_mov_b32 s62, 0x43f00000
	v_cmp_gt_u32_e32 vcc, s62, v2
                                        ; implicit-def: $vgpr3
	s_and_saveexec_b64 s[62:63], vcc
	s_xor_b64 s[62:63], exec, s[62:63]
	s_cbranch_execz .LBB47_1156
; %bb.1151:
	s_mov_b32 s64, 0x3c7fffff
	v_cmp_lt_u32_e32 vcc, s64, v2
                                        ; implicit-def: $vgpr3
	s_and_saveexec_b64 s[64:65], vcc
	s_xor_b64 s[64:65], exec, s[64:65]
	s_cbranch_execz .LBB47_1153
; %bb.1152:
	s_waitcnt vmcnt(0)
	v_bfe_u32 v3, v2, 20, 1
	s_mov_b32 s66, 0x407ffff
	v_add3_u32 v2, v2, v3, s66
	v_lshrrev_b32_e32 v3, 20, v2
	v_and_b32_e32 v2, 0xff00000, v2
	s_mov_b32 s66, 0x7f00000
	v_mov_b32_e32 v4, 0x7e
	v_cmp_ne_u32_e32 vcc, s66, v2
	v_cndmask_b32_e32 v3, v4, v3, vcc
                                        ; implicit-def: $vgpr2
.LBB47_1153:
	s_andn2_saveexec_b64 s[64:65], s[64:65]
	s_cbranch_execz .LBB47_1155
; %bb.1154:
	s_waitcnt vmcnt(0)
	v_add_f32_e32 v3, 0x46800000, v2
.LBB47_1155:
	s_or_b64 exec, exec, s[64:65]
                                        ; implicit-def: $vgpr2
.LBB47_1156:
	s_andn2_saveexec_b64 s[62:63], s[62:63]
	s_cbranch_execz .LBB47_1158
; %bb.1157:
	s_mov_b32 s64, 0x7f800000
	s_waitcnt vmcnt(0)
	v_mov_b32_e32 v3, 0x7e
	v_mov_b32_e32 v4, 0x7f
	v_cmp_lt_u32_e32 vcc, s64, v2
	v_cndmask_b32_e32 v3, v3, v4, vcc
.LBB47_1158:
	s_or_b64 exec, exec, s[62:63]
	s_waitcnt vmcnt(0)
	global_store_byte v[0:1], v3, off
.LBB47_1159:
	s_mov_b64 s[62:63], 0
.LBB47_1160:
	s_andn2_b64 vcc, exec, s[62:63]
	s_cbranch_vccnz .LBB47_1170
; %bb.1161:
	v_cndmask_b32_e64 v2, 0, 1.0, s[60:61]
	s_mov_b32 s62, 0x47800000
	v_cmp_gt_u32_e32 vcc, s62, v2
                                        ; implicit-def: $vgpr3
	s_and_saveexec_b64 s[62:63], vcc
	s_xor_b64 s[62:63], exec, s[62:63]
	s_cbranch_execz .LBB47_1167
; %bb.1162:
	s_mov_b32 s64, 0x387fffff
	v_cmp_lt_u32_e32 vcc, s64, v2
                                        ; implicit-def: $vgpr3
	s_and_saveexec_b64 s[64:65], vcc
	s_xor_b64 s[64:65], exec, s[64:65]
	s_cbranch_execz .LBB47_1164
; %bb.1163:
	s_waitcnt vmcnt(0)
	v_bfe_u32 v3, v2, 21, 1
	s_mov_b32 s66, 0x80fffff
	v_add3_u32 v2, v2, v3, s66
	v_lshrrev_b32_e32 v3, 21, v2
                                        ; implicit-def: $vgpr2
.LBB47_1164:
	s_andn2_saveexec_b64 s[64:65], s[64:65]
	s_cbranch_execz .LBB47_1166
; %bb.1165:
	s_waitcnt vmcnt(0)
	v_add_f32_e32 v3, 0x43000000, v2
.LBB47_1166:
	s_or_b64 exec, exec, s[64:65]
                                        ; implicit-def: $vgpr2
.LBB47_1167:
	s_andn2_saveexec_b64 s[62:63], s[62:63]
	s_cbranch_execz .LBB47_1169
; %bb.1168:
	s_mov_b32 s64, 0x7f800000
	s_waitcnt vmcnt(0)
	v_mov_b32_e32 v3, 0x7c
	v_mov_b32_e32 v4, 0x7f
	v_cmp_lt_u32_e32 vcc, s64, v2
	v_cndmask_b32_e32 v3, v3, v4, vcc
.LBB47_1169:
	s_or_b64 exec, exec, s[62:63]
	s_waitcnt vmcnt(0)
	global_store_byte v[0:1], v3, off
.LBB47_1170:
	s_mov_b64 s[64:65], 0
	s_mov_b64 s[62:63], -1
.LBB47_1171:
	s_andn2_b64 vcc, exec, s[64:65]
	s_cbranch_vccnz .LBB47_1179
; %bb.1172:
	s_cmp_gt_i32 s74, 14
	s_mov_b64 s[64:65], -1
	s_cbranch_scc0 .LBB47_1176
; %bb.1173:
	s_cmp_eq_u32 s74, 15
	s_mov_b64 s[0:1], -1
	s_cbranch_scc0 .LBB47_1175
; %bb.1174:
	v_cndmask_b32_e64 v2, 0, 1.0, s[60:61]
	s_waitcnt vmcnt(0)
	v_bfe_u32 v3, v2, 16, 1
	s_movk_i32 s0, 0x7fff
	v_add3_u32 v2, v2, v3, s0
	global_store_short_d16_hi v[0:1], v2, off
	s_mov_b64 s[62:63], -1
	s_mov_b64 s[0:1], 0
.LBB47_1175:
	s_mov_b64 s[64:65], 0
.LBB47_1176:
	s_and_b64 vcc, exec, s[64:65]
	s_cbranch_vccz .LBB47_1179
; %bb.1177:
	s_cmp_eq_u32 s74, 11
	s_mov_b64 s[0:1], -1
	s_cbranch_scc0 .LBB47_1179
; %bb.1178:
	v_cndmask_b32_e64 v2, 0, 1, s[60:61]
	s_mov_b64 s[62:63], -1
	s_mov_b64 s[0:1], 0
	global_store_byte v[0:1], v2, off
.LBB47_1179:
	s_mov_b64 s[64:65], 0
.LBB47_1180:
	s_and_b64 vcc, exec, s[64:65]
	s_cbranch_vccz .LBB47_1219
; %bb.1181:
	s_and_b32 s64, 0xffff, s69
	s_cmp_lt_i32 s64, 5
	s_mov_b64 s[62:63], -1
	s_cbranch_scc1 .LBB47_1202
; %bb.1182:
	s_cmp_lt_i32 s64, 8
	s_cbranch_scc1 .LBB47_1192
; %bb.1183:
	s_cmp_lt_i32 s64, 9
	s_cbranch_scc1 .LBB47_1189
; %bb.1184:
	s_cmp_gt_i32 s64, 9
	s_cbranch_scc0 .LBB47_1186
; %bb.1185:
	v_cndmask_b32_e64 v2, 0, 1, s[60:61]
	s_waitcnt vmcnt(0)
	v_cvt_f64_u32_e32 v[2:3], v2
	v_mov_b32_e32 v4, 0
	v_mov_b32_e32 v5, v4
	s_mov_b64 s[62:63], 0
	global_store_dwordx4 v[0:1], v[2:5], off
.LBB47_1186:
	s_andn2_b64 vcc, exec, s[62:63]
	s_cbranch_vccnz .LBB47_1188
; %bb.1187:
	v_cndmask_b32_e64 v2, 0, 1.0, s[60:61]
	s_waitcnt vmcnt(0)
	v_mov_b32_e32 v3, 0
	global_store_dwordx2 v[0:1], v[2:3], off
.LBB47_1188:
	s_mov_b64 s[62:63], 0
.LBB47_1189:
	s_andn2_b64 vcc, exec, s[62:63]
	s_cbranch_vccnz .LBB47_1191
; %bb.1190:
	v_cndmask_b32_e64 v2, 0, 1.0, s[60:61]
	v_cvt_f16_f32_e32 v2, v2
	global_store_dword v[0:1], v2, off
.LBB47_1191:
	s_mov_b64 s[62:63], 0
.LBB47_1192:
	s_andn2_b64 vcc, exec, s[62:63]
	s_cbranch_vccnz .LBB47_1201
; %bb.1193:
	s_cmp_lt_i32 s64, 6
	s_mov_b64 s[62:63], -1
	s_cbranch_scc1 .LBB47_1199
; %bb.1194:
	s_cmp_gt_i32 s64, 6
	s_cbranch_scc0 .LBB47_1196
; %bb.1195:
	v_cndmask_b32_e64 v2, 0, 1, s[60:61]
	s_waitcnt vmcnt(0)
	v_cvt_f64_u32_e32 v[2:3], v2
	s_mov_b64 s[62:63], 0
	global_store_dwordx2 v[0:1], v[2:3], off
.LBB47_1196:
	s_andn2_b64 vcc, exec, s[62:63]
	s_cbranch_vccnz .LBB47_1198
; %bb.1197:
	v_cndmask_b32_e64 v2, 0, 1.0, s[60:61]
	global_store_dword v[0:1], v2, off
.LBB47_1198:
	s_mov_b64 s[62:63], 0
.LBB47_1199:
	s_andn2_b64 vcc, exec, s[62:63]
	s_cbranch_vccnz .LBB47_1201
; %bb.1200:
	v_cndmask_b32_e64 v2, 0, 1.0, s[60:61]
	v_cvt_f16_f32_e32 v2, v2
	global_store_short v[0:1], v2, off
.LBB47_1201:
	s_mov_b64 s[62:63], 0
.LBB47_1202:
	s_andn2_b64 vcc, exec, s[62:63]
	s_cbranch_vccnz .LBB47_1218
; %bb.1203:
	s_cmp_lt_i32 s64, 2
	s_mov_b64 s[62:63], -1
	s_cbranch_scc1 .LBB47_1213
; %bb.1204:
	s_cmp_lt_i32 s64, 3
	s_cbranch_scc1 .LBB47_1210
; %bb.1205:
	s_cmp_gt_i32 s64, 3
	s_cbranch_scc0 .LBB47_1207
; %bb.1206:
	s_mov_b32 s62, 0
	v_cndmask_b32_e64 v2, 0, 1, s[60:61]
	s_waitcnt vmcnt(0)
	v_mov_b32_e32 v3, s62
	s_mov_b64 s[62:63], 0
	global_store_dwordx2 v[0:1], v[2:3], off
.LBB47_1207:
	s_andn2_b64 vcc, exec, s[62:63]
	s_cbranch_vccnz .LBB47_1209
; %bb.1208:
	v_cndmask_b32_e64 v2, 0, 1, s[60:61]
	global_store_dword v[0:1], v2, off
.LBB47_1209:
	s_mov_b64 s[62:63], 0
.LBB47_1210:
	s_andn2_b64 vcc, exec, s[62:63]
	s_cbranch_vccnz .LBB47_1212
; %bb.1211:
	v_cndmask_b32_e64 v2, 0, 1, s[60:61]
	global_store_short v[0:1], v2, off
.LBB47_1212:
	s_mov_b64 s[62:63], 0
.LBB47_1213:
	s_andn2_b64 vcc, exec, s[62:63]
	s_cbranch_vccnz .LBB47_1218
; %bb.1214:
	s_mov_b64 s[62:63], -1
	s_cmp_gt_i32 s64, 0
	v_cndmask_b32_e64 v2, 0, 1, s[60:61]
	s_cbranch_scc0 .LBB47_1216
; %bb.1215:
	s_mov_b64 s[62:63], 0
	global_store_byte v[0:1], v2, off
.LBB47_1216:
	s_andn2_b64 vcc, exec, s[62:63]
	s_cbranch_vccnz .LBB47_1218
; %bb.1217:
	global_store_byte v[0:1], v2, off
.LBB47_1218:
	s_mov_b64 s[62:63], -1
.LBB47_1219:
	s_andn2_b64 vcc, exec, s[62:63]
	s_cbranch_vccnz .LBB47_1231
; %bb.1220:
	v_add_u32_e32 v8, 0x80, v8
	s_mov_b64 s[62:63], -1
.LBB47_1221:
	s_andn2_b64 s[60:61], s[50:51], exec
	s_and_b64 s[0:1], s[0:1], exec
	s_or_b64 s[60:61], s[60:61], s[0:1]
	s_andn2_b64 s[0:1], s[48:49], exec
	s_and_b64 s[58:59], s[58:59], exec
	s_or_b64 s[58:59], s[0:1], s[58:59]
	;; [unrolled: 3-line block ×3, first 2 shown]
	s_orn2_b64 s[66:67], s[62:63], exec
.LBB47_1222:
	s_or_b64 exec, exec, s[54:55]
	s_mov_b64 s[62:63], 0
	s_mov_b64 s[56:57], 0
	;; [unrolled: 1-line block ×3, first 2 shown]
                                        ; implicit-def: $sgpr74
                                        ; implicit-def: $vgpr3_vgpr4
                                        ; implicit-def: $vgpr0
                                        ; implicit-def: $vgpr2
                                        ; implicit-def: $vgpr5
	s_and_saveexec_b64 s[54:55], s[66:67]
	s_cbranch_execz .LBB47_1313
; %bb.1223:
	v_cmp_gt_i32_e32 vcc, s68, v8
	s_mov_b64 s[66:67], s[0:1]
	s_mov_b64 s[68:69], 0
                                        ; implicit-def: $sgpr74
                                        ; implicit-def: $vgpr3_vgpr4
                                        ; implicit-def: $vgpr0
                                        ; implicit-def: $vgpr2
                                        ; implicit-def: $vgpr5
	s_and_saveexec_b64 s[56:57], vcc
	s_cbranch_execz .LBB47_1312
; %bb.1224:
	s_andn2_b64 vcc, exec, s[24:25]
	s_cbranch_vccnz .LBB47_1230
; %bb.1225:
	s_andn2_b64 vcc, exec, s[36:37]
	s_cbranch_vccnz .LBB47_1232
; %bb.1226:
	s_add_i32 s36, s73, 1
	s_and_b32 s62, s36, 30
	s_add_u32 s36, s2, 0xffffffe8
	s_addc_u32 s37, s3, -1
	v_mov_b32_e32 v2, 0
	v_mov_b32_e32 v4, 0
	;; [unrolled: 1-line block ×4, first 2 shown]
.LBB47_1227:                            ; =>This Inner Loop Header: Depth=1
	s_load_dwordx4 s[64:67], s[36:37], 0x1c
	s_load_dwordx2 s[68:69], s[36:37], 0x2c
	s_load_dwordx2 s[74:75], s[36:37], 0xec
	s_load_dwordx4 s[76:79], s[36:37], 0xdc
	s_add_u32 s36, s36, 24
	s_waitcnt vmcnt(0) lgkmcnt(0)
	v_mul_hi_u32 v3, s65, v1
	s_addc_u32 s37, s37, 0
	s_add_i32 s62, s62, -2
	s_cmp_eq_u32 s62, 0
	v_add_u32_e32 v3, v1, v3
	v_lshrrev_b32_e32 v3, s66, v3
	v_mul_lo_u32 v5, v3, s64
	v_mul_hi_u32 v6, s68, v3
	v_sub_u32_e32 v5, v1, v5
	v_add_u32_e32 v1, v3, v6
	v_lshrrev_b32_e32 v1, s69, v1
	v_mul_lo_u32 v9, v1, s67
	v_mul_lo_u32 v6, v5, s76
	v_mul_lo_u32 v7, v5, s77
	v_mul_lo_u32 v5, v5, s78
	v_sub_u32_e32 v3, v3, v9
	v_mul_lo_u32 v9, v3, s79
	v_mul_lo_u32 v10, v3, s74
	;; [unrolled: 1-line block ×3, first 2 shown]
	v_add3_u32 v0, v6, v0, v9
	v_add3_u32 v4, v7, v4, v10
	;; [unrolled: 1-line block ×3, first 2 shown]
	s_cbranch_scc0 .LBB47_1227
; %bb.1228:
	s_bitcmp1_b32 s73, 0
	s_cselect_b64 s[62:63], -1, 0
	s_and_b64 vcc, exec, s[62:63]
	s_cbranch_vccnz .LBB47_1233
; %bb.1229:
	s_load_dwordx2 s[62:63], s[36:37], 0x1c
	s_load_dword s66, s[36:37], 0x24
	s_load_dwordx2 s[64:65], s[36:37], 0xdc
	s_waitcnt lgkmcnt(0)
	v_mul_hi_u32 v3, s63, v1
	v_add_u32_e32 v3, v1, v3
	v_lshrrev_b32_e32 v3, s66, v3
	v_mul_lo_u32 v3, v3, s62
	s_load_dword s62, s[36:37], 0xe4
	v_sub_u32_e32 v3, v1, v3
	v_mad_u64_u32 v[0:1], s[36:37], v3, s64, v[0:1]
	v_mad_u64_u32 v[4:5], s[36:37], v3, s65, v[4:5]
	s_waitcnt lgkmcnt(0)
	v_mad_u64_u32 v[2:3], s[36:37], v3, s62, v[2:3]
	s_branch .LBB47_1233
.LBB47_1230:
	s_mov_b64 s[36:37], -1
                                        ; implicit-def: $vgpr0
                                        ; implicit-def: $vgpr4
                                        ; implicit-def: $vgpr2
	s_branch .LBB47_1234
.LBB47_1231:
	s_mov_b64 s[62:63], 0
	s_branch .LBB47_961
.LBB47_1232:
	v_mov_b32_e32 v0, 0
	v_mov_b32_e32 v4, 0
	;; [unrolled: 1-line block ×3, first 2 shown]
.LBB47_1233:
	s_mov_b64 s[36:37], 0
.LBB47_1234:
	s_andn2_b64 vcc, exec, s[36:37]
	s_cbranch_vccnz .LBB47_1237
; %bb.1235:
	v_mul_hi_u32 v0, s17, v8
	s_andn2_b64 vcc, exec, s[34:35]
	v_add_u32_e32 v0, v8, v0
	v_lshrrev_b32_e32 v1, s18, v0
	v_mul_lo_u32 v0, v1, s16
	v_sub_u32_e32 v2, v8, v0
	v_mul_lo_u32 v0, v2, s20
	v_mul_lo_u32 v4, v2, s21
	;; [unrolled: 1-line block ×3, first 2 shown]
	s_cbranch_vccnz .LBB47_1237
; %bb.1236:
	s_waitcnt vmcnt(0)
	v_mul_hi_u32 v3, s30, v1
	v_add_u32_e32 v3, v1, v3
	v_lshrrev_b32_e32 v3, s31, v3
	v_mul_lo_u32 v3, v3, s19
	v_sub_u32_e32 v3, v1, v3
	v_mad_u64_u32 v[0:1], s[16:17], v3, s23, v[0:1]
	v_mad_u64_u32 v[4:5], s[16:17], v3, s28, v[4:5]
	;; [unrolled: 1-line block ×3, first 2 shown]
.LBB47_1237:
	v_mov_b32_e32 v1, s11
	s_and_b32 s74, s72, 0xff
	s_waitcnt vmcnt(0)
	v_add_co_u32_e32 v3, vcc, s10, v4
	s_cmp_lt_i32 s74, 11
	v_addc_co_u32_e32 v4, vcc, 0, v1, vcc
	s_cbranch_scc1 .LBB47_1244
; %bb.1238:
	s_and_b32 s22, 0xffff, s74
	s_cmp_gt_i32 s22, 25
	s_mov_b64 s[16:17], 0
	s_cbranch_scc0 .LBB47_1245
; %bb.1239:
	s_cmp_gt_i32 s22, 28
	s_cbranch_scc0 .LBB47_1246
; %bb.1240:
	s_cmp_gt_i32 s22, 43
	;; [unrolled: 3-line block ×3, first 2 shown]
	s_cbranch_scc0 .LBB47_1248
; %bb.1242:
	s_cmp_eq_u32 s22, 46
	s_mov_b64 s[20:21], 0
	s_cbranch_scc0 .LBB47_1251
; %bb.1243:
	global_load_dword v1, v[3:4], off
	s_mov_b64 s[10:11], 0
	s_mov_b64 s[18:19], -1
	s_waitcnt vmcnt(0)
	v_lshlrev_b32_e32 v1, 16, v1
	v_cvt_i32_f32_e32 v5, v1
	s_branch .LBB47_1252
.LBB47_1244:
	s_mov_b64 s[20:21], -1
	s_mov_b64 s[18:19], 0
	s_mov_b64 s[16:17], 0
	s_mov_b64 s[10:11], s[0:1]
                                        ; implicit-def: $vgpr5
	s_branch .LBB47_1311
.LBB47_1245:
	s_mov_b64 s[20:21], -1
	s_mov_b64 s[18:19], 0
	s_mov_b64 s[10:11], s[0:1]
                                        ; implicit-def: $vgpr5
	s_branch .LBB47_1279
.LBB47_1246:
	s_mov_b64 s[20:21], -1
	s_mov_b64 s[18:19], 0
	s_mov_b64 s[10:11], s[0:1]
                                        ; implicit-def: $vgpr5
	s_branch .LBB47_1262
.LBB47_1247:
	s_mov_b64 s[20:21], -1
	s_mov_b64 s[18:19], 0
	s_mov_b64 s[10:11], s[0:1]
                                        ; implicit-def: $vgpr5
	s_branch .LBB47_1257
.LBB47_1248:
	s_mov_b64 s[20:21], -1
	s_mov_b64 s[18:19], 0
	s_mov_b64 s[10:11], s[0:1]
                                        ; implicit-def: $vgpr5
	s_branch .LBB47_1252
.LBB47_1249:
	s_andn2_saveexec_b64 s[66:67], s[66:67]
	s_cbranch_execz .LBB47_1132
.LBB47_1250:
	v_add_f32_e32 v2, 0x46000000, v3
	v_and_b32_e32 v2, 0xff, v2
	v_cmp_ne_u32_e32 vcc, 0, v2
	s_andn2_b64 s[64:65], s[64:65], exec
	s_and_b64 s[76:77], vcc, exec
	s_or_b64 s[64:65], s[64:65], s[76:77]
	s_or_b64 exec, exec, s[66:67]
	v_mov_b32_e32 v4, 0
	s_and_saveexec_b64 s[66:67], s[64:65]
	s_cbranch_execnz .LBB47_1133
	s_branch .LBB47_1134
.LBB47_1251:
	s_mov_b64 s[10:11], -1
                                        ; implicit-def: $vgpr5
	s_mov_b64 s[18:19], 0
.LBB47_1252:
	s_and_b64 vcc, exec, s[20:21]
	s_cbranch_vccz .LBB47_1256
; %bb.1253:
	s_cmp_eq_u32 s22, 44
	s_cbranch_scc0 .LBB47_1255
; %bb.1254:
	global_load_ubyte v1, v[3:4], off
	s_mov_b64 s[10:11], 0
	s_mov_b64 s[18:19], -1
	s_waitcnt vmcnt(0)
	v_lshlrev_b32_e32 v5, 23, v1
	v_cvt_i32_f32_e32 v5, v5
	v_cmp_ne_u32_e32 vcc, 0, v1
	v_cndmask_b32_e32 v5, 0, v5, vcc
	s_branch .LBB47_1256
.LBB47_1255:
	s_mov_b64 s[10:11], -1
                                        ; implicit-def: $vgpr5
.LBB47_1256:
	s_mov_b64 s[20:21], 0
.LBB47_1257:
	s_and_b64 vcc, exec, s[20:21]
	s_cbranch_vccz .LBB47_1261
; %bb.1258:
	s_cmp_eq_u32 s22, 29
	s_cbranch_scc0 .LBB47_1260
; %bb.1259:
	global_load_dword v5, v[3:4], off
	s_mov_b64 s[10:11], 0
	s_mov_b64 s[18:19], -1
	s_branch .LBB47_1261
.LBB47_1260:
	s_mov_b64 s[10:11], -1
                                        ; implicit-def: $vgpr5
.LBB47_1261:
	s_mov_b64 s[20:21], 0
.LBB47_1262:
	s_and_b64 vcc, exec, s[20:21]
	s_cbranch_vccz .LBB47_1278
; %bb.1263:
	s_cmp_lt_i32 s22, 27
	s_cbranch_scc1 .LBB47_1266
; %bb.1264:
	s_cmp_gt_i32 s22, 27
	s_cbranch_scc0 .LBB47_1267
; %bb.1265:
	global_load_dword v5, v[3:4], off
	s_mov_b64 s[18:19], 0
	s_branch .LBB47_1268
.LBB47_1266:
	s_mov_b64 s[18:19], -1
                                        ; implicit-def: $vgpr5
	s_branch .LBB47_1271
.LBB47_1267:
	s_mov_b64 s[18:19], -1
                                        ; implicit-def: $vgpr5
.LBB47_1268:
	s_andn2_b64 vcc, exec, s[18:19]
	s_cbranch_vccnz .LBB47_1270
; %bb.1269:
	global_load_ushort v5, v[3:4], off
.LBB47_1270:
	s_mov_b64 s[18:19], 0
.LBB47_1271:
	s_andn2_b64 vcc, exec, s[18:19]
	s_cbranch_vccnz .LBB47_1277
; %bb.1272:
	global_load_ubyte v1, v[3:4], off
	s_movk_i32 s18, 0x7f
	s_mov_b64 s[20:21], 0
	s_waitcnt vmcnt(0)
	v_cmp_lt_i16_e32 vcc, s18, v1
	s_and_saveexec_b64 s[18:19], vcc
	s_xor_b64 s[18:19], exec, s[18:19]
	s_cbranch_execz .LBB47_1289
; %bb.1273:
	s_movk_i32 s20, 0x80
	v_cmp_ne_u16_e32 vcc, s20, v1
	s_and_b64 s[20:21], vcc, exec
	s_andn2_saveexec_b64 s[18:19], s[18:19]
	s_cbranch_execnz .LBB47_1290
.LBB47_1274:
	s_or_b64 exec, exec, s[18:19]
	v_mov_b32_e32 v5, 0
	s_and_saveexec_b64 s[18:19], s[20:21]
	s_cbranch_execz .LBB47_1276
.LBB47_1275:
	v_lshlrev_b32_e32 v5, 24, v1
	v_and_b32_e32 v1, 0xffff, v1
	v_and_b32_e32 v6, 7, v1
	v_ffbh_u32_e32 v8, v6
	v_min_u32_e32 v8, 32, v8
	v_subrev_u32_e32 v9, 28, v8
	v_bfe_u32 v7, v1, 3, 4
	v_lshlrev_b32_e32 v1, v9, v1
	v_sub_u32_e32 v8, 29, v8
	v_and_b32_e32 v1, 7, v1
	v_cmp_eq_u32_e32 vcc, 0, v7
	v_cndmask_b32_e32 v7, v7, v8, vcc
	v_cndmask_b32_e32 v1, v6, v1, vcc
	v_mov_b32_e32 v6, 0x3b800000
	v_lshlrev_b32_e32 v1, 20, v1
	v_and_b32_e32 v5, 0x80000000, v5
	v_lshl_add_u32 v6, v7, 23, v6
	v_or3_b32 v1, v5, v6, v1
	v_cvt_i32_f32_e32 v5, v1
.LBB47_1276:
	s_or_b64 exec, exec, s[18:19]
.LBB47_1277:
	s_mov_b64 s[18:19], -1
.LBB47_1278:
	s_mov_b64 s[20:21], 0
.LBB47_1279:
	s_and_b64 vcc, exec, s[20:21]
	s_cbranch_vccz .LBB47_1310
; %bb.1280:
	s_cmp_gt_i32 s22, 22
	s_cbranch_scc0 .LBB47_1288
; %bb.1281:
	s_cmp_lt_i32 s22, 24
	s_cbranch_scc1 .LBB47_1291
; %bb.1282:
	s_cmp_gt_i32 s22, 24
	s_cbranch_scc0 .LBB47_1292
; %bb.1283:
	global_load_ubyte v1, v[3:4], off
	s_movk_i32 s16, 0x7f
	s_mov_b64 s[18:19], 0
	s_waitcnt vmcnt(0)
	v_cmp_lt_i16_e32 vcc, s16, v1
	s_and_saveexec_b64 s[16:17], vcc
	s_xor_b64 s[16:17], exec, s[16:17]
	s_cbranch_execz .LBB47_1304
; %bb.1284:
	s_movk_i32 s18, 0x80
	v_cmp_ne_u16_e32 vcc, s18, v1
	s_and_b64 s[18:19], vcc, exec
	s_andn2_saveexec_b64 s[16:17], s[16:17]
	s_cbranch_execnz .LBB47_1305
.LBB47_1285:
	s_or_b64 exec, exec, s[16:17]
	v_mov_b32_e32 v5, 0
	s_and_saveexec_b64 s[16:17], s[18:19]
	s_cbranch_execz .LBB47_1287
.LBB47_1286:
	v_lshlrev_b32_e32 v5, 24, v1
	v_and_b32_e32 v1, 0xffff, v1
	v_and_b32_e32 v6, 3, v1
	v_ffbh_u32_e32 v8, v6
	v_min_u32_e32 v8, 32, v8
	v_subrev_u32_e32 v9, 29, v8
	v_bfe_u32 v7, v1, 2, 5
	v_lshlrev_b32_e32 v1, v9, v1
	v_sub_u32_e32 v8, 30, v8
	v_and_b32_e32 v1, 3, v1
	v_cmp_eq_u32_e32 vcc, 0, v7
	v_cndmask_b32_e32 v7, v7, v8, vcc
	v_cndmask_b32_e32 v1, v6, v1, vcc
	v_mov_b32_e32 v6, 0x37800000
	v_lshlrev_b32_e32 v1, 21, v1
	v_and_b32_e32 v5, 0x80000000, v5
	v_lshl_add_u32 v6, v7, 23, v6
	v_or3_b32 v1, v5, v6, v1
	v_cvt_i32_f32_e32 v5, v1
.LBB47_1287:
	s_or_b64 exec, exec, s[16:17]
	s_mov_b64 s[16:17], 0
	s_branch .LBB47_1293
.LBB47_1288:
	s_mov_b64 s[16:17], -1
                                        ; implicit-def: $vgpr5
	s_branch .LBB47_1299
.LBB47_1289:
	s_andn2_saveexec_b64 s[18:19], s[18:19]
	s_cbranch_execz .LBB47_1274
.LBB47_1290:
	v_cmp_ne_u16_e32 vcc, 0, v1
	s_andn2_b64 s[20:21], s[20:21], exec
	s_and_b64 s[28:29], vcc, exec
	s_or_b64 s[20:21], s[20:21], s[28:29]
	s_or_b64 exec, exec, s[18:19]
	v_mov_b32_e32 v5, 0
	s_and_saveexec_b64 s[18:19], s[20:21]
	s_cbranch_execnz .LBB47_1275
	s_branch .LBB47_1276
.LBB47_1291:
	s_mov_b64 s[16:17], -1
                                        ; implicit-def: $vgpr5
	s_branch .LBB47_1296
.LBB47_1292:
	s_mov_b64 s[16:17], -1
                                        ; implicit-def: $vgpr5
.LBB47_1293:
	s_and_b64 vcc, exec, s[16:17]
	s_cbranch_vccz .LBB47_1295
; %bb.1294:
	global_load_ubyte v1, v[3:4], off
	s_mov_b32 s16, 0x7f800000
	s_waitcnt vmcnt(0)
	v_lshlrev_b32_e32 v1, 24, v1
	v_and_b32_e32 v5, 0x7f000000, v1
	v_ffbh_u32_e32 v6, v5
	v_min_u32_e32 v6, 32, v6
	v_sub_u32_e64 v6, v6, 4 clamp
	v_lshlrev_b32_e32 v8, v6, v5
	v_lshlrev_b32_e32 v6, 23, v6
	v_lshrrev_b32_e32 v8, 4, v8
	v_add_u32_e32 v7, 0x1000000, v5
	v_sub_u32_e32 v6, v8, v6
	v_ashrrev_i32_e32 v7, 8, v7
	v_add_u32_e32 v6, 0x3c000000, v6
	v_and_or_b32 v6, v7, s16, v6
	v_cmp_ne_u32_e32 vcc, 0, v5
	v_cndmask_b32_e32 v5, 0, v6, vcc
	s_brev_b32 s16, 1
	v_and_or_b32 v1, v1, s16, v5
	v_cvt_i32_f32_e32 v5, v1
.LBB47_1295:
	s_mov_b64 s[16:17], 0
.LBB47_1296:
	s_andn2_b64 vcc, exec, s[16:17]
	s_cbranch_vccnz .LBB47_1298
; %bb.1297:
	global_load_ubyte v1, v[3:4], off
	s_movk_i32 s16, 0x7f00
	s_brev_b32 s17, 16
	s_waitcnt vmcnt(0)
	v_lshlrev_b16_e32 v5, 8, v1
	v_lshlrev_b32_e32 v1, 25, v1
	v_lshrrev_b32_e32 v6, 4, v1
	v_and_or_b32 v7, v5, s16, 0.5
	v_or_b32_e32 v6, 0x70000000, v6
	v_add_f32_e32 v7, -0.5, v7
	v_mul_f32_e32 v6, 0x7800000, v6
	v_cmp_gt_u32_e32 vcc, s17, v1
	v_bfe_i32 v5, v5, 0, 16
	v_cndmask_b32_e32 v1, v6, v7, vcc
	s_brev_b32 s16, 1
	v_and_or_b32 v1, v5, s16, v1
	v_cvt_i32_f32_e32 v5, v1
.LBB47_1298:
	s_mov_b64 s[16:17], 0
	s_mov_b64 s[18:19], -1
.LBB47_1299:
	s_andn2_b64 vcc, exec, s[16:17]
	s_mov_b64 s[16:17], 0
	s_cbranch_vccnz .LBB47_1310
; %bb.1300:
	s_cmp_gt_i32 s22, 14
	s_cbranch_scc0 .LBB47_1303
; %bb.1301:
	s_cmp_eq_u32 s22, 15
	s_cbranch_scc0 .LBB47_1306
; %bb.1302:
	global_load_ushort v1, v[3:4], off
	s_mov_b64 s[10:11], 0
	s_mov_b64 s[18:19], -1
	s_waitcnt vmcnt(0)
	v_lshlrev_b32_e32 v1, 16, v1
	v_cvt_i32_f32_e32 v5, v1
	s_branch .LBB47_1307
.LBB47_1303:
	s_mov_b64 s[20:21], -1
                                        ; implicit-def: $vgpr5
	s_branch .LBB47_1308
.LBB47_1304:
	s_andn2_saveexec_b64 s[16:17], s[16:17]
	s_cbranch_execz .LBB47_1285
.LBB47_1305:
	v_cmp_ne_u16_e32 vcc, 0, v1
	s_andn2_b64 s[18:19], s[18:19], exec
	s_and_b64 s[20:21], vcc, exec
	s_or_b64 s[18:19], s[18:19], s[20:21]
	s_or_b64 exec, exec, s[16:17]
	v_mov_b32_e32 v5, 0
	s_and_saveexec_b64 s[16:17], s[18:19]
	s_cbranch_execnz .LBB47_1286
	s_branch .LBB47_1287
.LBB47_1306:
	s_mov_b64 s[10:11], -1
                                        ; implicit-def: $vgpr5
.LBB47_1307:
	s_mov_b64 s[20:21], 0
.LBB47_1308:
	s_and_b64 vcc, exec, s[20:21]
	s_cbranch_vccz .LBB47_1310
; %bb.1309:
	s_cmp_lg_u32 s22, 11
	s_cselect_b64 s[20:21], -1, 0
	s_andn2_b64 s[10:11], s[10:11], exec
	s_and_b64 s[20:21], s[20:21], exec
	s_mov_b64 s[16:17], -1
	s_or_b64 s[10:11], s[10:11], s[20:21]
.LBB47_1310:
	s_mov_b64 s[20:21], 0
.LBB47_1311:
	s_and_b64 s[62:63], s[16:17], exec
	s_andn2_b64 s[16:17], s[0:1], exec
	s_and_b64 s[10:11], s[10:11], exec
	s_and_b64 s[64:65], s[18:19], exec
	;; [unrolled: 1-line block ×3, first 2 shown]
	s_or_b64 s[66:67], s[16:17], s[10:11]
.LBB47_1312:
	s_or_b64 exec, exec, s[56:57]
	s_andn2_b64 s[0:1], s[0:1], exec
	s_and_b64 s[10:11], s[66:67], exec
	s_and_b64 s[64:65], s[64:65], exec
	s_and_b64 s[56:57], s[68:69], exec
	s_and_b64 s[62:63], s[62:63], exec
	s_or_b64 s[0:1], s[0:1], s[10:11]
.LBB47_1313:
	s_or_b64 exec, exec, s[54:55]
	s_andn2_b64 s[10:11], s[50:51], exec
	s_and_b64 s[16:17], s[60:61], exec
	s_or_b64 s[50:51], s[10:11], s[16:17]
	s_andn2_b64 s[10:11], s[48:49], exec
	s_and_b64 s[16:17], s[58:59], exec
	s_or_b64 s[48:49], s[10:11], s[16:17]
	s_andn2_b64 s[10:11], s[46:47], exec
	s_and_b64 s[0:1], s[0:1], exec
	s_and_b64 s[58:59], s[64:65], exec
	;; [unrolled: 1-line block ×4, first 2 shown]
	s_or_b64 s[46:47], s[10:11], s[0:1]
.LBB47_1314:
	s_or_b64 exec, exec, s[52:53]
	s_andn2_b64 s[0:1], s[38:39], exec
	s_and_b64 s[10:11], s[50:51], exec
	s_or_b64 s[38:39], s[0:1], s[10:11]
	s_andn2_b64 s[0:1], s[40:41], exec
	s_and_b64 s[10:11], s[48:49], exec
	s_or_b64 s[40:41], s[0:1], s[10:11]
	s_andn2_b64 s[0:1], s[42:43], exec
	s_and_b64 s[10:11], s[46:47], exec
	s_and_b64 s[50:51], s[58:59], exec
	;; [unrolled: 1-line block ×4, first 2 shown]
	s_or_b64 s[42:43], s[0:1], s[10:11]
	s_or_b64 exec, exec, s[44:45]
	s_mov_b64 s[10:11], 0
	s_and_saveexec_b64 s[0:1], s[42:43]
	s_cbranch_execz .LBB47_411
.LBB47_1315:
	s_mov_b64 s[10:11], exec
	s_andn2_b64 s[48:49], s[48:49], exec
	s_trap 2
	s_or_b64 exec, exec, s[0:1]
	s_and_saveexec_b64 s[0:1], s[48:49]
	s_xor_b64 s[0:1], exec, s[0:1]
	s_cbranch_execnz .LBB47_412
.LBB47_1316:
	s_or_b64 exec, exec, s[0:1]
	s_and_saveexec_b64 s[0:1], s[52:53]
	s_cbranch_execz .LBB47_1362
.LBB47_1317:
	s_sext_i32_i16 s16, s74
	s_cmp_lt_i32 s16, 5
	s_cbranch_scc1 .LBB47_1322
; %bb.1318:
	s_cmp_lt_i32 s16, 8
	s_cbranch_scc1 .LBB47_1323
; %bb.1319:
	;; [unrolled: 3-line block ×3, first 2 shown]
	s_cmp_gt_i32 s16, 9
	s_cbranch_scc0 .LBB47_1325
; %bb.1321:
	s_waitcnt vmcnt(0)
	global_load_dwordx2 v[5:6], v[3:4], off
	s_mov_b64 s[16:17], 0
	s_waitcnt vmcnt(0)
	v_cvt_i32_f64_e32 v5, v[5:6]
	s_branch .LBB47_1326
.LBB47_1322:
                                        ; implicit-def: $vgpr5
	s_branch .LBB47_1343
.LBB47_1323:
                                        ; implicit-def: $vgpr5
	s_branch .LBB47_1332
.LBB47_1324:
	s_mov_b64 s[16:17], -1
                                        ; implicit-def: $vgpr5
	s_branch .LBB47_1329
.LBB47_1325:
	s_mov_b64 s[16:17], -1
                                        ; implicit-def: $vgpr5
.LBB47_1326:
	s_andn2_b64 vcc, exec, s[16:17]
	s_cbranch_vccnz .LBB47_1328
; %bb.1327:
	s_waitcnt vmcnt(0)
	global_load_dword v1, v[3:4], off
	s_waitcnt vmcnt(0)
	v_cvt_i32_f32_e32 v5, v1
.LBB47_1328:
	s_mov_b64 s[16:17], 0
.LBB47_1329:
	s_andn2_b64 vcc, exec, s[16:17]
	s_cbranch_vccnz .LBB47_1331
; %bb.1330:
	s_waitcnt vmcnt(0)
	global_load_dword v1, v[3:4], off
	s_waitcnt vmcnt(0)
	v_cvt_f32_f16_e32 v1, v1
	v_cvt_i32_f32_e32 v5, v1
.LBB47_1331:
	s_cbranch_execnz .LBB47_1342
.LBB47_1332:
	s_sext_i32_i16 s16, s74
	s_cmp_lt_i32 s16, 6
	s_cbranch_scc1 .LBB47_1335
; %bb.1333:
	s_cmp_gt_i32 s16, 6
	s_cbranch_scc0 .LBB47_1336
; %bb.1334:
	s_waitcnt vmcnt(0)
	global_load_dwordx2 v[5:6], v[3:4], off
	s_mov_b64 s[16:17], 0
	s_waitcnt vmcnt(0)
	v_cvt_i32_f64_e32 v5, v[5:6]
	s_branch .LBB47_1337
.LBB47_1335:
	s_mov_b64 s[16:17], -1
                                        ; implicit-def: $vgpr5
	s_branch .LBB47_1340
.LBB47_1336:
	s_mov_b64 s[16:17], -1
                                        ; implicit-def: $vgpr5
.LBB47_1337:
	s_andn2_b64 vcc, exec, s[16:17]
	s_cbranch_vccnz .LBB47_1339
; %bb.1338:
	s_waitcnt vmcnt(0)
	global_load_dword v1, v[3:4], off
	s_waitcnt vmcnt(0)
	v_cvt_i32_f32_e32 v5, v1
.LBB47_1339:
	s_mov_b64 s[16:17], 0
.LBB47_1340:
	s_andn2_b64 vcc, exec, s[16:17]
	s_cbranch_vccnz .LBB47_1342
; %bb.1341:
	s_waitcnt vmcnt(0)
	global_load_ushort v1, v[3:4], off
	s_waitcnt vmcnt(0)
	v_cvt_f32_f16_e32 v1, v1
	v_cvt_i32_f32_e32 v5, v1
.LBB47_1342:
	s_cbranch_execnz .LBB47_1361
.LBB47_1343:
	s_sext_i32_i16 s16, s74
	s_cmp_lt_i32 s16, 2
	s_cbranch_scc1 .LBB47_1347
; %bb.1344:
	s_cmp_lt_i32 s16, 3
	s_cbranch_scc1 .LBB47_1348
; %bb.1345:
	s_cmp_gt_i32 s16, 3
	s_cbranch_scc0 .LBB47_1349
; %bb.1346:
	s_waitcnt vmcnt(0)
	global_load_dword v5, v[3:4], off
	s_mov_b64 s[16:17], 0
	s_branch .LBB47_1350
.LBB47_1347:
                                        ; implicit-def: $vgpr5
	s_branch .LBB47_1356
.LBB47_1348:
	s_mov_b64 s[16:17], -1
                                        ; implicit-def: $vgpr5
	s_branch .LBB47_1353
.LBB47_1349:
	s_mov_b64 s[16:17], -1
                                        ; implicit-def: $vgpr5
.LBB47_1350:
	s_andn2_b64 vcc, exec, s[16:17]
	s_cbranch_vccnz .LBB47_1352
; %bb.1351:
	s_waitcnt vmcnt(0)
	global_load_dword v5, v[3:4], off
.LBB47_1352:
	s_mov_b64 s[16:17], 0
.LBB47_1353:
	s_andn2_b64 vcc, exec, s[16:17]
	s_cbranch_vccnz .LBB47_1355
; %bb.1354:
	s_waitcnt vmcnt(0)
	global_load_sshort v5, v[3:4], off
.LBB47_1355:
	s_cbranch_execnz .LBB47_1361
.LBB47_1356:
	s_sext_i32_i16 s16, s74
	s_cmp_gt_i32 s16, 0
	s_cbranch_scc0 .LBB47_1358
; %bb.1357:
	s_waitcnt vmcnt(0)
	global_load_sbyte v5, v[3:4], off
	s_mov_b64 s[16:17], 0
	s_branch .LBB47_1359
.LBB47_1358:
	s_mov_b64 s[16:17], -1
                                        ; implicit-def: $vgpr5
.LBB47_1359:
	s_andn2_b64 vcc, exec, s[16:17]
	s_cbranch_vccnz .LBB47_1361
; %bb.1360:
	s_waitcnt vmcnt(0)
	global_load_ubyte v5, v[3:4], off
.LBB47_1361:
	s_or_b64 s[50:51], s[50:51], exec
.LBB47_1362:
	s_or_b64 exec, exec, s[0:1]
	s_mov_b64 s[16:17], 0
	s_mov_b64 s[20:21], 0
	;; [unrolled: 1-line block ×3, first 2 shown]
                                        ; implicit-def: $sgpr22
                                        ; implicit-def: $vgpr3_vgpr4
                                        ; implicit-def: $vgpr6
	s_and_saveexec_b64 s[0:1], s[50:51]
	s_cbranch_execz .LBB47_1370
; %bb.1363:
	v_mov_b32_e32 v1, s13
	s_and_b32 s22, s71, 0xff
	s_waitcnt vmcnt(0)
	v_add_co_u32_e32 v3, vcc, s12, v2
	s_cmp_lt_i32 s22, 11
	v_addc_co_u32_e32 v4, vcc, 0, v1, vcc
	s_cbranch_scc1 .LBB47_1373
; %bb.1364:
	s_and_b32 s23, 0xffff, s22
	s_cmp_gt_i32 s23, 25
	s_cbranch_scc0 .LBB47_1374
; %bb.1365:
	s_cmp_gt_i32 s23, 28
	s_cbranch_scc0 .LBB47_1375
; %bb.1366:
	;; [unrolled: 3-line block ×4, first 2 shown]
	s_cmp_eq_u32 s23, 46
	s_cbranch_scc0 .LBB47_1378
; %bb.1369:
	global_load_dword v1, v[3:4], off
	s_mov_b64 s[12:13], 0
	s_mov_b64 s[18:19], -1
	s_waitcnt vmcnt(0)
	v_lshlrev_b32_e32 v1, 16, v1
	v_cvt_i32_f32_e32 v6, v1
	s_branch .LBB47_1380
.LBB47_1370:
	s_or_b64 exec, exec, s[0:1]
	s_and_saveexec_b64 s[0:1], s[40:41]
	s_cbranch_execnz .LBB47_1439
.LBB47_1371:
	s_or_b64 exec, exec, s[0:1]
	s_and_saveexec_b64 s[0:1], s[16:17]
	s_xor_b64 s[0:1], exec, s[0:1]
	s_cbranch_execz .LBB47_1440
.LBB47_1372:
	s_waitcnt vmcnt(0)
	global_load_ubyte v1, v[3:4], off
	s_or_b64 s[18:19], s[18:19], exec
	s_waitcnt vmcnt(0)
	v_cmp_ne_u16_e32 vcc, 0, v1
	v_cndmask_b32_e64 v6, 0, 1, vcc
	s_or_b64 exec, exec, s[0:1]
	s_and_saveexec_b64 s[0:1], s[20:21]
	s_cbranch_execz .LBB47_1486
	s_branch .LBB47_1441
.LBB47_1373:
	s_mov_b64 s[20:21], -1
                                        ; implicit-def: $vgpr6
	s_mov_b64 s[12:13], s[40:41]
	s_branch .LBB47_1438
.LBB47_1374:
	s_mov_b64 s[12:13], s[40:41]
                                        ; implicit-def: $vgpr6
	s_cbranch_execnz .LBB47_1407
	s_branch .LBB47_1437
.LBB47_1375:
	s_mov_b64 s[20:21], -1
	s_mov_b64 s[12:13], s[40:41]
                                        ; implicit-def: $vgpr6
	s_branch .LBB47_1390
.LBB47_1376:
	s_mov_b64 s[20:21], -1
	s_mov_b64 s[12:13], s[40:41]
                                        ; implicit-def: $vgpr6
	s_branch .LBB47_1385
.LBB47_1377:
	s_mov_b64 s[20:21], -1
	s_mov_b64 s[12:13], s[40:41]
	s_branch .LBB47_1379
.LBB47_1378:
	s_mov_b64 s[12:13], -1
.LBB47_1379:
                                        ; implicit-def: $vgpr6
.LBB47_1380:
	s_and_b64 vcc, exec, s[20:21]
	s_cbranch_vccz .LBB47_1384
; %bb.1381:
	s_cmp_eq_u32 s23, 44
	s_cbranch_scc0 .LBB47_1383
; %bb.1382:
	global_load_ubyte v1, v[3:4], off
	s_mov_b64 s[12:13], 0
	s_mov_b64 s[18:19], -1
	s_waitcnt vmcnt(0)
	v_lshlrev_b32_e32 v2, 23, v1
	v_cvt_i32_f32_e32 v2, v2
	v_cmp_ne_u32_e32 vcc, 0, v1
	v_cndmask_b32_e32 v6, 0, v2, vcc
	s_branch .LBB47_1384
.LBB47_1383:
	s_mov_b64 s[12:13], -1
                                        ; implicit-def: $vgpr6
.LBB47_1384:
	s_mov_b64 s[20:21], 0
.LBB47_1385:
	s_and_b64 vcc, exec, s[20:21]
	s_cbranch_vccz .LBB47_1389
; %bb.1386:
	s_cmp_eq_u32 s23, 29
	s_cbranch_scc0 .LBB47_1388
; %bb.1387:
	global_load_dword v6, v[3:4], off
	s_mov_b64 s[12:13], 0
	s_mov_b64 s[18:19], -1
	s_branch .LBB47_1389
.LBB47_1388:
	s_mov_b64 s[12:13], -1
                                        ; implicit-def: $vgpr6
.LBB47_1389:
	s_mov_b64 s[20:21], 0
.LBB47_1390:
	s_and_b64 vcc, exec, s[20:21]
	s_cbranch_vccz .LBB47_1406
; %bb.1391:
	s_cmp_lt_i32 s23, 27
	s_cbranch_scc1 .LBB47_1394
; %bb.1392:
	s_cmp_gt_i32 s23, 27
	s_cbranch_scc0 .LBB47_1395
; %bb.1393:
	global_load_dword v6, v[3:4], off
	s_mov_b64 s[18:19], 0
	s_branch .LBB47_1396
.LBB47_1394:
	s_mov_b64 s[18:19], -1
                                        ; implicit-def: $vgpr6
	s_branch .LBB47_1399
.LBB47_1395:
	s_mov_b64 s[18:19], -1
                                        ; implicit-def: $vgpr6
.LBB47_1396:
	s_andn2_b64 vcc, exec, s[18:19]
	s_cbranch_vccnz .LBB47_1398
; %bb.1397:
	global_load_ushort v6, v[3:4], off
.LBB47_1398:
	s_mov_b64 s[18:19], 0
.LBB47_1399:
	s_andn2_b64 vcc, exec, s[18:19]
	s_cbranch_vccnz .LBB47_1405
; %bb.1400:
	global_load_ubyte v1, v[3:4], off
	s_movk_i32 s18, 0x7f
	s_mov_b64 s[20:21], 0
	s_waitcnt vmcnt(0)
	v_cmp_lt_i16_e32 vcc, s18, v1
	s_and_saveexec_b64 s[18:19], vcc
	s_xor_b64 s[18:19], exec, s[18:19]
	s_cbranch_execz .LBB47_1416
; %bb.1401:
	s_movk_i32 s20, 0x80
	v_cmp_ne_u16_e32 vcc, s20, v1
	s_and_b64 s[20:21], vcc, exec
	s_andn2_saveexec_b64 s[18:19], s[18:19]
	s_cbranch_execnz .LBB47_1417
.LBB47_1402:
	s_or_b64 exec, exec, s[18:19]
	v_mov_b32_e32 v6, 0
	s_and_saveexec_b64 s[18:19], s[20:21]
	s_cbranch_execz .LBB47_1404
.LBB47_1403:
	v_lshlrev_b32_e32 v2, 24, v1
	v_and_b32_e32 v1, 0xffff, v1
	v_and_b32_e32 v6, 7, v1
	v_ffbh_u32_e32 v8, v6
	v_min_u32_e32 v8, 32, v8
	v_subrev_u32_e32 v9, 28, v8
	v_bfe_u32 v7, v1, 3, 4
	v_lshlrev_b32_e32 v1, v9, v1
	v_sub_u32_e32 v8, 29, v8
	v_and_b32_e32 v1, 7, v1
	v_cmp_eq_u32_e32 vcc, 0, v7
	v_cndmask_b32_e32 v7, v7, v8, vcc
	v_cndmask_b32_e32 v1, v6, v1, vcc
	v_mov_b32_e32 v6, 0x3b800000
	v_lshlrev_b32_e32 v1, 20, v1
	v_and_b32_e32 v2, 0x80000000, v2
	v_lshl_add_u32 v6, v7, 23, v6
	v_or3_b32 v1, v2, v6, v1
	v_cvt_i32_f32_e32 v6, v1
.LBB47_1404:
	s_or_b64 exec, exec, s[18:19]
.LBB47_1405:
	s_mov_b64 s[18:19], -1
.LBB47_1406:
	s_branch .LBB47_1437
.LBB47_1407:
	s_cmp_gt_i32 s23, 22
	s_cbranch_scc0 .LBB47_1415
; %bb.1408:
	s_cmp_lt_i32 s23, 24
	s_cbranch_scc1 .LBB47_1418
; %bb.1409:
	s_cmp_gt_i32 s23, 24
	s_cbranch_scc0 .LBB47_1419
; %bb.1410:
	global_load_ubyte v1, v[3:4], off
	s_movk_i32 s16, 0x7f
	s_mov_b64 s[18:19], 0
	s_waitcnt vmcnt(0)
	v_cmp_lt_i16_e32 vcc, s16, v1
	s_and_saveexec_b64 s[16:17], vcc
	s_xor_b64 s[16:17], exec, s[16:17]
	s_cbranch_execz .LBB47_1431
; %bb.1411:
	s_movk_i32 s18, 0x80
	v_cmp_ne_u16_e32 vcc, s18, v1
	s_and_b64 s[18:19], vcc, exec
	s_andn2_saveexec_b64 s[16:17], s[16:17]
	s_cbranch_execnz .LBB47_1432
.LBB47_1412:
	s_or_b64 exec, exec, s[16:17]
	v_mov_b32_e32 v6, 0
	s_and_saveexec_b64 s[16:17], s[18:19]
	s_cbranch_execz .LBB47_1414
.LBB47_1413:
	v_lshlrev_b32_e32 v2, 24, v1
	v_and_b32_e32 v1, 0xffff, v1
	v_and_b32_e32 v6, 3, v1
	v_ffbh_u32_e32 v8, v6
	v_min_u32_e32 v8, 32, v8
	v_subrev_u32_e32 v9, 29, v8
	v_bfe_u32 v7, v1, 2, 5
	v_lshlrev_b32_e32 v1, v9, v1
	v_sub_u32_e32 v8, 30, v8
	v_and_b32_e32 v1, 3, v1
	v_cmp_eq_u32_e32 vcc, 0, v7
	v_cndmask_b32_e32 v7, v7, v8, vcc
	v_cndmask_b32_e32 v1, v6, v1, vcc
	v_mov_b32_e32 v6, 0x37800000
	v_lshlrev_b32_e32 v1, 21, v1
	v_and_b32_e32 v2, 0x80000000, v2
	v_lshl_add_u32 v6, v7, 23, v6
	v_or3_b32 v1, v2, v6, v1
	v_cvt_i32_f32_e32 v6, v1
.LBB47_1414:
	s_or_b64 exec, exec, s[16:17]
	s_mov_b64 s[16:17], 0
	s_branch .LBB47_1420
.LBB47_1415:
	s_mov_b64 s[16:17], -1
                                        ; implicit-def: $vgpr6
	s_branch .LBB47_1426
.LBB47_1416:
	s_andn2_saveexec_b64 s[18:19], s[18:19]
	s_cbranch_execz .LBB47_1402
.LBB47_1417:
	v_cmp_ne_u16_e32 vcc, 0, v1
	s_andn2_b64 s[20:21], s[20:21], exec
	s_and_b64 s[28:29], vcc, exec
	s_or_b64 s[20:21], s[20:21], s[28:29]
	s_or_b64 exec, exec, s[18:19]
	v_mov_b32_e32 v6, 0
	s_and_saveexec_b64 s[18:19], s[20:21]
	s_cbranch_execnz .LBB47_1403
	s_branch .LBB47_1404
.LBB47_1418:
	s_mov_b64 s[16:17], -1
                                        ; implicit-def: $vgpr6
	s_branch .LBB47_1423
.LBB47_1419:
	s_mov_b64 s[16:17], -1
                                        ; implicit-def: $vgpr6
.LBB47_1420:
	s_and_b64 vcc, exec, s[16:17]
	s_cbranch_vccz .LBB47_1422
; %bb.1421:
	global_load_ubyte v1, v[3:4], off
	s_mov_b32 s16, 0x7f800000
	s_waitcnt vmcnt(0)
	v_lshlrev_b32_e32 v1, 24, v1
	v_and_b32_e32 v2, 0x7f000000, v1
	v_ffbh_u32_e32 v6, v2
	v_min_u32_e32 v6, 32, v6
	v_sub_u32_e64 v6, v6, 4 clamp
	v_lshlrev_b32_e32 v8, v6, v2
	v_lshlrev_b32_e32 v6, 23, v6
	v_lshrrev_b32_e32 v8, 4, v8
	v_add_u32_e32 v7, 0x1000000, v2
	v_sub_u32_e32 v6, v8, v6
	v_ashrrev_i32_e32 v7, 8, v7
	v_add_u32_e32 v6, 0x3c000000, v6
	v_and_or_b32 v6, v7, s16, v6
	v_cmp_ne_u32_e32 vcc, 0, v2
	v_cndmask_b32_e32 v2, 0, v6, vcc
	s_brev_b32 s16, 1
	v_and_or_b32 v1, v1, s16, v2
	v_cvt_i32_f32_e32 v6, v1
.LBB47_1422:
	s_mov_b64 s[16:17], 0
.LBB47_1423:
	s_andn2_b64 vcc, exec, s[16:17]
	s_cbranch_vccnz .LBB47_1425
; %bb.1424:
	global_load_ubyte v1, v[3:4], off
	s_movk_i32 s16, 0x7f00
	s_brev_b32 s17, 16
	s_waitcnt vmcnt(0)
	v_lshlrev_b16_e32 v2, 8, v1
	v_lshlrev_b32_e32 v1, 25, v1
	v_lshrrev_b32_e32 v6, 4, v1
	v_and_or_b32 v7, v2, s16, 0.5
	v_or_b32_e32 v6, 0x70000000, v6
	v_add_f32_e32 v7, -0.5, v7
	v_mul_f32_e32 v6, 0x7800000, v6
	v_cmp_gt_u32_e32 vcc, s17, v1
	v_bfe_i32 v2, v2, 0, 16
	v_cndmask_b32_e32 v1, v6, v7, vcc
	s_brev_b32 s16, 1
	v_and_or_b32 v1, v2, s16, v1
	v_cvt_i32_f32_e32 v6, v1
.LBB47_1425:
	s_mov_b64 s[16:17], 0
	s_mov_b64 s[18:19], -1
.LBB47_1426:
	s_andn2_b64 vcc, exec, s[16:17]
	s_mov_b64 s[16:17], 0
	s_cbranch_vccnz .LBB47_1437
; %bb.1427:
	s_cmp_gt_i32 s23, 14
	s_cbranch_scc0 .LBB47_1430
; %bb.1428:
	s_cmp_eq_u32 s23, 15
	s_cbranch_scc0 .LBB47_1433
; %bb.1429:
	global_load_ushort v1, v[3:4], off
	s_mov_b64 s[12:13], 0
	s_mov_b64 s[18:19], -1
	s_waitcnt vmcnt(0)
	v_lshlrev_b32_e32 v1, 16, v1
	v_cvt_i32_f32_e32 v6, v1
	s_branch .LBB47_1434
.LBB47_1430:
	s_mov_b64 s[20:21], -1
                                        ; implicit-def: $vgpr6
	s_branch .LBB47_1435
.LBB47_1431:
	s_andn2_saveexec_b64 s[16:17], s[16:17]
	s_cbranch_execz .LBB47_1412
.LBB47_1432:
	v_cmp_ne_u16_e32 vcc, 0, v1
	s_andn2_b64 s[18:19], s[18:19], exec
	s_and_b64 s[20:21], vcc, exec
	s_or_b64 s[18:19], s[18:19], s[20:21]
	s_or_b64 exec, exec, s[16:17]
	v_mov_b32_e32 v6, 0
	s_and_saveexec_b64 s[16:17], s[18:19]
	s_cbranch_execnz .LBB47_1413
	s_branch .LBB47_1414
.LBB47_1433:
	s_mov_b64 s[12:13], -1
                                        ; implicit-def: $vgpr6
.LBB47_1434:
	s_mov_b64 s[20:21], 0
.LBB47_1435:
	s_and_b64 vcc, exec, s[20:21]
	s_cbranch_vccz .LBB47_1437
; %bb.1436:
	s_cmp_lg_u32 s23, 11
	s_cselect_b64 s[20:21], -1, 0
	s_andn2_b64 s[12:13], s[12:13], exec
	s_and_b64 s[20:21], s[20:21], exec
	s_mov_b64 s[16:17], -1
	s_or_b64 s[12:13], s[12:13], s[20:21]
.LBB47_1437:
	s_mov_b64 s[20:21], 0
.LBB47_1438:
	s_andn2_b64 s[28:29], s[40:41], exec
	s_and_b64 s[12:13], s[12:13], exec
	s_and_b64 s[18:19], s[18:19], exec
	;; [unrolled: 1-line block ×4, first 2 shown]
	s_or_b64 s[40:41], s[28:29], s[12:13]
	s_or_b64 exec, exec, s[0:1]
	s_and_saveexec_b64 s[0:1], s[40:41]
	s_cbranch_execz .LBB47_1371
.LBB47_1439:
	s_or_b64 s[10:11], s[10:11], exec
	s_andn2_b64 s[16:17], s[16:17], exec
	s_trap 2
	s_or_b64 exec, exec, s[0:1]
	s_and_saveexec_b64 s[0:1], s[16:17]
	s_xor_b64 s[0:1], exec, s[0:1]
	s_cbranch_execnz .LBB47_1372
.LBB47_1440:
	s_or_b64 exec, exec, s[0:1]
	s_and_saveexec_b64 s[0:1], s[20:21]
	s_cbranch_execz .LBB47_1486
.LBB47_1441:
	s_sext_i32_i16 s12, s22
	s_cmp_lt_i32 s12, 5
	s_cbranch_scc1 .LBB47_1446
; %bb.1442:
	s_cmp_lt_i32 s12, 8
	s_cbranch_scc1 .LBB47_1447
; %bb.1443:
	;; [unrolled: 3-line block ×3, first 2 shown]
	s_cmp_gt_i32 s12, 9
	s_cbranch_scc0 .LBB47_1449
; %bb.1445:
	s_waitcnt vmcnt(0)
	global_load_dwordx2 v[1:2], v[3:4], off
	s_mov_b64 s[12:13], 0
	s_waitcnt vmcnt(0)
	v_cvt_i32_f64_e32 v6, v[1:2]
	s_branch .LBB47_1450
.LBB47_1446:
                                        ; implicit-def: $vgpr6
	s_branch .LBB47_1467
.LBB47_1447:
                                        ; implicit-def: $vgpr6
	s_branch .LBB47_1456
.LBB47_1448:
	s_mov_b64 s[12:13], -1
                                        ; implicit-def: $vgpr6
	s_branch .LBB47_1453
.LBB47_1449:
	s_mov_b64 s[12:13], -1
                                        ; implicit-def: $vgpr6
.LBB47_1450:
	s_andn2_b64 vcc, exec, s[12:13]
	s_cbranch_vccnz .LBB47_1452
; %bb.1451:
	s_waitcnt vmcnt(0)
	global_load_dword v1, v[3:4], off
	s_waitcnt vmcnt(0)
	v_cvt_i32_f32_e32 v6, v1
.LBB47_1452:
	s_mov_b64 s[12:13], 0
.LBB47_1453:
	s_andn2_b64 vcc, exec, s[12:13]
	s_cbranch_vccnz .LBB47_1455
; %bb.1454:
	s_waitcnt vmcnt(0)
	global_load_dword v1, v[3:4], off
	s_waitcnt vmcnt(0)
	v_cvt_f32_f16_e32 v1, v1
	v_cvt_i32_f32_e32 v6, v1
.LBB47_1455:
	s_cbranch_execnz .LBB47_1466
.LBB47_1456:
	s_sext_i32_i16 s12, s22
	s_cmp_lt_i32 s12, 6
	s_cbranch_scc1 .LBB47_1459
; %bb.1457:
	s_cmp_gt_i32 s12, 6
	s_cbranch_scc0 .LBB47_1460
; %bb.1458:
	s_waitcnt vmcnt(0)
	global_load_dwordx2 v[1:2], v[3:4], off
	s_mov_b64 s[12:13], 0
	s_waitcnt vmcnt(0)
	v_cvt_i32_f64_e32 v6, v[1:2]
	s_branch .LBB47_1461
.LBB47_1459:
	s_mov_b64 s[12:13], -1
                                        ; implicit-def: $vgpr6
	s_branch .LBB47_1464
.LBB47_1460:
	s_mov_b64 s[12:13], -1
                                        ; implicit-def: $vgpr6
.LBB47_1461:
	s_andn2_b64 vcc, exec, s[12:13]
	s_cbranch_vccnz .LBB47_1463
; %bb.1462:
	s_waitcnt vmcnt(0)
	global_load_dword v1, v[3:4], off
	s_waitcnt vmcnt(0)
	v_cvt_i32_f32_e32 v6, v1
.LBB47_1463:
	s_mov_b64 s[12:13], 0
.LBB47_1464:
	s_andn2_b64 vcc, exec, s[12:13]
	s_cbranch_vccnz .LBB47_1466
; %bb.1465:
	s_waitcnt vmcnt(0)
	global_load_ushort v1, v[3:4], off
	s_waitcnt vmcnt(0)
	v_cvt_f32_f16_e32 v1, v1
	v_cvt_i32_f32_e32 v6, v1
.LBB47_1466:
	s_cbranch_execnz .LBB47_1485
.LBB47_1467:
	s_sext_i32_i16 s12, s22
	s_cmp_lt_i32 s12, 2
	s_cbranch_scc1 .LBB47_1471
; %bb.1468:
	s_cmp_lt_i32 s12, 3
	s_cbranch_scc1 .LBB47_1472
; %bb.1469:
	s_cmp_gt_i32 s12, 3
	s_cbranch_scc0 .LBB47_1473
; %bb.1470:
	s_waitcnt vmcnt(0)
	global_load_dword v6, v[3:4], off
	s_mov_b64 s[12:13], 0
	s_branch .LBB47_1474
.LBB47_1471:
                                        ; implicit-def: $vgpr6
	s_branch .LBB47_1480
.LBB47_1472:
	s_mov_b64 s[12:13], -1
                                        ; implicit-def: $vgpr6
	s_branch .LBB47_1477
.LBB47_1473:
	s_mov_b64 s[12:13], -1
                                        ; implicit-def: $vgpr6
.LBB47_1474:
	s_andn2_b64 vcc, exec, s[12:13]
	s_cbranch_vccnz .LBB47_1476
; %bb.1475:
	s_waitcnt vmcnt(0)
	global_load_dword v6, v[3:4], off
.LBB47_1476:
	s_mov_b64 s[12:13], 0
.LBB47_1477:
	s_andn2_b64 vcc, exec, s[12:13]
	s_cbranch_vccnz .LBB47_1479
; %bb.1478:
	s_waitcnt vmcnt(0)
	global_load_sshort v6, v[3:4], off
.LBB47_1479:
	s_cbranch_execnz .LBB47_1485
.LBB47_1480:
	s_sext_i32_i16 s12, s22
	s_cmp_gt_i32 s12, 0
	s_cbranch_scc0 .LBB47_1482
; %bb.1481:
	s_waitcnt vmcnt(0)
	global_load_sbyte v6, v[3:4], off
	s_mov_b64 s[12:13], 0
	s_branch .LBB47_1483
.LBB47_1482:
	s_mov_b64 s[12:13], -1
                                        ; implicit-def: $vgpr6
.LBB47_1483:
	s_andn2_b64 vcc, exec, s[12:13]
	s_cbranch_vccnz .LBB47_1485
; %bb.1484:
	s_waitcnt vmcnt(0)
	global_load_ubyte v6, v[3:4], off
.LBB47_1485:
	s_or_b64 s[18:19], s[18:19], exec
.LBB47_1486:
	s_or_b64 exec, exec, s[0:1]
	s_mov_b64 s[22:23], 0
	s_mov_b64 s[20:21], 0
                                        ; implicit-def: $sgpr12_sgpr13
                                        ; implicit-def: $sgpr28
                                        ; implicit-def: $vgpr1_vgpr2
	s_and_saveexec_b64 s[16:17], s[18:19]
	s_cbranch_execz .LBB47_1491
; %bb.1487:
	s_cmp_lt_i32 s14, 1
	s_mov_b64 s[0:1], 0
	s_cbranch_scc1 .LBB47_1494
; %bb.1488:
	s_cmp_gt_i32 s14, 1
	s_cbranch_scc0 .LBB47_1495
; %bb.1489:
	s_cmp_eq_u32 s14, 2
	s_cbranch_scc0 .LBB47_1496
; %bb.1490:
	s_waitcnt vmcnt(0)
	v_cmp_le_i32_e64 s[12:13], v5, v6
	s_mov_b64 s[18:19], 0
	s_branch .LBB47_1498
.LBB47_1491:
	s_or_b64 exec, exec, s[16:17]
	s_and_saveexec_b64 s[0:1], s[38:39]
	s_cbranch_execnz .LBB47_1583
.LBB47_1492:
	s_or_b64 exec, exec, s[0:1]
	s_and_saveexec_b64 s[0:1], s[22:23]
	s_xor_b64 s[0:1], exec, s[0:1]
	s_cbranch_execz .LBB47_1584
.LBB47_1493:
	v_cndmask_b32_e64 v0, 0, 1, s[12:13]
	global_store_byte v[1:2], v0, off
	s_or_b64 exec, exec, s[0:1]
	s_and_saveexec_b64 s[0:1], s[20:21]
	s_xor_b64 s[0:1], exec, s[0:1]
	s_cbranch_execz .LBB47_1622
	s_branch .LBB47_1585
.LBB47_1494:
                                        ; implicit-def: $sgpr12_sgpr13
	s_mov_b64 s[18:19], 0
	s_cbranch_execnz .LBB47_1501
	s_branch .LBB47_1502
.LBB47_1495:
	s_mov_b64 s[20:21], -1
	s_mov_b64 s[18:19], 0
	s_branch .LBB47_1497
.LBB47_1496:
	s_mov_b64 s[18:19], -1
.LBB47_1497:
                                        ; implicit-def: $sgpr12_sgpr13
.LBB47_1498:
	s_and_b64 vcc, exec, s[20:21]
	s_cbranch_vccz .LBB47_1500
; %bb.1499:
	s_waitcnt vmcnt(0)
	v_cmp_gt_i32_e32 vcc, v5, v6
	s_andn2_b64 s[12:13], s[12:13], exec
	s_and_b64 s[20:21], vcc, exec
	s_or_b64 s[12:13], s[12:13], s[20:21]
.LBB47_1500:
	s_branch .LBB47_1502
.LBB47_1501:
	s_cmp_lg_u32 s14, 0
	s_mov_b64 s[0:1], -1
	s_cselect_b64 s[18:19], -1, 0
.LBB47_1502:
	s_andn2_b64 vcc, exec, s[18:19]
	s_cbranch_vccnz .LBB47_1504
; %bb.1503:
	s_waitcnt vmcnt(0)
	v_cmp_lt_i32_e32 vcc, v5, v6
	s_andn2_b64 s[12:13], s[12:13], exec
	s_and_b64 s[18:19], vcc, exec
	s_or_b64 s[12:13], s[12:13], s[18:19]
	s_cbranch_execz .LBB47_1505
	s_branch .LBB47_1506
.LBB47_1504:
	s_andn2_b64 vcc, exec, s[0:1]
	s_cbranch_vccnz .LBB47_1506
.LBB47_1505:
	s_waitcnt vmcnt(0)
	v_cmp_ge_i32_e32 vcc, v5, v6
	s_andn2_b64 s[0:1], s[12:13], exec
	s_and_b64 s[12:13], vcc, exec
	s_or_b64 s[12:13], s[0:1], s[12:13]
.LBB47_1506:
	v_mov_b32_e32 v2, s9
	s_and_b32 s28, s15, 0xff
	v_add_co_u32_e32 v1, vcc, s8, v0
	s_cmp_lt_i32 s28, 11
	v_addc_co_u32_e32 v2, vcc, 0, v2, vcc
	s_cbranch_scc1 .LBB47_1580
; %bb.1507:
	s_and_b32 s22, 0xffff, s28
	s_mov_b64 s[14:15], -1
	s_cmp_gt_i32 s22, 25
	s_mov_b64 s[0:1], s[38:39]
	s_cbranch_scc0 .LBB47_1540
; %bb.1508:
	s_mov_b64 s[8:9], -1
	s_cmp_gt_i32 s22, 28
	s_mov_b64 s[0:1], s[38:39]
	s_cbranch_scc0 .LBB47_1524
; %bb.1509:
	s_cmp_gt_i32 s22, 43
	s_mov_b64 s[0:1], s[38:39]
	s_cbranch_scc0 .LBB47_1520
; %bb.1510:
	;; [unrolled: 4-line block ×3, first 2 shown]
	s_cmp_eq_u32 s22, 46
	s_mov_b64 s[0:1], -1
	s_cbranch_scc0 .LBB47_1513
; %bb.1512:
	v_cndmask_b32_e64 v0, 0, 1.0, s[12:13]
	s_waitcnt vmcnt(0)
	v_bfe_u32 v3, v0, 16, 1
	s_movk_i32 s0, 0x7fff
	v_add3_u32 v0, v0, v3, s0
	v_lshrrev_b32_e32 v0, 16, v0
	global_store_dword v[1:2], v0, off
	s_mov_b64 s[0:1], 0
.LBB47_1513:
	s_mov_b64 s[8:9], 0
.LBB47_1514:
	s_and_b64 vcc, exec, s[8:9]
	s_cbranch_vccz .LBB47_1519
; %bb.1515:
	s_cmp_eq_u32 s22, 44
	s_mov_b64 s[0:1], -1
	s_cbranch_scc0 .LBB47_1519
; %bb.1516:
	s_waitcnt vmcnt(0)
	v_cndmask_b32_e64 v3, 0, 1.0, s[12:13]
	v_lshrrev_b32_e32 v0, 23, v3
	s_movk_i32 s0, 0xff
	v_cmp_ne_u32_e32 vcc, s0, v0
	v_mov_b32_e32 v4, 0xff
	s_and_saveexec_b64 s[8:9], vcc
; %bb.1517:
	s_mov_b32 s0, 0x3fffff
	v_and_b32_e32 v4, 0x400000, v3
	v_and_or_b32 v3, v3, s0, v0
	v_cmp_ne_u32_e32 vcc, 0, v4
	v_cmp_ne_u32_e64 s[0:1], 0, v3
	s_and_b64 s[0:1], vcc, s[0:1]
	v_cndmask_b32_e64 v3, 0, 1, s[0:1]
	v_add_u32_e32 v4, v0, v3
; %bb.1518:
	s_or_b64 exec, exec, s[8:9]
	s_mov_b64 s[0:1], 0
	global_store_byte v[1:2], v4, off
.LBB47_1519:
	s_mov_b64 s[8:9], 0
.LBB47_1520:
	s_and_b64 vcc, exec, s[8:9]
	s_cbranch_vccz .LBB47_1523
; %bb.1521:
	s_cmp_eq_u32 s22, 29
	s_mov_b64 s[0:1], -1
	s_cbranch_scc0 .LBB47_1523
; %bb.1522:
	s_mov_b32 s0, 0
	s_waitcnt vmcnt(0)
	v_cndmask_b32_e64 v3, 0, 1, s[12:13]
	v_mov_b32_e32 v4, s0
	global_store_dwordx2 v[1:2], v[3:4], off
	s_mov_b64 s[0:1], 0
.LBB47_1523:
	s_mov_b64 s[8:9], 0
.LBB47_1524:
	s_and_b64 vcc, exec, s[8:9]
	s_cbranch_vccz .LBB47_1539
; %bb.1525:
	s_cmp_lt_i32 s22, 27
	s_mov_b64 s[8:9], -1
	s_cbranch_scc1 .LBB47_1531
; %bb.1526:
	s_cmp_gt_i32 s22, 27
	s_cbranch_scc0 .LBB47_1528
; %bb.1527:
	v_cndmask_b32_e64 v0, 0, 1, s[12:13]
	s_mov_b64 s[8:9], 0
	global_store_dword v[1:2], v0, off
.LBB47_1528:
	s_andn2_b64 vcc, exec, s[8:9]
	s_cbranch_vccnz .LBB47_1530
; %bb.1529:
	v_cndmask_b32_e64 v0, 0, 1, s[12:13]
	global_store_short v[1:2], v0, off
.LBB47_1530:
	s_mov_b64 s[8:9], 0
.LBB47_1531:
	s_andn2_b64 vcc, exec, s[8:9]
	s_cbranch_vccnz .LBB47_1539
; %bb.1532:
	s_waitcnt vmcnt(0)
	v_cndmask_b32_e64 v3, 0, 1.0, s[12:13]
	s_mov_b32 s8, 0x43800000
	v_cmp_gt_u32_e32 vcc, s8, v3
	v_mov_b32_e32 v4, 0x80
	s_and_saveexec_b64 s[8:9], vcc
	s_cbranch_execz .LBB47_1538
; %bb.1533:
	s_mov_b32 s14, 0x3bffffff
	v_cmp_lt_u32_e32 vcc, s14, v3
	s_mov_b64 s[14:15], 0
                                        ; implicit-def: $vgpr0
	s_and_saveexec_b64 s[18:19], vcc
	s_xor_b64 s[18:19], exec, s[18:19]
	s_cbranch_execz .LBB47_1681
; %bb.1534:
	v_bfe_u32 v0, v3, 20, 1
	s_mov_b32 s20, 0x487ffff
	v_add3_u32 v0, v3, v0, s20
	s_mov_b64 s[14:15], exec
	v_lshrrev_b32_e32 v0, 20, v0
                                        ; implicit-def: $vgpr3
	s_andn2_saveexec_b64 s[18:19], s[18:19]
	s_cbranch_execnz .LBB47_1682
.LBB47_1535:
	s_or_b64 exec, exec, s[18:19]
	v_mov_b32_e32 v4, 0
	s_and_saveexec_b64 s[18:19], s[14:15]
.LBB47_1536:
	v_mov_b32_e32 v4, v0
.LBB47_1537:
	s_or_b64 exec, exec, s[18:19]
.LBB47_1538:
	s_or_b64 exec, exec, s[8:9]
	global_store_byte v[1:2], v4, off
.LBB47_1539:
	s_mov_b64 s[14:15], 0
.LBB47_1540:
	s_mov_b64 s[8:9], 0
	s_and_b64 vcc, exec, s[14:15]
	s_cbranch_vccz .LBB47_1581
; %bb.1541:
	s_cmp_gt_i32 s22, 22
	s_mov_b64 s[14:15], -1
	s_cbranch_scc0 .LBB47_1573
; %bb.1542:
	s_cmp_lt_i32 s22, 24
	s_cbranch_scc1 .LBB47_1562
; %bb.1543:
	s_cmp_gt_i32 s22, 24
	s_cbranch_scc0 .LBB47_1551
; %bb.1544:
	s_waitcnt vmcnt(0)
	v_cndmask_b32_e64 v3, 0, 1.0, s[12:13]
	s_mov_b32 s14, 0x47800000
	v_cmp_gt_u32_e32 vcc, s14, v3
	v_mov_b32_e32 v4, 0x80
	s_and_saveexec_b64 s[14:15], vcc
	s_cbranch_execz .LBB47_1550
; %bb.1545:
	s_mov_b32 s18, 0x37ffffff
	v_cmp_lt_u32_e32 vcc, s18, v3
	s_mov_b64 s[18:19], 0
                                        ; implicit-def: $vgpr0
	s_and_saveexec_b64 s[20:21], vcc
	s_xor_b64 s[20:21], exec, s[20:21]
	s_cbranch_execz .LBB47_1801
; %bb.1546:
	v_bfe_u32 v0, v3, 21, 1
	s_mov_b32 s23, 0x88fffff
	v_add3_u32 v0, v3, v0, s23
	s_mov_b64 s[18:19], exec
	v_lshrrev_b32_e32 v0, 21, v0
                                        ; implicit-def: $vgpr3
	s_andn2_saveexec_b64 s[20:21], s[20:21]
	s_cbranch_execnz .LBB47_1802
.LBB47_1547:
	s_or_b64 exec, exec, s[20:21]
	v_mov_b32_e32 v4, 0
	s_and_saveexec_b64 s[20:21], s[18:19]
.LBB47_1548:
	v_mov_b32_e32 v4, v0
.LBB47_1549:
	s_or_b64 exec, exec, s[20:21]
.LBB47_1550:
	s_or_b64 exec, exec, s[14:15]
	s_mov_b64 s[14:15], 0
	global_store_byte v[1:2], v4, off
.LBB47_1551:
	s_and_b64 vcc, exec, s[14:15]
	s_cbranch_vccz .LBB47_1561
; %bb.1552:
	v_cndmask_b32_e64 v0, 0, 1.0, s[12:13]
	s_mov_b32 s14, 0x43f00000
	v_cmp_gt_u32_e32 vcc, s14, v0
                                        ; implicit-def: $vgpr3
	s_and_saveexec_b64 s[14:15], vcc
	s_xor_b64 s[14:15], exec, s[14:15]
	s_cbranch_execz .LBB47_1558
; %bb.1553:
	s_mov_b32 s18, 0x3c7fffff
	v_cmp_lt_u32_e32 vcc, s18, v0
                                        ; implicit-def: $vgpr3
	s_and_saveexec_b64 s[18:19], vcc
	s_xor_b64 s[18:19], exec, s[18:19]
	s_cbranch_execz .LBB47_1555
; %bb.1554:
	s_waitcnt vmcnt(0)
	v_bfe_u32 v3, v0, 20, 1
	s_mov_b32 s20, 0x407ffff
	v_add3_u32 v0, v0, v3, s20
	v_lshrrev_b32_e32 v3, 20, v0
	v_and_b32_e32 v0, 0xff00000, v0
	s_mov_b32 s20, 0x7f00000
	v_mov_b32_e32 v4, 0x7e
	v_cmp_ne_u32_e32 vcc, s20, v0
	v_cndmask_b32_e32 v3, v4, v3, vcc
                                        ; implicit-def: $vgpr0
.LBB47_1555:
	s_andn2_saveexec_b64 s[18:19], s[18:19]
	s_cbranch_execz .LBB47_1557
; %bb.1556:
	s_waitcnt vmcnt(0)
	v_add_f32_e32 v3, 0x46800000, v0
.LBB47_1557:
	s_or_b64 exec, exec, s[18:19]
                                        ; implicit-def: $vgpr0
.LBB47_1558:
	s_andn2_saveexec_b64 s[14:15], s[14:15]
	s_cbranch_execz .LBB47_1560
; %bb.1559:
	s_mov_b32 s18, 0x7f800000
	s_waitcnt vmcnt(0)
	v_mov_b32_e32 v3, 0x7e
	v_mov_b32_e32 v4, 0x7f
	v_cmp_lt_u32_e32 vcc, s18, v0
	v_cndmask_b32_e32 v3, v3, v4, vcc
.LBB47_1560:
	s_or_b64 exec, exec, s[14:15]
	s_waitcnt vmcnt(0)
	global_store_byte v[1:2], v3, off
.LBB47_1561:
	s_mov_b64 s[14:15], 0
.LBB47_1562:
	s_andn2_b64 vcc, exec, s[14:15]
	s_cbranch_vccnz .LBB47_1572
; %bb.1563:
	v_cndmask_b32_e64 v0, 0, 1.0, s[12:13]
	s_mov_b32 s14, 0x47800000
	v_cmp_gt_u32_e32 vcc, s14, v0
                                        ; implicit-def: $vgpr3
	s_and_saveexec_b64 s[14:15], vcc
	s_xor_b64 s[14:15], exec, s[14:15]
	s_cbranch_execz .LBB47_1569
; %bb.1564:
	s_mov_b32 s18, 0x387fffff
	v_cmp_lt_u32_e32 vcc, s18, v0
                                        ; implicit-def: $vgpr3
	s_and_saveexec_b64 s[18:19], vcc
	s_xor_b64 s[18:19], exec, s[18:19]
	s_cbranch_execz .LBB47_1566
; %bb.1565:
	s_waitcnt vmcnt(0)
	v_bfe_u32 v3, v0, 21, 1
	s_mov_b32 s20, 0x80fffff
	v_add3_u32 v0, v0, v3, s20
	v_lshrrev_b32_e32 v3, 21, v0
                                        ; implicit-def: $vgpr0
.LBB47_1566:
	s_andn2_saveexec_b64 s[18:19], s[18:19]
	s_cbranch_execz .LBB47_1568
; %bb.1567:
	s_waitcnt vmcnt(0)
	v_add_f32_e32 v3, 0x43000000, v0
.LBB47_1568:
	s_or_b64 exec, exec, s[18:19]
                                        ; implicit-def: $vgpr0
.LBB47_1569:
	s_andn2_saveexec_b64 s[14:15], s[14:15]
	s_cbranch_execz .LBB47_1571
; %bb.1570:
	s_mov_b32 s18, 0x7f800000
	s_waitcnt vmcnt(0)
	v_mov_b32_e32 v3, 0x7c
	v_mov_b32_e32 v4, 0x7f
	v_cmp_lt_u32_e32 vcc, s18, v0
	v_cndmask_b32_e32 v3, v3, v4, vcc
.LBB47_1571:
	s_or_b64 exec, exec, s[14:15]
	s_waitcnt vmcnt(0)
	global_store_byte v[1:2], v3, off
.LBB47_1572:
	s_mov_b64 s[14:15], 0
.LBB47_1573:
	s_andn2_b64 vcc, exec, s[14:15]
	s_mov_b64 s[14:15], 0
	s_cbranch_vccnz .LBB47_1582
; %bb.1574:
	s_cmp_gt_i32 s22, 14
	s_mov_b64 s[18:19], -1
	s_cbranch_scc0 .LBB47_1578
; %bb.1575:
	s_cmp_eq_u32 s22, 15
	s_mov_b64 s[0:1], -1
	s_cbranch_scc0 .LBB47_1577
; %bb.1576:
	v_cndmask_b32_e64 v0, 0, 1.0, s[12:13]
	s_waitcnt vmcnt(0)
	v_bfe_u32 v3, v0, 16, 1
	s_movk_i32 s0, 0x7fff
	v_add3_u32 v0, v0, v3, s0
	global_store_short_d16_hi v[1:2], v0, off
	s_mov_b64 s[0:1], 0
.LBB47_1577:
	s_mov_b64 s[18:19], 0
.LBB47_1578:
	s_and_b64 vcc, exec, s[18:19]
	s_cbranch_vccz .LBB47_1582
; %bb.1579:
	s_cmp_lg_u32 s22, 11
	s_cselect_b64 s[18:19], -1, 0
	s_andn2_b64 s[0:1], s[0:1], exec
	s_and_b64 s[18:19], s[18:19], exec
	s_mov_b64 s[14:15], -1
	s_or_b64 s[0:1], s[0:1], s[18:19]
	s_branch .LBB47_1582
.LBB47_1580:
	s_mov_b64 s[14:15], 0
	s_mov_b64 s[8:9], -1
	s_mov_b64 s[0:1], s[38:39]
	s_branch .LBB47_1582
.LBB47_1581:
	s_mov_b64 s[14:15], 0
.LBB47_1582:
	s_and_b64 s[20:21], s[8:9], exec
	s_andn2_b64 s[8:9], s[38:39], exec
	s_and_b64 s[0:1], s[0:1], exec
	s_and_b64 s[22:23], s[14:15], exec
	s_or_b64 s[38:39], s[8:9], s[0:1]
	s_or_b64 exec, exec, s[16:17]
	s_and_saveexec_b64 s[0:1], s[38:39]
	s_cbranch_execz .LBB47_1492
.LBB47_1583:
	s_or_b64 s[10:11], s[10:11], exec
	s_andn2_b64 s[22:23], s[22:23], exec
	s_trap 2
	s_or_b64 exec, exec, s[0:1]
	s_and_saveexec_b64 s[0:1], s[22:23]
	s_xor_b64 s[0:1], exec, s[0:1]
	s_cbranch_execnz .LBB47_1493
.LBB47_1584:
	s_or_b64 exec, exec, s[0:1]
	s_and_saveexec_b64 s[0:1], s[20:21]
	s_xor_b64 s[0:1], exec, s[0:1]
	s_cbranch_execz .LBB47_1622
.LBB47_1585:
	s_sext_i32_i16 s14, s28
	s_cmp_lt_i32 s14, 5
	s_mov_b64 s[8:9], -1
	s_cbranch_scc1 .LBB47_1606
; %bb.1586:
	s_cmp_lt_i32 s14, 8
	s_cbranch_scc1 .LBB47_1596
; %bb.1587:
	s_cmp_lt_i32 s14, 9
	s_cbranch_scc1 .LBB47_1593
; %bb.1588:
	s_cmp_gt_i32 s14, 9
	s_cbranch_scc0 .LBB47_1590
; %bb.1589:
	v_cndmask_b32_e64 v0, 0, 1, s[12:13]
	s_waitcnt vmcnt(0)
	v_cvt_f64_u32_e32 v[3:4], v0
	v_mov_b32_e32 v5, 0
	v_mov_b32_e32 v6, v5
	s_mov_b64 s[8:9], 0
	global_store_dwordx4 v[1:2], v[3:6], off
.LBB47_1590:
	s_andn2_b64 vcc, exec, s[8:9]
	s_cbranch_vccnz .LBB47_1592
; %bb.1591:
	s_waitcnt vmcnt(0)
	v_cndmask_b32_e64 v3, 0, 1.0, s[12:13]
	v_mov_b32_e32 v4, 0
	global_store_dwordx2 v[1:2], v[3:4], off
.LBB47_1592:
	s_mov_b64 s[8:9], 0
.LBB47_1593:
	s_andn2_b64 vcc, exec, s[8:9]
	s_cbranch_vccnz .LBB47_1595
; %bb.1594:
	v_cndmask_b32_e64 v0, 0, 1.0, s[12:13]
	v_cvt_f16_f32_e32 v0, v0
	global_store_dword v[1:2], v0, off
.LBB47_1595:
	s_mov_b64 s[8:9], 0
.LBB47_1596:
	s_andn2_b64 vcc, exec, s[8:9]
	s_cbranch_vccnz .LBB47_1605
; %bb.1597:
	s_sext_i32_i16 s14, s28
	s_cmp_lt_i32 s14, 6
	s_mov_b64 s[8:9], -1
	s_cbranch_scc1 .LBB47_1603
; %bb.1598:
	s_cmp_gt_i32 s14, 6
	s_cbranch_scc0 .LBB47_1600
; %bb.1599:
	v_cndmask_b32_e64 v0, 0, 1, s[12:13]
	s_waitcnt vmcnt(0)
	v_cvt_f64_u32_e32 v[3:4], v0
	s_mov_b64 s[8:9], 0
	global_store_dwordx2 v[1:2], v[3:4], off
.LBB47_1600:
	s_andn2_b64 vcc, exec, s[8:9]
	s_cbranch_vccnz .LBB47_1602
; %bb.1601:
	v_cndmask_b32_e64 v0, 0, 1.0, s[12:13]
	global_store_dword v[1:2], v0, off
.LBB47_1602:
	s_mov_b64 s[8:9], 0
.LBB47_1603:
	s_andn2_b64 vcc, exec, s[8:9]
	s_cbranch_vccnz .LBB47_1605
; %bb.1604:
	v_cndmask_b32_e64 v0, 0, 1.0, s[12:13]
	v_cvt_f16_f32_e32 v0, v0
	global_store_short v[1:2], v0, off
.LBB47_1605:
	s_mov_b64 s[8:9], 0
.LBB47_1606:
	s_andn2_b64 vcc, exec, s[8:9]
	s_cbranch_vccnz .LBB47_1622
; %bb.1607:
	s_sext_i32_i16 s14, s28
	s_cmp_lt_i32 s14, 2
	s_mov_b64 s[8:9], -1
	s_cbranch_scc1 .LBB47_1617
; %bb.1608:
	s_cmp_lt_i32 s14, 3
	s_cbranch_scc1 .LBB47_1614
; %bb.1609:
	s_cmp_gt_i32 s14, 3
	s_cbranch_scc0 .LBB47_1611
; %bb.1610:
	s_mov_b32 s8, 0
	s_waitcnt vmcnt(0)
	v_cndmask_b32_e64 v3, 0, 1, s[12:13]
	v_mov_b32_e32 v4, s8
	s_mov_b64 s[8:9], 0
	global_store_dwordx2 v[1:2], v[3:4], off
.LBB47_1611:
	s_andn2_b64 vcc, exec, s[8:9]
	s_cbranch_vccnz .LBB47_1613
; %bb.1612:
	v_cndmask_b32_e64 v0, 0, 1, s[12:13]
	global_store_dword v[1:2], v0, off
.LBB47_1613:
	s_mov_b64 s[8:9], 0
.LBB47_1614:
	s_andn2_b64 vcc, exec, s[8:9]
	s_cbranch_vccnz .LBB47_1616
; %bb.1615:
	v_cndmask_b32_e64 v0, 0, 1, s[12:13]
	global_store_short v[1:2], v0, off
.LBB47_1616:
	s_mov_b64 s[8:9], 0
.LBB47_1617:
	s_andn2_b64 vcc, exec, s[8:9]
	s_cbranch_vccnz .LBB47_1622
; %bb.1618:
	s_sext_i32_i16 s14, s28
	s_mov_b64 s[8:9], -1
	s_cmp_gt_i32 s14, 0
	v_cndmask_b32_e64 v0, 0, 1, s[12:13]
	s_cbranch_scc0 .LBB47_1620
; %bb.1619:
	s_mov_b64 s[8:9], 0
	global_store_byte v[1:2], v0, off
.LBB47_1620:
	s_andn2_b64 vcc, exec, s[8:9]
	s_cbranch_vccnz .LBB47_1622
; %bb.1621:
	global_store_byte v[1:2], v0, off
.LBB47_1622:
	s_or_b64 exec, exec, s[0:1]
	s_and_b64 s[12:13], s[10:11], exec
                                        ; implicit-def: $vgpr23
                                        ; implicit-def: $vgpr8
.LBB47_1623:
	s_or_saveexec_b64 s[14:15], s[26:27]
	s_mov_b64 s[0:1], 0
                                        ; implicit-def: $sgpr10_sgpr11
                                        ; implicit-def: $vgpr0_vgpr1
                                        ; implicit-def: $sgpr26
	s_xor_b64 exec, exec, s[14:15]
	s_cbranch_execz .LBB47_2726
; %bb.1624:
	v_cndmask_b32_e64 v0, 0, 1, s[24:25]
	v_cmp_ne_u32_e64 s[0:1], 1, v0
	s_andn2_b64 vcc, exec, s[24:25]
	s_cbranch_vccnz .LBB47_1630
; %bb.1625:
	s_cmp_lg_u32 s33, 0
	s_cbranch_scc0 .LBB47_1631
; %bb.1626:
	s_min_u32 s8, s70, 15
	s_add_i32 s6, s8, 1
	s_and_b32 s9, s6, 30
	s_add_u32 s6, s2, 0xffffffe8
	s_addc_u32 s7, s3, -1
	v_mov_b32_e32 v19, 0
	v_mov_b32_e32 v21, 0
	s_waitcnt vmcnt(0)
	v_mov_b32_e32 v6, 0
	v_mov_b32_e32 v0, v8
.LBB47_1627:                            ; =>This Inner Loop Header: Depth=1
	s_load_dwordx4 s[16:19], s[6:7], 0x1c
	s_load_dwordx2 s[10:11], s[6:7], 0x2c
	s_load_dwordx2 s[24:25], s[6:7], 0xec
	s_load_dwordx4 s[20:23], s[6:7], 0xdc
	s_add_u32 s6, s6, 24
	s_waitcnt lgkmcnt(0)
	v_mul_hi_u32 v1, s17, v0
	s_addc_u32 s7, s7, 0
	s_add_i32 s9, s9, -2
	s_cmp_lg_u32 s9, 0
	v_add_u32_e32 v1, v0, v1
	v_lshrrev_b32_e32 v1, s18, v1
	v_mul_lo_u32 v2, v1, s16
	v_mul_hi_u32 v3, s10, v1
	v_sub_u32_e32 v2, v0, v2
	v_add_u32_e32 v0, v1, v3
	v_lshrrev_b32_e32 v0, s11, v0
	v_mul_lo_u32 v5, v0, s19
	v_mul_lo_u32 v3, v2, s20
	v_mul_lo_u32 v4, v2, s21
	v_mul_lo_u32 v2, v2, s22
	v_sub_u32_e32 v1, v1, v5
	v_mul_lo_u32 v5, v1, s23
	v_mul_lo_u32 v7, v1, s24
	;; [unrolled: 1-line block ×3, first 2 shown]
	v_add3_u32 v6, v3, v6, v5
	v_add3_u32 v21, v4, v21, v7
	;; [unrolled: 1-line block ×3, first 2 shown]
	s_cbranch_scc1 .LBB47_1627
; %bb.1628:
	s_bitcmp1_b32 s8, 0
	s_cselect_b64 s[8:9], -1, 0
	s_and_b64 vcc, exec, s[8:9]
	s_cbranch_vccnz .LBB47_1632
; %bb.1629:
	s_load_dwordx2 s[8:9], s[6:7], 0x1c
	s_load_dword s16, s[6:7], 0x24
	s_load_dwordx2 s[10:11], s[6:7], 0xdc
	s_waitcnt lgkmcnt(0)
	v_mul_hi_u32 v1, s9, v0
	v_add_u32_e32 v1, v0, v1
	v_lshrrev_b32_e32 v1, s16, v1
	v_mul_lo_u32 v1, v1, s8
	s_load_dword s8, s[6:7], 0xe4
	v_sub_u32_e32 v0, v0, v1
	v_mad_u64_u32 v[6:7], s[6:7], v0, s10, v[6:7]
	v_mad_u64_u32 v[21:22], s[6:7], v0, s11, v[21:22]
	s_waitcnt lgkmcnt(0)
	v_mad_u64_u32 v[19:20], s[6:7], v0, s8, v[19:20]
	s_cbranch_execz .LBB47_1633
	s_branch .LBB47_1635
.LBB47_1630:
                                        ; implicit-def: $vgpr6
                                        ; implicit-def: $vgpr21
                                        ; implicit-def: $vgpr19
	s_branch .LBB47_1633
.LBB47_1631:
	s_waitcnt vmcnt(0)
	v_mov_b32_e32 v6, 0
	v_mov_b32_e32 v21, 0
	;; [unrolled: 1-line block ×3, first 2 shown]
.LBB47_1632:
	s_cbranch_execnz .LBB47_1635
.LBB47_1633:
	s_load_dwordx4 s[8:11], s[2:3], 0x4
	s_load_dwordx4 s[16:19], s[2:3], 0xc4
	s_cmp_lt_u32 s33, 2
	s_waitcnt lgkmcnt(0)
	v_mul_hi_u32 v0, s9, v8
	v_add_u32_e32 v0, v8, v0
	v_lshrrev_b32_e32 v0, s10, v0
	v_mul_lo_u32 v1, v0, s8
	v_sub_u32_e32 v1, v8, v1
	s_waitcnt vmcnt(0)
	v_mul_lo_u32 v6, v1, s16
	v_mul_lo_u32 v21, v1, s17
	;; [unrolled: 1-line block ×3, first 2 shown]
	s_cbranch_scc1 .LBB47_1635
; %bb.1634:
	s_load_dwordx4 s[8:11], s[2:3], 0x10
	s_load_dwordx4 s[16:19], s[2:3], 0xd0
	s_waitcnt lgkmcnt(0)
	v_mul_hi_u32 v1, s9, v0
	v_add_u32_e32 v1, v0, v1
	v_lshrrev_b32_e32 v1, s10, v1
	v_mul_lo_u32 v1, v1, s8
	v_sub_u32_e32 v0, v0, v1
	v_mad_u64_u32 v[6:7], s[6:7], v0, s16, v[6:7]
	v_mad_u64_u32 v[21:22], s[6:7], v0, s17, v[21:22]
	;; [unrolled: 1-line block ×3, first 2 shown]
.LBB47_1635:
	s_and_b64 vcc, exec, s[0:1]
	v_add_u32_e32 v0, 0x80, v8
	s_cbranch_vccnz .LBB47_1641
; %bb.1636:
	s_cmp_lg_u32 s33, 0
	s_cbranch_scc0 .LBB47_1642
; %bb.1637:
	s_min_u32 s8, s70, 15
	s_add_i32 s6, s8, 1
	s_and_b32 s9, s6, 30
	s_add_u32 s6, s2, 0xffffffe8
	s_addc_u32 s7, s3, -1
	v_mov_b32_e32 v15, 0
	v_mov_b32_e32 v17, 0
	v_mov_b32_e32 v4, 0
	v_mov_b32_e32 v1, v0
.LBB47_1638:                            ; =>This Inner Loop Header: Depth=1
	s_load_dwordx4 s[16:19], s[6:7], 0x1c
	s_load_dwordx2 s[10:11], s[6:7], 0x2c
	s_load_dwordx2 s[24:25], s[6:7], 0xec
	s_load_dwordx4 s[20:23], s[6:7], 0xdc
	s_add_u32 s6, s6, 24
	s_waitcnt lgkmcnt(0)
	v_mul_hi_u32 v2, s17, v1
	s_addc_u32 s7, s7, 0
	s_add_i32 s9, s9, -2
	s_cmp_lg_u32 s9, 0
	v_add_u32_e32 v2, v1, v2
	v_lshrrev_b32_e32 v2, s18, v2
	s_waitcnt vmcnt(0)
	v_mul_lo_u32 v3, v2, s16
	v_mul_hi_u32 v5, s10, v2
	v_sub_u32_e32 v3, v1, v3
	v_add_u32_e32 v1, v2, v5
	v_lshrrev_b32_e32 v1, s11, v1
	v_mul_lo_u32 v9, v1, s19
	v_mul_lo_u32 v5, v3, s20
	;; [unrolled: 1-line block ×4, first 2 shown]
	v_sub_u32_e32 v2, v2, v9
	v_mul_lo_u32 v9, v2, s23
	v_mul_lo_u32 v10, v2, s24
	v_mul_lo_u32 v2, v2, s25
	v_add3_u32 v4, v5, v4, v9
	v_add3_u32 v17, v7, v17, v10
	;; [unrolled: 1-line block ×3, first 2 shown]
	s_cbranch_scc1 .LBB47_1638
; %bb.1639:
	s_bitcmp1_b32 s8, 0
	s_cselect_b64 s[8:9], -1, 0
	s_and_b64 vcc, exec, s[8:9]
	s_cbranch_vccnz .LBB47_1643
; %bb.1640:
	s_load_dwordx2 s[8:9], s[6:7], 0x1c
	s_load_dword s16, s[6:7], 0x24
	s_load_dwordx2 s[10:11], s[6:7], 0xdc
	s_waitcnt lgkmcnt(0)
	v_mul_hi_u32 v2, s9, v1
	v_add_u32_e32 v2, v1, v2
	v_lshrrev_b32_e32 v2, s16, v2
	v_mul_lo_u32 v2, v2, s8
	s_load_dword s8, s[6:7], 0xe4
	v_sub_u32_e32 v1, v1, v2
	v_mad_u64_u32 v[4:5], s[6:7], v1, s10, v[4:5]
	v_mad_u64_u32 v[17:18], s[6:7], v1, s11, v[17:18]
	s_waitcnt lgkmcnt(0)
	v_mad_u64_u32 v[15:16], s[6:7], v1, s8, v[15:16]
	s_cbranch_execz .LBB47_1644
	s_branch .LBB47_1646
.LBB47_1641:
                                        ; implicit-def: $vgpr4
                                        ; implicit-def: $vgpr17
                                        ; implicit-def: $vgpr15
	s_branch .LBB47_1644
.LBB47_1642:
	v_mov_b32_e32 v4, 0
	v_mov_b32_e32 v17, 0
	v_mov_b32_e32 v15, 0
.LBB47_1643:
	s_cbranch_execnz .LBB47_1646
.LBB47_1644:
	s_load_dwordx4 s[8:11], s[2:3], 0x4
	s_load_dwordx4 s[16:19], s[2:3], 0xc4
	s_cmp_lt_u32 s33, 2
	s_waitcnt lgkmcnt(0)
	v_mul_hi_u32 v1, s9, v0
	v_add_u32_e32 v1, v0, v1
	v_lshrrev_b32_e32 v1, s10, v1
	v_mul_lo_u32 v2, v1, s8
	v_sub_u32_e32 v0, v0, v2
	v_mul_lo_u32 v4, v0, s16
	v_mul_lo_u32 v17, v0, s17
	;; [unrolled: 1-line block ×3, first 2 shown]
	s_cbranch_scc1 .LBB47_1646
; %bb.1645:
	s_load_dwordx4 s[8:11], s[2:3], 0x10
	s_load_dwordx4 s[16:19], s[2:3], 0xd0
	s_waitcnt lgkmcnt(0)
	v_mul_hi_u32 v0, s9, v1
	v_add_u32_e32 v0, v1, v0
	v_lshrrev_b32_e32 v0, s10, v0
	v_mul_lo_u32 v0, v0, s8
	v_sub_u32_e32 v0, v1, v0
	s_waitcnt vmcnt(0)
	v_mad_u64_u32 v[4:5], s[6:7], v0, s16, v[4:5]
	v_mad_u64_u32 v[17:18], s[6:7], v0, s17, v[17:18]
	;; [unrolled: 1-line block ×3, first 2 shown]
.LBB47_1646:
	s_and_b64 vcc, exec, s[0:1]
	v_add_u32_e32 v0, 0x100, v8
	s_cbranch_vccnz .LBB47_1652
; %bb.1647:
	s_cmp_lg_u32 s33, 0
	s_cbranch_scc0 .LBB47_1653
; %bb.1648:
	s_min_u32 s8, s70, 15
	s_add_i32 s6, s8, 1
	s_and_b32 s9, s6, 30
	s_add_u32 s6, s2, 0xffffffe8
	s_addc_u32 s7, s3, -1
	v_mov_b32_e32 v11, 0
	v_mov_b32_e32 v13, 0
	;; [unrolled: 1-line block ×4, first 2 shown]
.LBB47_1649:                            ; =>This Inner Loop Header: Depth=1
	s_load_dwordx4 s[16:19], s[6:7], 0x1c
	s_load_dwordx2 s[10:11], s[6:7], 0x2c
	s_load_dwordx2 s[24:25], s[6:7], 0xec
	s_load_dwordx4 s[20:23], s[6:7], 0xdc
	s_add_u32 s6, s6, 24
	s_waitcnt vmcnt(0) lgkmcnt(0)
	v_mul_hi_u32 v3, s17, v1
	s_addc_u32 s7, s7, 0
	s_add_i32 s9, s9, -2
	s_cmp_lg_u32 s9, 0
	v_add_u32_e32 v3, v1, v3
	v_lshrrev_b32_e32 v3, s18, v3
	v_mul_lo_u32 v5, v3, s16
	v_mul_hi_u32 v7, s10, v3
	v_sub_u32_e32 v5, v1, v5
	v_add_u32_e32 v1, v3, v7
	v_lshrrev_b32_e32 v1, s11, v1
	v_mul_lo_u32 v9, v1, s19
	v_mul_lo_u32 v7, v5, s20
	v_mul_lo_u32 v8, v5, s21
	v_mul_lo_u32 v5, v5, s22
	v_sub_u32_e32 v3, v3, v9
	v_mul_lo_u32 v9, v3, s23
	v_mul_lo_u32 v10, v3, s24
	;; [unrolled: 1-line block ×3, first 2 shown]
	v_add3_u32 v2, v7, v2, v9
	v_add3_u32 v13, v8, v13, v10
	;; [unrolled: 1-line block ×3, first 2 shown]
	s_cbranch_scc1 .LBB47_1649
; %bb.1650:
	s_bitcmp1_b32 s8, 0
	s_cselect_b64 s[8:9], -1, 0
	s_and_b64 vcc, exec, s[8:9]
	s_cbranch_vccnz .LBB47_1654
; %bb.1651:
	s_load_dwordx2 s[8:9], s[6:7], 0x1c
	s_load_dword s16, s[6:7], 0x24
	s_load_dwordx2 s[10:11], s[6:7], 0xdc
	s_waitcnt lgkmcnt(0)
	v_mul_hi_u32 v3, s9, v1
	v_add_u32_e32 v3, v1, v3
	v_lshrrev_b32_e32 v3, s16, v3
	v_mul_lo_u32 v3, v3, s8
	s_load_dword s8, s[6:7], 0xe4
	v_sub_u32_e32 v1, v1, v3
	v_mad_u64_u32 v[2:3], s[6:7], v1, s10, v[2:3]
	v_mad_u64_u32 v[13:14], s[6:7], v1, s11, v[13:14]
	s_waitcnt lgkmcnt(0)
	v_mad_u64_u32 v[11:12], s[6:7], v1, s8, v[11:12]
	s_cbranch_execz .LBB47_1655
	s_branch .LBB47_1657
.LBB47_1652:
                                        ; implicit-def: $vgpr2
                                        ; implicit-def: $vgpr13
                                        ; implicit-def: $vgpr11
	s_branch .LBB47_1655
.LBB47_1653:
	v_mov_b32_e32 v2, 0
	v_mov_b32_e32 v13, 0
	;; [unrolled: 1-line block ×3, first 2 shown]
.LBB47_1654:
	s_cbranch_execnz .LBB47_1657
.LBB47_1655:
	s_load_dwordx4 s[8:11], s[2:3], 0x4
	s_load_dwordx4 s[16:19], s[2:3], 0xc4
	s_cmp_lt_u32 s33, 2
	s_waitcnt lgkmcnt(0)
	v_mul_hi_u32 v1, s9, v0
	v_add_u32_e32 v1, v0, v1
	v_lshrrev_b32_e32 v1, s10, v1
	v_mul_lo_u32 v2, v1, s8
	v_sub_u32_e32 v0, v0, v2
	v_mul_lo_u32 v2, v0, s16
	v_mul_lo_u32 v13, v0, s17
	;; [unrolled: 1-line block ×3, first 2 shown]
	s_cbranch_scc1 .LBB47_1657
; %bb.1656:
	s_load_dwordx4 s[8:11], s[2:3], 0x10
	s_load_dwordx4 s[16:19], s[2:3], 0xd0
	s_waitcnt lgkmcnt(0)
	v_mul_hi_u32 v0, s9, v1
	v_add_u32_e32 v0, v1, v0
	v_lshrrev_b32_e32 v0, s10, v0
	v_mul_lo_u32 v0, v0, s8
	v_sub_u32_e32 v0, v1, v0
	s_waitcnt vmcnt(0)
	v_mad_u64_u32 v[2:3], s[6:7], v0, s16, v[2:3]
	v_mad_u64_u32 v[13:14], s[6:7], v0, s17, v[13:14]
	;; [unrolled: 1-line block ×3, first 2 shown]
.LBB47_1657:
	s_and_b64 vcc, exec, s[0:1]
	s_cbranch_vccnz .LBB47_1663
; %bb.1658:
	s_cmp_lg_u32 s33, 0
	s_cbranch_scc0 .LBB47_1664
; %bb.1659:
	s_min_u32 s6, s70, 15
	s_add_i32 s0, s6, 1
	s_and_b32 s7, s0, 30
	s_add_u32 s0, s2, 0xffffffe8
	s_addc_u32 s1, s3, -1
	v_mov_b32_e32 v7, 0
	v_mov_b32_e32 v9, 0
	;; [unrolled: 1-line block ×4, first 2 shown]
.LBB47_1660:                            ; =>This Inner Loop Header: Depth=1
	s_load_dwordx4 s[8:11], s[0:1], 0x1c
	s_load_dwordx2 s[20:21], s[0:1], 0x2c
	s_load_dwordx2 s[22:23], s[0:1], 0xec
	s_load_dwordx4 s[16:19], s[0:1], 0xdc
	s_add_u32 s0, s0, 24
	s_waitcnt vmcnt(0) lgkmcnt(0)
	v_mul_hi_u32 v3, s9, v1
	s_addc_u32 s1, s1, 0
	s_add_i32 s7, s7, -2
	s_cmp_lg_u32 s7, 0
	v_add_u32_e32 v3, v1, v3
	v_lshrrev_b32_e32 v3, s10, v3
	v_mul_lo_u32 v5, v3, s8
	v_mul_hi_u32 v8, s20, v3
	v_sub_u32_e32 v5, v1, v5
	v_add_u32_e32 v1, v3, v8
	v_lshrrev_b32_e32 v1, s21, v1
	v_mul_lo_u32 v12, v1, s11
	v_mul_lo_u32 v8, v5, s16
	;; [unrolled: 1-line block ×4, first 2 shown]
	v_sub_u32_e32 v3, v3, v12
	v_mul_lo_u32 v12, v3, s19
	v_mul_lo_u32 v14, v3, s22
	;; [unrolled: 1-line block ×3, first 2 shown]
	v_add3_u32 v0, v8, v0, v12
	v_add3_u32 v9, v10, v9, v14
	;; [unrolled: 1-line block ×3, first 2 shown]
	s_cbranch_scc1 .LBB47_1660
; %bb.1661:
	s_bitcmp1_b32 s6, 0
	s_cselect_b64 s[6:7], -1, 0
	s_and_b64 vcc, exec, s[6:7]
	s_cbranch_vccnz .LBB47_1665
; %bb.1662:
	s_load_dwordx2 s[6:7], s[0:1], 0x1c
	s_load_dword s10, s[0:1], 0x24
	s_load_dwordx2 s[8:9], s[0:1], 0xdc
	s_waitcnt lgkmcnt(0)
	v_mul_hi_u32 v3, s7, v1
	v_add_u32_e32 v3, v1, v3
	v_lshrrev_b32_e32 v3, s10, v3
	v_mul_lo_u32 v3, v3, s6
	s_load_dword s6, s[0:1], 0xe4
	v_sub_u32_e32 v3, v1, v3
	v_mad_u64_u32 v[0:1], s[0:1], v3, s8, v[0:1]
	v_mad_u64_u32 v[9:10], s[0:1], v3, s9, v[9:10]
	s_waitcnt lgkmcnt(0)
	v_mad_u64_u32 v[7:8], s[0:1], v3, s6, v[7:8]
	s_cbranch_execz .LBB47_1666
	s_branch .LBB47_1668
.LBB47_1663:
                                        ; implicit-def: $vgpr0
                                        ; implicit-def: $vgpr9
                                        ; implicit-def: $vgpr7
	s_branch .LBB47_1666
.LBB47_1664:
	v_mov_b32_e32 v0, 0
	v_mov_b32_e32 v9, 0
	;; [unrolled: 1-line block ×3, first 2 shown]
.LBB47_1665:
	s_cbranch_execnz .LBB47_1668
.LBB47_1666:
	s_load_dwordx4 s[8:11], s[2:3], 0x4
	s_load_dwordx4 s[16:19], s[2:3], 0xc4
	s_cmp_lt_u32 s33, 2
	s_waitcnt lgkmcnt(0)
	v_mul_hi_u32 v0, s9, v23
	v_add_u32_e32 v0, v23, v0
	v_lshrrev_b32_e32 v1, s10, v0
	v_mul_lo_u32 v0, v1, s8
	s_waitcnt vmcnt(0)
	v_sub_u32_e32 v3, v23, v0
	v_mul_lo_u32 v0, v3, s16
	v_mul_lo_u32 v9, v3, s17
	;; [unrolled: 1-line block ×3, first 2 shown]
	s_cbranch_scc1 .LBB47_1668
; %bb.1667:
	s_load_dwordx4 s[8:11], s[2:3], 0x10
	s_load_dwordx4 s[16:19], s[2:3], 0xd0
	s_waitcnt lgkmcnt(0)
	v_mul_hi_u32 v3, s9, v1
	v_add_u32_e32 v3, v1, v3
	v_lshrrev_b32_e32 v3, s10, v3
	v_mul_lo_u32 v3, v3, s8
	v_sub_u32_e32 v3, v1, v3
	v_mad_u64_u32 v[0:1], s[0:1], v3, s16, v[0:1]
	v_mad_u64_u32 v[9:10], s[0:1], v3, s17, v[9:10]
	;; [unrolled: 1-line block ×3, first 2 shown]
.LBB47_1668:
	s_load_dwordx4 s[8:11], s[2:3], 0x188
	s_load_dword s22, s[4:5], 0x1ac
	s_waitcnt lgkmcnt(0)
	v_mov_b32_e32 v1, s11
	s_bfe_u32 s18, s22, 0x80008
	v_add_co_u32_e32 v20, vcc, s10, v21
	s_cmp_lt_i32 s18, 11
	v_addc_co_u32_e32 v21, vcc, 0, v1, vcc
	s_cbranch_scc1 .LBB47_1675
; %bb.1669:
	s_and_b32 s19, 0xffff, s18
	s_cmp_gt_i32 s19, 25
	s_mov_b64 s[6:7], 0
	s_cbranch_scc0 .LBB47_1677
; %bb.1670:
	s_cmp_gt_i32 s19, 28
	s_cbranch_scc0 .LBB47_1678
; %bb.1671:
	s_cmp_gt_i32 s19, 43
	;; [unrolled: 3-line block ×3, first 2 shown]
	s_cbranch_scc0 .LBB47_1680
; %bb.1673:
	s_cmp_eq_u32 s19, 46
	s_mov_b64 s[4:5], 0
	s_cbranch_scc0 .LBB47_1683
; %bb.1674:
	global_load_dword v1, v[20:21], off
	s_mov_b64 s[0:1], 0
	s_mov_b64 s[16:17], -1
	s_waitcnt vmcnt(0)
	v_lshlrev_b32_e32 v1, 16, v1
	v_cvt_i32_f32_e32 v1, v1
	s_branch .LBB47_1684
.LBB47_1675:
	s_mov_b64 s[16:17], 0
                                        ; implicit-def: $vgpr1
	s_mov_b64 s[4:5], s[12:13]
	s_cbranch_execnz .LBB47_1742
.LBB47_1676:
	s_andn2_b64 vcc, exec, s[16:17]
	s_cbranch_vccz .LBB47_1787
	s_branch .LBB47_2723
.LBB47_1677:
	s_mov_b64 s[16:17], 0
	s_mov_b64 s[0:1], 0
                                        ; implicit-def: $vgpr1
	s_cbranch_execnz .LBB47_1709
	s_branch .LBB47_1738
.LBB47_1678:
	s_mov_b64 s[16:17], 0
	s_mov_b64 s[0:1], 0
                                        ; implicit-def: $vgpr1
	s_cbranch_execz .LBB47_1708
	s_branch .LBB47_1693
.LBB47_1679:
	s_mov_b64 s[16:17], 0
	s_mov_b64 s[0:1], 0
                                        ; implicit-def: $vgpr1
	s_cbranch_execnz .LBB47_1689
	s_branch .LBB47_1692
.LBB47_1680:
	s_mov_b64 s[4:5], -1
	s_mov_b64 s[16:17], 0
	s_mov_b64 s[0:1], 0
                                        ; implicit-def: $vgpr1
	s_branch .LBB47_1684
.LBB47_1681:
	s_andn2_saveexec_b64 s[18:19], s[18:19]
	s_cbranch_execz .LBB47_1535
.LBB47_1682:
	v_add_f32_e32 v0, 0x46000000, v3
	v_and_b32_e32 v0, 0xff, v0
	v_cmp_ne_u32_e32 vcc, 0, v0
	s_andn2_b64 s[14:15], s[14:15], exec
	s_and_b64 s[20:21], vcc, exec
	s_or_b64 s[14:15], s[14:15], s[20:21]
	s_or_b64 exec, exec, s[18:19]
	v_mov_b32_e32 v4, 0
	s_and_saveexec_b64 s[18:19], s[14:15]
	s_cbranch_execnz .LBB47_1536
	s_branch .LBB47_1537
.LBB47_1683:
	s_mov_b64 s[0:1], -1
                                        ; implicit-def: $vgpr1
	s_mov_b64 s[16:17], 0
.LBB47_1684:
	s_and_b64 vcc, exec, s[4:5]
	s_cbranch_vccz .LBB47_1687
; %bb.1685:
	s_cmp_eq_u32 s19, 44
	s_cbranch_scc0 .LBB47_1688
; %bb.1686:
	global_load_ubyte v1, v[20:21], off
	s_mov_b64 s[0:1], 0
	s_mov_b64 s[16:17], -1
	s_waitcnt vmcnt(0)
	v_lshlrev_b32_e32 v3, 23, v1
	v_cvt_i32_f32_e32 v3, v3
	v_cmp_ne_u32_e32 vcc, 0, v1
	v_cndmask_b32_e32 v1, 0, v3, vcc
.LBB47_1687:
	s_branch .LBB47_1692
.LBB47_1688:
	s_mov_b64 s[0:1], -1
                                        ; implicit-def: $vgpr1
	s_branch .LBB47_1692
.LBB47_1689:
	s_cmp_eq_u32 s19, 29
	s_cbranch_scc0 .LBB47_1691
; %bb.1690:
	global_load_dword v1, v[20:21], off
	s_mov_b64 s[0:1], 0
	s_mov_b64 s[16:17], -1
	s_branch .LBB47_1692
.LBB47_1691:
	s_mov_b64 s[0:1], -1
                                        ; implicit-def: $vgpr1
.LBB47_1692:
	s_branch .LBB47_1708
.LBB47_1693:
	s_cmp_lt_i32 s19, 27
	s_cbranch_scc1 .LBB47_1696
; %bb.1694:
	s_cmp_gt_i32 s19, 27
	s_cbranch_scc0 .LBB47_1697
; %bb.1695:
	global_load_dword v1, v[20:21], off
	s_mov_b64 s[4:5], 0
	s_branch .LBB47_1698
.LBB47_1696:
	s_mov_b64 s[4:5], -1
                                        ; implicit-def: $vgpr1
	s_branch .LBB47_1701
.LBB47_1697:
	s_mov_b64 s[4:5], -1
                                        ; implicit-def: $vgpr1
.LBB47_1698:
	s_andn2_b64 vcc, exec, s[4:5]
	s_cbranch_vccnz .LBB47_1700
; %bb.1699:
	global_load_ushort v1, v[20:21], off
.LBB47_1700:
	s_mov_b64 s[4:5], 0
.LBB47_1701:
	s_andn2_b64 vcc, exec, s[4:5]
	s_cbranch_vccnz .LBB47_1707
; %bb.1702:
	global_load_ubyte v3, v[20:21], off
	s_movk_i32 s4, 0x7f
	s_mov_b64 s[16:17], 0
	s_waitcnt vmcnt(0)
	v_cmp_lt_i16_e32 vcc, s4, v3
	s_and_saveexec_b64 s[4:5], vcc
	s_xor_b64 s[4:5], exec, s[4:5]
	s_cbranch_execz .LBB47_1718
; %bb.1703:
	s_movk_i32 s16, 0x80
	v_cmp_ne_u16_e32 vcc, s16, v3
	s_and_b64 s[16:17], vcc, exec
	s_andn2_saveexec_b64 s[4:5], s[4:5]
	s_cbranch_execnz .LBB47_1719
.LBB47_1704:
	s_or_b64 exec, exec, s[4:5]
	v_mov_b32_e32 v1, 0
	s_and_saveexec_b64 s[4:5], s[16:17]
	s_cbranch_execz .LBB47_1706
.LBB47_1705:
	v_lshlrev_b32_e32 v1, 24, v3
	v_and_b32_e32 v3, 0xffff, v3
	v_and_b32_e32 v5, 7, v3
	v_ffbh_u32_e32 v10, v5
	v_min_u32_e32 v10, 32, v10
	v_subrev_u32_e32 v12, 28, v10
	v_bfe_u32 v8, v3, 3, 4
	v_lshlrev_b32_e32 v3, v12, v3
	v_sub_u32_e32 v10, 29, v10
	v_and_b32_e32 v3, 7, v3
	v_cmp_eq_u32_e32 vcc, 0, v8
	v_cndmask_b32_e32 v8, v8, v10, vcc
	v_cndmask_b32_e32 v3, v5, v3, vcc
	v_mov_b32_e32 v5, 0x3b800000
	v_lshlrev_b32_e32 v3, 20, v3
	v_and_b32_e32 v1, 0x80000000, v1
	v_lshl_add_u32 v5, v8, 23, v5
	v_or3_b32 v1, v1, v5, v3
	v_cvt_i32_f32_e32 v1, v1
.LBB47_1706:
	s_or_b64 exec, exec, s[4:5]
.LBB47_1707:
	s_mov_b64 s[16:17], -1
.LBB47_1708:
	s_branch .LBB47_1738
.LBB47_1709:
	s_cmp_gt_i32 s19, 22
	s_cbranch_scc0 .LBB47_1717
; %bb.1710:
	s_cmp_lt_i32 s19, 24
	s_cbranch_scc1 .LBB47_1720
; %bb.1711:
	s_cmp_gt_i32 s19, 24
	s_cbranch_scc0 .LBB47_1721
; %bb.1712:
	global_load_ubyte v3, v[20:21], off
	s_movk_i32 s4, 0x7f
	s_waitcnt vmcnt(0)
	v_cmp_lt_i16_e32 vcc, s4, v3
	s_and_saveexec_b64 s[4:5], vcc
	s_xor_b64 s[4:5], exec, s[4:5]
	s_cbranch_execz .LBB47_1732
; %bb.1713:
	s_movk_i32 s6, 0x80
	v_cmp_ne_u16_e32 vcc, s6, v3
	s_and_b64 s[6:7], vcc, exec
	s_andn2_saveexec_b64 s[4:5], s[4:5]
	s_cbranch_execnz .LBB47_1733
.LBB47_1714:
	s_or_b64 exec, exec, s[4:5]
	v_mov_b32_e32 v1, 0
	s_and_saveexec_b64 s[4:5], s[6:7]
	s_cbranch_execz .LBB47_1716
.LBB47_1715:
	v_lshlrev_b32_e32 v1, 24, v3
	v_and_b32_e32 v3, 0xffff, v3
	v_and_b32_e32 v5, 3, v3
	v_ffbh_u32_e32 v10, v5
	v_min_u32_e32 v10, 32, v10
	v_subrev_u32_e32 v12, 29, v10
	v_bfe_u32 v8, v3, 2, 5
	v_lshlrev_b32_e32 v3, v12, v3
	v_sub_u32_e32 v10, 30, v10
	v_and_b32_e32 v3, 3, v3
	v_cmp_eq_u32_e32 vcc, 0, v8
	v_cndmask_b32_e32 v8, v8, v10, vcc
	v_cndmask_b32_e32 v3, v5, v3, vcc
	v_mov_b32_e32 v5, 0x37800000
	v_lshlrev_b32_e32 v3, 21, v3
	v_and_b32_e32 v1, 0x80000000, v1
	v_lshl_add_u32 v5, v8, 23, v5
	v_or3_b32 v1, v1, v5, v3
	v_cvt_i32_f32_e32 v1, v1
.LBB47_1716:
	s_or_b64 exec, exec, s[4:5]
	s_mov_b64 s[4:5], 0
	s_branch .LBB47_1722
.LBB47_1717:
                                        ; implicit-def: $vgpr1
	s_mov_b64 s[6:7], 0
	s_branch .LBB47_1728
.LBB47_1718:
	s_andn2_saveexec_b64 s[4:5], s[4:5]
	s_cbranch_execz .LBB47_1704
.LBB47_1719:
	v_cmp_ne_u16_e32 vcc, 0, v3
	s_andn2_b64 s[16:17], s[16:17], exec
	s_and_b64 s[20:21], vcc, exec
	s_or_b64 s[16:17], s[16:17], s[20:21]
	s_or_b64 exec, exec, s[4:5]
	v_mov_b32_e32 v1, 0
	s_and_saveexec_b64 s[4:5], s[16:17]
	s_cbranch_execnz .LBB47_1705
	s_branch .LBB47_1706
.LBB47_1720:
	s_mov_b64 s[4:5], -1
                                        ; implicit-def: $vgpr1
	s_branch .LBB47_1725
.LBB47_1721:
	s_mov_b64 s[4:5], -1
                                        ; implicit-def: $vgpr1
.LBB47_1722:
	s_and_b64 vcc, exec, s[4:5]
	s_cbranch_vccz .LBB47_1724
; %bb.1723:
	global_load_ubyte v1, v[20:21], off
	s_mov_b32 s4, 0x7f800000
	s_waitcnt vmcnt(0)
	v_lshlrev_b32_e32 v1, 24, v1
	v_and_b32_e32 v3, 0x7f000000, v1
	v_ffbh_u32_e32 v5, v3
	v_min_u32_e32 v5, 32, v5
	v_sub_u32_e64 v5, v5, 4 clamp
	v_lshlrev_b32_e32 v10, v5, v3
	v_lshlrev_b32_e32 v5, 23, v5
	v_lshrrev_b32_e32 v10, 4, v10
	v_add_u32_e32 v8, 0x1000000, v3
	v_sub_u32_e32 v5, v10, v5
	v_ashrrev_i32_e32 v8, 8, v8
	v_add_u32_e32 v5, 0x3c000000, v5
	v_and_or_b32 v5, v8, s4, v5
	v_cmp_ne_u32_e32 vcc, 0, v3
	v_cndmask_b32_e32 v3, 0, v5, vcc
	s_brev_b32 s4, 1
	v_and_or_b32 v1, v1, s4, v3
	v_cvt_i32_f32_e32 v1, v1
.LBB47_1724:
	s_mov_b64 s[4:5], 0
.LBB47_1725:
	s_andn2_b64 vcc, exec, s[4:5]
	s_cbranch_vccnz .LBB47_1727
; %bb.1726:
	global_load_ubyte v1, v[20:21], off
	s_movk_i32 s4, 0x7f00
	s_brev_b32 s5, 16
	s_waitcnt vmcnt(0)
	v_lshlrev_b16_e32 v3, 8, v1
	v_lshlrev_b32_e32 v1, 25, v1
	v_lshrrev_b32_e32 v5, 4, v1
	v_and_or_b32 v8, v3, s4, 0.5
	v_or_b32_e32 v5, 0x70000000, v5
	v_add_f32_e32 v8, -0.5, v8
	v_mul_f32_e32 v5, 0x7800000, v5
	v_cmp_gt_u32_e32 vcc, s5, v1
	v_bfe_i32 v3, v3, 0, 16
	v_cndmask_b32_e32 v1, v5, v8, vcc
	s_brev_b32 s4, 1
	v_and_or_b32 v1, v3, s4, v1
	v_cvt_i32_f32_e32 v1, v1
.LBB47_1727:
	s_mov_b64 s[16:17], -1
	s_mov_b64 s[6:7], 0
	s_cbranch_execnz .LBB47_1738
.LBB47_1728:
	s_cmp_gt_i32 s19, 14
	s_cbranch_scc0 .LBB47_1731
; %bb.1729:
	s_cmp_eq_u32 s19, 15
	s_cbranch_scc0 .LBB47_1734
; %bb.1730:
	global_load_ushort v1, v[20:21], off
	s_mov_b64 s[0:1], 0
	s_mov_b64 s[16:17], -1
	s_waitcnt vmcnt(0)
	v_lshlrev_b32_e32 v1, 16, v1
	v_cvt_i32_f32_e32 v1, v1
	s_branch .LBB47_1735
.LBB47_1731:
	s_mov_b64 s[4:5], -1
                                        ; implicit-def: $vgpr1
	s_branch .LBB47_1736
.LBB47_1732:
	s_andn2_saveexec_b64 s[4:5], s[4:5]
	s_cbranch_execz .LBB47_1714
.LBB47_1733:
	v_cmp_ne_u16_e32 vcc, 0, v3
	s_andn2_b64 s[6:7], s[6:7], exec
	s_and_b64 s[16:17], vcc, exec
	s_or_b64 s[6:7], s[6:7], s[16:17]
	s_or_b64 exec, exec, s[4:5]
	v_mov_b32_e32 v1, 0
	s_and_saveexec_b64 s[4:5], s[6:7]
	s_cbranch_execnz .LBB47_1715
	s_branch .LBB47_1716
.LBB47_1734:
	s_mov_b64 s[0:1], -1
                                        ; implicit-def: $vgpr1
.LBB47_1735:
	s_mov_b64 s[4:5], 0
.LBB47_1736:
	s_and_b64 vcc, exec, s[4:5]
	s_cbranch_vccz .LBB47_1738
; %bb.1737:
	s_cmp_lg_u32 s19, 11
	s_mov_b64 s[6:7], -1
	s_cselect_b64 s[0:1], -1, 0
.LBB47_1738:
	s_and_b64 vcc, exec, s[0:1]
	s_mov_b64 s[4:5], s[12:13]
	s_cbranch_vccnz .LBB47_1799
; %bb.1739:
	s_andn2_b64 vcc, exec, s[6:7]
	s_cbranch_vccnz .LBB47_1741
.LBB47_1740:
	global_load_ubyte v1, v[20:21], off
	s_mov_b64 s[16:17], -1
	s_waitcnt vmcnt(0)
	v_cmp_ne_u16_e32 vcc, 0, v1
	v_cndmask_b32_e64 v1, 0, 1, vcc
.LBB47_1741:
	s_branch .LBB47_1676
.LBB47_1742:
	s_and_b32 s6, 0xffff, s18
	s_cmp_lt_i32 s6, 5
	s_cbranch_scc1 .LBB47_1747
; %bb.1743:
	s_cmp_lt_i32 s6, 8
	s_cbranch_scc1 .LBB47_1748
; %bb.1744:
	s_cmp_lt_i32 s6, 9
	s_cbranch_scc1 .LBB47_1749
; %bb.1745:
	s_cmp_gt_i32 s6, 9
	s_cbranch_scc0 .LBB47_1750
; %bb.1746:
	global_load_dwordx2 v[22:23], v[20:21], off
	s_mov_b64 s[0:1], 0
	s_waitcnt vmcnt(0)
	v_cvt_i32_f64_e32 v1, v[22:23]
	s_branch .LBB47_1751
.LBB47_1747:
                                        ; implicit-def: $vgpr1
	s_branch .LBB47_1768
.LBB47_1748:
                                        ; implicit-def: $vgpr1
	s_branch .LBB47_1757
.LBB47_1749:
	s_mov_b64 s[0:1], -1
                                        ; implicit-def: $vgpr1
	s_branch .LBB47_1754
.LBB47_1750:
	s_mov_b64 s[0:1], -1
                                        ; implicit-def: $vgpr1
.LBB47_1751:
	s_andn2_b64 vcc, exec, s[0:1]
	s_cbranch_vccnz .LBB47_1753
; %bb.1752:
	global_load_dword v1, v[20:21], off
	s_waitcnt vmcnt(0)
	v_cvt_i32_f32_e32 v1, v1
.LBB47_1753:
	s_mov_b64 s[0:1], 0
.LBB47_1754:
	s_andn2_b64 vcc, exec, s[0:1]
	s_cbranch_vccnz .LBB47_1756
; %bb.1755:
	global_load_dword v1, v[20:21], off
	s_waitcnt vmcnt(0)
	v_cvt_f32_f16_e32 v1, v1
	v_cvt_i32_f32_e32 v1, v1
.LBB47_1756:
	s_cbranch_execnz .LBB47_1767
.LBB47_1757:
	s_cmp_lt_i32 s6, 6
	s_cbranch_scc1 .LBB47_1760
; %bb.1758:
	s_cmp_gt_i32 s6, 6
	s_cbranch_scc0 .LBB47_1761
; %bb.1759:
	global_load_dwordx2 v[22:23], v[20:21], off
	s_mov_b64 s[0:1], 0
	s_waitcnt vmcnt(0)
	v_cvt_i32_f64_e32 v1, v[22:23]
	s_branch .LBB47_1762
.LBB47_1760:
	s_mov_b64 s[0:1], -1
                                        ; implicit-def: $vgpr1
	s_branch .LBB47_1765
.LBB47_1761:
	s_mov_b64 s[0:1], -1
                                        ; implicit-def: $vgpr1
.LBB47_1762:
	s_andn2_b64 vcc, exec, s[0:1]
	s_cbranch_vccnz .LBB47_1764
; %bb.1763:
	global_load_dword v1, v[20:21], off
	s_waitcnt vmcnt(0)
	v_cvt_i32_f32_e32 v1, v1
.LBB47_1764:
	s_mov_b64 s[0:1], 0
.LBB47_1765:
	s_andn2_b64 vcc, exec, s[0:1]
	s_cbranch_vccnz .LBB47_1767
; %bb.1766:
	global_load_ushort v1, v[20:21], off
	s_waitcnt vmcnt(0)
	v_cvt_f32_f16_e32 v1, v1
	v_cvt_i32_f32_e32 v1, v1
.LBB47_1767:
	s_cbranch_execnz .LBB47_1786
.LBB47_1768:
	s_cmp_lt_i32 s6, 2
	s_cbranch_scc1 .LBB47_1772
; %bb.1769:
	s_cmp_lt_i32 s6, 3
	s_cbranch_scc1 .LBB47_1773
; %bb.1770:
	s_cmp_gt_i32 s6, 3
	s_cbranch_scc0 .LBB47_1774
; %bb.1771:
	global_load_dword v1, v[20:21], off
	s_mov_b64 s[0:1], 0
	s_branch .LBB47_1775
.LBB47_1772:
                                        ; implicit-def: $vgpr1
	s_branch .LBB47_1781
.LBB47_1773:
	s_mov_b64 s[0:1], -1
                                        ; implicit-def: $vgpr1
	s_branch .LBB47_1778
.LBB47_1774:
	s_mov_b64 s[0:1], -1
                                        ; implicit-def: $vgpr1
.LBB47_1775:
	s_andn2_b64 vcc, exec, s[0:1]
	s_cbranch_vccnz .LBB47_1777
; %bb.1776:
	global_load_dword v1, v[20:21], off
.LBB47_1777:
	s_mov_b64 s[0:1], 0
.LBB47_1778:
	s_andn2_b64 vcc, exec, s[0:1]
	s_cbranch_vccnz .LBB47_1780
; %bb.1779:
	global_load_sshort v1, v[20:21], off
.LBB47_1780:
	s_cbranch_execnz .LBB47_1786
.LBB47_1781:
	s_cmp_gt_i32 s6, 0
	s_cbranch_scc0 .LBB47_1783
; %bb.1782:
	global_load_sbyte v1, v[20:21], off
	s_mov_b64 s[0:1], 0
	s_branch .LBB47_1784
.LBB47_1783:
	s_mov_b64 s[0:1], -1
                                        ; implicit-def: $vgpr1
.LBB47_1784:
	s_andn2_b64 vcc, exec, s[0:1]
	s_cbranch_vccnz .LBB47_1786
; %bb.1785:
	global_load_ubyte v1, v[20:21], off
.LBB47_1786:
.LBB47_1787:
	s_load_dwordx2 s[0:1], s[2:3], 0x198
	s_bfe_u32 s23, s22, 0x80010
	s_cmp_lt_i32 s23, 11
	s_waitcnt vmcnt(0) lgkmcnt(0)
	v_mov_b32_e32 v3, s1
	v_add_co_u32_e32 v18, vcc, s0, v19
	v_addc_co_u32_e32 v19, vcc, 0, v3, vcc
	s_cbranch_scc1 .LBB47_1794
; %bb.1788:
	s_and_b32 s24, 0xffff, s23
	s_cmp_gt_i32 s24, 25
	s_mov_b64 s[16:17], 0
	s_cbranch_scc0 .LBB47_1796
; %bb.1789:
	s_cmp_gt_i32 s24, 28
	s_cbranch_scc0 .LBB47_1797
; %bb.1790:
	s_cmp_gt_i32 s24, 43
	;; [unrolled: 3-line block ×3, first 2 shown]
	s_cbranch_scc0 .LBB47_1800
; %bb.1792:
	s_cmp_eq_u32 s24, 46
	s_mov_b64 s[20:21], 0
	s_cbranch_scc0 .LBB47_1803
; %bb.1793:
	global_load_dword v3, v[18:19], off
	s_mov_b64 s[6:7], 0
	s_mov_b64 s[18:19], -1
	s_waitcnt vmcnt(0)
	v_lshlrev_b32_e32 v3, 16, v3
	v_cvt_i32_f32_e32 v3, v3
	s_branch .LBB47_1804
.LBB47_1794:
	s_mov_b64 s[18:19], 0
                                        ; implicit-def: $vgpr3
	s_cbranch_execnz .LBB47_1865
.LBB47_1795:
	s_andn2_b64 vcc, exec, s[18:19]
	s_cbranch_vccnz .LBB47_2723
	s_branch .LBB47_1912
.LBB47_1796:
	s_mov_b64 s[18:19], 0
	s_mov_b64 s[6:7], 0
                                        ; implicit-def: $vgpr3
	s_cbranch_execnz .LBB47_1831
	s_branch .LBB47_1861
.LBB47_1797:
	s_mov_b64 s[20:21], -1
	s_mov_b64 s[18:19], 0
	s_mov_b64 s[6:7], 0
                                        ; implicit-def: $vgpr3
	s_branch .LBB47_1814
.LBB47_1798:
	s_mov_b64 s[20:21], -1
	s_mov_b64 s[18:19], 0
	s_mov_b64 s[6:7], 0
                                        ; implicit-def: $vgpr3
	s_branch .LBB47_1809
.LBB47_1799:
	s_or_b64 s[4:5], s[12:13], exec
	s_trap 2
	s_cbranch_execz .LBB47_1740
	s_branch .LBB47_1741
.LBB47_1800:
	s_mov_b64 s[20:21], -1
	s_mov_b64 s[18:19], 0
	s_mov_b64 s[6:7], 0
                                        ; implicit-def: $vgpr3
	s_branch .LBB47_1804
.LBB47_1801:
	s_andn2_saveexec_b64 s[20:21], s[20:21]
	s_cbranch_execz .LBB47_1547
.LBB47_1802:
	v_add_f32_e32 v0, 0x42800000, v3
	v_and_b32_e32 v0, 0xff, v0
	v_cmp_ne_u32_e32 vcc, 0, v0
	s_andn2_b64 s[18:19], s[18:19], exec
	s_and_b64 s[30:31], vcc, exec
	s_or_b64 s[18:19], s[18:19], s[30:31]
	s_or_b64 exec, exec, s[20:21]
	v_mov_b32_e32 v4, 0
	s_and_saveexec_b64 s[20:21], s[18:19]
	s_cbranch_execnz .LBB47_1548
	s_branch .LBB47_1549
.LBB47_1803:
	s_mov_b64 s[6:7], -1
                                        ; implicit-def: $vgpr3
	s_mov_b64 s[18:19], 0
.LBB47_1804:
	s_and_b64 vcc, exec, s[20:21]
	s_cbranch_vccz .LBB47_1808
; %bb.1805:
	s_cmp_eq_u32 s24, 44
	s_cbranch_scc0 .LBB47_1807
; %bb.1806:
	global_load_ubyte v3, v[18:19], off
	s_mov_b64 s[6:7], 0
	s_mov_b64 s[18:19], -1
	s_waitcnt vmcnt(0)
	v_lshlrev_b32_e32 v5, 23, v3
	v_cvt_i32_f32_e32 v5, v5
	v_cmp_ne_u32_e32 vcc, 0, v3
	v_cndmask_b32_e32 v3, 0, v5, vcc
	s_branch .LBB47_1808
.LBB47_1807:
	s_mov_b64 s[6:7], -1
                                        ; implicit-def: $vgpr3
.LBB47_1808:
	s_mov_b64 s[20:21], 0
.LBB47_1809:
	s_and_b64 vcc, exec, s[20:21]
	s_cbranch_vccz .LBB47_1813
; %bb.1810:
	s_cmp_eq_u32 s24, 29
	s_cbranch_scc0 .LBB47_1812
; %bb.1811:
	global_load_dword v3, v[18:19], off
	s_mov_b64 s[6:7], 0
	s_mov_b64 s[18:19], -1
	s_branch .LBB47_1813
.LBB47_1812:
	s_mov_b64 s[6:7], -1
                                        ; implicit-def: $vgpr3
.LBB47_1813:
	s_mov_b64 s[20:21], 0
.LBB47_1814:
	s_and_b64 vcc, exec, s[20:21]
	s_cbranch_vccz .LBB47_1830
; %bb.1815:
	s_cmp_lt_i32 s24, 27
	s_cbranch_scc1 .LBB47_1818
; %bb.1816:
	s_cmp_gt_i32 s24, 27
	s_cbranch_scc0 .LBB47_1819
; %bb.1817:
	global_load_dword v3, v[18:19], off
	s_mov_b64 s[18:19], 0
	s_branch .LBB47_1820
.LBB47_1818:
	s_mov_b64 s[18:19], -1
                                        ; implicit-def: $vgpr3
	s_branch .LBB47_1823
.LBB47_1819:
	s_mov_b64 s[18:19], -1
                                        ; implicit-def: $vgpr3
.LBB47_1820:
	s_andn2_b64 vcc, exec, s[18:19]
	s_cbranch_vccnz .LBB47_1822
; %bb.1821:
	global_load_ushort v3, v[18:19], off
.LBB47_1822:
	s_mov_b64 s[18:19], 0
.LBB47_1823:
	s_andn2_b64 vcc, exec, s[18:19]
	s_cbranch_vccnz .LBB47_1829
; %bb.1824:
	global_load_ubyte v5, v[18:19], off
	s_movk_i32 s18, 0x7f
	s_mov_b64 s[20:21], 0
	s_waitcnt vmcnt(0)
	v_cmp_lt_i16_e32 vcc, s18, v5
	s_and_saveexec_b64 s[18:19], vcc
	s_xor_b64 s[18:19], exec, s[18:19]
	s_cbranch_execz .LBB47_1840
; %bb.1825:
	s_movk_i32 s20, 0x80
	v_cmp_ne_u16_e32 vcc, s20, v5
	s_and_b64 s[20:21], vcc, exec
	s_andn2_saveexec_b64 s[18:19], s[18:19]
	s_cbranch_execnz .LBB47_1841
.LBB47_1826:
	s_or_b64 exec, exec, s[18:19]
	v_mov_b32_e32 v3, 0
	s_and_saveexec_b64 s[18:19], s[20:21]
	s_cbranch_execz .LBB47_1828
.LBB47_1827:
	v_lshlrev_b32_e32 v3, 24, v5
	v_and_b32_e32 v5, 0xffff, v5
	v_and_b32_e32 v8, 7, v5
	v_ffbh_u32_e32 v12, v8
	v_min_u32_e32 v12, 32, v12
	v_subrev_u32_e32 v14, 28, v12
	v_bfe_u32 v10, v5, 3, 4
	v_lshlrev_b32_e32 v5, v14, v5
	v_sub_u32_e32 v12, 29, v12
	v_and_b32_e32 v5, 7, v5
	v_cmp_eq_u32_e32 vcc, 0, v10
	v_cndmask_b32_e32 v10, v10, v12, vcc
	v_cndmask_b32_e32 v5, v8, v5, vcc
	v_mov_b32_e32 v8, 0x3b800000
	v_lshlrev_b32_e32 v5, 20, v5
	v_and_b32_e32 v3, 0x80000000, v3
	v_lshl_add_u32 v8, v10, 23, v8
	v_or3_b32 v3, v3, v8, v5
	v_cvt_i32_f32_e32 v3, v3
.LBB47_1828:
	s_or_b64 exec, exec, s[18:19]
.LBB47_1829:
	s_mov_b64 s[18:19], -1
.LBB47_1830:
	s_branch .LBB47_1861
.LBB47_1831:
	s_cmp_gt_i32 s24, 22
	s_cbranch_scc0 .LBB47_1839
; %bb.1832:
	s_cmp_lt_i32 s24, 24
	s_cbranch_scc1 .LBB47_1842
; %bb.1833:
	s_cmp_gt_i32 s24, 24
	s_cbranch_scc0 .LBB47_1843
; %bb.1834:
	global_load_ubyte v5, v[18:19], off
	s_movk_i32 s16, 0x7f
	s_mov_b64 s[18:19], 0
	s_waitcnt vmcnt(0)
	v_cmp_lt_i16_e32 vcc, s16, v5
	s_and_saveexec_b64 s[16:17], vcc
	s_xor_b64 s[16:17], exec, s[16:17]
	s_cbranch_execz .LBB47_1855
; %bb.1835:
	s_movk_i32 s18, 0x80
	v_cmp_ne_u16_e32 vcc, s18, v5
	s_and_b64 s[18:19], vcc, exec
	s_andn2_saveexec_b64 s[16:17], s[16:17]
	s_cbranch_execnz .LBB47_1856
.LBB47_1836:
	s_or_b64 exec, exec, s[16:17]
	v_mov_b32_e32 v3, 0
	s_and_saveexec_b64 s[16:17], s[18:19]
	s_cbranch_execz .LBB47_1838
.LBB47_1837:
	v_lshlrev_b32_e32 v3, 24, v5
	v_and_b32_e32 v5, 0xffff, v5
	v_and_b32_e32 v8, 3, v5
	v_ffbh_u32_e32 v12, v8
	v_min_u32_e32 v12, 32, v12
	v_subrev_u32_e32 v14, 29, v12
	v_bfe_u32 v10, v5, 2, 5
	v_lshlrev_b32_e32 v5, v14, v5
	v_sub_u32_e32 v12, 30, v12
	v_and_b32_e32 v5, 3, v5
	v_cmp_eq_u32_e32 vcc, 0, v10
	v_cndmask_b32_e32 v10, v10, v12, vcc
	v_cndmask_b32_e32 v5, v8, v5, vcc
	v_mov_b32_e32 v8, 0x37800000
	v_lshlrev_b32_e32 v5, 21, v5
	v_and_b32_e32 v3, 0x80000000, v3
	v_lshl_add_u32 v8, v10, 23, v8
	v_or3_b32 v3, v3, v8, v5
	v_cvt_i32_f32_e32 v3, v3
.LBB47_1838:
	s_or_b64 exec, exec, s[16:17]
	s_mov_b64 s[16:17], 0
	s_branch .LBB47_1844
.LBB47_1839:
	s_mov_b64 s[16:17], -1
                                        ; implicit-def: $vgpr3
	s_branch .LBB47_1850
.LBB47_1840:
	s_andn2_saveexec_b64 s[18:19], s[18:19]
	s_cbranch_execz .LBB47_1826
.LBB47_1841:
	v_cmp_ne_u16_e32 vcc, 0, v5
	s_andn2_b64 s[20:21], s[20:21], exec
	s_and_b64 s[26:27], vcc, exec
	s_or_b64 s[20:21], s[20:21], s[26:27]
	s_or_b64 exec, exec, s[18:19]
	v_mov_b32_e32 v3, 0
	s_and_saveexec_b64 s[18:19], s[20:21]
	s_cbranch_execnz .LBB47_1827
	s_branch .LBB47_1828
.LBB47_1842:
	s_mov_b64 s[16:17], -1
                                        ; implicit-def: $vgpr3
	s_branch .LBB47_1847
.LBB47_1843:
	s_mov_b64 s[16:17], -1
                                        ; implicit-def: $vgpr3
.LBB47_1844:
	s_and_b64 vcc, exec, s[16:17]
	s_cbranch_vccz .LBB47_1846
; %bb.1845:
	global_load_ubyte v3, v[18:19], off
	s_mov_b32 s16, 0x7f800000
	s_waitcnt vmcnt(0)
	v_lshlrev_b32_e32 v3, 24, v3
	v_and_b32_e32 v5, 0x7f000000, v3
	v_ffbh_u32_e32 v8, v5
	v_min_u32_e32 v8, 32, v8
	v_sub_u32_e64 v8, v8, 4 clamp
	v_lshlrev_b32_e32 v12, v8, v5
	v_lshlrev_b32_e32 v8, 23, v8
	v_lshrrev_b32_e32 v12, 4, v12
	v_add_u32_e32 v10, 0x1000000, v5
	v_sub_u32_e32 v8, v12, v8
	v_ashrrev_i32_e32 v10, 8, v10
	v_add_u32_e32 v8, 0x3c000000, v8
	v_and_or_b32 v8, v10, s16, v8
	v_cmp_ne_u32_e32 vcc, 0, v5
	v_cndmask_b32_e32 v5, 0, v8, vcc
	s_brev_b32 s16, 1
	v_and_or_b32 v3, v3, s16, v5
	v_cvt_i32_f32_e32 v3, v3
.LBB47_1846:
	s_mov_b64 s[16:17], 0
.LBB47_1847:
	s_andn2_b64 vcc, exec, s[16:17]
	s_cbranch_vccnz .LBB47_1849
; %bb.1848:
	global_load_ubyte v3, v[18:19], off
	s_movk_i32 s16, 0x7f00
	s_brev_b32 s17, 16
	s_waitcnt vmcnt(0)
	v_lshlrev_b16_e32 v5, 8, v3
	v_lshlrev_b32_e32 v3, 25, v3
	v_lshrrev_b32_e32 v8, 4, v3
	v_and_or_b32 v10, v5, s16, 0.5
	v_or_b32_e32 v8, 0x70000000, v8
	v_add_f32_e32 v10, -0.5, v10
	v_mul_f32_e32 v8, 0x7800000, v8
	v_cmp_gt_u32_e32 vcc, s17, v3
	v_bfe_i32 v5, v5, 0, 16
	v_cndmask_b32_e32 v3, v8, v10, vcc
	s_brev_b32 s16, 1
	v_and_or_b32 v3, v5, s16, v3
	v_cvt_i32_f32_e32 v3, v3
.LBB47_1849:
	s_mov_b64 s[16:17], 0
	s_mov_b64 s[18:19], -1
.LBB47_1850:
	s_andn2_b64 vcc, exec, s[16:17]
	s_mov_b64 s[16:17], 0
	s_cbranch_vccnz .LBB47_1861
; %bb.1851:
	s_cmp_gt_i32 s24, 14
	s_cbranch_scc0 .LBB47_1854
; %bb.1852:
	s_cmp_eq_u32 s24, 15
	s_cbranch_scc0 .LBB47_1857
; %bb.1853:
	global_load_ushort v3, v[18:19], off
	s_mov_b64 s[6:7], 0
	s_mov_b64 s[18:19], -1
	s_waitcnt vmcnt(0)
	v_lshlrev_b32_e32 v3, 16, v3
	v_cvt_i32_f32_e32 v3, v3
	s_branch .LBB47_1858
.LBB47_1854:
	s_mov_b64 s[20:21], -1
                                        ; implicit-def: $vgpr3
	s_branch .LBB47_1859
.LBB47_1855:
	s_andn2_saveexec_b64 s[16:17], s[16:17]
	s_cbranch_execz .LBB47_1836
.LBB47_1856:
	v_cmp_ne_u16_e32 vcc, 0, v5
	s_andn2_b64 s[18:19], s[18:19], exec
	s_and_b64 s[20:21], vcc, exec
	s_or_b64 s[18:19], s[18:19], s[20:21]
	s_or_b64 exec, exec, s[16:17]
	v_mov_b32_e32 v3, 0
	s_and_saveexec_b64 s[16:17], s[18:19]
	s_cbranch_execnz .LBB47_1837
	s_branch .LBB47_1838
.LBB47_1857:
	s_mov_b64 s[6:7], -1
                                        ; implicit-def: $vgpr3
.LBB47_1858:
	s_mov_b64 s[20:21], 0
.LBB47_1859:
	s_and_b64 vcc, exec, s[20:21]
	s_cbranch_vccz .LBB47_1861
; %bb.1860:
	s_cmp_lg_u32 s24, 11
	s_mov_b64 s[16:17], -1
	s_cselect_b64 s[6:7], -1, 0
.LBB47_1861:
	s_and_b64 vcc, exec, s[6:7]
	s_cbranch_vccnz .LBB47_1940
; %bb.1862:
	s_andn2_b64 vcc, exec, s[16:17]
	s_cbranch_vccnz .LBB47_1864
.LBB47_1863:
	global_load_ubyte v3, v[18:19], off
	s_mov_b64 s[18:19], -1
	s_waitcnt vmcnt(0)
	v_cmp_ne_u16_e32 vcc, 0, v3
	v_cndmask_b32_e64 v3, 0, 1, vcc
.LBB47_1864:
	s_branch .LBB47_1795
.LBB47_1865:
	s_and_b32 s16, 0xffff, s23
	s_cmp_lt_i32 s16, 5
	s_cbranch_scc1 .LBB47_1870
; %bb.1866:
	s_cmp_lt_i32 s16, 8
	s_cbranch_scc1 .LBB47_1871
; %bb.1867:
	;; [unrolled: 3-line block ×3, first 2 shown]
	s_cmp_gt_i32 s16, 9
	s_cbranch_scc0 .LBB47_1873
; %bb.1869:
	global_load_dwordx2 v[20:21], v[18:19], off
	s_mov_b64 s[6:7], 0
	s_waitcnt vmcnt(0)
	v_cvt_i32_f64_e32 v3, v[20:21]
	s_branch .LBB47_1874
.LBB47_1870:
                                        ; implicit-def: $vgpr3
	s_branch .LBB47_1892
.LBB47_1871:
	s_mov_b64 s[6:7], -1
                                        ; implicit-def: $vgpr3
	s_branch .LBB47_1880
.LBB47_1872:
	s_mov_b64 s[6:7], -1
                                        ; implicit-def: $vgpr3
	s_branch .LBB47_1877
.LBB47_1873:
	s_mov_b64 s[6:7], -1
                                        ; implicit-def: $vgpr3
.LBB47_1874:
	s_andn2_b64 vcc, exec, s[6:7]
	s_cbranch_vccnz .LBB47_1876
; %bb.1875:
	global_load_dword v3, v[18:19], off
	s_waitcnt vmcnt(0)
	v_cvt_i32_f32_e32 v3, v3
.LBB47_1876:
	s_mov_b64 s[6:7], 0
.LBB47_1877:
	s_andn2_b64 vcc, exec, s[6:7]
	s_cbranch_vccnz .LBB47_1879
; %bb.1878:
	global_load_dword v3, v[18:19], off
	s_waitcnt vmcnt(0)
	v_cvt_f32_f16_e32 v3, v3
	v_cvt_i32_f32_e32 v3, v3
.LBB47_1879:
	s_mov_b64 s[6:7], 0
.LBB47_1880:
	s_andn2_b64 vcc, exec, s[6:7]
	s_cbranch_vccnz .LBB47_1891
; %bb.1881:
	s_cmp_lt_i32 s16, 6
	s_cbranch_scc1 .LBB47_1884
; %bb.1882:
	s_cmp_gt_i32 s16, 6
	s_cbranch_scc0 .LBB47_1885
; %bb.1883:
	global_load_dwordx2 v[20:21], v[18:19], off
	s_mov_b64 s[6:7], 0
	s_waitcnt vmcnt(0)
	v_cvt_i32_f64_e32 v3, v[20:21]
	s_branch .LBB47_1886
.LBB47_1884:
	s_mov_b64 s[6:7], -1
                                        ; implicit-def: $vgpr3
	s_branch .LBB47_1889
.LBB47_1885:
	s_mov_b64 s[6:7], -1
                                        ; implicit-def: $vgpr3
.LBB47_1886:
	s_andn2_b64 vcc, exec, s[6:7]
	s_cbranch_vccnz .LBB47_1888
; %bb.1887:
	global_load_dword v3, v[18:19], off
	s_waitcnt vmcnt(0)
	v_cvt_i32_f32_e32 v3, v3
.LBB47_1888:
	s_mov_b64 s[6:7], 0
.LBB47_1889:
	s_andn2_b64 vcc, exec, s[6:7]
	s_cbranch_vccnz .LBB47_1891
; %bb.1890:
	global_load_ushort v3, v[18:19], off
	s_waitcnt vmcnt(0)
	v_cvt_f32_f16_e32 v3, v3
	v_cvt_i32_f32_e32 v3, v3
.LBB47_1891:
	s_cbranch_execnz .LBB47_1911
.LBB47_1892:
	s_cmp_lt_i32 s16, 2
	s_cbranch_scc1 .LBB47_1896
; %bb.1893:
	s_cmp_lt_i32 s16, 3
	s_cbranch_scc1 .LBB47_1897
; %bb.1894:
	s_cmp_gt_i32 s16, 3
	s_cbranch_scc0 .LBB47_1898
; %bb.1895:
	global_load_dword v3, v[18:19], off
	s_mov_b64 s[6:7], 0
	s_branch .LBB47_1899
.LBB47_1896:
	s_mov_b64 s[6:7], -1
                                        ; implicit-def: $vgpr3
	s_branch .LBB47_1905
.LBB47_1897:
	s_mov_b64 s[6:7], -1
                                        ; implicit-def: $vgpr3
	s_branch .LBB47_1902
.LBB47_1898:
	s_mov_b64 s[6:7], -1
                                        ; implicit-def: $vgpr3
.LBB47_1899:
	s_andn2_b64 vcc, exec, s[6:7]
	s_cbranch_vccnz .LBB47_1901
; %bb.1900:
	global_load_dword v3, v[18:19], off
.LBB47_1901:
	s_mov_b64 s[6:7], 0
.LBB47_1902:
	s_andn2_b64 vcc, exec, s[6:7]
	s_cbranch_vccnz .LBB47_1904
; %bb.1903:
	global_load_sshort v3, v[18:19], off
.LBB47_1904:
	s_mov_b64 s[6:7], 0
.LBB47_1905:
	s_andn2_b64 vcc, exec, s[6:7]
	s_cbranch_vccnz .LBB47_1911
; %bb.1906:
	s_cmp_gt_i32 s16, 0
	s_cbranch_scc0 .LBB47_1908
; %bb.1907:
	global_load_sbyte v3, v[18:19], off
	s_mov_b64 s[6:7], 0
	s_branch .LBB47_1909
.LBB47_1908:
	s_mov_b64 s[6:7], -1
                                        ; implicit-def: $vgpr3
.LBB47_1909:
	s_andn2_b64 vcc, exec, s[6:7]
	s_cbranch_vccnz .LBB47_1911
; %bb.1910:
	global_load_ubyte v3, v[18:19], off
.LBB47_1911:
.LBB47_1912:
	s_load_dword s26, s[2:3], 0x1a0
	s_mov_b64 s[16:17], 0
	s_waitcnt lgkmcnt(0)
	s_cmp_lt_i32 s26, 1
	s_cbranch_scc1 .LBB47_1916
; %bb.1913:
	s_cmp_gt_i32 s26, 1
	s_cbranch_scc0 .LBB47_1917
; %bb.1914:
	s_cmp_eq_u32 s26, 2
	s_cbranch_scc0 .LBB47_1918
; %bb.1915:
	s_waitcnt vmcnt(0)
	v_cmp_le_i32_e64 s[6:7], v1, v3
	s_mov_b64 s[18:19], 0
	s_branch .LBB47_1919
.LBB47_1916:
                                        ; implicit-def: $sgpr6_sgpr7
	s_mov_b64 s[18:19], 0
	s_cbranch_execnz .LBB47_1923
	s_branch .LBB47_1924
.LBB47_1917:
	s_mov_b64 s[20:21], -1
	s_mov_b64 s[18:19], 0
                                        ; implicit-def: $sgpr6_sgpr7
	s_branch .LBB47_1920
.LBB47_1918:
	s_mov_b64 s[18:19], -1
                                        ; implicit-def: $sgpr6_sgpr7
.LBB47_1919:
	s_mov_b64 s[20:21], 0
.LBB47_1920:
	s_and_b64 vcc, exec, s[20:21]
	s_cbranch_vccz .LBB47_1922
; %bb.1921:
	s_waitcnt vmcnt(0)
	v_cmp_gt_i32_e32 vcc, v1, v3
	s_andn2_b64 s[6:7], s[6:7], exec
	s_and_b64 s[20:21], vcc, exec
	s_or_b64 s[6:7], s[6:7], s[20:21]
.LBB47_1922:
	s_branch .LBB47_1924
.LBB47_1923:
	s_cmp_lg_u32 s26, 0
	s_mov_b64 s[16:17], -1
	s_cselect_b64 s[18:19], -1, 0
.LBB47_1924:
	s_andn2_b64 vcc, exec, s[18:19]
	s_cbranch_vccnz .LBB47_1926
; %bb.1925:
	s_waitcnt vmcnt(0)
	v_cmp_lt_i32_e32 vcc, v1, v3
	s_andn2_b64 s[6:7], s[6:7], exec
	s_and_b64 s[18:19], vcc, exec
	s_or_b64 s[6:7], s[6:7], s[18:19]
	s_cbranch_execz .LBB47_1927
	s_branch .LBB47_1928
.LBB47_1926:
	s_andn2_b64 vcc, exec, s[16:17]
	s_cbranch_vccnz .LBB47_1928
.LBB47_1927:
	s_waitcnt vmcnt(0)
	v_cmp_ge_i32_e32 vcc, v1, v3
	s_andn2_b64 s[6:7], s[6:7], exec
	s_and_b64 s[16:17], vcc, exec
	s_or_b64 s[6:7], s[6:7], s[16:17]
.LBB47_1928:
	s_lshr_b32 s16, s22, 8
	s_lshr_b32 s24, s22, 16
	v_mov_b32_e32 v1, s11
	s_and_b32 s27, s16, 0xff
	v_add_co_u32_e32 v16, vcc, s10, v17
	s_cmp_lt_i32 s27, 11
	v_addc_co_u32_e32 v17, vcc, 0, v1, vcc
	s_cbranch_scc1 .LBB47_1935
; %bb.1929:
	s_and_b32 s25, 0xffff, s27
	s_cmp_gt_i32 s25, 25
	s_mov_b64 s[18:19], 0
	s_cbranch_scc0 .LBB47_1937
; %bb.1930:
	s_cmp_gt_i32 s25, 28
	s_cbranch_scc0 .LBB47_1938
; %bb.1931:
	s_cmp_gt_i32 s25, 43
	;; [unrolled: 3-line block ×3, first 2 shown]
	s_cbranch_scc0 .LBB47_1941
; %bb.1933:
	s_cmp_eq_u32 s25, 46
	s_mov_b64 s[22:23], 0
	s_cbranch_scc0 .LBB47_1942
; %bb.1934:
	global_load_dword v1, v[16:17], off
	s_mov_b64 s[16:17], 0
	s_mov_b64 s[20:21], -1
	s_waitcnt vmcnt(0)
	v_lshlrev_b32_e32 v1, 16, v1
	v_cvt_i32_f32_e32 v1, v1
	s_branch .LBB47_1943
.LBB47_1935:
	s_mov_b64 s[20:21], 0
                                        ; implicit-def: $vgpr1
	s_cbranch_execnz .LBB47_2005
.LBB47_1936:
	s_andn2_b64 vcc, exec, s[20:21]
	s_cbranch_vccnz .LBB47_2723
	s_branch .LBB47_2053
.LBB47_1937:
	s_mov_b64 s[22:23], -1
	s_mov_b64 s[20:21], 0
	s_mov_b64 s[16:17], 0
                                        ; implicit-def: $vgpr1
	s_branch .LBB47_1970
.LBB47_1938:
	s_mov_b64 s[22:23], -1
	s_mov_b64 s[20:21], 0
	s_mov_b64 s[16:17], 0
                                        ; implicit-def: $vgpr1
	s_branch .LBB47_1953
.LBB47_1939:
	s_mov_b64 s[22:23], -1
	s_mov_b64 s[20:21], 0
	s_mov_b64 s[16:17], 0
                                        ; implicit-def: $vgpr1
	s_branch .LBB47_1948
.LBB47_1940:
	s_trap 2
	s_or_b64 s[4:5], s[4:5], exec
	s_cbranch_execz .LBB47_1863
	s_branch .LBB47_1864
.LBB47_1941:
	s_mov_b64 s[22:23], -1
	s_mov_b64 s[20:21], 0
	s_mov_b64 s[16:17], 0
                                        ; implicit-def: $vgpr1
	s_branch .LBB47_1943
.LBB47_1942:
	s_mov_b64 s[16:17], -1
                                        ; implicit-def: $vgpr1
	s_mov_b64 s[20:21], 0
.LBB47_1943:
	s_and_b64 vcc, exec, s[22:23]
	s_cbranch_vccz .LBB47_1947
; %bb.1944:
	s_cmp_eq_u32 s25, 44
	s_cbranch_scc0 .LBB47_1946
; %bb.1945:
	global_load_ubyte v1, v[16:17], off
	s_mov_b64 s[16:17], 0
	s_mov_b64 s[20:21], -1
	s_waitcnt vmcnt(0)
	v_lshlrev_b32_e32 v3, 23, v1
	v_cvt_i32_f32_e32 v3, v3
	v_cmp_ne_u32_e32 vcc, 0, v1
	v_cndmask_b32_e32 v1, 0, v3, vcc
	s_branch .LBB47_1947
.LBB47_1946:
	s_mov_b64 s[16:17], -1
                                        ; implicit-def: $vgpr1
.LBB47_1947:
	s_mov_b64 s[22:23], 0
.LBB47_1948:
	s_and_b64 vcc, exec, s[22:23]
	s_cbranch_vccz .LBB47_1952
; %bb.1949:
	s_cmp_eq_u32 s25, 29
	s_cbranch_scc0 .LBB47_1951
; %bb.1950:
	global_load_dword v1, v[16:17], off
	s_mov_b64 s[16:17], 0
	s_mov_b64 s[20:21], -1
	s_branch .LBB47_1952
.LBB47_1951:
	s_mov_b64 s[16:17], -1
                                        ; implicit-def: $vgpr1
.LBB47_1952:
	s_mov_b64 s[22:23], 0
.LBB47_1953:
	s_and_b64 vcc, exec, s[22:23]
	s_cbranch_vccz .LBB47_1969
; %bb.1954:
	s_cmp_lt_i32 s25, 27
	s_cbranch_scc1 .LBB47_1957
; %bb.1955:
	s_cmp_gt_i32 s25, 27
	s_cbranch_scc0 .LBB47_1958
; %bb.1956:
	global_load_dword v1, v[16:17], off
	s_mov_b64 s[20:21], 0
	s_branch .LBB47_1959
.LBB47_1957:
	s_mov_b64 s[20:21], -1
                                        ; implicit-def: $vgpr1
	s_branch .LBB47_1962
.LBB47_1958:
	s_mov_b64 s[20:21], -1
                                        ; implicit-def: $vgpr1
.LBB47_1959:
	s_andn2_b64 vcc, exec, s[20:21]
	s_cbranch_vccnz .LBB47_1961
; %bb.1960:
	global_load_ushort v1, v[16:17], off
.LBB47_1961:
	s_mov_b64 s[20:21], 0
.LBB47_1962:
	s_andn2_b64 vcc, exec, s[20:21]
	s_cbranch_vccnz .LBB47_1968
; %bb.1963:
	global_load_ubyte v3, v[16:17], off
	s_movk_i32 s20, 0x7f
	s_mov_b64 s[22:23], 0
	s_waitcnt vmcnt(0)
	v_cmp_lt_i16_e32 vcc, s20, v3
	s_and_saveexec_b64 s[20:21], vcc
	s_xor_b64 s[20:21], exec, s[20:21]
	s_cbranch_execz .LBB47_1980
; %bb.1964:
	s_movk_i32 s22, 0x80
	v_cmp_ne_u16_e32 vcc, s22, v3
	s_and_b64 s[22:23], vcc, exec
	s_andn2_saveexec_b64 s[20:21], s[20:21]
	s_cbranch_execnz .LBB47_1981
.LBB47_1965:
	s_or_b64 exec, exec, s[20:21]
	v_mov_b32_e32 v1, 0
	s_and_saveexec_b64 s[20:21], s[22:23]
	s_cbranch_execz .LBB47_1967
.LBB47_1966:
	v_lshlrev_b32_e32 v1, 24, v3
	v_and_b32_e32 v3, 0xffff, v3
	v_and_b32_e32 v5, 7, v3
	v_ffbh_u32_e32 v10, v5
	v_min_u32_e32 v10, 32, v10
	v_subrev_u32_e32 v12, 28, v10
	v_bfe_u32 v8, v3, 3, 4
	v_lshlrev_b32_e32 v3, v12, v3
	v_sub_u32_e32 v10, 29, v10
	v_and_b32_e32 v3, 7, v3
	v_cmp_eq_u32_e32 vcc, 0, v8
	v_cndmask_b32_e32 v8, v8, v10, vcc
	v_cndmask_b32_e32 v3, v5, v3, vcc
	v_mov_b32_e32 v5, 0x3b800000
	v_lshlrev_b32_e32 v3, 20, v3
	v_and_b32_e32 v1, 0x80000000, v1
	v_lshl_add_u32 v5, v8, 23, v5
	v_or3_b32 v1, v1, v5, v3
	v_cvt_i32_f32_e32 v1, v1
.LBB47_1967:
	s_or_b64 exec, exec, s[20:21]
.LBB47_1968:
	s_mov_b64 s[20:21], -1
.LBB47_1969:
	s_mov_b64 s[22:23], 0
.LBB47_1970:
	s_and_b64 vcc, exec, s[22:23]
	s_cbranch_vccz .LBB47_2001
; %bb.1971:
	s_cmp_gt_i32 s25, 22
	s_cbranch_scc0 .LBB47_1979
; %bb.1972:
	s_cmp_lt_i32 s25, 24
	s_cbranch_scc1 .LBB47_1982
; %bb.1973:
	s_cmp_gt_i32 s25, 24
	s_cbranch_scc0 .LBB47_1983
; %bb.1974:
	global_load_ubyte v3, v[16:17], off
	s_movk_i32 s18, 0x7f
	s_mov_b64 s[20:21], 0
	s_waitcnt vmcnt(0)
	v_cmp_lt_i16_e32 vcc, s18, v3
	s_and_saveexec_b64 s[18:19], vcc
	s_xor_b64 s[18:19], exec, s[18:19]
	s_cbranch_execz .LBB47_1995
; %bb.1975:
	s_movk_i32 s20, 0x80
	v_cmp_ne_u16_e32 vcc, s20, v3
	s_and_b64 s[20:21], vcc, exec
	s_andn2_saveexec_b64 s[18:19], s[18:19]
	s_cbranch_execnz .LBB47_1996
.LBB47_1976:
	s_or_b64 exec, exec, s[18:19]
	v_mov_b32_e32 v1, 0
	s_and_saveexec_b64 s[18:19], s[20:21]
	s_cbranch_execz .LBB47_1978
.LBB47_1977:
	v_lshlrev_b32_e32 v1, 24, v3
	v_and_b32_e32 v3, 0xffff, v3
	v_and_b32_e32 v5, 3, v3
	v_ffbh_u32_e32 v10, v5
	v_min_u32_e32 v10, 32, v10
	v_subrev_u32_e32 v12, 29, v10
	v_bfe_u32 v8, v3, 2, 5
	v_lshlrev_b32_e32 v3, v12, v3
	v_sub_u32_e32 v10, 30, v10
	v_and_b32_e32 v3, 3, v3
	v_cmp_eq_u32_e32 vcc, 0, v8
	v_cndmask_b32_e32 v8, v8, v10, vcc
	v_cndmask_b32_e32 v3, v5, v3, vcc
	v_mov_b32_e32 v5, 0x37800000
	v_lshlrev_b32_e32 v3, 21, v3
	v_and_b32_e32 v1, 0x80000000, v1
	v_lshl_add_u32 v5, v8, 23, v5
	v_or3_b32 v1, v1, v5, v3
	v_cvt_i32_f32_e32 v1, v1
.LBB47_1978:
	s_or_b64 exec, exec, s[18:19]
	s_mov_b64 s[18:19], 0
	s_branch .LBB47_1984
.LBB47_1979:
	s_mov_b64 s[18:19], -1
                                        ; implicit-def: $vgpr1
	s_branch .LBB47_1990
.LBB47_1980:
	s_andn2_saveexec_b64 s[20:21], s[20:21]
	s_cbranch_execz .LBB47_1965
.LBB47_1981:
	v_cmp_ne_u16_e32 vcc, 0, v3
	s_andn2_b64 s[22:23], s[22:23], exec
	s_and_b64 s[28:29], vcc, exec
	s_or_b64 s[22:23], s[22:23], s[28:29]
	s_or_b64 exec, exec, s[20:21]
	v_mov_b32_e32 v1, 0
	s_and_saveexec_b64 s[20:21], s[22:23]
	s_cbranch_execnz .LBB47_1966
	s_branch .LBB47_1967
.LBB47_1982:
	s_mov_b64 s[18:19], -1
                                        ; implicit-def: $vgpr1
	s_branch .LBB47_1987
.LBB47_1983:
	s_mov_b64 s[18:19], -1
                                        ; implicit-def: $vgpr1
.LBB47_1984:
	s_and_b64 vcc, exec, s[18:19]
	s_cbranch_vccz .LBB47_1986
; %bb.1985:
	global_load_ubyte v1, v[16:17], off
	s_mov_b32 s18, 0x7f800000
	s_waitcnt vmcnt(0)
	v_lshlrev_b32_e32 v1, 24, v1
	v_and_b32_e32 v3, 0x7f000000, v1
	v_ffbh_u32_e32 v5, v3
	v_min_u32_e32 v5, 32, v5
	v_sub_u32_e64 v5, v5, 4 clamp
	v_lshlrev_b32_e32 v10, v5, v3
	v_lshlrev_b32_e32 v5, 23, v5
	v_lshrrev_b32_e32 v10, 4, v10
	v_add_u32_e32 v8, 0x1000000, v3
	v_sub_u32_e32 v5, v10, v5
	v_ashrrev_i32_e32 v8, 8, v8
	v_add_u32_e32 v5, 0x3c000000, v5
	v_and_or_b32 v5, v8, s18, v5
	v_cmp_ne_u32_e32 vcc, 0, v3
	v_cndmask_b32_e32 v3, 0, v5, vcc
	s_brev_b32 s18, 1
	v_and_or_b32 v1, v1, s18, v3
	v_cvt_i32_f32_e32 v1, v1
.LBB47_1986:
	s_mov_b64 s[18:19], 0
.LBB47_1987:
	s_andn2_b64 vcc, exec, s[18:19]
	s_cbranch_vccnz .LBB47_1989
; %bb.1988:
	global_load_ubyte v1, v[16:17], off
	s_movk_i32 s18, 0x7f00
	s_brev_b32 s19, 16
	s_waitcnt vmcnt(0)
	v_lshlrev_b16_e32 v3, 8, v1
	v_lshlrev_b32_e32 v1, 25, v1
	v_lshrrev_b32_e32 v5, 4, v1
	v_and_or_b32 v8, v3, s18, 0.5
	v_or_b32_e32 v5, 0x70000000, v5
	v_add_f32_e32 v8, -0.5, v8
	v_mul_f32_e32 v5, 0x7800000, v5
	v_cmp_gt_u32_e32 vcc, s19, v1
	v_bfe_i32 v3, v3, 0, 16
	v_cndmask_b32_e32 v1, v5, v8, vcc
	s_brev_b32 s18, 1
	v_and_or_b32 v1, v3, s18, v1
	v_cvt_i32_f32_e32 v1, v1
.LBB47_1989:
	s_mov_b64 s[18:19], 0
	s_mov_b64 s[20:21], -1
.LBB47_1990:
	s_andn2_b64 vcc, exec, s[18:19]
	s_mov_b64 s[18:19], 0
	s_cbranch_vccnz .LBB47_2001
; %bb.1991:
	s_cmp_gt_i32 s25, 14
	s_cbranch_scc0 .LBB47_1994
; %bb.1992:
	s_cmp_eq_u32 s25, 15
	s_cbranch_scc0 .LBB47_1997
; %bb.1993:
	global_load_ushort v1, v[16:17], off
	s_mov_b64 s[16:17], 0
	s_mov_b64 s[20:21], -1
	s_waitcnt vmcnt(0)
	v_lshlrev_b32_e32 v1, 16, v1
	v_cvt_i32_f32_e32 v1, v1
	s_branch .LBB47_1998
.LBB47_1994:
	s_mov_b64 s[22:23], -1
                                        ; implicit-def: $vgpr1
	s_branch .LBB47_1999
.LBB47_1995:
	s_andn2_saveexec_b64 s[18:19], s[18:19]
	s_cbranch_execz .LBB47_1976
.LBB47_1996:
	v_cmp_ne_u16_e32 vcc, 0, v3
	s_andn2_b64 s[20:21], s[20:21], exec
	s_and_b64 s[22:23], vcc, exec
	s_or_b64 s[20:21], s[20:21], s[22:23]
	s_or_b64 exec, exec, s[18:19]
	v_mov_b32_e32 v1, 0
	s_and_saveexec_b64 s[18:19], s[20:21]
	s_cbranch_execnz .LBB47_1977
	s_branch .LBB47_1978
.LBB47_1997:
	s_mov_b64 s[16:17], -1
                                        ; implicit-def: $vgpr1
.LBB47_1998:
	s_mov_b64 s[22:23], 0
.LBB47_1999:
	s_and_b64 vcc, exec, s[22:23]
	s_cbranch_vccz .LBB47_2001
; %bb.2000:
	s_cmp_lg_u32 s25, 11
	s_mov_b64 s[18:19], -1
	s_cselect_b64 s[16:17], -1, 0
.LBB47_2001:
	s_and_b64 vcc, exec, s[16:17]
	s_cbranch_vccnz .LBB47_2064
; %bb.2002:
	s_andn2_b64 vcc, exec, s[18:19]
	s_cbranch_vccnz .LBB47_2004
.LBB47_2003:
	global_load_ubyte v1, v[16:17], off
	s_mov_b64 s[20:21], -1
	s_waitcnt vmcnt(0)
	v_cmp_ne_u16_e32 vcc, 0, v1
	v_cndmask_b32_e64 v1, 0, 1, vcc
.LBB47_2004:
	s_branch .LBB47_1936
.LBB47_2005:
	s_and_b32 s18, 0xffff, s27
	s_cmp_lt_i32 s18, 5
	s_cbranch_scc1 .LBB47_2010
; %bb.2006:
	s_cmp_lt_i32 s18, 8
	s_cbranch_scc1 .LBB47_2011
; %bb.2007:
	;; [unrolled: 3-line block ×3, first 2 shown]
	s_cmp_gt_i32 s18, 9
	s_cbranch_scc0 .LBB47_2013
; %bb.2009:
	global_load_dwordx2 v[18:19], v[16:17], off
	s_mov_b64 s[16:17], 0
	s_waitcnt vmcnt(0)
	v_cvt_i32_f64_e32 v1, v[18:19]
	s_branch .LBB47_2014
.LBB47_2010:
	s_mov_b64 s[16:17], -1
                                        ; implicit-def: $vgpr1
	s_branch .LBB47_2032
.LBB47_2011:
	s_mov_b64 s[16:17], -1
                                        ; implicit-def: $vgpr1
	s_branch .LBB47_2020
.LBB47_2012:
	s_mov_b64 s[16:17], -1
                                        ; implicit-def: $vgpr1
	s_branch .LBB47_2017
.LBB47_2013:
	s_mov_b64 s[16:17], -1
                                        ; implicit-def: $vgpr1
.LBB47_2014:
	s_andn2_b64 vcc, exec, s[16:17]
	s_cbranch_vccnz .LBB47_2016
; %bb.2015:
	global_load_dword v1, v[16:17], off
	s_waitcnt vmcnt(0)
	v_cvt_i32_f32_e32 v1, v1
.LBB47_2016:
	s_mov_b64 s[16:17], 0
.LBB47_2017:
	s_andn2_b64 vcc, exec, s[16:17]
	s_cbranch_vccnz .LBB47_2019
; %bb.2018:
	global_load_dword v1, v[16:17], off
	s_waitcnt vmcnt(0)
	v_cvt_f32_f16_e32 v1, v1
	v_cvt_i32_f32_e32 v1, v1
.LBB47_2019:
	s_mov_b64 s[16:17], 0
.LBB47_2020:
	s_andn2_b64 vcc, exec, s[16:17]
	s_cbranch_vccnz .LBB47_2031
; %bb.2021:
	s_cmp_lt_i32 s18, 6
	s_cbranch_scc1 .LBB47_2024
; %bb.2022:
	s_cmp_gt_i32 s18, 6
	s_cbranch_scc0 .LBB47_2025
; %bb.2023:
	global_load_dwordx2 v[18:19], v[16:17], off
	s_mov_b64 s[16:17], 0
	s_waitcnt vmcnt(0)
	v_cvt_i32_f64_e32 v1, v[18:19]
	s_branch .LBB47_2026
.LBB47_2024:
	s_mov_b64 s[16:17], -1
                                        ; implicit-def: $vgpr1
	s_branch .LBB47_2029
.LBB47_2025:
	s_mov_b64 s[16:17], -1
                                        ; implicit-def: $vgpr1
.LBB47_2026:
	s_andn2_b64 vcc, exec, s[16:17]
	s_cbranch_vccnz .LBB47_2028
; %bb.2027:
	global_load_dword v1, v[16:17], off
	s_waitcnt vmcnt(0)
	v_cvt_i32_f32_e32 v1, v1
.LBB47_2028:
	s_mov_b64 s[16:17], 0
.LBB47_2029:
	s_andn2_b64 vcc, exec, s[16:17]
	s_cbranch_vccnz .LBB47_2031
; %bb.2030:
	global_load_ushort v1, v[16:17], off
	s_waitcnt vmcnt(0)
	v_cvt_f32_f16_e32 v1, v1
	v_cvt_i32_f32_e32 v1, v1
.LBB47_2031:
	s_mov_b64 s[16:17], 0
.LBB47_2032:
	s_andn2_b64 vcc, exec, s[16:17]
	s_cbranch_vccnz .LBB47_2052
; %bb.2033:
	s_cmp_lt_i32 s18, 2
	s_cbranch_scc1 .LBB47_2037
; %bb.2034:
	s_cmp_lt_i32 s18, 3
	s_cbranch_scc1 .LBB47_2038
; %bb.2035:
	s_cmp_gt_i32 s18, 3
	s_cbranch_scc0 .LBB47_2039
; %bb.2036:
	global_load_dword v1, v[16:17], off
	s_mov_b64 s[16:17], 0
	s_branch .LBB47_2040
.LBB47_2037:
	s_mov_b64 s[16:17], -1
                                        ; implicit-def: $vgpr1
	s_branch .LBB47_2046
.LBB47_2038:
	s_mov_b64 s[16:17], -1
                                        ; implicit-def: $vgpr1
	s_branch .LBB47_2043
.LBB47_2039:
	s_mov_b64 s[16:17], -1
                                        ; implicit-def: $vgpr1
.LBB47_2040:
	s_andn2_b64 vcc, exec, s[16:17]
	s_cbranch_vccnz .LBB47_2042
; %bb.2041:
	global_load_dword v1, v[16:17], off
.LBB47_2042:
	s_mov_b64 s[16:17], 0
.LBB47_2043:
	s_andn2_b64 vcc, exec, s[16:17]
	s_cbranch_vccnz .LBB47_2045
; %bb.2044:
	global_load_sshort v1, v[16:17], off
.LBB47_2045:
	s_mov_b64 s[16:17], 0
.LBB47_2046:
	s_andn2_b64 vcc, exec, s[16:17]
	s_cbranch_vccnz .LBB47_2052
; %bb.2047:
	s_cmp_gt_i32 s18, 0
	s_cbranch_scc0 .LBB47_2049
; %bb.2048:
	global_load_sbyte v1, v[16:17], off
	s_mov_b64 s[16:17], 0
	s_branch .LBB47_2050
.LBB47_2049:
	s_mov_b64 s[16:17], -1
                                        ; implicit-def: $vgpr1
.LBB47_2050:
	s_andn2_b64 vcc, exec, s[16:17]
	s_cbranch_vccnz .LBB47_2052
; %bb.2051:
	global_load_ubyte v1, v[16:17], off
.LBB47_2052:
.LBB47_2053:
	s_waitcnt vmcnt(0)
	v_mov_b32_e32 v3, s1
	s_and_b32 s28, s24, 0xff
	v_add_co_u32_e32 v14, vcc, s0, v15
	s_cmp_lt_i32 s28, 11
	v_addc_co_u32_e32 v15, vcc, 0, v3, vcc
	s_cbranch_scc1 .LBB47_2060
; %bb.2054:
	s_and_b32 s24, 0xffff, s28
	s_cmp_gt_i32 s24, 25
	s_mov_b64 s[18:19], 0
	s_cbranch_scc0 .LBB47_2061
; %bb.2055:
	s_cmp_gt_i32 s24, 28
	s_cbranch_scc0 .LBB47_2062
; %bb.2056:
	s_cmp_gt_i32 s24, 43
	;; [unrolled: 3-line block ×3, first 2 shown]
	s_cbranch_scc0 .LBB47_2065
; %bb.2058:
	s_cmp_eq_u32 s24, 46
	s_mov_b64 s[22:23], 0
	s_cbranch_scc0 .LBB47_2066
; %bb.2059:
	global_load_dword v3, v[14:15], off
	s_mov_b64 s[16:17], 0
	s_mov_b64 s[20:21], -1
	s_waitcnt vmcnt(0)
	v_lshlrev_b32_e32 v3, 16, v3
	v_cvt_i32_f32_e32 v3, v3
	s_branch .LBB47_2067
.LBB47_2060:
	s_mov_b64 s[16:17], -1
	s_mov_b64 s[20:21], 0
                                        ; implicit-def: $vgpr3
	s_branch .LBB47_2129
.LBB47_2061:
	s_mov_b64 s[22:23], -1
	s_mov_b64 s[20:21], 0
	s_mov_b64 s[16:17], 0
                                        ; implicit-def: $vgpr3
	s_branch .LBB47_2094
.LBB47_2062:
	s_mov_b64 s[22:23], -1
	s_mov_b64 s[20:21], 0
	s_mov_b64 s[16:17], 0
                                        ; implicit-def: $vgpr3
	s_branch .LBB47_2077
.LBB47_2063:
	s_mov_b64 s[22:23], -1
	s_mov_b64 s[20:21], 0
	s_mov_b64 s[16:17], 0
                                        ; implicit-def: $vgpr3
	s_branch .LBB47_2072
.LBB47_2064:
	s_trap 2
	s_or_b64 s[4:5], s[4:5], exec
	s_cbranch_execz .LBB47_2003
	s_branch .LBB47_2004
.LBB47_2065:
	s_mov_b64 s[22:23], -1
	s_mov_b64 s[20:21], 0
	s_mov_b64 s[16:17], 0
                                        ; implicit-def: $vgpr3
	s_branch .LBB47_2067
.LBB47_2066:
	s_mov_b64 s[16:17], -1
                                        ; implicit-def: $vgpr3
	s_mov_b64 s[20:21], 0
.LBB47_2067:
	s_and_b64 vcc, exec, s[22:23]
	s_cbranch_vccz .LBB47_2071
; %bb.2068:
	s_cmp_eq_u32 s24, 44
	s_cbranch_scc0 .LBB47_2070
; %bb.2069:
	global_load_ubyte v3, v[14:15], off
	s_mov_b64 s[16:17], 0
	s_mov_b64 s[20:21], -1
	s_waitcnt vmcnt(0)
	v_lshlrev_b32_e32 v5, 23, v3
	v_cvt_i32_f32_e32 v5, v5
	v_cmp_ne_u32_e32 vcc, 0, v3
	v_cndmask_b32_e32 v3, 0, v5, vcc
	s_branch .LBB47_2071
.LBB47_2070:
	s_mov_b64 s[16:17], -1
                                        ; implicit-def: $vgpr3
.LBB47_2071:
	s_mov_b64 s[22:23], 0
.LBB47_2072:
	s_and_b64 vcc, exec, s[22:23]
	s_cbranch_vccz .LBB47_2076
; %bb.2073:
	s_cmp_eq_u32 s24, 29
	s_cbranch_scc0 .LBB47_2075
; %bb.2074:
	global_load_dword v3, v[14:15], off
	s_mov_b64 s[16:17], 0
	s_mov_b64 s[20:21], -1
	s_branch .LBB47_2076
.LBB47_2075:
	s_mov_b64 s[16:17], -1
                                        ; implicit-def: $vgpr3
.LBB47_2076:
	s_mov_b64 s[22:23], 0
.LBB47_2077:
	s_and_b64 vcc, exec, s[22:23]
	s_cbranch_vccz .LBB47_2093
; %bb.2078:
	s_cmp_lt_i32 s24, 27
	s_cbranch_scc1 .LBB47_2081
; %bb.2079:
	s_cmp_gt_i32 s24, 27
	s_cbranch_scc0 .LBB47_2082
; %bb.2080:
	global_load_dword v3, v[14:15], off
	s_mov_b64 s[20:21], 0
	s_branch .LBB47_2083
.LBB47_2081:
	s_mov_b64 s[20:21], -1
                                        ; implicit-def: $vgpr3
	s_branch .LBB47_2086
.LBB47_2082:
	s_mov_b64 s[20:21], -1
                                        ; implicit-def: $vgpr3
.LBB47_2083:
	s_andn2_b64 vcc, exec, s[20:21]
	s_cbranch_vccnz .LBB47_2085
; %bb.2084:
	global_load_ushort v3, v[14:15], off
.LBB47_2085:
	s_mov_b64 s[20:21], 0
.LBB47_2086:
	s_andn2_b64 vcc, exec, s[20:21]
	s_cbranch_vccnz .LBB47_2092
; %bb.2087:
	global_load_ubyte v5, v[14:15], off
	s_movk_i32 s20, 0x7f
	s_mov_b64 s[22:23], 0
	s_waitcnt vmcnt(0)
	v_cmp_lt_i16_e32 vcc, s20, v5
	s_and_saveexec_b64 s[20:21], vcc
	s_xor_b64 s[20:21], exec, s[20:21]
	s_cbranch_execz .LBB47_2104
; %bb.2088:
	s_movk_i32 s22, 0x80
	v_cmp_ne_u16_e32 vcc, s22, v5
	s_and_b64 s[22:23], vcc, exec
	s_andn2_saveexec_b64 s[20:21], s[20:21]
	s_cbranch_execnz .LBB47_2105
.LBB47_2089:
	s_or_b64 exec, exec, s[20:21]
	v_mov_b32_e32 v3, 0
	s_and_saveexec_b64 s[20:21], s[22:23]
	s_cbranch_execz .LBB47_2091
.LBB47_2090:
	v_lshlrev_b32_e32 v3, 24, v5
	v_and_b32_e32 v5, 0xffff, v5
	v_and_b32_e32 v8, 7, v5
	v_ffbh_u32_e32 v12, v8
	v_min_u32_e32 v12, 32, v12
	v_subrev_u32_e32 v16, 28, v12
	v_bfe_u32 v10, v5, 3, 4
	v_lshlrev_b32_e32 v5, v16, v5
	v_sub_u32_e32 v12, 29, v12
	v_and_b32_e32 v5, 7, v5
	v_cmp_eq_u32_e32 vcc, 0, v10
	v_cndmask_b32_e32 v10, v10, v12, vcc
	v_cndmask_b32_e32 v5, v8, v5, vcc
	v_mov_b32_e32 v8, 0x3b800000
	v_lshlrev_b32_e32 v5, 20, v5
	v_and_b32_e32 v3, 0x80000000, v3
	v_lshl_add_u32 v8, v10, 23, v8
	v_or3_b32 v3, v3, v8, v5
	v_cvt_i32_f32_e32 v3, v3
.LBB47_2091:
	s_or_b64 exec, exec, s[20:21]
.LBB47_2092:
	s_mov_b64 s[20:21], -1
.LBB47_2093:
	s_mov_b64 s[22:23], 0
.LBB47_2094:
	s_and_b64 vcc, exec, s[22:23]
	s_cbranch_vccz .LBB47_2125
; %bb.2095:
	s_cmp_gt_i32 s24, 22
	s_cbranch_scc0 .LBB47_2103
; %bb.2096:
	s_cmp_lt_i32 s24, 24
	s_cbranch_scc1 .LBB47_2106
; %bb.2097:
	s_cmp_gt_i32 s24, 24
	s_cbranch_scc0 .LBB47_2107
; %bb.2098:
	global_load_ubyte v5, v[14:15], off
	s_movk_i32 s18, 0x7f
	s_mov_b64 s[20:21], 0
	s_waitcnt vmcnt(0)
	v_cmp_lt_i16_e32 vcc, s18, v5
	s_and_saveexec_b64 s[18:19], vcc
	s_xor_b64 s[18:19], exec, s[18:19]
	s_cbranch_execz .LBB47_2119
; %bb.2099:
	s_movk_i32 s20, 0x80
	v_cmp_ne_u16_e32 vcc, s20, v5
	s_and_b64 s[20:21], vcc, exec
	s_andn2_saveexec_b64 s[18:19], s[18:19]
	s_cbranch_execnz .LBB47_2120
.LBB47_2100:
	s_or_b64 exec, exec, s[18:19]
	v_mov_b32_e32 v3, 0
	s_and_saveexec_b64 s[18:19], s[20:21]
	s_cbranch_execz .LBB47_2102
.LBB47_2101:
	v_lshlrev_b32_e32 v3, 24, v5
	v_and_b32_e32 v5, 0xffff, v5
	v_and_b32_e32 v8, 3, v5
	v_ffbh_u32_e32 v12, v8
	v_min_u32_e32 v12, 32, v12
	v_subrev_u32_e32 v16, 29, v12
	v_bfe_u32 v10, v5, 2, 5
	v_lshlrev_b32_e32 v5, v16, v5
	v_sub_u32_e32 v12, 30, v12
	v_and_b32_e32 v5, 3, v5
	v_cmp_eq_u32_e32 vcc, 0, v10
	v_cndmask_b32_e32 v10, v10, v12, vcc
	v_cndmask_b32_e32 v5, v8, v5, vcc
	v_mov_b32_e32 v8, 0x37800000
	v_lshlrev_b32_e32 v5, 21, v5
	v_and_b32_e32 v3, 0x80000000, v3
	v_lshl_add_u32 v8, v10, 23, v8
	v_or3_b32 v3, v3, v8, v5
	v_cvt_i32_f32_e32 v3, v3
.LBB47_2102:
	s_or_b64 exec, exec, s[18:19]
	s_mov_b64 s[18:19], 0
	s_branch .LBB47_2108
.LBB47_2103:
	s_mov_b64 s[18:19], -1
                                        ; implicit-def: $vgpr3
	s_branch .LBB47_2114
.LBB47_2104:
	s_andn2_saveexec_b64 s[20:21], s[20:21]
	s_cbranch_execz .LBB47_2089
.LBB47_2105:
	v_cmp_ne_u16_e32 vcc, 0, v5
	s_andn2_b64 s[22:23], s[22:23], exec
	s_and_b64 s[30:31], vcc, exec
	s_or_b64 s[22:23], s[22:23], s[30:31]
	s_or_b64 exec, exec, s[20:21]
	v_mov_b32_e32 v3, 0
	s_and_saveexec_b64 s[20:21], s[22:23]
	s_cbranch_execnz .LBB47_2090
	s_branch .LBB47_2091
.LBB47_2106:
	s_mov_b64 s[18:19], -1
                                        ; implicit-def: $vgpr3
	s_branch .LBB47_2111
.LBB47_2107:
	s_mov_b64 s[18:19], -1
                                        ; implicit-def: $vgpr3
.LBB47_2108:
	s_and_b64 vcc, exec, s[18:19]
	s_cbranch_vccz .LBB47_2110
; %bb.2109:
	global_load_ubyte v3, v[14:15], off
	s_mov_b32 s18, 0x7f800000
	s_waitcnt vmcnt(0)
	v_lshlrev_b32_e32 v3, 24, v3
	v_and_b32_e32 v5, 0x7f000000, v3
	v_ffbh_u32_e32 v8, v5
	v_min_u32_e32 v8, 32, v8
	v_sub_u32_e64 v8, v8, 4 clamp
	v_lshlrev_b32_e32 v12, v8, v5
	v_lshlrev_b32_e32 v8, 23, v8
	v_lshrrev_b32_e32 v12, 4, v12
	v_add_u32_e32 v10, 0x1000000, v5
	v_sub_u32_e32 v8, v12, v8
	v_ashrrev_i32_e32 v10, 8, v10
	v_add_u32_e32 v8, 0x3c000000, v8
	v_and_or_b32 v8, v10, s18, v8
	v_cmp_ne_u32_e32 vcc, 0, v5
	v_cndmask_b32_e32 v5, 0, v8, vcc
	s_brev_b32 s18, 1
	v_and_or_b32 v3, v3, s18, v5
	v_cvt_i32_f32_e32 v3, v3
.LBB47_2110:
	s_mov_b64 s[18:19], 0
.LBB47_2111:
	s_andn2_b64 vcc, exec, s[18:19]
	s_cbranch_vccnz .LBB47_2113
; %bb.2112:
	global_load_ubyte v3, v[14:15], off
	s_movk_i32 s18, 0x7f00
	s_brev_b32 s19, 16
	s_waitcnt vmcnt(0)
	v_lshlrev_b16_e32 v5, 8, v3
	v_lshlrev_b32_e32 v3, 25, v3
	v_lshrrev_b32_e32 v8, 4, v3
	v_and_or_b32 v10, v5, s18, 0.5
	v_or_b32_e32 v8, 0x70000000, v8
	v_add_f32_e32 v10, -0.5, v10
	v_mul_f32_e32 v8, 0x7800000, v8
	v_cmp_gt_u32_e32 vcc, s19, v3
	v_bfe_i32 v5, v5, 0, 16
	v_cndmask_b32_e32 v3, v8, v10, vcc
	s_brev_b32 s18, 1
	v_and_or_b32 v3, v5, s18, v3
	v_cvt_i32_f32_e32 v3, v3
.LBB47_2113:
	s_mov_b64 s[18:19], 0
	s_mov_b64 s[20:21], -1
.LBB47_2114:
	s_andn2_b64 vcc, exec, s[18:19]
	s_mov_b64 s[18:19], 0
	s_cbranch_vccnz .LBB47_2125
; %bb.2115:
	s_cmp_gt_i32 s24, 14
	s_cbranch_scc0 .LBB47_2118
; %bb.2116:
	s_cmp_eq_u32 s24, 15
	s_cbranch_scc0 .LBB47_2121
; %bb.2117:
	global_load_ushort v3, v[14:15], off
	s_mov_b64 s[16:17], 0
	s_mov_b64 s[20:21], -1
	s_waitcnt vmcnt(0)
	v_lshlrev_b32_e32 v3, 16, v3
	v_cvt_i32_f32_e32 v3, v3
	s_branch .LBB47_2122
.LBB47_2118:
	s_mov_b64 s[22:23], -1
                                        ; implicit-def: $vgpr3
	s_branch .LBB47_2123
.LBB47_2119:
	s_andn2_saveexec_b64 s[18:19], s[18:19]
	s_cbranch_execz .LBB47_2100
.LBB47_2120:
	v_cmp_ne_u16_e32 vcc, 0, v5
	s_andn2_b64 s[20:21], s[20:21], exec
	s_and_b64 s[22:23], vcc, exec
	s_or_b64 s[20:21], s[20:21], s[22:23]
	s_or_b64 exec, exec, s[18:19]
	v_mov_b32_e32 v3, 0
	s_and_saveexec_b64 s[18:19], s[20:21]
	s_cbranch_execnz .LBB47_2101
	s_branch .LBB47_2102
.LBB47_2121:
	s_mov_b64 s[16:17], -1
                                        ; implicit-def: $vgpr3
.LBB47_2122:
	s_mov_b64 s[22:23], 0
.LBB47_2123:
	s_and_b64 vcc, exec, s[22:23]
	s_cbranch_vccz .LBB47_2125
; %bb.2124:
	s_cmp_lg_u32 s24, 11
	s_mov_b64 s[18:19], -1
	s_cselect_b64 s[16:17], -1, 0
.LBB47_2125:
	s_and_b64 vcc, exec, s[16:17]
	s_cbranch_vccnz .LBB47_2207
; %bb.2126:
	s_andn2_b64 vcc, exec, s[18:19]
	s_cbranch_vccnz .LBB47_2128
.LBB47_2127:
	global_load_ubyte v3, v[14:15], off
	s_mov_b64 s[20:21], -1
	s_waitcnt vmcnt(0)
	v_cmp_ne_u16_e32 vcc, 0, v3
	v_cndmask_b32_e64 v3, 0, 1, vcc
.LBB47_2128:
	s_mov_b64 s[16:17], 0
.LBB47_2129:
	s_and_b64 vcc, exec, s[16:17]
	s_cbranch_vccz .LBB47_2178
; %bb.2130:
	s_and_b32 s18, 0xffff, s28
	s_cmp_lt_i32 s18, 5
	s_cbranch_scc1 .LBB47_2135
; %bb.2131:
	s_cmp_lt_i32 s18, 8
	s_cbranch_scc1 .LBB47_2136
; %bb.2132:
	;; [unrolled: 3-line block ×3, first 2 shown]
	s_cmp_gt_i32 s18, 9
	s_cbranch_scc0 .LBB47_2138
; %bb.2134:
	global_load_dwordx2 v[16:17], v[14:15], off
	s_mov_b64 s[16:17], 0
	s_waitcnt vmcnt(0)
	v_cvt_i32_f64_e32 v3, v[16:17]
	s_branch .LBB47_2139
.LBB47_2135:
	s_mov_b64 s[16:17], -1
                                        ; implicit-def: $vgpr3
	s_branch .LBB47_2157
.LBB47_2136:
	s_mov_b64 s[16:17], -1
                                        ; implicit-def: $vgpr3
	s_branch .LBB47_2145
.LBB47_2137:
	s_mov_b64 s[16:17], -1
                                        ; implicit-def: $vgpr3
	s_branch .LBB47_2142
.LBB47_2138:
	s_mov_b64 s[16:17], -1
                                        ; implicit-def: $vgpr3
.LBB47_2139:
	s_andn2_b64 vcc, exec, s[16:17]
	s_cbranch_vccnz .LBB47_2141
; %bb.2140:
	global_load_dword v3, v[14:15], off
	s_waitcnt vmcnt(0)
	v_cvt_i32_f32_e32 v3, v3
.LBB47_2141:
	s_mov_b64 s[16:17], 0
.LBB47_2142:
	s_andn2_b64 vcc, exec, s[16:17]
	s_cbranch_vccnz .LBB47_2144
; %bb.2143:
	global_load_dword v3, v[14:15], off
	s_waitcnt vmcnt(0)
	v_cvt_f32_f16_e32 v3, v3
	v_cvt_i32_f32_e32 v3, v3
.LBB47_2144:
	s_mov_b64 s[16:17], 0
.LBB47_2145:
	s_andn2_b64 vcc, exec, s[16:17]
	s_cbranch_vccnz .LBB47_2156
; %bb.2146:
	s_cmp_lt_i32 s18, 6
	s_cbranch_scc1 .LBB47_2149
; %bb.2147:
	s_cmp_gt_i32 s18, 6
	s_cbranch_scc0 .LBB47_2150
; %bb.2148:
	global_load_dwordx2 v[16:17], v[14:15], off
	s_mov_b64 s[16:17], 0
	s_waitcnt vmcnt(0)
	v_cvt_i32_f64_e32 v3, v[16:17]
	s_branch .LBB47_2151
.LBB47_2149:
	s_mov_b64 s[16:17], -1
                                        ; implicit-def: $vgpr3
	s_branch .LBB47_2154
.LBB47_2150:
	s_mov_b64 s[16:17], -1
                                        ; implicit-def: $vgpr3
.LBB47_2151:
	s_andn2_b64 vcc, exec, s[16:17]
	s_cbranch_vccnz .LBB47_2153
; %bb.2152:
	global_load_dword v3, v[14:15], off
	s_waitcnt vmcnt(0)
	v_cvt_i32_f32_e32 v3, v3
.LBB47_2153:
	s_mov_b64 s[16:17], 0
.LBB47_2154:
	s_andn2_b64 vcc, exec, s[16:17]
	s_cbranch_vccnz .LBB47_2156
; %bb.2155:
	global_load_ushort v3, v[14:15], off
	s_waitcnt vmcnt(0)
	v_cvt_f32_f16_e32 v3, v3
	v_cvt_i32_f32_e32 v3, v3
.LBB47_2156:
	s_mov_b64 s[16:17], 0
.LBB47_2157:
	s_andn2_b64 vcc, exec, s[16:17]
	s_cbranch_vccnz .LBB47_2177
; %bb.2158:
	s_cmp_lt_i32 s18, 2
	s_cbranch_scc1 .LBB47_2162
; %bb.2159:
	s_cmp_lt_i32 s18, 3
	s_cbranch_scc1 .LBB47_2163
; %bb.2160:
	s_cmp_gt_i32 s18, 3
	s_cbranch_scc0 .LBB47_2164
; %bb.2161:
	global_load_dword v3, v[14:15], off
	s_mov_b64 s[16:17], 0
	s_branch .LBB47_2165
.LBB47_2162:
	s_mov_b64 s[16:17], -1
                                        ; implicit-def: $vgpr3
	s_branch .LBB47_2171
.LBB47_2163:
	s_mov_b64 s[16:17], -1
                                        ; implicit-def: $vgpr3
	s_branch .LBB47_2168
.LBB47_2164:
	s_mov_b64 s[16:17], -1
                                        ; implicit-def: $vgpr3
.LBB47_2165:
	s_andn2_b64 vcc, exec, s[16:17]
	s_cbranch_vccnz .LBB47_2167
; %bb.2166:
	global_load_dword v3, v[14:15], off
.LBB47_2167:
	s_mov_b64 s[16:17], 0
.LBB47_2168:
	s_andn2_b64 vcc, exec, s[16:17]
	s_cbranch_vccnz .LBB47_2170
; %bb.2169:
	global_load_sshort v3, v[14:15], off
.LBB47_2170:
	s_mov_b64 s[16:17], 0
.LBB47_2171:
	s_andn2_b64 vcc, exec, s[16:17]
	s_cbranch_vccnz .LBB47_2177
; %bb.2172:
	s_cmp_gt_i32 s18, 0
	s_cbranch_scc0 .LBB47_2174
; %bb.2173:
	global_load_sbyte v3, v[14:15], off
	s_mov_b64 s[16:17], 0
	s_branch .LBB47_2175
.LBB47_2174:
	s_mov_b64 s[16:17], -1
                                        ; implicit-def: $vgpr3
.LBB47_2175:
	s_andn2_b64 vcc, exec, s[16:17]
	s_cbranch_vccnz .LBB47_2177
; %bb.2176:
	global_load_ubyte v3, v[14:15], off
.LBB47_2177:
	s_mov_b64 s[20:21], -1
.LBB47_2178:
	s_andn2_b64 vcc, exec, s[20:21]
	s_cbranch_vccnz .LBB47_2723
; %bb.2179:
	s_cmp_lt_i32 s26, 1
	s_mov_b64 s[18:19], 0
	s_cbranch_scc1 .LBB47_2183
; %bb.2180:
	s_cmp_gt_i32 s26, 1
	s_cbranch_scc0 .LBB47_2184
; %bb.2181:
	s_cmp_eq_u32 s26, 2
	s_cbranch_scc0 .LBB47_2185
; %bb.2182:
	s_waitcnt vmcnt(0)
	v_cmp_le_i32_e64 s[16:17], v1, v3
	s_mov_b64 s[20:21], 0
	s_branch .LBB47_2186
.LBB47_2183:
	s_mov_b64 s[22:23], -1
                                        ; implicit-def: $sgpr16_sgpr17
	s_mov_b64 s[20:21], 0
	s_branch .LBB47_2190
.LBB47_2184:
	s_mov_b64 s[22:23], -1
	s_mov_b64 s[20:21], 0
                                        ; implicit-def: $sgpr16_sgpr17
	s_branch .LBB47_2187
.LBB47_2185:
	s_mov_b64 s[20:21], -1
                                        ; implicit-def: $sgpr16_sgpr17
.LBB47_2186:
	s_mov_b64 s[22:23], 0
.LBB47_2187:
	s_and_b64 vcc, exec, s[22:23]
	s_cbranch_vccz .LBB47_2189
; %bb.2188:
	s_waitcnt vmcnt(0)
	v_cmp_gt_i32_e32 vcc, v1, v3
	s_andn2_b64 s[16:17], s[16:17], exec
	s_and_b64 s[22:23], vcc, exec
	s_or_b64 s[16:17], s[16:17], s[22:23]
.LBB47_2189:
	s_mov_b64 s[22:23], 0
.LBB47_2190:
	s_and_b64 vcc, exec, s[22:23]
	s_cbranch_vccz .LBB47_2201
; %bb.2191:
	s_cmp_lg_u32 s26, 0
	s_mov_b64 s[18:19], -1
	s_cselect_b64 s[20:21], -1, 0
	s_andn2_b64 vcc, exec, s[20:21]
	s_cbranch_vccz .LBB47_2202
.LBB47_2192:
	s_andn2_b64 vcc, exec, s[18:19]
	s_cbranch_vccnz .LBB47_2194
.LBB47_2193:
	s_waitcnt vmcnt(0)
	v_cmp_ge_i32_e32 vcc, v1, v3
	s_andn2_b64 s[16:17], s[16:17], exec
	s_and_b64 s[18:19], vcc, exec
	s_or_b64 s[16:17], s[16:17], s[18:19]
.LBB47_2194:
	v_mov_b32_e32 v1, s11
	v_add_co_u32_e32 v12, vcc, s10, v13
	s_cmp_lt_i32 s27, 11
	v_addc_co_u32_e32 v13, vcc, 0, v1, vcc
	s_cbranch_scc1 .LBB47_2203
; %bb.2195:
	s_and_b32 s29, 0xffff, s27
	s_cmp_gt_i32 s29, 25
	s_mov_b64 s[20:21], 0
	s_cbranch_scc0 .LBB47_2204
; %bb.2196:
	s_cmp_gt_i32 s29, 28
	s_cbranch_scc0 .LBB47_2205
; %bb.2197:
	s_cmp_gt_i32 s29, 43
	;; [unrolled: 3-line block ×3, first 2 shown]
	s_cbranch_scc0 .LBB47_2208
; %bb.2199:
	s_cmp_eq_u32 s29, 46
	s_mov_b64 s[24:25], 0
	s_cbranch_scc0 .LBB47_2209
; %bb.2200:
	global_load_dword v1, v[12:13], off
	s_mov_b64 s[18:19], 0
	s_mov_b64 s[22:23], -1
	s_waitcnt vmcnt(0)
	v_lshlrev_b32_e32 v1, 16, v1
	v_cvt_i32_f32_e32 v1, v1
	s_branch .LBB47_2210
.LBB47_2201:
	s_andn2_b64 vcc, exec, s[20:21]
	s_cbranch_vccnz .LBB47_2192
.LBB47_2202:
	s_waitcnt vmcnt(0)
	v_cmp_lt_i32_e32 vcc, v1, v3
	s_andn2_b64 s[16:17], s[16:17], exec
	s_and_b64 s[20:21], vcc, exec
	s_or_b64 s[16:17], s[16:17], s[20:21]
	s_cbranch_execz .LBB47_2193
	s_branch .LBB47_2194
.LBB47_2203:
	s_mov_b64 s[18:19], -1
	s_mov_b64 s[22:23], 0
                                        ; implicit-def: $vgpr1
	s_branch .LBB47_2272
.LBB47_2204:
	s_mov_b64 s[24:25], -1
	s_mov_b64 s[22:23], 0
	s_mov_b64 s[18:19], 0
                                        ; implicit-def: $vgpr1
	s_branch .LBB47_2237
.LBB47_2205:
	s_mov_b64 s[24:25], -1
	s_mov_b64 s[22:23], 0
	s_mov_b64 s[18:19], 0
                                        ; implicit-def: $vgpr1
	s_branch .LBB47_2220
.LBB47_2206:
	s_mov_b64 s[24:25], -1
	s_mov_b64 s[22:23], 0
	s_mov_b64 s[18:19], 0
                                        ; implicit-def: $vgpr1
	s_branch .LBB47_2215
.LBB47_2207:
	s_trap 2
	s_or_b64 s[4:5], s[4:5], exec
	s_cbranch_execz .LBB47_2127
	s_branch .LBB47_2128
.LBB47_2208:
	s_mov_b64 s[24:25], -1
	s_mov_b64 s[22:23], 0
	s_mov_b64 s[18:19], 0
                                        ; implicit-def: $vgpr1
	s_branch .LBB47_2210
.LBB47_2209:
	s_mov_b64 s[18:19], -1
                                        ; implicit-def: $vgpr1
	s_mov_b64 s[22:23], 0
.LBB47_2210:
	s_and_b64 vcc, exec, s[24:25]
	s_cbranch_vccz .LBB47_2214
; %bb.2211:
	s_cmp_eq_u32 s29, 44
	s_cbranch_scc0 .LBB47_2213
; %bb.2212:
	global_load_ubyte v1, v[12:13], off
	s_mov_b64 s[18:19], 0
	s_mov_b64 s[22:23], -1
	s_waitcnt vmcnt(0)
	v_lshlrev_b32_e32 v3, 23, v1
	v_cvt_i32_f32_e32 v3, v3
	v_cmp_ne_u32_e32 vcc, 0, v1
	v_cndmask_b32_e32 v1, 0, v3, vcc
	s_branch .LBB47_2214
.LBB47_2213:
	s_mov_b64 s[18:19], -1
                                        ; implicit-def: $vgpr1
.LBB47_2214:
	s_mov_b64 s[24:25], 0
.LBB47_2215:
	s_and_b64 vcc, exec, s[24:25]
	s_cbranch_vccz .LBB47_2219
; %bb.2216:
	s_cmp_eq_u32 s29, 29
	s_cbranch_scc0 .LBB47_2218
; %bb.2217:
	global_load_dword v1, v[12:13], off
	s_mov_b64 s[18:19], 0
	s_mov_b64 s[22:23], -1
	s_branch .LBB47_2219
.LBB47_2218:
	s_mov_b64 s[18:19], -1
                                        ; implicit-def: $vgpr1
.LBB47_2219:
	s_mov_b64 s[24:25], 0
.LBB47_2220:
	s_and_b64 vcc, exec, s[24:25]
	s_cbranch_vccz .LBB47_2236
; %bb.2221:
	s_cmp_lt_i32 s29, 27
	s_cbranch_scc1 .LBB47_2224
; %bb.2222:
	s_cmp_gt_i32 s29, 27
	s_cbranch_scc0 .LBB47_2225
; %bb.2223:
	global_load_dword v1, v[12:13], off
	s_mov_b64 s[22:23], 0
	s_branch .LBB47_2226
.LBB47_2224:
	s_mov_b64 s[22:23], -1
                                        ; implicit-def: $vgpr1
	s_branch .LBB47_2229
.LBB47_2225:
	s_mov_b64 s[22:23], -1
                                        ; implicit-def: $vgpr1
.LBB47_2226:
	s_andn2_b64 vcc, exec, s[22:23]
	s_cbranch_vccnz .LBB47_2228
; %bb.2227:
	global_load_ushort v1, v[12:13], off
.LBB47_2228:
	s_mov_b64 s[22:23], 0
.LBB47_2229:
	s_andn2_b64 vcc, exec, s[22:23]
	s_cbranch_vccnz .LBB47_2235
; %bb.2230:
	global_load_ubyte v3, v[12:13], off
	s_movk_i32 s22, 0x7f
	s_mov_b64 s[24:25], 0
	s_waitcnt vmcnt(0)
	v_cmp_lt_i16_e32 vcc, s22, v3
	s_and_saveexec_b64 s[22:23], vcc
	s_xor_b64 s[22:23], exec, s[22:23]
	s_cbranch_execz .LBB47_2247
; %bb.2231:
	s_movk_i32 s24, 0x80
	v_cmp_ne_u16_e32 vcc, s24, v3
	s_and_b64 s[24:25], vcc, exec
	s_andn2_saveexec_b64 s[22:23], s[22:23]
	s_cbranch_execnz .LBB47_2248
.LBB47_2232:
	s_or_b64 exec, exec, s[22:23]
	v_mov_b32_e32 v1, 0
	s_and_saveexec_b64 s[22:23], s[24:25]
	s_cbranch_execz .LBB47_2234
.LBB47_2233:
	v_lshlrev_b32_e32 v1, 24, v3
	v_and_b32_e32 v3, 0xffff, v3
	v_and_b32_e32 v5, 7, v3
	v_ffbh_u32_e32 v10, v5
	v_min_u32_e32 v10, 32, v10
	v_subrev_u32_e32 v14, 28, v10
	v_bfe_u32 v8, v3, 3, 4
	v_lshlrev_b32_e32 v3, v14, v3
	v_sub_u32_e32 v10, 29, v10
	v_and_b32_e32 v3, 7, v3
	v_cmp_eq_u32_e32 vcc, 0, v8
	v_cndmask_b32_e32 v8, v8, v10, vcc
	v_cndmask_b32_e32 v3, v5, v3, vcc
	v_mov_b32_e32 v5, 0x3b800000
	v_lshlrev_b32_e32 v3, 20, v3
	v_and_b32_e32 v1, 0x80000000, v1
	v_lshl_add_u32 v5, v8, 23, v5
	v_or3_b32 v1, v1, v5, v3
	v_cvt_i32_f32_e32 v1, v1
.LBB47_2234:
	s_or_b64 exec, exec, s[22:23]
.LBB47_2235:
	s_mov_b64 s[22:23], -1
.LBB47_2236:
	s_mov_b64 s[24:25], 0
.LBB47_2237:
	s_and_b64 vcc, exec, s[24:25]
	s_cbranch_vccz .LBB47_2268
; %bb.2238:
	s_cmp_gt_i32 s29, 22
	s_cbranch_scc0 .LBB47_2246
; %bb.2239:
	s_cmp_lt_i32 s29, 24
	s_cbranch_scc1 .LBB47_2249
; %bb.2240:
	s_cmp_gt_i32 s29, 24
	s_cbranch_scc0 .LBB47_2250
; %bb.2241:
	global_load_ubyte v3, v[12:13], off
	s_movk_i32 s20, 0x7f
	s_mov_b64 s[22:23], 0
	s_waitcnt vmcnt(0)
	v_cmp_lt_i16_e32 vcc, s20, v3
	s_and_saveexec_b64 s[20:21], vcc
	s_xor_b64 s[20:21], exec, s[20:21]
	s_cbranch_execz .LBB47_2262
; %bb.2242:
	s_movk_i32 s22, 0x80
	v_cmp_ne_u16_e32 vcc, s22, v3
	s_and_b64 s[22:23], vcc, exec
	s_andn2_saveexec_b64 s[20:21], s[20:21]
	s_cbranch_execnz .LBB47_2263
.LBB47_2243:
	s_or_b64 exec, exec, s[20:21]
	v_mov_b32_e32 v1, 0
	s_and_saveexec_b64 s[20:21], s[22:23]
	s_cbranch_execz .LBB47_2245
.LBB47_2244:
	v_lshlrev_b32_e32 v1, 24, v3
	v_and_b32_e32 v3, 0xffff, v3
	v_and_b32_e32 v5, 3, v3
	v_ffbh_u32_e32 v10, v5
	v_min_u32_e32 v10, 32, v10
	v_subrev_u32_e32 v14, 29, v10
	v_bfe_u32 v8, v3, 2, 5
	v_lshlrev_b32_e32 v3, v14, v3
	v_sub_u32_e32 v10, 30, v10
	v_and_b32_e32 v3, 3, v3
	v_cmp_eq_u32_e32 vcc, 0, v8
	v_cndmask_b32_e32 v8, v8, v10, vcc
	v_cndmask_b32_e32 v3, v5, v3, vcc
	v_mov_b32_e32 v5, 0x37800000
	v_lshlrev_b32_e32 v3, 21, v3
	v_and_b32_e32 v1, 0x80000000, v1
	v_lshl_add_u32 v5, v8, 23, v5
	v_or3_b32 v1, v1, v5, v3
	v_cvt_i32_f32_e32 v1, v1
.LBB47_2245:
	s_or_b64 exec, exec, s[20:21]
	s_mov_b64 s[20:21], 0
	s_branch .LBB47_2251
.LBB47_2246:
	s_mov_b64 s[20:21], -1
                                        ; implicit-def: $vgpr1
	s_branch .LBB47_2257
.LBB47_2247:
	s_andn2_saveexec_b64 s[22:23], s[22:23]
	s_cbranch_execz .LBB47_2232
.LBB47_2248:
	v_cmp_ne_u16_e32 vcc, 0, v3
	s_andn2_b64 s[24:25], s[24:25], exec
	s_and_b64 s[30:31], vcc, exec
	s_or_b64 s[24:25], s[24:25], s[30:31]
	s_or_b64 exec, exec, s[22:23]
	v_mov_b32_e32 v1, 0
	s_and_saveexec_b64 s[22:23], s[24:25]
	s_cbranch_execnz .LBB47_2233
	s_branch .LBB47_2234
.LBB47_2249:
	s_mov_b64 s[20:21], -1
                                        ; implicit-def: $vgpr1
	s_branch .LBB47_2254
.LBB47_2250:
	s_mov_b64 s[20:21], -1
                                        ; implicit-def: $vgpr1
.LBB47_2251:
	s_and_b64 vcc, exec, s[20:21]
	s_cbranch_vccz .LBB47_2253
; %bb.2252:
	global_load_ubyte v1, v[12:13], off
	s_mov_b32 s20, 0x7f800000
	s_waitcnt vmcnt(0)
	v_lshlrev_b32_e32 v1, 24, v1
	v_and_b32_e32 v3, 0x7f000000, v1
	v_ffbh_u32_e32 v5, v3
	v_min_u32_e32 v5, 32, v5
	v_sub_u32_e64 v5, v5, 4 clamp
	v_lshlrev_b32_e32 v10, v5, v3
	v_lshlrev_b32_e32 v5, 23, v5
	v_lshrrev_b32_e32 v10, 4, v10
	v_add_u32_e32 v8, 0x1000000, v3
	v_sub_u32_e32 v5, v10, v5
	v_ashrrev_i32_e32 v8, 8, v8
	v_add_u32_e32 v5, 0x3c000000, v5
	v_and_or_b32 v5, v8, s20, v5
	v_cmp_ne_u32_e32 vcc, 0, v3
	v_cndmask_b32_e32 v3, 0, v5, vcc
	s_brev_b32 s20, 1
	v_and_or_b32 v1, v1, s20, v3
	v_cvt_i32_f32_e32 v1, v1
.LBB47_2253:
	s_mov_b64 s[20:21], 0
.LBB47_2254:
	s_andn2_b64 vcc, exec, s[20:21]
	s_cbranch_vccnz .LBB47_2256
; %bb.2255:
	global_load_ubyte v1, v[12:13], off
	s_movk_i32 s20, 0x7f00
	s_brev_b32 s21, 16
	s_waitcnt vmcnt(0)
	v_lshlrev_b16_e32 v3, 8, v1
	v_lshlrev_b32_e32 v1, 25, v1
	v_lshrrev_b32_e32 v5, 4, v1
	v_and_or_b32 v8, v3, s20, 0.5
	v_or_b32_e32 v5, 0x70000000, v5
	v_add_f32_e32 v8, -0.5, v8
	v_mul_f32_e32 v5, 0x7800000, v5
	v_cmp_gt_u32_e32 vcc, s21, v1
	v_bfe_i32 v3, v3, 0, 16
	v_cndmask_b32_e32 v1, v5, v8, vcc
	s_brev_b32 s20, 1
	v_and_or_b32 v1, v3, s20, v1
	v_cvt_i32_f32_e32 v1, v1
.LBB47_2256:
	s_mov_b64 s[20:21], 0
	s_mov_b64 s[22:23], -1
.LBB47_2257:
	s_andn2_b64 vcc, exec, s[20:21]
	s_mov_b64 s[20:21], 0
	s_cbranch_vccnz .LBB47_2268
; %bb.2258:
	s_cmp_gt_i32 s29, 14
	s_cbranch_scc0 .LBB47_2261
; %bb.2259:
	s_cmp_eq_u32 s29, 15
	s_cbranch_scc0 .LBB47_2264
; %bb.2260:
	global_load_ushort v1, v[12:13], off
	s_mov_b64 s[18:19], 0
	s_mov_b64 s[22:23], -1
	s_waitcnt vmcnt(0)
	v_lshlrev_b32_e32 v1, 16, v1
	v_cvt_i32_f32_e32 v1, v1
	s_branch .LBB47_2265
.LBB47_2261:
	s_mov_b64 s[24:25], -1
                                        ; implicit-def: $vgpr1
	s_branch .LBB47_2266
.LBB47_2262:
	s_andn2_saveexec_b64 s[20:21], s[20:21]
	s_cbranch_execz .LBB47_2243
.LBB47_2263:
	v_cmp_ne_u16_e32 vcc, 0, v3
	s_andn2_b64 s[22:23], s[22:23], exec
	s_and_b64 s[24:25], vcc, exec
	s_or_b64 s[22:23], s[22:23], s[24:25]
	s_or_b64 exec, exec, s[20:21]
	v_mov_b32_e32 v1, 0
	s_and_saveexec_b64 s[20:21], s[22:23]
	s_cbranch_execnz .LBB47_2244
	s_branch .LBB47_2245
.LBB47_2264:
	s_mov_b64 s[18:19], -1
                                        ; implicit-def: $vgpr1
.LBB47_2265:
	s_mov_b64 s[24:25], 0
.LBB47_2266:
	s_and_b64 vcc, exec, s[24:25]
	s_cbranch_vccz .LBB47_2268
; %bb.2267:
	s_cmp_lg_u32 s29, 11
	s_mov_b64 s[20:21], -1
	s_cselect_b64 s[18:19], -1, 0
.LBB47_2268:
	s_and_b64 vcc, exec, s[18:19]
	s_cbranch_vccnz .LBB47_2333
; %bb.2269:
	s_andn2_b64 vcc, exec, s[20:21]
	s_cbranch_vccnz .LBB47_2271
.LBB47_2270:
	global_load_ubyte v1, v[12:13], off
	s_mov_b64 s[22:23], -1
	s_waitcnt vmcnt(0)
	v_cmp_ne_u16_e32 vcc, 0, v1
	v_cndmask_b32_e64 v1, 0, 1, vcc
.LBB47_2271:
	s_mov_b64 s[18:19], 0
.LBB47_2272:
	s_and_b64 vcc, exec, s[18:19]
	s_cbranch_vccz .LBB47_2321
; %bb.2273:
	s_and_b32 s20, 0xffff, s27
	s_cmp_lt_i32 s20, 5
	s_cbranch_scc1 .LBB47_2278
; %bb.2274:
	s_cmp_lt_i32 s20, 8
	s_cbranch_scc1 .LBB47_2279
; %bb.2275:
	;; [unrolled: 3-line block ×3, first 2 shown]
	s_cmp_gt_i32 s20, 9
	s_cbranch_scc0 .LBB47_2281
; %bb.2277:
	global_load_dwordx2 v[14:15], v[12:13], off
	s_mov_b64 s[18:19], 0
	s_waitcnt vmcnt(0)
	v_cvt_i32_f64_e32 v1, v[14:15]
	s_branch .LBB47_2282
.LBB47_2278:
	s_mov_b64 s[18:19], -1
                                        ; implicit-def: $vgpr1
	s_branch .LBB47_2300
.LBB47_2279:
	s_mov_b64 s[18:19], -1
                                        ; implicit-def: $vgpr1
	s_branch .LBB47_2288
.LBB47_2280:
	s_mov_b64 s[18:19], -1
                                        ; implicit-def: $vgpr1
	s_branch .LBB47_2285
.LBB47_2281:
	s_mov_b64 s[18:19], -1
                                        ; implicit-def: $vgpr1
.LBB47_2282:
	s_andn2_b64 vcc, exec, s[18:19]
	s_cbranch_vccnz .LBB47_2284
; %bb.2283:
	global_load_dword v1, v[12:13], off
	s_waitcnt vmcnt(0)
	v_cvt_i32_f32_e32 v1, v1
.LBB47_2284:
	s_mov_b64 s[18:19], 0
.LBB47_2285:
	s_andn2_b64 vcc, exec, s[18:19]
	s_cbranch_vccnz .LBB47_2287
; %bb.2286:
	global_load_dword v1, v[12:13], off
	s_waitcnt vmcnt(0)
	v_cvt_f32_f16_e32 v1, v1
	v_cvt_i32_f32_e32 v1, v1
.LBB47_2287:
	s_mov_b64 s[18:19], 0
.LBB47_2288:
	s_andn2_b64 vcc, exec, s[18:19]
	s_cbranch_vccnz .LBB47_2299
; %bb.2289:
	s_cmp_lt_i32 s20, 6
	s_cbranch_scc1 .LBB47_2292
; %bb.2290:
	s_cmp_gt_i32 s20, 6
	s_cbranch_scc0 .LBB47_2293
; %bb.2291:
	global_load_dwordx2 v[14:15], v[12:13], off
	s_mov_b64 s[18:19], 0
	s_waitcnt vmcnt(0)
	v_cvt_i32_f64_e32 v1, v[14:15]
	s_branch .LBB47_2294
.LBB47_2292:
	s_mov_b64 s[18:19], -1
                                        ; implicit-def: $vgpr1
	s_branch .LBB47_2297
.LBB47_2293:
	s_mov_b64 s[18:19], -1
                                        ; implicit-def: $vgpr1
.LBB47_2294:
	s_andn2_b64 vcc, exec, s[18:19]
	s_cbranch_vccnz .LBB47_2296
; %bb.2295:
	global_load_dword v1, v[12:13], off
	s_waitcnt vmcnt(0)
	v_cvt_i32_f32_e32 v1, v1
.LBB47_2296:
	s_mov_b64 s[18:19], 0
.LBB47_2297:
	s_andn2_b64 vcc, exec, s[18:19]
	s_cbranch_vccnz .LBB47_2299
; %bb.2298:
	global_load_ushort v1, v[12:13], off
	s_waitcnt vmcnt(0)
	v_cvt_f32_f16_e32 v1, v1
	v_cvt_i32_f32_e32 v1, v1
.LBB47_2299:
	s_mov_b64 s[18:19], 0
.LBB47_2300:
	s_andn2_b64 vcc, exec, s[18:19]
	s_cbranch_vccnz .LBB47_2320
; %bb.2301:
	s_cmp_lt_i32 s20, 2
	s_cbranch_scc1 .LBB47_2305
; %bb.2302:
	s_cmp_lt_i32 s20, 3
	s_cbranch_scc1 .LBB47_2306
; %bb.2303:
	s_cmp_gt_i32 s20, 3
	s_cbranch_scc0 .LBB47_2307
; %bb.2304:
	global_load_dword v1, v[12:13], off
	s_mov_b64 s[18:19], 0
	s_branch .LBB47_2308
.LBB47_2305:
	s_mov_b64 s[18:19], -1
                                        ; implicit-def: $vgpr1
	s_branch .LBB47_2314
.LBB47_2306:
	s_mov_b64 s[18:19], -1
                                        ; implicit-def: $vgpr1
	s_branch .LBB47_2311
.LBB47_2307:
	s_mov_b64 s[18:19], -1
                                        ; implicit-def: $vgpr1
.LBB47_2308:
	s_andn2_b64 vcc, exec, s[18:19]
	s_cbranch_vccnz .LBB47_2310
; %bb.2309:
	global_load_dword v1, v[12:13], off
.LBB47_2310:
	s_mov_b64 s[18:19], 0
.LBB47_2311:
	s_andn2_b64 vcc, exec, s[18:19]
	s_cbranch_vccnz .LBB47_2313
; %bb.2312:
	global_load_sshort v1, v[12:13], off
.LBB47_2313:
	s_mov_b64 s[18:19], 0
.LBB47_2314:
	s_andn2_b64 vcc, exec, s[18:19]
	s_cbranch_vccnz .LBB47_2320
; %bb.2315:
	s_cmp_gt_i32 s20, 0
	s_cbranch_scc0 .LBB47_2317
; %bb.2316:
	global_load_sbyte v1, v[12:13], off
	s_mov_b64 s[18:19], 0
	s_branch .LBB47_2318
.LBB47_2317:
	s_mov_b64 s[18:19], -1
                                        ; implicit-def: $vgpr1
.LBB47_2318:
	s_andn2_b64 vcc, exec, s[18:19]
	s_cbranch_vccnz .LBB47_2320
; %bb.2319:
	global_load_ubyte v1, v[12:13], off
.LBB47_2320:
	s_mov_b64 s[22:23], -1
.LBB47_2321:
	s_andn2_b64 vcc, exec, s[22:23]
	s_cbranch_vccnz .LBB47_2723
; %bb.2322:
	s_waitcnt vmcnt(0)
	v_mov_b32_e32 v3, s1
	v_add_co_u32_e32 v10, vcc, s0, v11
	s_cmp_lt_i32 s28, 11
	v_addc_co_u32_e32 v11, vcc, 0, v3, vcc
	s_cbranch_scc1 .LBB47_2329
; %bb.2323:
	s_and_b32 s29, 0xffff, s28
	s_cmp_gt_i32 s29, 25
	s_mov_b64 s[20:21], 0
	s_cbranch_scc0 .LBB47_2330
; %bb.2324:
	s_cmp_gt_i32 s29, 28
	s_cbranch_scc0 .LBB47_2331
; %bb.2325:
	s_cmp_gt_i32 s29, 43
	;; [unrolled: 3-line block ×3, first 2 shown]
	s_cbranch_scc0 .LBB47_2334
; %bb.2327:
	s_cmp_eq_u32 s29, 46
	s_mov_b64 s[24:25], 0
	s_cbranch_scc0 .LBB47_2337
; %bb.2328:
	global_load_dword v3, v[10:11], off
	s_mov_b64 s[18:19], 0
	s_mov_b64 s[22:23], -1
	s_waitcnt vmcnt(0)
	v_lshlrev_b32_e32 v3, 16, v3
	v_cvt_i32_f32_e32 v3, v3
	s_branch .LBB47_2338
.LBB47_2329:
	s_mov_b64 s[18:19], -1
	s_mov_b64 s[22:23], 0
                                        ; implicit-def: $vgpr3
	s_branch .LBB47_2400
.LBB47_2330:
	s_mov_b64 s[24:25], -1
	s_mov_b64 s[22:23], 0
	s_mov_b64 s[18:19], 0
                                        ; implicit-def: $vgpr3
	s_branch .LBB47_2365
.LBB47_2331:
	s_mov_b64 s[24:25], -1
	s_mov_b64 s[22:23], 0
	s_mov_b64 s[18:19], 0
                                        ; implicit-def: $vgpr3
	s_branch .LBB47_2348
.LBB47_2332:
	s_mov_b64 s[24:25], -1
	s_mov_b64 s[22:23], 0
	s_mov_b64 s[18:19], 0
                                        ; implicit-def: $vgpr3
	s_branch .LBB47_2343
.LBB47_2333:
	s_trap 2
	s_or_b64 s[4:5], s[4:5], exec
	s_cbranch_execz .LBB47_2270
	s_branch .LBB47_2271
.LBB47_2334:
	s_mov_b64 s[24:25], -1
	s_mov_b64 s[22:23], 0
	s_mov_b64 s[18:19], 0
                                        ; implicit-def: $vgpr3
	s_branch .LBB47_2338
.LBB47_2335:
	s_andn2_saveexec_b64 s[66:67], s[66:67]
	s_cbranch_execz .LBB47_1145
.LBB47_2336:
	v_add_f32_e32 v2, 0x42800000, v3
	v_and_b32_e32 v2, 0xff, v2
	v_cmp_ne_u32_e32 vcc, 0, v2
	s_andn2_b64 s[64:65], s[64:65], exec
	s_and_b64 s[76:77], vcc, exec
	s_or_b64 s[64:65], s[64:65], s[76:77]
	s_or_b64 exec, exec, s[66:67]
	v_mov_b32_e32 v4, 0
	s_and_saveexec_b64 s[66:67], s[64:65]
	s_cbranch_execnz .LBB47_1146
	s_branch .LBB47_1147
.LBB47_2337:
	s_mov_b64 s[18:19], -1
                                        ; implicit-def: $vgpr3
	s_mov_b64 s[22:23], 0
.LBB47_2338:
	s_and_b64 vcc, exec, s[24:25]
	s_cbranch_vccz .LBB47_2342
; %bb.2339:
	s_cmp_eq_u32 s29, 44
	s_cbranch_scc0 .LBB47_2341
; %bb.2340:
	global_load_ubyte v3, v[10:11], off
	s_mov_b64 s[18:19], 0
	s_mov_b64 s[22:23], -1
	s_waitcnt vmcnt(0)
	v_lshlrev_b32_e32 v5, 23, v3
	v_cvt_i32_f32_e32 v5, v5
	v_cmp_ne_u32_e32 vcc, 0, v3
	v_cndmask_b32_e32 v3, 0, v5, vcc
	s_branch .LBB47_2342
.LBB47_2341:
	s_mov_b64 s[18:19], -1
                                        ; implicit-def: $vgpr3
.LBB47_2342:
	s_mov_b64 s[24:25], 0
.LBB47_2343:
	s_and_b64 vcc, exec, s[24:25]
	s_cbranch_vccz .LBB47_2347
; %bb.2344:
	s_cmp_eq_u32 s29, 29
	s_cbranch_scc0 .LBB47_2346
; %bb.2345:
	global_load_dword v3, v[10:11], off
	s_mov_b64 s[18:19], 0
	s_mov_b64 s[22:23], -1
	s_branch .LBB47_2347
.LBB47_2346:
	s_mov_b64 s[18:19], -1
                                        ; implicit-def: $vgpr3
.LBB47_2347:
	s_mov_b64 s[24:25], 0
.LBB47_2348:
	s_and_b64 vcc, exec, s[24:25]
	s_cbranch_vccz .LBB47_2364
; %bb.2349:
	s_cmp_lt_i32 s29, 27
	s_cbranch_scc1 .LBB47_2352
; %bb.2350:
	s_cmp_gt_i32 s29, 27
	s_cbranch_scc0 .LBB47_2353
; %bb.2351:
	global_load_dword v3, v[10:11], off
	s_mov_b64 s[22:23], 0
	s_branch .LBB47_2354
.LBB47_2352:
	s_mov_b64 s[22:23], -1
                                        ; implicit-def: $vgpr3
	s_branch .LBB47_2357
.LBB47_2353:
	s_mov_b64 s[22:23], -1
                                        ; implicit-def: $vgpr3
.LBB47_2354:
	s_andn2_b64 vcc, exec, s[22:23]
	s_cbranch_vccnz .LBB47_2356
; %bb.2355:
	global_load_ushort v3, v[10:11], off
.LBB47_2356:
	s_mov_b64 s[22:23], 0
.LBB47_2357:
	s_andn2_b64 vcc, exec, s[22:23]
	s_cbranch_vccnz .LBB47_2363
; %bb.2358:
	global_load_ubyte v5, v[10:11], off
	s_movk_i32 s22, 0x7f
	s_mov_b64 s[24:25], 0
	s_waitcnt vmcnt(0)
	v_cmp_lt_i16_e32 vcc, s22, v5
	s_and_saveexec_b64 s[22:23], vcc
	s_xor_b64 s[22:23], exec, s[22:23]
	s_cbranch_execz .LBB47_2375
; %bb.2359:
	s_movk_i32 s24, 0x80
	v_cmp_ne_u16_e32 vcc, s24, v5
	s_and_b64 s[24:25], vcc, exec
	s_andn2_saveexec_b64 s[22:23], s[22:23]
	s_cbranch_execnz .LBB47_2376
.LBB47_2360:
	s_or_b64 exec, exec, s[22:23]
	v_mov_b32_e32 v3, 0
	s_and_saveexec_b64 s[22:23], s[24:25]
	s_cbranch_execz .LBB47_2362
.LBB47_2361:
	v_lshlrev_b32_e32 v3, 24, v5
	v_and_b32_e32 v5, 0xffff, v5
	v_and_b32_e32 v8, 7, v5
	v_ffbh_u32_e32 v13, v8
	v_min_u32_e32 v13, 32, v13
	v_subrev_u32_e32 v14, 28, v13
	v_bfe_u32 v12, v5, 3, 4
	v_lshlrev_b32_e32 v5, v14, v5
	v_sub_u32_e32 v13, 29, v13
	v_and_b32_e32 v5, 7, v5
	v_cmp_eq_u32_e32 vcc, 0, v12
	v_cndmask_b32_e32 v12, v12, v13, vcc
	v_cndmask_b32_e32 v5, v8, v5, vcc
	v_mov_b32_e32 v8, 0x3b800000
	v_lshlrev_b32_e32 v5, 20, v5
	v_and_b32_e32 v3, 0x80000000, v3
	v_lshl_add_u32 v8, v12, 23, v8
	v_or3_b32 v3, v3, v8, v5
	v_cvt_i32_f32_e32 v3, v3
.LBB47_2362:
	s_or_b64 exec, exec, s[22:23]
.LBB47_2363:
	s_mov_b64 s[22:23], -1
.LBB47_2364:
	s_mov_b64 s[24:25], 0
.LBB47_2365:
	s_and_b64 vcc, exec, s[24:25]
	s_cbranch_vccz .LBB47_2396
; %bb.2366:
	s_cmp_gt_i32 s29, 22
	s_cbranch_scc0 .LBB47_2374
; %bb.2367:
	s_cmp_lt_i32 s29, 24
	s_cbranch_scc1 .LBB47_2377
; %bb.2368:
	s_cmp_gt_i32 s29, 24
	s_cbranch_scc0 .LBB47_2378
; %bb.2369:
	global_load_ubyte v5, v[10:11], off
	s_movk_i32 s20, 0x7f
	s_mov_b64 s[22:23], 0
	s_waitcnt vmcnt(0)
	v_cmp_lt_i16_e32 vcc, s20, v5
	s_and_saveexec_b64 s[20:21], vcc
	s_xor_b64 s[20:21], exec, s[20:21]
	s_cbranch_execz .LBB47_2390
; %bb.2370:
	s_movk_i32 s22, 0x80
	v_cmp_ne_u16_e32 vcc, s22, v5
	s_and_b64 s[22:23], vcc, exec
	s_andn2_saveexec_b64 s[20:21], s[20:21]
	s_cbranch_execnz .LBB47_2391
.LBB47_2371:
	s_or_b64 exec, exec, s[20:21]
	v_mov_b32_e32 v3, 0
	s_and_saveexec_b64 s[20:21], s[22:23]
	s_cbranch_execz .LBB47_2373
.LBB47_2372:
	v_lshlrev_b32_e32 v3, 24, v5
	v_and_b32_e32 v5, 0xffff, v5
	v_and_b32_e32 v8, 3, v5
	v_ffbh_u32_e32 v13, v8
	v_min_u32_e32 v13, 32, v13
	v_subrev_u32_e32 v14, 29, v13
	v_bfe_u32 v12, v5, 2, 5
	v_lshlrev_b32_e32 v5, v14, v5
	v_sub_u32_e32 v13, 30, v13
	v_and_b32_e32 v5, 3, v5
	v_cmp_eq_u32_e32 vcc, 0, v12
	v_cndmask_b32_e32 v12, v12, v13, vcc
	v_cndmask_b32_e32 v5, v8, v5, vcc
	v_mov_b32_e32 v8, 0x37800000
	v_lshlrev_b32_e32 v5, 21, v5
	v_and_b32_e32 v3, 0x80000000, v3
	v_lshl_add_u32 v8, v12, 23, v8
	v_or3_b32 v3, v3, v8, v5
	v_cvt_i32_f32_e32 v3, v3
.LBB47_2373:
	s_or_b64 exec, exec, s[20:21]
	s_mov_b64 s[20:21], 0
	s_branch .LBB47_2379
.LBB47_2374:
	s_mov_b64 s[20:21], -1
                                        ; implicit-def: $vgpr3
	s_branch .LBB47_2385
.LBB47_2375:
	s_andn2_saveexec_b64 s[22:23], s[22:23]
	s_cbranch_execz .LBB47_2360
.LBB47_2376:
	v_cmp_ne_u16_e32 vcc, 0, v5
	s_andn2_b64 s[24:25], s[24:25], exec
	s_and_b64 s[30:31], vcc, exec
	s_or_b64 s[24:25], s[24:25], s[30:31]
	s_or_b64 exec, exec, s[22:23]
	v_mov_b32_e32 v3, 0
	s_and_saveexec_b64 s[22:23], s[24:25]
	s_cbranch_execnz .LBB47_2361
	s_branch .LBB47_2362
.LBB47_2377:
	s_mov_b64 s[20:21], -1
                                        ; implicit-def: $vgpr3
	s_branch .LBB47_2382
.LBB47_2378:
	s_mov_b64 s[20:21], -1
                                        ; implicit-def: $vgpr3
.LBB47_2379:
	s_and_b64 vcc, exec, s[20:21]
	s_cbranch_vccz .LBB47_2381
; %bb.2380:
	global_load_ubyte v3, v[10:11], off
	s_mov_b32 s20, 0x7f800000
	s_waitcnt vmcnt(0)
	v_lshlrev_b32_e32 v3, 24, v3
	v_and_b32_e32 v5, 0x7f000000, v3
	v_ffbh_u32_e32 v8, v5
	v_min_u32_e32 v8, 32, v8
	v_sub_u32_e64 v8, v8, 4 clamp
	v_lshlrev_b32_e32 v13, v8, v5
	v_lshlrev_b32_e32 v8, 23, v8
	v_lshrrev_b32_e32 v13, 4, v13
	v_add_u32_e32 v12, 0x1000000, v5
	v_sub_u32_e32 v8, v13, v8
	v_ashrrev_i32_e32 v12, 8, v12
	v_add_u32_e32 v8, 0x3c000000, v8
	v_and_or_b32 v8, v12, s20, v8
	v_cmp_ne_u32_e32 vcc, 0, v5
	v_cndmask_b32_e32 v5, 0, v8, vcc
	s_brev_b32 s20, 1
	v_and_or_b32 v3, v3, s20, v5
	v_cvt_i32_f32_e32 v3, v3
.LBB47_2381:
	s_mov_b64 s[20:21], 0
.LBB47_2382:
	s_andn2_b64 vcc, exec, s[20:21]
	s_cbranch_vccnz .LBB47_2384
; %bb.2383:
	global_load_ubyte v3, v[10:11], off
	s_movk_i32 s20, 0x7f00
	s_brev_b32 s21, 16
	s_waitcnt vmcnt(0)
	v_lshlrev_b16_e32 v5, 8, v3
	v_lshlrev_b32_e32 v3, 25, v3
	v_lshrrev_b32_e32 v8, 4, v3
	v_and_or_b32 v12, v5, s20, 0.5
	v_or_b32_e32 v8, 0x70000000, v8
	v_add_f32_e32 v12, -0.5, v12
	v_mul_f32_e32 v8, 0x7800000, v8
	v_cmp_gt_u32_e32 vcc, s21, v3
	v_bfe_i32 v5, v5, 0, 16
	v_cndmask_b32_e32 v3, v8, v12, vcc
	s_brev_b32 s20, 1
	v_and_or_b32 v3, v5, s20, v3
	v_cvt_i32_f32_e32 v3, v3
.LBB47_2384:
	s_mov_b64 s[20:21], 0
	s_mov_b64 s[22:23], -1
.LBB47_2385:
	s_andn2_b64 vcc, exec, s[20:21]
	s_mov_b64 s[20:21], 0
	s_cbranch_vccnz .LBB47_2396
; %bb.2386:
	s_cmp_gt_i32 s29, 14
	s_cbranch_scc0 .LBB47_2389
; %bb.2387:
	s_cmp_eq_u32 s29, 15
	s_cbranch_scc0 .LBB47_2392
; %bb.2388:
	global_load_ushort v3, v[10:11], off
	s_mov_b64 s[18:19], 0
	s_mov_b64 s[22:23], -1
	s_waitcnt vmcnt(0)
	v_lshlrev_b32_e32 v3, 16, v3
	v_cvt_i32_f32_e32 v3, v3
	s_branch .LBB47_2393
.LBB47_2389:
	s_mov_b64 s[24:25], -1
                                        ; implicit-def: $vgpr3
	s_branch .LBB47_2394
.LBB47_2390:
	s_andn2_saveexec_b64 s[20:21], s[20:21]
	s_cbranch_execz .LBB47_2371
.LBB47_2391:
	v_cmp_ne_u16_e32 vcc, 0, v5
	s_andn2_b64 s[22:23], s[22:23], exec
	s_and_b64 s[24:25], vcc, exec
	s_or_b64 s[22:23], s[22:23], s[24:25]
	s_or_b64 exec, exec, s[20:21]
	v_mov_b32_e32 v3, 0
	s_and_saveexec_b64 s[20:21], s[22:23]
	s_cbranch_execnz .LBB47_2372
	s_branch .LBB47_2373
.LBB47_2392:
	s_mov_b64 s[18:19], -1
                                        ; implicit-def: $vgpr3
.LBB47_2393:
	s_mov_b64 s[24:25], 0
.LBB47_2394:
	s_and_b64 vcc, exec, s[24:25]
	s_cbranch_vccz .LBB47_2396
; %bb.2395:
	s_cmp_lg_u32 s29, 11
	s_mov_b64 s[20:21], -1
	s_cselect_b64 s[18:19], -1, 0
.LBB47_2396:
	s_and_b64 vcc, exec, s[18:19]
	s_cbranch_vccnz .LBB47_2478
; %bb.2397:
	s_andn2_b64 vcc, exec, s[20:21]
	s_cbranch_vccnz .LBB47_2399
.LBB47_2398:
	global_load_ubyte v3, v[10:11], off
	s_mov_b64 s[22:23], -1
	s_waitcnt vmcnt(0)
	v_cmp_ne_u16_e32 vcc, 0, v3
	v_cndmask_b32_e64 v3, 0, 1, vcc
.LBB47_2399:
	s_mov_b64 s[18:19], 0
.LBB47_2400:
	s_and_b64 vcc, exec, s[18:19]
	s_cbranch_vccz .LBB47_2449
; %bb.2401:
	s_and_b32 s20, 0xffff, s28
	s_cmp_lt_i32 s20, 5
	s_cbranch_scc1 .LBB47_2406
; %bb.2402:
	s_cmp_lt_i32 s20, 8
	s_cbranch_scc1 .LBB47_2407
; %bb.2403:
	s_cmp_lt_i32 s20, 9
	s_cbranch_scc1 .LBB47_2408
; %bb.2404:
	s_cmp_gt_i32 s20, 9
	s_cbranch_scc0 .LBB47_2409
; %bb.2405:
	global_load_dwordx2 v[12:13], v[10:11], off
	s_mov_b64 s[18:19], 0
	s_waitcnt vmcnt(0)
	v_cvt_i32_f64_e32 v3, v[12:13]
	s_branch .LBB47_2410
.LBB47_2406:
	s_mov_b64 s[18:19], -1
                                        ; implicit-def: $vgpr3
	s_branch .LBB47_2428
.LBB47_2407:
	s_mov_b64 s[18:19], -1
                                        ; implicit-def: $vgpr3
	s_branch .LBB47_2416
.LBB47_2408:
	s_mov_b64 s[18:19], -1
                                        ; implicit-def: $vgpr3
	s_branch .LBB47_2413
.LBB47_2409:
	s_mov_b64 s[18:19], -1
                                        ; implicit-def: $vgpr3
.LBB47_2410:
	s_andn2_b64 vcc, exec, s[18:19]
	s_cbranch_vccnz .LBB47_2412
; %bb.2411:
	global_load_dword v3, v[10:11], off
	s_waitcnt vmcnt(0)
	v_cvt_i32_f32_e32 v3, v3
.LBB47_2412:
	s_mov_b64 s[18:19], 0
.LBB47_2413:
	s_andn2_b64 vcc, exec, s[18:19]
	s_cbranch_vccnz .LBB47_2415
; %bb.2414:
	global_load_dword v3, v[10:11], off
	s_waitcnt vmcnt(0)
	v_cvt_f32_f16_e32 v3, v3
	v_cvt_i32_f32_e32 v3, v3
.LBB47_2415:
	s_mov_b64 s[18:19], 0
.LBB47_2416:
	s_andn2_b64 vcc, exec, s[18:19]
	s_cbranch_vccnz .LBB47_2427
; %bb.2417:
	s_cmp_lt_i32 s20, 6
	s_cbranch_scc1 .LBB47_2420
; %bb.2418:
	s_cmp_gt_i32 s20, 6
	s_cbranch_scc0 .LBB47_2421
; %bb.2419:
	global_load_dwordx2 v[12:13], v[10:11], off
	s_mov_b64 s[18:19], 0
	s_waitcnt vmcnt(0)
	v_cvt_i32_f64_e32 v3, v[12:13]
	s_branch .LBB47_2422
.LBB47_2420:
	s_mov_b64 s[18:19], -1
                                        ; implicit-def: $vgpr3
	s_branch .LBB47_2425
.LBB47_2421:
	s_mov_b64 s[18:19], -1
                                        ; implicit-def: $vgpr3
.LBB47_2422:
	s_andn2_b64 vcc, exec, s[18:19]
	s_cbranch_vccnz .LBB47_2424
; %bb.2423:
	global_load_dword v3, v[10:11], off
	s_waitcnt vmcnt(0)
	v_cvt_i32_f32_e32 v3, v3
.LBB47_2424:
	s_mov_b64 s[18:19], 0
.LBB47_2425:
	s_andn2_b64 vcc, exec, s[18:19]
	s_cbranch_vccnz .LBB47_2427
; %bb.2426:
	global_load_ushort v3, v[10:11], off
	s_waitcnt vmcnt(0)
	v_cvt_f32_f16_e32 v3, v3
	v_cvt_i32_f32_e32 v3, v3
.LBB47_2427:
	s_mov_b64 s[18:19], 0
.LBB47_2428:
	s_andn2_b64 vcc, exec, s[18:19]
	s_cbranch_vccnz .LBB47_2448
; %bb.2429:
	s_cmp_lt_i32 s20, 2
	s_cbranch_scc1 .LBB47_2433
; %bb.2430:
	s_cmp_lt_i32 s20, 3
	s_cbranch_scc1 .LBB47_2434
; %bb.2431:
	s_cmp_gt_i32 s20, 3
	s_cbranch_scc0 .LBB47_2435
; %bb.2432:
	global_load_dword v3, v[10:11], off
	s_mov_b64 s[18:19], 0
	s_branch .LBB47_2436
.LBB47_2433:
	s_mov_b64 s[18:19], -1
                                        ; implicit-def: $vgpr3
	s_branch .LBB47_2442
.LBB47_2434:
	s_mov_b64 s[18:19], -1
                                        ; implicit-def: $vgpr3
	s_branch .LBB47_2439
.LBB47_2435:
	s_mov_b64 s[18:19], -1
                                        ; implicit-def: $vgpr3
.LBB47_2436:
	s_andn2_b64 vcc, exec, s[18:19]
	s_cbranch_vccnz .LBB47_2438
; %bb.2437:
	global_load_dword v3, v[10:11], off
.LBB47_2438:
	s_mov_b64 s[18:19], 0
.LBB47_2439:
	s_andn2_b64 vcc, exec, s[18:19]
	s_cbranch_vccnz .LBB47_2441
; %bb.2440:
	global_load_sshort v3, v[10:11], off
.LBB47_2441:
	s_mov_b64 s[18:19], 0
.LBB47_2442:
	s_andn2_b64 vcc, exec, s[18:19]
	s_cbranch_vccnz .LBB47_2448
; %bb.2443:
	s_cmp_gt_i32 s20, 0
	s_cbranch_scc0 .LBB47_2445
; %bb.2444:
	global_load_sbyte v3, v[10:11], off
	s_mov_b64 s[18:19], 0
	s_branch .LBB47_2446
.LBB47_2445:
	s_mov_b64 s[18:19], -1
                                        ; implicit-def: $vgpr3
.LBB47_2446:
	s_andn2_b64 vcc, exec, s[18:19]
	s_cbranch_vccnz .LBB47_2448
; %bb.2447:
	global_load_ubyte v3, v[10:11], off
.LBB47_2448:
	s_mov_b64 s[22:23], -1
.LBB47_2449:
	s_andn2_b64 vcc, exec, s[22:23]
	s_cbranch_vccnz .LBB47_2723
; %bb.2450:
	s_cmp_lt_i32 s26, 1
	s_mov_b64 s[20:21], 0
	s_cbranch_scc1 .LBB47_2454
; %bb.2451:
	s_cmp_gt_i32 s26, 1
	s_cbranch_scc0 .LBB47_2455
; %bb.2452:
	s_cmp_eq_u32 s26, 2
	s_cbranch_scc0 .LBB47_2456
; %bb.2453:
	s_waitcnt vmcnt(0)
	v_cmp_le_i32_e64 s[18:19], v1, v3
	s_mov_b64 s[22:23], 0
	s_branch .LBB47_2457
.LBB47_2454:
	s_mov_b64 s[24:25], -1
                                        ; implicit-def: $sgpr18_sgpr19
	s_mov_b64 s[22:23], 0
	s_branch .LBB47_2461
.LBB47_2455:
	s_mov_b64 s[24:25], -1
	s_mov_b64 s[22:23], 0
                                        ; implicit-def: $sgpr18_sgpr19
	s_branch .LBB47_2458
.LBB47_2456:
	s_mov_b64 s[22:23], -1
                                        ; implicit-def: $sgpr18_sgpr19
.LBB47_2457:
	s_mov_b64 s[24:25], 0
.LBB47_2458:
	s_and_b64 vcc, exec, s[24:25]
	s_cbranch_vccz .LBB47_2460
; %bb.2459:
	s_waitcnt vmcnt(0)
	v_cmp_gt_i32_e32 vcc, v1, v3
	s_andn2_b64 s[18:19], s[18:19], exec
	s_and_b64 s[24:25], vcc, exec
	s_or_b64 s[18:19], s[18:19], s[24:25]
.LBB47_2460:
	s_mov_b64 s[24:25], 0
.LBB47_2461:
	s_and_b64 vcc, exec, s[24:25]
	s_cbranch_vccz .LBB47_2472
; %bb.2462:
	s_cmp_lg_u32 s26, 0
	s_mov_b64 s[20:21], -1
	s_cselect_b64 s[22:23], -1, 0
	s_andn2_b64 vcc, exec, s[22:23]
	s_cbranch_vccz .LBB47_2473
.LBB47_2463:
	s_andn2_b64 vcc, exec, s[20:21]
	s_cbranch_vccnz .LBB47_2465
.LBB47_2464:
	s_waitcnt vmcnt(0)
	v_cmp_ge_i32_e32 vcc, v1, v3
	s_andn2_b64 s[18:19], s[18:19], exec
	s_and_b64 s[20:21], vcc, exec
	s_or_b64 s[18:19], s[18:19], s[20:21]
.LBB47_2465:
	v_mov_b32_e32 v1, s11
	v_add_co_u32_e32 v8, vcc, s10, v9
	s_cmp_lt_i32 s27, 11
	v_addc_co_u32_e32 v9, vcc, 0, v1, vcc
	s_cbranch_scc1 .LBB47_2474
; %bb.2466:
	s_and_b32 s29, 0xffff, s27
	s_cmp_gt_i32 s29, 25
	s_mov_b64 s[20:21], 0
	s_cbranch_scc0 .LBB47_2475
; %bb.2467:
	s_cmp_gt_i32 s29, 28
	s_cbranch_scc0 .LBB47_2476
; %bb.2468:
	s_cmp_gt_i32 s29, 43
	;; [unrolled: 3-line block ×3, first 2 shown]
	s_cbranch_scc0 .LBB47_2479
; %bb.2470:
	s_cmp_eq_u32 s29, 46
	s_mov_b64 s[24:25], 0
	s_cbranch_scc0 .LBB47_2480
; %bb.2471:
	global_load_dword v1, v[8:9], off
	s_mov_b64 s[10:11], 0
	s_mov_b64 s[22:23], -1
	s_waitcnt vmcnt(0)
	v_lshlrev_b32_e32 v1, 16, v1
	v_cvt_i32_f32_e32 v1, v1
	s_branch .LBB47_2481
.LBB47_2472:
	s_andn2_b64 vcc, exec, s[22:23]
	s_cbranch_vccnz .LBB47_2463
.LBB47_2473:
	s_waitcnt vmcnt(0)
	v_cmp_lt_i32_e32 vcc, v1, v3
	s_andn2_b64 s[18:19], s[18:19], exec
	s_and_b64 s[22:23], vcc, exec
	s_or_b64 s[18:19], s[18:19], s[22:23]
	s_cbranch_execz .LBB47_2464
	s_branch .LBB47_2465
.LBB47_2474:
	s_mov_b64 s[10:11], -1
	s_mov_b64 s[22:23], 0
                                        ; implicit-def: $vgpr1
	s_branch .LBB47_2543
.LBB47_2475:
	s_mov_b64 s[24:25], -1
	s_mov_b64 s[22:23], 0
	s_mov_b64 s[10:11], 0
                                        ; implicit-def: $vgpr1
	s_branch .LBB47_2508
.LBB47_2476:
	s_mov_b64 s[24:25], -1
	s_mov_b64 s[22:23], 0
	s_mov_b64 s[10:11], 0
                                        ; implicit-def: $vgpr1
	s_branch .LBB47_2491
.LBB47_2477:
	s_mov_b64 s[24:25], -1
	s_mov_b64 s[22:23], 0
	s_mov_b64 s[10:11], 0
                                        ; implicit-def: $vgpr1
	s_branch .LBB47_2486
.LBB47_2478:
	s_trap 2
	s_or_b64 s[4:5], s[4:5], exec
	s_cbranch_execz .LBB47_2398
	s_branch .LBB47_2399
.LBB47_2479:
	s_mov_b64 s[24:25], -1
	s_mov_b64 s[22:23], 0
	s_mov_b64 s[10:11], 0
                                        ; implicit-def: $vgpr1
	s_branch .LBB47_2481
.LBB47_2480:
	s_mov_b64 s[10:11], -1
                                        ; implicit-def: $vgpr1
	s_mov_b64 s[22:23], 0
.LBB47_2481:
	s_and_b64 vcc, exec, s[24:25]
	s_cbranch_vccz .LBB47_2485
; %bb.2482:
	s_cmp_eq_u32 s29, 44
	s_cbranch_scc0 .LBB47_2484
; %bb.2483:
	global_load_ubyte v1, v[8:9], off
	s_mov_b64 s[10:11], 0
	s_mov_b64 s[22:23], -1
	s_waitcnt vmcnt(0)
	v_lshlrev_b32_e32 v3, 23, v1
	v_cvt_i32_f32_e32 v3, v3
	v_cmp_ne_u32_e32 vcc, 0, v1
	v_cndmask_b32_e32 v1, 0, v3, vcc
	s_branch .LBB47_2485
.LBB47_2484:
	s_mov_b64 s[10:11], -1
                                        ; implicit-def: $vgpr1
.LBB47_2485:
	s_mov_b64 s[24:25], 0
.LBB47_2486:
	s_and_b64 vcc, exec, s[24:25]
	s_cbranch_vccz .LBB47_2490
; %bb.2487:
	s_cmp_eq_u32 s29, 29
	s_cbranch_scc0 .LBB47_2489
; %bb.2488:
	global_load_dword v1, v[8:9], off
	s_mov_b64 s[10:11], 0
	s_mov_b64 s[22:23], -1
	s_branch .LBB47_2490
.LBB47_2489:
	s_mov_b64 s[10:11], -1
                                        ; implicit-def: $vgpr1
.LBB47_2490:
	s_mov_b64 s[24:25], 0
.LBB47_2491:
	s_and_b64 vcc, exec, s[24:25]
	s_cbranch_vccz .LBB47_2507
; %bb.2492:
	s_cmp_lt_i32 s29, 27
	s_cbranch_scc1 .LBB47_2495
; %bb.2493:
	s_cmp_gt_i32 s29, 27
	s_cbranch_scc0 .LBB47_2496
; %bb.2494:
	global_load_dword v1, v[8:9], off
	s_mov_b64 s[22:23], 0
	s_branch .LBB47_2497
.LBB47_2495:
	s_mov_b64 s[22:23], -1
                                        ; implicit-def: $vgpr1
	s_branch .LBB47_2500
.LBB47_2496:
	s_mov_b64 s[22:23], -1
                                        ; implicit-def: $vgpr1
.LBB47_2497:
	s_andn2_b64 vcc, exec, s[22:23]
	s_cbranch_vccnz .LBB47_2499
; %bb.2498:
	global_load_ushort v1, v[8:9], off
.LBB47_2499:
	s_mov_b64 s[22:23], 0
.LBB47_2500:
	s_andn2_b64 vcc, exec, s[22:23]
	s_cbranch_vccnz .LBB47_2506
; %bb.2501:
	global_load_ubyte v3, v[8:9], off
	s_movk_i32 s22, 0x7f
	s_mov_b64 s[24:25], 0
	s_waitcnt vmcnt(0)
	v_cmp_lt_i16_e32 vcc, s22, v3
	s_and_saveexec_b64 s[22:23], vcc
	s_xor_b64 s[22:23], exec, s[22:23]
	s_cbranch_execz .LBB47_2518
; %bb.2502:
	s_movk_i32 s24, 0x80
	v_cmp_ne_u16_e32 vcc, s24, v3
	s_and_b64 s[24:25], vcc, exec
	s_andn2_saveexec_b64 s[22:23], s[22:23]
	s_cbranch_execnz .LBB47_2519
.LBB47_2503:
	s_or_b64 exec, exec, s[22:23]
	v_mov_b32_e32 v1, 0
	s_and_saveexec_b64 s[22:23], s[24:25]
	s_cbranch_execz .LBB47_2505
.LBB47_2504:
	v_lshlrev_b32_e32 v1, 24, v3
	v_and_b32_e32 v3, 0xffff, v3
	v_and_b32_e32 v5, 7, v3
	v_ffbh_u32_e32 v11, v5
	v_min_u32_e32 v11, 32, v11
	v_subrev_u32_e32 v12, 28, v11
	v_bfe_u32 v10, v3, 3, 4
	v_lshlrev_b32_e32 v3, v12, v3
	v_sub_u32_e32 v11, 29, v11
	v_and_b32_e32 v3, 7, v3
	v_cmp_eq_u32_e32 vcc, 0, v10
	v_cndmask_b32_e32 v10, v10, v11, vcc
	v_cndmask_b32_e32 v3, v5, v3, vcc
	v_mov_b32_e32 v5, 0x3b800000
	v_lshlrev_b32_e32 v3, 20, v3
	v_and_b32_e32 v1, 0x80000000, v1
	v_lshl_add_u32 v5, v10, 23, v5
	v_or3_b32 v1, v1, v5, v3
	v_cvt_i32_f32_e32 v1, v1
.LBB47_2505:
	s_or_b64 exec, exec, s[22:23]
.LBB47_2506:
	s_mov_b64 s[22:23], -1
.LBB47_2507:
	s_mov_b64 s[24:25], 0
.LBB47_2508:
	s_and_b64 vcc, exec, s[24:25]
	s_cbranch_vccz .LBB47_2539
; %bb.2509:
	s_cmp_gt_i32 s29, 22
	s_cbranch_scc0 .LBB47_2517
; %bb.2510:
	s_cmp_lt_i32 s29, 24
	s_cbranch_scc1 .LBB47_2520
; %bb.2511:
	s_cmp_gt_i32 s29, 24
	s_cbranch_scc0 .LBB47_2521
; %bb.2512:
	global_load_ubyte v3, v[8:9], off
	s_movk_i32 s20, 0x7f
	s_mov_b64 s[22:23], 0
	s_waitcnt vmcnt(0)
	v_cmp_lt_i16_e32 vcc, s20, v3
	s_and_saveexec_b64 s[20:21], vcc
	s_xor_b64 s[20:21], exec, s[20:21]
	s_cbranch_execz .LBB47_2533
; %bb.2513:
	s_movk_i32 s22, 0x80
	v_cmp_ne_u16_e32 vcc, s22, v3
	s_and_b64 s[22:23], vcc, exec
	s_andn2_saveexec_b64 s[20:21], s[20:21]
	s_cbranch_execnz .LBB47_2534
.LBB47_2514:
	s_or_b64 exec, exec, s[20:21]
	v_mov_b32_e32 v1, 0
	s_and_saveexec_b64 s[20:21], s[22:23]
	s_cbranch_execz .LBB47_2516
.LBB47_2515:
	v_lshlrev_b32_e32 v1, 24, v3
	v_and_b32_e32 v3, 0xffff, v3
	v_and_b32_e32 v5, 3, v3
	v_ffbh_u32_e32 v11, v5
	v_min_u32_e32 v11, 32, v11
	v_subrev_u32_e32 v12, 29, v11
	v_bfe_u32 v10, v3, 2, 5
	v_lshlrev_b32_e32 v3, v12, v3
	v_sub_u32_e32 v11, 30, v11
	v_and_b32_e32 v3, 3, v3
	v_cmp_eq_u32_e32 vcc, 0, v10
	v_cndmask_b32_e32 v10, v10, v11, vcc
	v_cndmask_b32_e32 v3, v5, v3, vcc
	v_mov_b32_e32 v5, 0x37800000
	v_lshlrev_b32_e32 v3, 21, v3
	v_and_b32_e32 v1, 0x80000000, v1
	v_lshl_add_u32 v5, v10, 23, v5
	v_or3_b32 v1, v1, v5, v3
	v_cvt_i32_f32_e32 v1, v1
.LBB47_2516:
	s_or_b64 exec, exec, s[20:21]
	s_mov_b64 s[20:21], 0
	s_branch .LBB47_2522
.LBB47_2517:
	s_mov_b64 s[20:21], -1
                                        ; implicit-def: $vgpr1
	s_branch .LBB47_2528
.LBB47_2518:
	s_andn2_saveexec_b64 s[22:23], s[22:23]
	s_cbranch_execz .LBB47_2503
.LBB47_2519:
	v_cmp_ne_u16_e32 vcc, 0, v3
	s_andn2_b64 s[24:25], s[24:25], exec
	s_and_b64 s[30:31], vcc, exec
	s_or_b64 s[24:25], s[24:25], s[30:31]
	s_or_b64 exec, exec, s[22:23]
	v_mov_b32_e32 v1, 0
	s_and_saveexec_b64 s[22:23], s[24:25]
	s_cbranch_execnz .LBB47_2504
	s_branch .LBB47_2505
.LBB47_2520:
	s_mov_b64 s[20:21], -1
                                        ; implicit-def: $vgpr1
	s_branch .LBB47_2525
.LBB47_2521:
	s_mov_b64 s[20:21], -1
                                        ; implicit-def: $vgpr1
.LBB47_2522:
	s_and_b64 vcc, exec, s[20:21]
	s_cbranch_vccz .LBB47_2524
; %bb.2523:
	global_load_ubyte v1, v[8:9], off
	s_mov_b32 s20, 0x7f800000
	s_waitcnt vmcnt(0)
	v_lshlrev_b32_e32 v1, 24, v1
	v_and_b32_e32 v3, 0x7f000000, v1
	v_ffbh_u32_e32 v5, v3
	v_min_u32_e32 v5, 32, v5
	v_sub_u32_e64 v5, v5, 4 clamp
	v_lshlrev_b32_e32 v11, v5, v3
	v_lshlrev_b32_e32 v5, 23, v5
	v_lshrrev_b32_e32 v11, 4, v11
	v_add_u32_e32 v10, 0x1000000, v3
	v_sub_u32_e32 v5, v11, v5
	v_ashrrev_i32_e32 v10, 8, v10
	v_add_u32_e32 v5, 0x3c000000, v5
	v_and_or_b32 v5, v10, s20, v5
	v_cmp_ne_u32_e32 vcc, 0, v3
	v_cndmask_b32_e32 v3, 0, v5, vcc
	s_brev_b32 s20, 1
	v_and_or_b32 v1, v1, s20, v3
	v_cvt_i32_f32_e32 v1, v1
.LBB47_2524:
	s_mov_b64 s[20:21], 0
.LBB47_2525:
	s_andn2_b64 vcc, exec, s[20:21]
	s_cbranch_vccnz .LBB47_2527
; %bb.2526:
	global_load_ubyte v1, v[8:9], off
	s_movk_i32 s20, 0x7f00
	s_brev_b32 s21, 16
	s_waitcnt vmcnt(0)
	v_lshlrev_b16_e32 v3, 8, v1
	v_lshlrev_b32_e32 v1, 25, v1
	v_lshrrev_b32_e32 v5, 4, v1
	v_and_or_b32 v10, v3, s20, 0.5
	v_or_b32_e32 v5, 0x70000000, v5
	v_add_f32_e32 v10, -0.5, v10
	v_mul_f32_e32 v5, 0x7800000, v5
	v_cmp_gt_u32_e32 vcc, s21, v1
	v_bfe_i32 v3, v3, 0, 16
	v_cndmask_b32_e32 v1, v5, v10, vcc
	s_brev_b32 s20, 1
	v_and_or_b32 v1, v3, s20, v1
	v_cvt_i32_f32_e32 v1, v1
.LBB47_2527:
	s_mov_b64 s[20:21], 0
	s_mov_b64 s[22:23], -1
.LBB47_2528:
	s_andn2_b64 vcc, exec, s[20:21]
	s_mov_b64 s[20:21], 0
	s_cbranch_vccnz .LBB47_2539
; %bb.2529:
	s_cmp_gt_i32 s29, 14
	s_cbranch_scc0 .LBB47_2532
; %bb.2530:
	s_cmp_eq_u32 s29, 15
	s_cbranch_scc0 .LBB47_2535
; %bb.2531:
	global_load_ushort v1, v[8:9], off
	s_mov_b64 s[10:11], 0
	s_mov_b64 s[22:23], -1
	s_waitcnt vmcnt(0)
	v_lshlrev_b32_e32 v1, 16, v1
	v_cvt_i32_f32_e32 v1, v1
	s_branch .LBB47_2536
.LBB47_2532:
	s_mov_b64 s[24:25], -1
                                        ; implicit-def: $vgpr1
	s_branch .LBB47_2537
.LBB47_2533:
	s_andn2_saveexec_b64 s[20:21], s[20:21]
	s_cbranch_execz .LBB47_2514
.LBB47_2534:
	v_cmp_ne_u16_e32 vcc, 0, v3
	s_andn2_b64 s[22:23], s[22:23], exec
	s_and_b64 s[24:25], vcc, exec
	s_or_b64 s[22:23], s[22:23], s[24:25]
	s_or_b64 exec, exec, s[20:21]
	v_mov_b32_e32 v1, 0
	s_and_saveexec_b64 s[20:21], s[22:23]
	s_cbranch_execnz .LBB47_2515
	s_branch .LBB47_2516
.LBB47_2535:
	s_mov_b64 s[10:11], -1
                                        ; implicit-def: $vgpr1
.LBB47_2536:
	s_mov_b64 s[24:25], 0
.LBB47_2537:
	s_and_b64 vcc, exec, s[24:25]
	s_cbranch_vccz .LBB47_2539
; %bb.2538:
	s_cmp_lg_u32 s29, 11
	s_mov_b64 s[20:21], -1
	s_cselect_b64 s[10:11], -1, 0
.LBB47_2539:
	s_and_b64 vcc, exec, s[10:11]
	s_cbranch_vccnz .LBB47_2604
; %bb.2540:
	s_andn2_b64 vcc, exec, s[20:21]
	s_cbranch_vccnz .LBB47_2542
.LBB47_2541:
	global_load_ubyte v1, v[8:9], off
	s_mov_b64 s[22:23], -1
	s_waitcnt vmcnt(0)
	v_cmp_ne_u16_e32 vcc, 0, v1
	v_cndmask_b32_e64 v1, 0, 1, vcc
.LBB47_2542:
	s_mov_b64 s[10:11], 0
.LBB47_2543:
	s_and_b64 vcc, exec, s[10:11]
	s_cbranch_vccz .LBB47_2592
; %bb.2544:
	s_and_b32 s20, 0xffff, s27
	s_cmp_lt_i32 s20, 5
	s_cbranch_scc1 .LBB47_2549
; %bb.2545:
	s_cmp_lt_i32 s20, 8
	s_cbranch_scc1 .LBB47_2550
; %bb.2546:
	;; [unrolled: 3-line block ×3, first 2 shown]
	s_cmp_gt_i32 s20, 9
	s_cbranch_scc0 .LBB47_2552
; %bb.2548:
	global_load_dwordx2 v[10:11], v[8:9], off
	s_mov_b64 s[10:11], 0
	s_waitcnt vmcnt(0)
	v_cvt_i32_f64_e32 v1, v[10:11]
	s_branch .LBB47_2553
.LBB47_2549:
	s_mov_b64 s[10:11], -1
                                        ; implicit-def: $vgpr1
	s_branch .LBB47_2571
.LBB47_2550:
	s_mov_b64 s[10:11], -1
                                        ; implicit-def: $vgpr1
	s_branch .LBB47_2559
.LBB47_2551:
	s_mov_b64 s[10:11], -1
                                        ; implicit-def: $vgpr1
	s_branch .LBB47_2556
.LBB47_2552:
	s_mov_b64 s[10:11], -1
                                        ; implicit-def: $vgpr1
.LBB47_2553:
	s_andn2_b64 vcc, exec, s[10:11]
	s_cbranch_vccnz .LBB47_2555
; %bb.2554:
	global_load_dword v1, v[8:9], off
	s_waitcnt vmcnt(0)
	v_cvt_i32_f32_e32 v1, v1
.LBB47_2555:
	s_mov_b64 s[10:11], 0
.LBB47_2556:
	s_andn2_b64 vcc, exec, s[10:11]
	s_cbranch_vccnz .LBB47_2558
; %bb.2557:
	global_load_dword v1, v[8:9], off
	s_waitcnt vmcnt(0)
	v_cvt_f32_f16_e32 v1, v1
	v_cvt_i32_f32_e32 v1, v1
.LBB47_2558:
	s_mov_b64 s[10:11], 0
.LBB47_2559:
	s_andn2_b64 vcc, exec, s[10:11]
	s_cbranch_vccnz .LBB47_2570
; %bb.2560:
	s_cmp_lt_i32 s20, 6
	s_cbranch_scc1 .LBB47_2563
; %bb.2561:
	s_cmp_gt_i32 s20, 6
	s_cbranch_scc0 .LBB47_2564
; %bb.2562:
	global_load_dwordx2 v[10:11], v[8:9], off
	s_mov_b64 s[10:11], 0
	s_waitcnt vmcnt(0)
	v_cvt_i32_f64_e32 v1, v[10:11]
	s_branch .LBB47_2565
.LBB47_2563:
	s_mov_b64 s[10:11], -1
                                        ; implicit-def: $vgpr1
	s_branch .LBB47_2568
.LBB47_2564:
	s_mov_b64 s[10:11], -1
                                        ; implicit-def: $vgpr1
.LBB47_2565:
	s_andn2_b64 vcc, exec, s[10:11]
	s_cbranch_vccnz .LBB47_2567
; %bb.2566:
	global_load_dword v1, v[8:9], off
	s_waitcnt vmcnt(0)
	v_cvt_i32_f32_e32 v1, v1
.LBB47_2567:
	s_mov_b64 s[10:11], 0
.LBB47_2568:
	s_andn2_b64 vcc, exec, s[10:11]
	s_cbranch_vccnz .LBB47_2570
; %bb.2569:
	global_load_ushort v1, v[8:9], off
	s_waitcnt vmcnt(0)
	v_cvt_f32_f16_e32 v1, v1
	v_cvt_i32_f32_e32 v1, v1
.LBB47_2570:
	s_mov_b64 s[10:11], 0
.LBB47_2571:
	s_andn2_b64 vcc, exec, s[10:11]
	s_cbranch_vccnz .LBB47_2591
; %bb.2572:
	s_cmp_lt_i32 s20, 2
	s_cbranch_scc1 .LBB47_2576
; %bb.2573:
	s_cmp_lt_i32 s20, 3
	s_cbranch_scc1 .LBB47_2577
; %bb.2574:
	s_cmp_gt_i32 s20, 3
	s_cbranch_scc0 .LBB47_2578
; %bb.2575:
	global_load_dword v1, v[8:9], off
	s_mov_b64 s[10:11], 0
	s_branch .LBB47_2579
.LBB47_2576:
	s_mov_b64 s[10:11], -1
                                        ; implicit-def: $vgpr1
	s_branch .LBB47_2585
.LBB47_2577:
	s_mov_b64 s[10:11], -1
                                        ; implicit-def: $vgpr1
	s_branch .LBB47_2582
.LBB47_2578:
	s_mov_b64 s[10:11], -1
                                        ; implicit-def: $vgpr1
.LBB47_2579:
	s_andn2_b64 vcc, exec, s[10:11]
	s_cbranch_vccnz .LBB47_2581
; %bb.2580:
	global_load_dword v1, v[8:9], off
.LBB47_2581:
	s_mov_b64 s[10:11], 0
.LBB47_2582:
	s_andn2_b64 vcc, exec, s[10:11]
	s_cbranch_vccnz .LBB47_2584
; %bb.2583:
	global_load_sshort v1, v[8:9], off
.LBB47_2584:
	s_mov_b64 s[10:11], 0
.LBB47_2585:
	s_andn2_b64 vcc, exec, s[10:11]
	s_cbranch_vccnz .LBB47_2591
; %bb.2586:
	s_cmp_gt_i32 s20, 0
	s_cbranch_scc0 .LBB47_2588
; %bb.2587:
	global_load_sbyte v1, v[8:9], off
	s_mov_b64 s[10:11], 0
	s_branch .LBB47_2589
.LBB47_2588:
	s_mov_b64 s[10:11], -1
                                        ; implicit-def: $vgpr1
.LBB47_2589:
	s_andn2_b64 vcc, exec, s[10:11]
	s_cbranch_vccnz .LBB47_2591
; %bb.2590:
	global_load_ubyte v1, v[8:9], off
.LBB47_2591:
	s_mov_b64 s[22:23], -1
.LBB47_2592:
	s_andn2_b64 vcc, exec, s[22:23]
	s_cbranch_vccnz .LBB47_2723
; %bb.2593:
	s_waitcnt vmcnt(0)
	v_mov_b32_e32 v3, s1
	v_add_co_u32_e32 v7, vcc, s0, v7
	s_cmp_lt_i32 s28, 11
	v_addc_co_u32_e32 v8, vcc, 0, v3, vcc
	s_cbranch_scc1 .LBB47_2600
; %bb.2594:
	s_and_b32 s24, 0xffff, s28
	s_cmp_gt_i32 s24, 25
	s_mov_b64 s[10:11], 0
	s_cbranch_scc0 .LBB47_2601
; %bb.2595:
	s_cmp_gt_i32 s24, 28
	s_cbranch_scc0 .LBB47_2602
; %bb.2596:
	s_cmp_gt_i32 s24, 43
	;; [unrolled: 3-line block ×3, first 2 shown]
	s_cbranch_scc0 .LBB47_2605
; %bb.2598:
	s_cmp_eq_u32 s24, 46
	s_mov_b64 s[22:23], 0
	s_cbranch_scc0 .LBB47_2606
; %bb.2599:
	global_load_dword v3, v[7:8], off
	s_mov_b64 s[0:1], 0
	s_mov_b64 s[20:21], -1
	s_waitcnt vmcnt(0)
	v_lshlrev_b32_e32 v3, 16, v3
	v_cvt_i32_f32_e32 v3, v3
	s_branch .LBB47_2607
.LBB47_2600:
	s_mov_b64 s[0:1], -1
	s_mov_b64 s[20:21], 0
                                        ; implicit-def: $vgpr3
	s_branch .LBB47_2669
.LBB47_2601:
	s_mov_b64 s[22:23], -1
	s_mov_b64 s[20:21], 0
	s_mov_b64 s[0:1], 0
                                        ; implicit-def: $vgpr3
	s_branch .LBB47_2634
.LBB47_2602:
	s_mov_b64 s[22:23], -1
	s_mov_b64 s[20:21], 0
	s_mov_b64 s[0:1], 0
                                        ; implicit-def: $vgpr3
	s_branch .LBB47_2617
.LBB47_2603:
	s_mov_b64 s[22:23], -1
	s_mov_b64 s[20:21], 0
	s_mov_b64 s[0:1], 0
                                        ; implicit-def: $vgpr3
	s_branch .LBB47_2612
.LBB47_2604:
	s_trap 2
	s_or_b64 s[4:5], s[4:5], exec
	s_cbranch_execz .LBB47_2541
	s_branch .LBB47_2542
.LBB47_2605:
	s_mov_b64 s[22:23], -1
	s_mov_b64 s[20:21], 0
	s_mov_b64 s[0:1], 0
                                        ; implicit-def: $vgpr3
	s_branch .LBB47_2607
.LBB47_2606:
	s_mov_b64 s[0:1], -1
                                        ; implicit-def: $vgpr3
	s_mov_b64 s[20:21], 0
.LBB47_2607:
	s_and_b64 vcc, exec, s[22:23]
	s_cbranch_vccz .LBB47_2611
; %bb.2608:
	s_cmp_eq_u32 s24, 44
	s_cbranch_scc0 .LBB47_2610
; %bb.2609:
	global_load_ubyte v3, v[7:8], off
	s_mov_b64 s[0:1], 0
	s_mov_b64 s[20:21], -1
	s_waitcnt vmcnt(0)
	v_lshlrev_b32_e32 v5, 23, v3
	v_cvt_i32_f32_e32 v5, v5
	v_cmp_ne_u32_e32 vcc, 0, v3
	v_cndmask_b32_e32 v3, 0, v5, vcc
	s_branch .LBB47_2611
.LBB47_2610:
	s_mov_b64 s[0:1], -1
                                        ; implicit-def: $vgpr3
.LBB47_2611:
	s_mov_b64 s[22:23], 0
.LBB47_2612:
	s_and_b64 vcc, exec, s[22:23]
	s_cbranch_vccz .LBB47_2616
; %bb.2613:
	s_cmp_eq_u32 s24, 29
	s_cbranch_scc0 .LBB47_2615
; %bb.2614:
	global_load_dword v3, v[7:8], off
	s_mov_b64 s[0:1], 0
	s_mov_b64 s[20:21], -1
	s_branch .LBB47_2616
.LBB47_2615:
	s_mov_b64 s[0:1], -1
                                        ; implicit-def: $vgpr3
.LBB47_2616:
	s_mov_b64 s[22:23], 0
.LBB47_2617:
	s_and_b64 vcc, exec, s[22:23]
	s_cbranch_vccz .LBB47_2633
; %bb.2618:
	s_cmp_lt_i32 s24, 27
	s_cbranch_scc1 .LBB47_2621
; %bb.2619:
	s_cmp_gt_i32 s24, 27
	s_cbranch_scc0 .LBB47_2622
; %bb.2620:
	global_load_dword v3, v[7:8], off
	s_mov_b64 s[20:21], 0
	s_branch .LBB47_2623
.LBB47_2621:
	s_mov_b64 s[20:21], -1
                                        ; implicit-def: $vgpr3
	s_branch .LBB47_2626
.LBB47_2622:
	s_mov_b64 s[20:21], -1
                                        ; implicit-def: $vgpr3
.LBB47_2623:
	s_andn2_b64 vcc, exec, s[20:21]
	s_cbranch_vccnz .LBB47_2625
; %bb.2624:
	global_load_ushort v3, v[7:8], off
.LBB47_2625:
	s_mov_b64 s[20:21], 0
.LBB47_2626:
	s_andn2_b64 vcc, exec, s[20:21]
	s_cbranch_vccnz .LBB47_2632
; %bb.2627:
	global_load_ubyte v5, v[7:8], off
	s_movk_i32 s20, 0x7f
	s_mov_b64 s[22:23], 0
	s_waitcnt vmcnt(0)
	v_cmp_lt_i16_e32 vcc, s20, v5
	s_and_saveexec_b64 s[20:21], vcc
	s_xor_b64 s[20:21], exec, s[20:21]
	s_cbranch_execz .LBB47_2644
; %bb.2628:
	s_movk_i32 s22, 0x80
	v_cmp_ne_u16_e32 vcc, s22, v5
	s_and_b64 s[22:23], vcc, exec
	s_andn2_saveexec_b64 s[20:21], s[20:21]
	s_cbranch_execnz .LBB47_2645
.LBB47_2629:
	s_or_b64 exec, exec, s[20:21]
	v_mov_b32_e32 v3, 0
	s_and_saveexec_b64 s[20:21], s[22:23]
	s_cbranch_execz .LBB47_2631
.LBB47_2630:
	v_lshlrev_b32_e32 v3, 24, v5
	v_and_b32_e32 v5, 0xffff, v5
	v_and_b32_e32 v9, 7, v5
	v_ffbh_u32_e32 v11, v9
	v_min_u32_e32 v11, 32, v11
	v_subrev_u32_e32 v12, 28, v11
	v_bfe_u32 v10, v5, 3, 4
	v_lshlrev_b32_e32 v5, v12, v5
	v_sub_u32_e32 v11, 29, v11
	v_and_b32_e32 v5, 7, v5
	v_cmp_eq_u32_e32 vcc, 0, v10
	v_cndmask_b32_e32 v10, v10, v11, vcc
	v_cndmask_b32_e32 v5, v9, v5, vcc
	v_mov_b32_e32 v9, 0x3b800000
	v_lshlrev_b32_e32 v5, 20, v5
	v_and_b32_e32 v3, 0x80000000, v3
	v_lshl_add_u32 v9, v10, 23, v9
	v_or3_b32 v3, v3, v9, v5
	v_cvt_i32_f32_e32 v3, v3
.LBB47_2631:
	s_or_b64 exec, exec, s[20:21]
.LBB47_2632:
	s_mov_b64 s[20:21], -1
.LBB47_2633:
	s_mov_b64 s[22:23], 0
.LBB47_2634:
	s_and_b64 vcc, exec, s[22:23]
	s_cbranch_vccz .LBB47_2665
; %bb.2635:
	s_cmp_gt_i32 s24, 22
	s_cbranch_scc0 .LBB47_2643
; %bb.2636:
	s_cmp_lt_i32 s24, 24
	s_cbranch_scc1 .LBB47_2646
; %bb.2637:
	s_cmp_gt_i32 s24, 24
	s_cbranch_scc0 .LBB47_2647
; %bb.2638:
	global_load_ubyte v5, v[7:8], off
	s_movk_i32 s10, 0x7f
	s_mov_b64 s[20:21], 0
	s_waitcnt vmcnt(0)
	v_cmp_lt_i16_e32 vcc, s10, v5
	s_and_saveexec_b64 s[10:11], vcc
	s_xor_b64 s[10:11], exec, s[10:11]
	s_cbranch_execz .LBB47_2659
; %bb.2639:
	s_movk_i32 s20, 0x80
	v_cmp_ne_u16_e32 vcc, s20, v5
	s_and_b64 s[20:21], vcc, exec
	s_andn2_saveexec_b64 s[10:11], s[10:11]
	s_cbranch_execnz .LBB47_2660
.LBB47_2640:
	s_or_b64 exec, exec, s[10:11]
	v_mov_b32_e32 v3, 0
	s_and_saveexec_b64 s[10:11], s[20:21]
	s_cbranch_execz .LBB47_2642
.LBB47_2641:
	v_lshlrev_b32_e32 v3, 24, v5
	v_and_b32_e32 v5, 0xffff, v5
	v_and_b32_e32 v9, 3, v5
	v_ffbh_u32_e32 v11, v9
	v_min_u32_e32 v11, 32, v11
	v_subrev_u32_e32 v12, 29, v11
	v_bfe_u32 v10, v5, 2, 5
	v_lshlrev_b32_e32 v5, v12, v5
	v_sub_u32_e32 v11, 30, v11
	v_and_b32_e32 v5, 3, v5
	v_cmp_eq_u32_e32 vcc, 0, v10
	v_cndmask_b32_e32 v10, v10, v11, vcc
	v_cndmask_b32_e32 v5, v9, v5, vcc
	v_mov_b32_e32 v9, 0x37800000
	v_lshlrev_b32_e32 v5, 21, v5
	v_and_b32_e32 v3, 0x80000000, v3
	v_lshl_add_u32 v9, v10, 23, v9
	v_or3_b32 v3, v3, v9, v5
	v_cvt_i32_f32_e32 v3, v3
.LBB47_2642:
	s_or_b64 exec, exec, s[10:11]
	s_mov_b64 s[10:11], 0
	s_branch .LBB47_2648
.LBB47_2643:
	s_mov_b64 s[10:11], -1
                                        ; implicit-def: $vgpr3
	s_branch .LBB47_2654
.LBB47_2644:
	s_andn2_saveexec_b64 s[20:21], s[20:21]
	s_cbranch_execz .LBB47_2629
.LBB47_2645:
	v_cmp_ne_u16_e32 vcc, 0, v5
	s_andn2_b64 s[22:23], s[22:23], exec
	s_and_b64 s[30:31], vcc, exec
	s_or_b64 s[22:23], s[22:23], s[30:31]
	s_or_b64 exec, exec, s[20:21]
	v_mov_b32_e32 v3, 0
	s_and_saveexec_b64 s[20:21], s[22:23]
	s_cbranch_execnz .LBB47_2630
	s_branch .LBB47_2631
.LBB47_2646:
	s_mov_b64 s[10:11], -1
                                        ; implicit-def: $vgpr3
	s_branch .LBB47_2651
.LBB47_2647:
	s_mov_b64 s[10:11], -1
                                        ; implicit-def: $vgpr3
.LBB47_2648:
	s_and_b64 vcc, exec, s[10:11]
	s_cbranch_vccz .LBB47_2650
; %bb.2649:
	global_load_ubyte v3, v[7:8], off
	s_mov_b32 s10, 0x7f800000
	s_waitcnt vmcnt(0)
	v_lshlrev_b32_e32 v3, 24, v3
	v_and_b32_e32 v5, 0x7f000000, v3
	v_ffbh_u32_e32 v9, v5
	v_min_u32_e32 v9, 32, v9
	v_sub_u32_e64 v9, v9, 4 clamp
	v_lshlrev_b32_e32 v11, v9, v5
	v_lshlrev_b32_e32 v9, 23, v9
	v_lshrrev_b32_e32 v11, 4, v11
	v_add_u32_e32 v10, 0x1000000, v5
	v_sub_u32_e32 v9, v11, v9
	v_ashrrev_i32_e32 v10, 8, v10
	v_add_u32_e32 v9, 0x3c000000, v9
	v_and_or_b32 v9, v10, s10, v9
	v_cmp_ne_u32_e32 vcc, 0, v5
	v_cndmask_b32_e32 v5, 0, v9, vcc
	s_brev_b32 s10, 1
	v_and_or_b32 v3, v3, s10, v5
	v_cvt_i32_f32_e32 v3, v3
.LBB47_2650:
	s_mov_b64 s[10:11], 0
.LBB47_2651:
	s_andn2_b64 vcc, exec, s[10:11]
	s_cbranch_vccnz .LBB47_2653
; %bb.2652:
	global_load_ubyte v3, v[7:8], off
	s_movk_i32 s10, 0x7f00
	s_brev_b32 s11, 16
	s_waitcnt vmcnt(0)
	v_lshlrev_b16_e32 v5, 8, v3
	v_lshlrev_b32_e32 v3, 25, v3
	v_lshrrev_b32_e32 v9, 4, v3
	v_and_or_b32 v10, v5, s10, 0.5
	v_or_b32_e32 v9, 0x70000000, v9
	v_add_f32_e32 v10, -0.5, v10
	v_mul_f32_e32 v9, 0x7800000, v9
	v_cmp_gt_u32_e32 vcc, s11, v3
	v_bfe_i32 v5, v5, 0, 16
	v_cndmask_b32_e32 v3, v9, v10, vcc
	s_brev_b32 s10, 1
	v_and_or_b32 v3, v5, s10, v3
	v_cvt_i32_f32_e32 v3, v3
.LBB47_2653:
	s_mov_b64 s[10:11], 0
	s_mov_b64 s[20:21], -1
.LBB47_2654:
	s_andn2_b64 vcc, exec, s[10:11]
	s_mov_b64 s[10:11], 0
	s_cbranch_vccnz .LBB47_2665
; %bb.2655:
	s_cmp_gt_i32 s24, 14
	s_cbranch_scc0 .LBB47_2658
; %bb.2656:
	s_cmp_eq_u32 s24, 15
	s_cbranch_scc0 .LBB47_2661
; %bb.2657:
	global_load_ushort v3, v[7:8], off
	s_mov_b64 s[0:1], 0
	s_mov_b64 s[20:21], -1
	s_waitcnt vmcnt(0)
	v_lshlrev_b32_e32 v3, 16, v3
	v_cvt_i32_f32_e32 v3, v3
	s_branch .LBB47_2662
.LBB47_2658:
	s_mov_b64 s[22:23], -1
                                        ; implicit-def: $vgpr3
	s_branch .LBB47_2663
.LBB47_2659:
	s_andn2_saveexec_b64 s[10:11], s[10:11]
	s_cbranch_execz .LBB47_2640
.LBB47_2660:
	v_cmp_ne_u16_e32 vcc, 0, v5
	s_andn2_b64 s[20:21], s[20:21], exec
	s_and_b64 s[22:23], vcc, exec
	s_or_b64 s[20:21], s[20:21], s[22:23]
	s_or_b64 exec, exec, s[10:11]
	v_mov_b32_e32 v3, 0
	s_and_saveexec_b64 s[10:11], s[20:21]
	s_cbranch_execnz .LBB47_2641
	s_branch .LBB47_2642
.LBB47_2661:
	s_mov_b64 s[0:1], -1
                                        ; implicit-def: $vgpr3
.LBB47_2662:
	s_mov_b64 s[22:23], 0
.LBB47_2663:
	s_and_b64 vcc, exec, s[22:23]
	s_cbranch_vccz .LBB47_2665
; %bb.2664:
	s_cmp_lg_u32 s24, 11
	s_mov_b64 s[10:11], -1
	s_cselect_b64 s[0:1], -1, 0
.LBB47_2665:
	s_and_b64 vcc, exec, s[0:1]
	s_cbranch_vccnz .LBB47_3217
; %bb.2666:
	s_andn2_b64 vcc, exec, s[10:11]
	s_cbranch_vccnz .LBB47_2668
.LBB47_2667:
	global_load_ubyte v3, v[7:8], off
	s_mov_b64 s[20:21], -1
	s_waitcnt vmcnt(0)
	v_cmp_ne_u16_e32 vcc, 0, v3
	v_cndmask_b32_e64 v3, 0, 1, vcc
.LBB47_2668:
	s_mov_b64 s[0:1], 0
.LBB47_2669:
	s_and_b64 vcc, exec, s[0:1]
	s_cbranch_vccz .LBB47_2718
; %bb.2670:
	s_and_b32 s10, 0xffff, s28
	s_cmp_lt_i32 s10, 5
	s_cbranch_scc1 .LBB47_2675
; %bb.2671:
	s_cmp_lt_i32 s10, 8
	s_cbranch_scc1 .LBB47_2676
; %bb.2672:
	;; [unrolled: 3-line block ×3, first 2 shown]
	s_cmp_gt_i32 s10, 9
	s_cbranch_scc0 .LBB47_2678
; %bb.2674:
	global_load_dwordx2 v[9:10], v[7:8], off
	s_mov_b64 s[0:1], 0
	s_waitcnt vmcnt(0)
	v_cvt_i32_f64_e32 v3, v[9:10]
	s_branch .LBB47_2679
.LBB47_2675:
	s_mov_b64 s[0:1], -1
                                        ; implicit-def: $vgpr3
	s_branch .LBB47_2697
.LBB47_2676:
	s_mov_b64 s[0:1], -1
                                        ; implicit-def: $vgpr3
	s_branch .LBB47_2685
.LBB47_2677:
	s_mov_b64 s[0:1], -1
                                        ; implicit-def: $vgpr3
	s_branch .LBB47_2682
.LBB47_2678:
	s_mov_b64 s[0:1], -1
                                        ; implicit-def: $vgpr3
.LBB47_2679:
	s_andn2_b64 vcc, exec, s[0:1]
	s_cbranch_vccnz .LBB47_2681
; %bb.2680:
	global_load_dword v3, v[7:8], off
	s_waitcnt vmcnt(0)
	v_cvt_i32_f32_e32 v3, v3
.LBB47_2681:
	s_mov_b64 s[0:1], 0
.LBB47_2682:
	s_andn2_b64 vcc, exec, s[0:1]
	s_cbranch_vccnz .LBB47_2684
; %bb.2683:
	global_load_dword v3, v[7:8], off
	s_waitcnt vmcnt(0)
	v_cvt_f32_f16_e32 v3, v3
	v_cvt_i32_f32_e32 v3, v3
.LBB47_2684:
	s_mov_b64 s[0:1], 0
.LBB47_2685:
	s_andn2_b64 vcc, exec, s[0:1]
	s_cbranch_vccnz .LBB47_2696
; %bb.2686:
	s_cmp_lt_i32 s10, 6
	s_cbranch_scc1 .LBB47_2689
; %bb.2687:
	s_cmp_gt_i32 s10, 6
	s_cbranch_scc0 .LBB47_2690
; %bb.2688:
	global_load_dwordx2 v[9:10], v[7:8], off
	s_mov_b64 s[0:1], 0
	s_waitcnt vmcnt(0)
	v_cvt_i32_f64_e32 v3, v[9:10]
	s_branch .LBB47_2691
.LBB47_2689:
	s_mov_b64 s[0:1], -1
                                        ; implicit-def: $vgpr3
	s_branch .LBB47_2694
.LBB47_2690:
	s_mov_b64 s[0:1], -1
                                        ; implicit-def: $vgpr3
.LBB47_2691:
	s_andn2_b64 vcc, exec, s[0:1]
	s_cbranch_vccnz .LBB47_2693
; %bb.2692:
	global_load_dword v3, v[7:8], off
	s_waitcnt vmcnt(0)
	v_cvt_i32_f32_e32 v3, v3
.LBB47_2693:
	s_mov_b64 s[0:1], 0
.LBB47_2694:
	s_andn2_b64 vcc, exec, s[0:1]
	s_cbranch_vccnz .LBB47_2696
; %bb.2695:
	global_load_ushort v3, v[7:8], off
	s_waitcnt vmcnt(0)
	v_cvt_f32_f16_e32 v3, v3
	v_cvt_i32_f32_e32 v3, v3
.LBB47_2696:
	s_mov_b64 s[0:1], 0
.LBB47_2697:
	s_andn2_b64 vcc, exec, s[0:1]
	s_cbranch_vccnz .LBB47_2717
; %bb.2698:
	s_cmp_lt_i32 s10, 2
	s_cbranch_scc1 .LBB47_2702
; %bb.2699:
	s_cmp_lt_i32 s10, 3
	s_cbranch_scc1 .LBB47_2703
; %bb.2700:
	s_cmp_gt_i32 s10, 3
	s_cbranch_scc0 .LBB47_2704
; %bb.2701:
	global_load_dword v3, v[7:8], off
	s_mov_b64 s[0:1], 0
	s_branch .LBB47_2705
.LBB47_2702:
	s_mov_b64 s[0:1], -1
                                        ; implicit-def: $vgpr3
	s_branch .LBB47_2711
.LBB47_2703:
	s_mov_b64 s[0:1], -1
                                        ; implicit-def: $vgpr3
	s_branch .LBB47_2708
.LBB47_2704:
	s_mov_b64 s[0:1], -1
                                        ; implicit-def: $vgpr3
.LBB47_2705:
	s_andn2_b64 vcc, exec, s[0:1]
	s_cbranch_vccnz .LBB47_2707
; %bb.2706:
	global_load_dword v3, v[7:8], off
.LBB47_2707:
	s_mov_b64 s[0:1], 0
.LBB47_2708:
	s_andn2_b64 vcc, exec, s[0:1]
	s_cbranch_vccnz .LBB47_2710
; %bb.2709:
	global_load_sshort v3, v[7:8], off
.LBB47_2710:
	s_mov_b64 s[0:1], 0
.LBB47_2711:
	s_andn2_b64 vcc, exec, s[0:1]
	s_cbranch_vccnz .LBB47_2717
; %bb.2712:
	s_cmp_gt_i32 s10, 0
	s_cbranch_scc0 .LBB47_2714
; %bb.2713:
	global_load_sbyte v3, v[7:8], off
	s_mov_b64 s[0:1], 0
	s_branch .LBB47_2715
.LBB47_2714:
	s_mov_b64 s[0:1], -1
                                        ; implicit-def: $vgpr3
.LBB47_2715:
	s_andn2_b64 vcc, exec, s[0:1]
	s_cbranch_vccnz .LBB47_2717
; %bb.2716:
	global_load_ubyte v3, v[7:8], off
.LBB47_2717:
	s_mov_b64 s[20:21], -1
.LBB47_2718:
	s_andn2_b64 vcc, exec, s[20:21]
	s_cbranch_vccnz .LBB47_2723
; %bb.2719:
	s_cmp_lt_i32 s26, 1
	s_mov_b64 s[0:1], 0
	s_cbranch_scc1 .LBB47_2769
; %bb.2720:
	s_cmp_gt_i32 s26, 1
	s_cbranch_scc0 .LBB47_2770
; %bb.2721:
	s_cmp_eq_u32 s26, 2
	s_cbranch_scc0 .LBB47_2771
; %bb.2722:
	s_waitcnt vmcnt(0)
	v_cmp_le_i32_e64 s[10:11], v1, v3
	s_mov_b64 s[20:21], 0
	s_branch .LBB47_2772
.LBB47_2723:
	s_mov_b64 s[0:1], 0
                                        ; implicit-def: $sgpr10_sgpr11
.LBB47_2724:
	s_mov_b64 s[2:3], 0
                                        ; implicit-def: $vgpr0_vgpr1
                                        ; implicit-def: $sgpr26
.LBB47_2725:
	s_and_b64 s[6:7], s[2:3], exec
	s_andn2_b64 s[2:3], s[12:13], exec
	s_and_b64 s[4:5], s[4:5], exec
	s_and_b64 s[0:1], s[0:1], exec
	s_or_b64 s[12:13], s[2:3], s[4:5]
.LBB47_2726:
	s_or_b64 exec, exec, s[14:15]
	s_and_saveexec_b64 s[2:3], s[12:13]
	s_cbranch_execz .LBB47_2729
; %bb.2727:
	; divergent unreachable
	s_or_b64 exec, exec, s[2:3]
	s_and_saveexec_b64 s[2:3], s[6:7]
	s_xor_b64 s[2:3], exec, s[2:3]
	s_cbranch_execnz .LBB47_2730
.LBB47_2728:
	s_or_b64 exec, exec, s[2:3]
	s_and_saveexec_b64 s[2:3], s[0:1]
	s_cbranch_execnz .LBB47_2731
	s_branch .LBB47_2768
.LBB47_2729:
	s_or_b64 exec, exec, s[2:3]
	s_and_saveexec_b64 s[2:3], s[6:7]
	s_xor_b64 s[2:3], exec, s[2:3]
	s_cbranch_execz .LBB47_2728
.LBB47_2730:
	v_cndmask_b32_e64 v2, 0, 1, s[10:11]
	s_waitcnt vmcnt(0)
	global_store_byte v[0:1], v2, off
	s_or_b64 exec, exec, s[2:3]
	s_and_saveexec_b64 s[2:3], s[0:1]
	s_cbranch_execz .LBB47_2768
.LBB47_2731:
	s_sext_i32_i16 s2, s26
	s_cmp_lt_i32 s2, 5
	s_mov_b64 s[0:1], -1
	s_cbranch_scc1 .LBB47_2752
; %bb.2732:
	s_cmp_lt_i32 s2, 8
	s_cbranch_scc1 .LBB47_2742
; %bb.2733:
	s_cmp_lt_i32 s2, 9
	s_cbranch_scc1 .LBB47_2739
; %bb.2734:
	s_cmp_gt_i32 s2, 9
	s_cbranch_scc0 .LBB47_2736
; %bb.2735:
	v_cndmask_b32_e64 v2, 0, 1, s[10:11]
	s_waitcnt vmcnt(0)
	v_cvt_f64_u32_e32 v[2:3], v2
	v_mov_b32_e32 v4, 0
	v_mov_b32_e32 v5, v4
	s_mov_b64 s[0:1], 0
	global_store_dwordx4 v[0:1], v[2:5], off
.LBB47_2736:
	s_andn2_b64 vcc, exec, s[0:1]
	s_cbranch_vccnz .LBB47_2738
; %bb.2737:
	v_cndmask_b32_e64 v2, 0, 1.0, s[10:11]
	s_waitcnt vmcnt(0)
	v_mov_b32_e32 v3, 0
	global_store_dwordx2 v[0:1], v[2:3], off
.LBB47_2738:
	s_mov_b64 s[0:1], 0
.LBB47_2739:
	s_andn2_b64 vcc, exec, s[0:1]
	s_cbranch_vccnz .LBB47_2741
; %bb.2740:
	v_cndmask_b32_e64 v2, 0, 1.0, s[10:11]
	v_cvt_f16_f32_e32 v2, v2
	s_waitcnt vmcnt(0)
	global_store_dword v[0:1], v2, off
.LBB47_2741:
	s_mov_b64 s[0:1], 0
.LBB47_2742:
	s_andn2_b64 vcc, exec, s[0:1]
	s_cbranch_vccnz .LBB47_2751
; %bb.2743:
	s_sext_i32_i16 s2, s26
	s_cmp_lt_i32 s2, 6
	s_mov_b64 s[0:1], -1
	s_cbranch_scc1 .LBB47_2749
; %bb.2744:
	s_cmp_gt_i32 s2, 6
	s_cbranch_scc0 .LBB47_2746
; %bb.2745:
	v_cndmask_b32_e64 v2, 0, 1, s[10:11]
	s_waitcnt vmcnt(0)
	v_cvt_f64_u32_e32 v[2:3], v2
	s_mov_b64 s[0:1], 0
	global_store_dwordx2 v[0:1], v[2:3], off
.LBB47_2746:
	s_andn2_b64 vcc, exec, s[0:1]
	s_cbranch_vccnz .LBB47_2748
; %bb.2747:
	v_cndmask_b32_e64 v2, 0, 1.0, s[10:11]
	s_waitcnt vmcnt(0)
	global_store_dword v[0:1], v2, off
.LBB47_2748:
	s_mov_b64 s[0:1], 0
.LBB47_2749:
	s_andn2_b64 vcc, exec, s[0:1]
	s_cbranch_vccnz .LBB47_2751
; %bb.2750:
	v_cndmask_b32_e64 v2, 0, 1.0, s[10:11]
	v_cvt_f16_f32_e32 v2, v2
	s_waitcnt vmcnt(0)
	global_store_short v[0:1], v2, off
.LBB47_2751:
	s_mov_b64 s[0:1], 0
.LBB47_2752:
	s_andn2_b64 vcc, exec, s[0:1]
	s_cbranch_vccnz .LBB47_2768
; %bb.2753:
	s_sext_i32_i16 s2, s26
	s_cmp_lt_i32 s2, 2
	s_mov_b64 s[0:1], -1
	s_cbranch_scc1 .LBB47_2763
; %bb.2754:
	s_cmp_lt_i32 s2, 3
	s_cbranch_scc1 .LBB47_2760
; %bb.2755:
	s_cmp_gt_i32 s2, 3
	s_cbranch_scc0 .LBB47_2757
; %bb.2756:
	s_mov_b32 s0, 0
	v_cndmask_b32_e64 v2, 0, 1, s[10:11]
	s_waitcnt vmcnt(0)
	v_mov_b32_e32 v3, s0
	global_store_dwordx2 v[0:1], v[2:3], off
	s_mov_b64 s[0:1], 0
.LBB47_2757:
	s_andn2_b64 vcc, exec, s[0:1]
	s_cbranch_vccnz .LBB47_2759
; %bb.2758:
	v_cndmask_b32_e64 v2, 0, 1, s[10:11]
	s_waitcnt vmcnt(0)
	global_store_dword v[0:1], v2, off
.LBB47_2759:
	s_mov_b64 s[0:1], 0
.LBB47_2760:
	s_andn2_b64 vcc, exec, s[0:1]
	s_cbranch_vccnz .LBB47_2762
; %bb.2761:
	v_cndmask_b32_e64 v2, 0, 1, s[10:11]
	s_waitcnt vmcnt(0)
	global_store_short v[0:1], v2, off
.LBB47_2762:
	s_mov_b64 s[0:1], 0
.LBB47_2763:
	s_andn2_b64 vcc, exec, s[0:1]
	s_cbranch_vccnz .LBB47_2768
; %bb.2764:
	s_sext_i32_i16 s0, s26
	s_cmp_gt_i32 s0, 0
	s_mov_b64 s[0:1], -1
	s_cbranch_scc0 .LBB47_2766
; %bb.2765:
	v_cndmask_b32_e64 v2, 0, 1, s[10:11]
	s_waitcnt vmcnt(0)
	global_store_byte v[0:1], v2, off
	s_mov_b64 s[0:1], 0
.LBB47_2766:
	s_andn2_b64 vcc, exec, s[0:1]
	s_cbranch_vccnz .LBB47_2768
; %bb.2767:
	v_cndmask_b32_e64 v2, 0, 1, s[10:11]
	s_waitcnt vmcnt(0)
	global_store_byte v[0:1], v2, off
	s_endpgm
.LBB47_2768:
	s_endpgm
.LBB47_2769:
	s_mov_b64 s[22:23], -1
                                        ; implicit-def: $sgpr10_sgpr11
	s_mov_b64 s[20:21], 0
	s_branch .LBB47_2776
.LBB47_2770:
	s_mov_b64 s[22:23], -1
	s_mov_b64 s[20:21], 0
                                        ; implicit-def: $sgpr10_sgpr11
	s_branch .LBB47_2773
.LBB47_2771:
	s_mov_b64 s[20:21], -1
                                        ; implicit-def: $sgpr10_sgpr11
.LBB47_2772:
	s_mov_b64 s[22:23], 0
.LBB47_2773:
	s_and_b64 vcc, exec, s[22:23]
	s_cbranch_vccz .LBB47_2775
; %bb.2774:
	s_waitcnt vmcnt(0)
	v_cmp_gt_i32_e32 vcc, v1, v3
	s_andn2_b64 s[10:11], s[10:11], exec
	s_and_b64 s[22:23], vcc, exec
	s_or_b64 s[10:11], s[10:11], s[22:23]
.LBB47_2775:
	s_mov_b64 s[22:23], 0
.LBB47_2776:
	s_and_b64 vcc, exec, s[22:23]
	s_cbranch_vccz .LBB47_2858
; %bb.2777:
	s_cmp_lg_u32 s26, 0
	s_mov_b64 s[0:1], -1
	s_cselect_b64 s[20:21], -1, 0
	s_andn2_b64 vcc, exec, s[20:21]
	s_cbranch_vccz .LBB47_2859
.LBB47_2778:
	s_andn2_b64 vcc, exec, s[0:1]
	s_cbranch_vccnz .LBB47_2780
.LBB47_2779:
	s_waitcnt vmcnt(0)
	v_cmp_ge_i32_e32 vcc, v1, v3
	s_andn2_b64 s[0:1], s[10:11], exec
	s_and_b64 s[10:11], vcc, exec
	s_or_b64 s[10:11], s[0:1], s[10:11]
.LBB47_2780:
	s_load_dword s0, s[2:3], 0x1a4
	v_mov_b32_e32 v1, s9
	v_add_co_u32_e32 v5, vcc, s8, v6
	v_addc_co_u32_e32 v6, vcc, 0, v1, vcc
	s_waitcnt lgkmcnt(0)
	s_and_b32 s26, s0, 0xff
	s_cmp_lt_i32 s26, 11
	s_cbranch_scc1 .LBB47_2860
; %bb.2781:
	s_and_b32 s27, 0xffff, s26
	s_mov_b64 s[22:23], -1
	s_mov_b64 s[2:3], 0
	s_cmp_gt_i32 s27, 25
	s_mov_b64 s[20:21], 0
	s_mov_b64 s[0:1], 0
	s_cbranch_scc0 .LBB47_2814
; %bb.2782:
	s_cmp_gt_i32 s27, 28
	s_cbranch_scc0 .LBB47_2797
; %bb.2783:
	s_cmp_gt_i32 s27, 43
	s_cbranch_scc0 .LBB47_2793
; %bb.2784:
	s_cmp_gt_i32 s27, 45
	s_cbranch_scc0 .LBB47_2787
; %bb.2785:
	s_mov_b64 s[0:1], -1
	s_mov_b64 s[22:23], 0
	s_cmp_eq_u32 s27, 46
	s_cbranch_scc0 .LBB47_2787
; %bb.2786:
	v_cndmask_b32_e64 v1, 0, 1.0, s[6:7]
	s_waitcnt vmcnt(0)
	v_bfe_u32 v3, v1, 16, 1
	s_movk_i32 s0, 0x7fff
	v_add3_u32 v1, v1, v3, s0
	v_lshrrev_b32_e32 v1, 16, v1
	global_store_dword v[5:6], v1, off
	s_mov_b64 s[0:1], 0
	s_mov_b64 s[20:21], -1
.LBB47_2787:
	s_and_b64 vcc, exec, s[22:23]
	s_cbranch_vccz .LBB47_2792
; %bb.2788:
	s_cmp_eq_u32 s27, 44
	s_mov_b64 s[0:1], -1
	s_cbranch_scc0 .LBB47_2792
; %bb.2789:
	s_waitcnt vmcnt(0)
	v_cndmask_b32_e64 v3, 0, 1.0, s[6:7]
	v_lshrrev_b32_e32 v1, 23, v3
	s_movk_i32 s0, 0xff
	v_cmp_ne_u32_e32 vcc, s0, v1
	v_mov_b32_e32 v7, 0xff
	s_and_saveexec_b64 s[20:21], vcc
; %bb.2790:
	s_mov_b32 s0, 0x3fffff
	v_and_b32_e32 v7, 0x400000, v3
	v_and_or_b32 v3, v3, s0, v1
	v_cmp_ne_u32_e32 vcc, 0, v7
	v_cmp_ne_u32_e64 s[0:1], 0, v3
	s_and_b64 s[0:1], vcc, s[0:1]
	v_cndmask_b32_e64 v3, 0, 1, s[0:1]
	v_add_u32_e32 v7, v1, v3
; %bb.2791:
	s_or_b64 exec, exec, s[20:21]
	s_mov_b64 s[0:1], 0
	s_mov_b64 s[20:21], -1
	global_store_byte v[5:6], v7, off
.LBB47_2792:
	s_mov_b64 s[22:23], 0
.LBB47_2793:
	s_and_b64 vcc, exec, s[22:23]
	s_cbranch_vccz .LBB47_2796
; %bb.2794:
	s_cmp_eq_u32 s27, 29
	s_mov_b64 s[0:1], -1
	s_cbranch_scc0 .LBB47_2796
; %bb.2795:
	s_mov_b32 s0, 0
	v_cndmask_b32_e64 v7, 0, 1, s[6:7]
	v_mov_b32_e32 v8, s0
	global_store_dwordx2 v[5:6], v[7:8], off
	s_mov_b64 s[0:1], 0
	s_mov_b64 s[20:21], -1
.LBB47_2796:
	s_mov_b64 s[22:23], 0
.LBB47_2797:
	s_and_b64 vcc, exec, s[22:23]
	s_cbranch_vccz .LBB47_2813
; %bb.2798:
	s_cmp_lt_i32 s27, 27
	s_mov_b64 s[20:21], -1
	s_cbranch_scc1 .LBB47_2804
; %bb.2799:
	s_cmp_gt_i32 s27, 27
	s_cbranch_scc0 .LBB47_2801
; %bb.2800:
	v_cndmask_b32_e64 v1, 0, 1, s[6:7]
	s_mov_b64 s[20:21], 0
	global_store_dword v[5:6], v1, off
.LBB47_2801:
	s_andn2_b64 vcc, exec, s[20:21]
	s_cbranch_vccnz .LBB47_2803
; %bb.2802:
	v_cndmask_b32_e64 v1, 0, 1, s[6:7]
	global_store_short v[5:6], v1, off
.LBB47_2803:
	s_mov_b64 s[20:21], 0
.LBB47_2804:
	s_andn2_b64 vcc, exec, s[20:21]
	s_cbranch_vccnz .LBB47_2812
; %bb.2805:
	s_waitcnt vmcnt(0)
	v_cndmask_b32_e64 v3, 0, 1.0, s[6:7]
	s_mov_b32 s20, 0x43800000
	v_cmp_gt_u32_e32 vcc, s20, v3
	v_mov_b32_e32 v7, 0x80
	s_and_saveexec_b64 s[20:21], vcc
	s_cbranch_execz .LBB47_2811
; %bb.2806:
	s_mov_b32 s22, 0x3bffffff
	v_cmp_lt_u32_e32 vcc, s22, v3
	s_mov_b64 s[22:23], 0
                                        ; implicit-def: $vgpr1
	s_and_saveexec_b64 s[24:25], vcc
	s_xor_b64 s[24:25], exec, s[24:25]
	s_cbranch_execz .LBB47_3218
; %bb.2807:
	v_bfe_u32 v1, v3, 20, 1
	s_mov_b32 s28, 0x487ffff
	v_add3_u32 v1, v3, v1, s28
	s_mov_b64 s[22:23], exec
	v_lshrrev_b32_e32 v1, 20, v1
                                        ; implicit-def: $vgpr3
	s_andn2_saveexec_b64 s[24:25], s[24:25]
	s_cbranch_execnz .LBB47_3219
.LBB47_2808:
	s_or_b64 exec, exec, s[24:25]
	v_mov_b32_e32 v7, 0
	s_and_saveexec_b64 s[24:25], s[22:23]
.LBB47_2809:
	v_mov_b32_e32 v7, v1
.LBB47_2810:
	s_or_b64 exec, exec, s[24:25]
.LBB47_2811:
	s_or_b64 exec, exec, s[20:21]
	global_store_byte v[5:6], v7, off
.LBB47_2812:
	s_mov_b64 s[20:21], -1
.LBB47_2813:
	s_mov_b64 s[22:23], 0
.LBB47_2814:
	s_and_b64 vcc, exec, s[22:23]
	s_cbranch_vccz .LBB47_2854
; %bb.2815:
	s_cmp_gt_i32 s27, 22
	s_mov_b64 s[2:3], -1
	s_cbranch_scc0 .LBB47_2847
; %bb.2816:
	s_cmp_lt_i32 s27, 24
	s_cbranch_scc1 .LBB47_2836
; %bb.2817:
	s_cmp_gt_i32 s27, 24
	s_cbranch_scc0 .LBB47_2825
; %bb.2818:
	s_waitcnt vmcnt(0)
	v_cndmask_b32_e64 v3, 0, 1.0, s[6:7]
	s_mov_b32 s2, 0x47800000
	v_cmp_gt_u32_e32 vcc, s2, v3
	v_mov_b32_e32 v7, 0x80
	s_and_saveexec_b64 s[2:3], vcc
	s_cbranch_execz .LBB47_2824
; %bb.2819:
	s_mov_b32 s20, 0x37ffffff
	v_cmp_lt_u32_e32 vcc, s20, v3
	s_mov_b64 s[20:21], 0
                                        ; implicit-def: $vgpr1
	s_and_saveexec_b64 s[22:23], vcc
	s_xor_b64 s[22:23], exec, s[22:23]
	s_cbranch_execz .LBB47_3221
; %bb.2820:
	v_bfe_u32 v1, v3, 21, 1
	s_mov_b32 s24, 0x88fffff
	v_add3_u32 v1, v3, v1, s24
	s_mov_b64 s[20:21], exec
	v_lshrrev_b32_e32 v1, 21, v1
                                        ; implicit-def: $vgpr3
	s_andn2_saveexec_b64 s[22:23], s[22:23]
	s_cbranch_execnz .LBB47_3222
.LBB47_2821:
	s_or_b64 exec, exec, s[22:23]
	v_mov_b32_e32 v7, 0
	s_and_saveexec_b64 s[22:23], s[20:21]
.LBB47_2822:
	v_mov_b32_e32 v7, v1
.LBB47_2823:
	s_or_b64 exec, exec, s[22:23]
.LBB47_2824:
	s_or_b64 exec, exec, s[2:3]
	s_mov_b64 s[2:3], 0
	global_store_byte v[5:6], v7, off
.LBB47_2825:
	s_and_b64 vcc, exec, s[2:3]
	s_cbranch_vccz .LBB47_2835
; %bb.2826:
	v_cndmask_b32_e64 v1, 0, 1.0, s[6:7]
	s_mov_b32 s2, 0x43f00000
	v_cmp_gt_u32_e32 vcc, s2, v1
                                        ; implicit-def: $vgpr3
	s_and_saveexec_b64 s[2:3], vcc
	s_xor_b64 s[2:3], exec, s[2:3]
	s_cbranch_execz .LBB47_2832
; %bb.2827:
	s_mov_b32 s20, 0x3c7fffff
	v_cmp_lt_u32_e32 vcc, s20, v1
                                        ; implicit-def: $vgpr3
	s_and_saveexec_b64 s[20:21], vcc
	s_xor_b64 s[20:21], exec, s[20:21]
	s_cbranch_execz .LBB47_2829
; %bb.2828:
	s_waitcnt vmcnt(0)
	v_bfe_u32 v3, v1, 20, 1
	s_mov_b32 s22, 0x407ffff
	v_add3_u32 v1, v1, v3, s22
	v_lshrrev_b32_e32 v3, 20, v1
	v_and_b32_e32 v1, 0xff00000, v1
	s_mov_b32 s22, 0x7f00000
	v_mov_b32_e32 v7, 0x7e
	v_cmp_ne_u32_e32 vcc, s22, v1
	v_cndmask_b32_e32 v3, v7, v3, vcc
                                        ; implicit-def: $vgpr1
.LBB47_2829:
	s_andn2_saveexec_b64 s[20:21], s[20:21]
	s_cbranch_execz .LBB47_2831
; %bb.2830:
	s_waitcnt vmcnt(0)
	v_add_f32_e32 v3, 0x46800000, v1
.LBB47_2831:
	s_or_b64 exec, exec, s[20:21]
                                        ; implicit-def: $vgpr1
.LBB47_2832:
	s_andn2_saveexec_b64 s[2:3], s[2:3]
	s_cbranch_execz .LBB47_2834
; %bb.2833:
	s_mov_b32 s20, 0x7f800000
	s_waitcnt vmcnt(0)
	v_mov_b32_e32 v3, 0x7e
	v_mov_b32_e32 v7, 0x7f
	v_cmp_lt_u32_e32 vcc, s20, v1
	v_cndmask_b32_e32 v3, v3, v7, vcc
.LBB47_2834:
	s_or_b64 exec, exec, s[2:3]
	s_waitcnt vmcnt(0)
	global_store_byte v[5:6], v3, off
.LBB47_2835:
	s_mov_b64 s[2:3], 0
.LBB47_2836:
	s_andn2_b64 vcc, exec, s[2:3]
	s_cbranch_vccnz .LBB47_2846
; %bb.2837:
	v_cndmask_b32_e64 v1, 0, 1.0, s[6:7]
	s_mov_b32 s2, 0x47800000
	v_cmp_gt_u32_e32 vcc, s2, v1
                                        ; implicit-def: $vgpr3
	s_and_saveexec_b64 s[2:3], vcc
	s_xor_b64 s[2:3], exec, s[2:3]
	s_cbranch_execz .LBB47_2843
; %bb.2838:
	s_mov_b32 s20, 0x387fffff
	v_cmp_lt_u32_e32 vcc, s20, v1
                                        ; implicit-def: $vgpr3
	s_and_saveexec_b64 s[20:21], vcc
	s_xor_b64 s[20:21], exec, s[20:21]
	s_cbranch_execz .LBB47_2840
; %bb.2839:
	s_waitcnt vmcnt(0)
	v_bfe_u32 v3, v1, 21, 1
	s_mov_b32 s22, 0x80fffff
	v_add3_u32 v1, v1, v3, s22
	v_lshrrev_b32_e32 v3, 21, v1
                                        ; implicit-def: $vgpr1
.LBB47_2840:
	s_andn2_saveexec_b64 s[20:21], s[20:21]
	s_cbranch_execz .LBB47_2842
; %bb.2841:
	s_waitcnt vmcnt(0)
	v_add_f32_e32 v3, 0x43000000, v1
.LBB47_2842:
	s_or_b64 exec, exec, s[20:21]
                                        ; implicit-def: $vgpr1
.LBB47_2843:
	s_andn2_saveexec_b64 s[2:3], s[2:3]
	s_cbranch_execz .LBB47_2845
; %bb.2844:
	s_mov_b32 s20, 0x7f800000
	s_waitcnt vmcnt(0)
	v_mov_b32_e32 v3, 0x7c
	v_mov_b32_e32 v7, 0x7f
	v_cmp_lt_u32_e32 vcc, s20, v1
	v_cndmask_b32_e32 v3, v3, v7, vcc
.LBB47_2845:
	s_or_b64 exec, exec, s[2:3]
	s_waitcnt vmcnt(0)
	global_store_byte v[5:6], v3, off
.LBB47_2846:
	s_mov_b64 s[2:3], 0
	s_mov_b64 s[20:21], -1
.LBB47_2847:
	s_andn2_b64 vcc, exec, s[2:3]
	s_mov_b64 s[2:3], 0
	s_cbranch_vccnz .LBB47_2854
; %bb.2848:
	s_cmp_gt_i32 s27, 14
	s_mov_b64 s[22:23], -1
	s_cbranch_scc0 .LBB47_2852
; %bb.2849:
	s_cmp_eq_u32 s27, 15
	s_mov_b64 s[0:1], -1
	s_cbranch_scc0 .LBB47_2851
; %bb.2850:
	v_cndmask_b32_e64 v1, 0, 1.0, s[6:7]
	s_waitcnt vmcnt(0)
	v_bfe_u32 v3, v1, 16, 1
	s_movk_i32 s0, 0x7fff
	v_add3_u32 v1, v1, v3, s0
	global_store_short_d16_hi v[5:6], v1, off
	s_mov_b64 s[0:1], 0
	s_mov_b64 s[20:21], -1
.LBB47_2851:
	s_mov_b64 s[22:23], 0
.LBB47_2852:
	s_and_b64 vcc, exec, s[22:23]
	s_cbranch_vccz .LBB47_2854
; %bb.2853:
	s_cmp_lg_u32 s27, 11
	s_mov_b64 s[2:3], -1
	s_cselect_b64 s[0:1], -1, 0
.LBB47_2854:
	s_and_b64 vcc, exec, s[0:1]
	s_cbranch_vccnz .LBB47_3220
; %bb.2855:
	s_andn2_b64 vcc, exec, s[2:3]
	s_cbranch_vccnz .LBB47_2857
.LBB47_2856:
	v_cndmask_b32_e64 v1, 0, 1, s[6:7]
	s_mov_b64 s[20:21], -1
	global_store_byte v[5:6], v1, off
.LBB47_2857:
	s_mov_b64 s[0:1], 0
	s_branch .LBB47_2861
.LBB47_2858:
	s_andn2_b64 vcc, exec, s[20:21]
	s_cbranch_vccnz .LBB47_2778
.LBB47_2859:
	s_waitcnt vmcnt(0)
	v_cmp_lt_i32_e32 vcc, v1, v3
	s_andn2_b64 s[10:11], s[10:11], exec
	s_and_b64 s[20:21], vcc, exec
	s_or_b64 s[10:11], s[10:11], s[20:21]
	s_cbranch_execz .LBB47_2779
	s_branch .LBB47_2780
.LBB47_2860:
	s_mov_b64 s[0:1], -1
	s_mov_b64 s[20:21], 0
.LBB47_2861:
	s_and_b64 vcc, exec, s[0:1]
	s_cbranch_vccz .LBB47_2900
; %bb.2862:
	s_and_b32 s2, 0xffff, s26
	s_cmp_lt_i32 s2, 5
	s_mov_b64 s[0:1], -1
	s_cbranch_scc1 .LBB47_2883
; %bb.2863:
	s_cmp_lt_i32 s2, 8
	s_cbranch_scc1 .LBB47_2873
; %bb.2864:
	s_cmp_lt_i32 s2, 9
	s_cbranch_scc1 .LBB47_2870
; %bb.2865:
	s_cmp_gt_i32 s2, 9
	s_cbranch_scc0 .LBB47_2867
; %bb.2866:
	v_cndmask_b32_e64 v1, 0, 1, s[6:7]
	v_cvt_f64_u32_e32 v[7:8], v1
	v_mov_b32_e32 v9, 0
	v_mov_b32_e32 v10, v9
	s_mov_b64 s[0:1], 0
	global_store_dwordx4 v[5:6], v[7:10], off
.LBB47_2867:
	s_andn2_b64 vcc, exec, s[0:1]
	s_cbranch_vccnz .LBB47_2869
; %bb.2868:
	v_cndmask_b32_e64 v7, 0, 1.0, s[6:7]
	v_mov_b32_e32 v8, 0
	global_store_dwordx2 v[5:6], v[7:8], off
.LBB47_2869:
	s_mov_b64 s[0:1], 0
.LBB47_2870:
	s_andn2_b64 vcc, exec, s[0:1]
	s_cbranch_vccnz .LBB47_2872
; %bb.2871:
	v_cndmask_b32_e64 v1, 0, 1.0, s[6:7]
	v_cvt_f16_f32_e32 v1, v1
	global_store_dword v[5:6], v1, off
.LBB47_2872:
	s_mov_b64 s[0:1], 0
.LBB47_2873:
	s_andn2_b64 vcc, exec, s[0:1]
	s_cbranch_vccnz .LBB47_2882
; %bb.2874:
	s_cmp_lt_i32 s2, 6
	s_mov_b64 s[0:1], -1
	s_cbranch_scc1 .LBB47_2880
; %bb.2875:
	s_cmp_gt_i32 s2, 6
	s_cbranch_scc0 .LBB47_2877
; %bb.2876:
	v_cndmask_b32_e64 v1, 0, 1, s[6:7]
	v_cvt_f64_u32_e32 v[7:8], v1
	s_mov_b64 s[0:1], 0
	global_store_dwordx2 v[5:6], v[7:8], off
.LBB47_2877:
	s_andn2_b64 vcc, exec, s[0:1]
	s_cbranch_vccnz .LBB47_2879
; %bb.2878:
	v_cndmask_b32_e64 v1, 0, 1.0, s[6:7]
	global_store_dword v[5:6], v1, off
.LBB47_2879:
	s_mov_b64 s[0:1], 0
.LBB47_2880:
	s_andn2_b64 vcc, exec, s[0:1]
	s_cbranch_vccnz .LBB47_2882
; %bb.2881:
	v_cndmask_b32_e64 v1, 0, 1.0, s[6:7]
	v_cvt_f16_f32_e32 v1, v1
	global_store_short v[5:6], v1, off
.LBB47_2882:
	s_mov_b64 s[0:1], 0
.LBB47_2883:
	s_andn2_b64 vcc, exec, s[0:1]
	s_cbranch_vccnz .LBB47_2899
; %bb.2884:
	s_cmp_lt_i32 s2, 2
	s_mov_b64 s[0:1], -1
	s_cbranch_scc1 .LBB47_2894
; %bb.2885:
	s_cmp_lt_i32 s2, 3
	s_cbranch_scc1 .LBB47_2891
; %bb.2886:
	s_cmp_gt_i32 s2, 3
	s_cbranch_scc0 .LBB47_2888
; %bb.2887:
	s_mov_b32 s0, 0
	v_cndmask_b32_e64 v7, 0, 1, s[6:7]
	v_mov_b32_e32 v8, s0
	global_store_dwordx2 v[5:6], v[7:8], off
	s_mov_b64 s[0:1], 0
.LBB47_2888:
	s_andn2_b64 vcc, exec, s[0:1]
	s_cbranch_vccnz .LBB47_2890
; %bb.2889:
	v_cndmask_b32_e64 v1, 0, 1, s[6:7]
	global_store_dword v[5:6], v1, off
.LBB47_2890:
	s_mov_b64 s[0:1], 0
.LBB47_2891:
	s_andn2_b64 vcc, exec, s[0:1]
	s_cbranch_vccnz .LBB47_2893
; %bb.2892:
	v_cndmask_b32_e64 v1, 0, 1, s[6:7]
	global_store_short v[5:6], v1, off
.LBB47_2893:
	s_mov_b64 s[0:1], 0
.LBB47_2894:
	s_andn2_b64 vcc, exec, s[0:1]
	s_cbranch_vccnz .LBB47_2899
; %bb.2895:
	s_mov_b64 s[0:1], -1
	s_cmp_gt_i32 s2, 0
	v_cndmask_b32_e64 v1, 0, 1, s[6:7]
	s_cbranch_scc0 .LBB47_2897
; %bb.2896:
	global_store_byte v[5:6], v1, off
	s_mov_b64 s[0:1], 0
.LBB47_2897:
	s_andn2_b64 vcc, exec, s[0:1]
	s_cbranch_vccnz .LBB47_2899
; %bb.2898:
	global_store_byte v[5:6], v1, off
.LBB47_2899:
	s_mov_b64 s[20:21], -1
.LBB47_2900:
	s_andn2_b64 vcc, exec, s[20:21]
	s_cbranch_vccnz .LBB47_3215
; %bb.2901:
	v_mov_b32_e32 v1, s9
	s_and_b32 s24, 0xffff, s26
	s_waitcnt vmcnt(0)
	v_add_co_u32_e32 v3, vcc, s8, v4
	s_cmp_lt_i32 s24, 11
	v_addc_co_u32_e32 v4, vcc, 0, v1, vcc
	s_cbranch_scc1 .LBB47_2979
; %bb.2902:
	s_mov_b64 s[20:21], -1
	s_mov_b64 s[2:3], 0
	s_cmp_gt_i32 s24, 25
	s_mov_b64 s[6:7], 0
	s_mov_b64 s[0:1], 0
	s_cbranch_scc0 .LBB47_2935
; %bb.2903:
	s_cmp_gt_i32 s24, 28
	s_cbranch_scc0 .LBB47_2918
; %bb.2904:
	s_cmp_gt_i32 s24, 43
	;; [unrolled: 3-line block ×3, first 2 shown]
	s_cbranch_scc0 .LBB47_2908
; %bb.2906:
	s_mov_b64 s[0:1], -1
	s_mov_b64 s[20:21], 0
	s_cmp_eq_u32 s24, 46
	s_cbranch_scc0 .LBB47_2908
; %bb.2907:
	v_cndmask_b32_e64 v1, 0, 1.0, s[16:17]
	v_bfe_u32 v5, v1, 16, 1
	s_movk_i32 s0, 0x7fff
	v_add3_u32 v1, v1, v5, s0
	v_lshrrev_b32_e32 v1, 16, v1
	global_store_dword v[3:4], v1, off
	s_mov_b64 s[0:1], 0
	s_mov_b64 s[6:7], -1
.LBB47_2908:
	s_and_b64 vcc, exec, s[20:21]
	s_cbranch_vccz .LBB47_2913
; %bb.2909:
	s_cmp_eq_u32 s24, 44
	s_mov_b64 s[0:1], -1
	s_cbranch_scc0 .LBB47_2913
; %bb.2910:
	v_cndmask_b32_e64 v5, 0, 1.0, s[16:17]
	v_lshrrev_b32_e32 v1, 23, v5
	s_movk_i32 s0, 0xff
	v_cmp_ne_u32_e32 vcc, s0, v1
	v_mov_b32_e32 v6, 0xff
	s_and_saveexec_b64 s[6:7], vcc
; %bb.2911:
	s_mov_b32 s0, 0x3fffff
	v_and_b32_e32 v6, 0x400000, v5
	v_and_or_b32 v5, v5, s0, v1
	v_cmp_ne_u32_e32 vcc, 0, v6
	v_cmp_ne_u32_e64 s[0:1], 0, v5
	s_and_b64 s[0:1], vcc, s[0:1]
	v_cndmask_b32_e64 v5, 0, 1, s[0:1]
	v_add_u32_e32 v6, v1, v5
; %bb.2912:
	s_or_b64 exec, exec, s[6:7]
	s_mov_b64 s[0:1], 0
	s_mov_b64 s[6:7], -1
	global_store_byte v[3:4], v6, off
.LBB47_2913:
	s_mov_b64 s[20:21], 0
.LBB47_2914:
	s_and_b64 vcc, exec, s[20:21]
	s_cbranch_vccz .LBB47_2917
; %bb.2915:
	s_cmp_eq_u32 s24, 29
	s_mov_b64 s[0:1], -1
	s_cbranch_scc0 .LBB47_2917
; %bb.2916:
	s_mov_b32 s0, 0
	v_cndmask_b32_e64 v5, 0, 1, s[16:17]
	v_mov_b32_e32 v6, s0
	global_store_dwordx2 v[3:4], v[5:6], off
	s_mov_b64 s[0:1], 0
	s_mov_b64 s[6:7], -1
.LBB47_2917:
	s_mov_b64 s[20:21], 0
.LBB47_2918:
	s_and_b64 vcc, exec, s[20:21]
	s_cbranch_vccz .LBB47_2934
; %bb.2919:
	s_cmp_lt_i32 s24, 27
	s_mov_b64 s[6:7], -1
	s_cbranch_scc1 .LBB47_2925
; %bb.2920:
	s_cmp_gt_i32 s24, 27
	s_cbranch_scc0 .LBB47_2922
; %bb.2921:
	v_cndmask_b32_e64 v1, 0, 1, s[16:17]
	s_mov_b64 s[6:7], 0
	global_store_dword v[3:4], v1, off
.LBB47_2922:
	s_andn2_b64 vcc, exec, s[6:7]
	s_cbranch_vccnz .LBB47_2924
; %bb.2923:
	v_cndmask_b32_e64 v1, 0, 1, s[16:17]
	global_store_short v[3:4], v1, off
.LBB47_2924:
	s_mov_b64 s[6:7], 0
.LBB47_2925:
	s_andn2_b64 vcc, exec, s[6:7]
	s_cbranch_vccnz .LBB47_2933
; %bb.2926:
	v_cndmask_b32_e64 v5, 0, 1.0, s[16:17]
	s_mov_b32 s6, 0x43800000
	v_cmp_gt_u32_e32 vcc, s6, v5
	v_mov_b32_e32 v6, 0x80
	s_and_saveexec_b64 s[6:7], vcc
	s_cbranch_execz .LBB47_2932
; %bb.2927:
	s_mov_b32 s20, 0x3bffffff
	v_cmp_lt_u32_e32 vcc, s20, v5
	s_mov_b64 s[20:21], 0
                                        ; implicit-def: $vgpr1
	s_and_saveexec_b64 s[22:23], vcc
	s_xor_b64 s[22:23], exec, s[22:23]
	s_cbranch_execz .LBB47_3223
; %bb.2928:
	v_bfe_u32 v1, v5, 20, 1
	s_mov_b32 s25, 0x487ffff
	v_add3_u32 v1, v5, v1, s25
	s_mov_b64 s[20:21], exec
	v_lshrrev_b32_e32 v1, 20, v1
                                        ; implicit-def: $vgpr5
	s_andn2_saveexec_b64 s[22:23], s[22:23]
	s_cbranch_execnz .LBB47_3224
.LBB47_2929:
	s_or_b64 exec, exec, s[22:23]
	v_mov_b32_e32 v6, 0
	s_and_saveexec_b64 s[22:23], s[20:21]
.LBB47_2930:
	v_mov_b32_e32 v6, v1
.LBB47_2931:
	s_or_b64 exec, exec, s[22:23]
.LBB47_2932:
	s_or_b64 exec, exec, s[6:7]
	global_store_byte v[3:4], v6, off
.LBB47_2933:
	s_mov_b64 s[6:7], -1
.LBB47_2934:
	s_mov_b64 s[20:21], 0
.LBB47_2935:
	s_and_b64 vcc, exec, s[20:21]
	s_cbranch_vccz .LBB47_2975
; %bb.2936:
	s_cmp_gt_i32 s24, 22
	s_mov_b64 s[2:3], -1
	s_cbranch_scc0 .LBB47_2968
; %bb.2937:
	s_cmp_lt_i32 s24, 24
	s_cbranch_scc1 .LBB47_2957
; %bb.2938:
	s_cmp_gt_i32 s24, 24
	s_cbranch_scc0 .LBB47_2946
; %bb.2939:
	v_cndmask_b32_e64 v5, 0, 1.0, s[16:17]
	s_mov_b32 s2, 0x47800000
	v_cmp_gt_u32_e32 vcc, s2, v5
	v_mov_b32_e32 v6, 0x80
	s_and_saveexec_b64 s[2:3], vcc
	s_cbranch_execz .LBB47_2945
; %bb.2940:
	s_mov_b32 s6, 0x37ffffff
	v_cmp_lt_u32_e32 vcc, s6, v5
	s_mov_b64 s[6:7], 0
                                        ; implicit-def: $vgpr1
	s_and_saveexec_b64 s[20:21], vcc
	s_xor_b64 s[20:21], exec, s[20:21]
	s_cbranch_execz .LBB47_3226
; %bb.2941:
	v_bfe_u32 v1, v5, 21, 1
	s_mov_b32 s22, 0x88fffff
	v_add3_u32 v1, v5, v1, s22
	s_mov_b64 s[6:7], exec
	v_lshrrev_b32_e32 v1, 21, v1
                                        ; implicit-def: $vgpr5
	s_andn2_saveexec_b64 s[20:21], s[20:21]
	s_cbranch_execnz .LBB47_3227
.LBB47_2942:
	s_or_b64 exec, exec, s[20:21]
	v_mov_b32_e32 v6, 0
	s_and_saveexec_b64 s[20:21], s[6:7]
.LBB47_2943:
	v_mov_b32_e32 v6, v1
.LBB47_2944:
	s_or_b64 exec, exec, s[20:21]
.LBB47_2945:
	s_or_b64 exec, exec, s[2:3]
	s_mov_b64 s[2:3], 0
	global_store_byte v[3:4], v6, off
.LBB47_2946:
	s_and_b64 vcc, exec, s[2:3]
	s_cbranch_vccz .LBB47_2956
; %bb.2947:
	v_cndmask_b32_e64 v1, 0, 1.0, s[16:17]
	s_mov_b32 s2, 0x43f00000
	v_cmp_gt_u32_e32 vcc, s2, v1
                                        ; implicit-def: $vgpr5
	s_and_saveexec_b64 s[2:3], vcc
	s_xor_b64 s[2:3], exec, s[2:3]
	s_cbranch_execz .LBB47_2953
; %bb.2948:
	s_mov_b32 s6, 0x3c7fffff
	v_cmp_lt_u32_e32 vcc, s6, v1
                                        ; implicit-def: $vgpr5
	s_and_saveexec_b64 s[6:7], vcc
	s_xor_b64 s[6:7], exec, s[6:7]
; %bb.2949:
	v_bfe_u32 v5, v1, 20, 1
	s_mov_b32 s20, 0x407ffff
	v_add3_u32 v1, v1, v5, s20
	v_lshrrev_b32_e32 v5, 20, v1
	v_and_b32_e32 v1, 0xff00000, v1
	s_mov_b32 s20, 0x7f00000
	v_mov_b32_e32 v6, 0x7e
	v_cmp_ne_u32_e32 vcc, s20, v1
	v_cndmask_b32_e32 v5, v6, v5, vcc
                                        ; implicit-def: $vgpr1
; %bb.2950:
	s_andn2_saveexec_b64 s[6:7], s[6:7]
; %bb.2951:
	v_add_f32_e32 v5, 0x46800000, v1
; %bb.2952:
	s_or_b64 exec, exec, s[6:7]
                                        ; implicit-def: $vgpr1
.LBB47_2953:
	s_andn2_saveexec_b64 s[2:3], s[2:3]
; %bb.2954:
	s_mov_b32 s6, 0x7f800000
	v_mov_b32_e32 v5, 0x7e
	v_mov_b32_e32 v6, 0x7f
	v_cmp_lt_u32_e32 vcc, s6, v1
	v_cndmask_b32_e32 v5, v5, v6, vcc
; %bb.2955:
	s_or_b64 exec, exec, s[2:3]
	global_store_byte v[3:4], v5, off
.LBB47_2956:
	s_mov_b64 s[2:3], 0
.LBB47_2957:
	s_andn2_b64 vcc, exec, s[2:3]
	s_cbranch_vccnz .LBB47_2967
; %bb.2958:
	v_cndmask_b32_e64 v1, 0, 1.0, s[16:17]
	s_mov_b32 s2, 0x47800000
	v_cmp_gt_u32_e32 vcc, s2, v1
                                        ; implicit-def: $vgpr5
	s_and_saveexec_b64 s[2:3], vcc
	s_xor_b64 s[2:3], exec, s[2:3]
	s_cbranch_execz .LBB47_2964
; %bb.2959:
	s_mov_b32 s6, 0x387fffff
	v_cmp_lt_u32_e32 vcc, s6, v1
                                        ; implicit-def: $vgpr5
	s_and_saveexec_b64 s[6:7], vcc
	s_xor_b64 s[6:7], exec, s[6:7]
; %bb.2960:
	v_bfe_u32 v5, v1, 21, 1
	s_mov_b32 s20, 0x80fffff
	v_add3_u32 v1, v1, v5, s20
	v_lshrrev_b32_e32 v5, 21, v1
                                        ; implicit-def: $vgpr1
; %bb.2961:
	s_andn2_saveexec_b64 s[6:7], s[6:7]
; %bb.2962:
	v_add_f32_e32 v5, 0x43000000, v1
; %bb.2963:
	s_or_b64 exec, exec, s[6:7]
                                        ; implicit-def: $vgpr1
.LBB47_2964:
	s_andn2_saveexec_b64 s[2:3], s[2:3]
; %bb.2965:
	s_mov_b32 s6, 0x7f800000
	v_mov_b32_e32 v5, 0x7c
	v_mov_b32_e32 v6, 0x7f
	v_cmp_lt_u32_e32 vcc, s6, v1
	v_cndmask_b32_e32 v5, v5, v6, vcc
; %bb.2966:
	s_or_b64 exec, exec, s[2:3]
	global_store_byte v[3:4], v5, off
.LBB47_2967:
	s_mov_b64 s[2:3], 0
	s_mov_b64 s[6:7], -1
.LBB47_2968:
	s_andn2_b64 vcc, exec, s[2:3]
	s_mov_b64 s[2:3], 0
	s_cbranch_vccnz .LBB47_2975
; %bb.2969:
	s_cmp_gt_i32 s24, 14
	s_mov_b64 s[20:21], -1
	s_cbranch_scc0 .LBB47_2973
; %bb.2970:
	s_cmp_eq_u32 s24, 15
	s_mov_b64 s[0:1], -1
	s_cbranch_scc0 .LBB47_2972
; %bb.2971:
	v_cndmask_b32_e64 v1, 0, 1.0, s[16:17]
	v_bfe_u32 v5, v1, 16, 1
	s_movk_i32 s0, 0x7fff
	v_add3_u32 v1, v1, v5, s0
	global_store_short_d16_hi v[3:4], v1, off
	s_mov_b64 s[0:1], 0
	s_mov_b64 s[6:7], -1
.LBB47_2972:
	s_mov_b64 s[20:21], 0
.LBB47_2973:
	s_and_b64 vcc, exec, s[20:21]
	s_cbranch_vccz .LBB47_2975
; %bb.2974:
	s_cmp_lg_u32 s24, 11
	s_mov_b64 s[2:3], -1
	s_cselect_b64 s[0:1], -1, 0
.LBB47_2975:
	s_and_b64 vcc, exec, s[0:1]
	s_cbranch_vccnz .LBB47_3225
; %bb.2976:
	s_andn2_b64 vcc, exec, s[2:3]
	s_cbranch_vccnz .LBB47_2978
.LBB47_2977:
	v_cndmask_b32_e64 v1, 0, 1, s[16:17]
	s_mov_b64 s[6:7], -1
	global_store_byte v[3:4], v1, off
.LBB47_2978:
	s_mov_b64 s[0:1], 0
	s_branch .LBB47_2980
.LBB47_2979:
	s_mov_b64 s[0:1], -1
	s_mov_b64 s[6:7], 0
.LBB47_2980:
	s_and_b64 vcc, exec, s[0:1]
	s_cbranch_vccz .LBB47_3019
; %bb.2981:
	s_cmp_lt_i32 s24, 5
	s_mov_b64 s[0:1], -1
	s_cbranch_scc1 .LBB47_3002
; %bb.2982:
	s_cmp_lt_i32 s24, 8
	s_cbranch_scc1 .LBB47_2992
; %bb.2983:
	s_cmp_lt_i32 s24, 9
	s_cbranch_scc1 .LBB47_2989
; %bb.2984:
	s_cmp_gt_i32 s24, 9
	s_cbranch_scc0 .LBB47_2986
; %bb.2985:
	v_cndmask_b32_e64 v1, 0, 1, s[16:17]
	v_cvt_f64_u32_e32 v[5:6], v1
	v_mov_b32_e32 v7, 0
	v_mov_b32_e32 v8, v7
	s_mov_b64 s[0:1], 0
	global_store_dwordx4 v[3:4], v[5:8], off
.LBB47_2986:
	s_andn2_b64 vcc, exec, s[0:1]
	s_cbranch_vccnz .LBB47_2988
; %bb.2987:
	v_cndmask_b32_e64 v5, 0, 1.0, s[16:17]
	v_mov_b32_e32 v6, 0
	global_store_dwordx2 v[3:4], v[5:6], off
.LBB47_2988:
	s_mov_b64 s[0:1], 0
.LBB47_2989:
	s_andn2_b64 vcc, exec, s[0:1]
	s_cbranch_vccnz .LBB47_2991
; %bb.2990:
	v_cndmask_b32_e64 v1, 0, 1.0, s[16:17]
	v_cvt_f16_f32_e32 v1, v1
	global_store_dword v[3:4], v1, off
.LBB47_2991:
	s_mov_b64 s[0:1], 0
.LBB47_2992:
	s_andn2_b64 vcc, exec, s[0:1]
	s_cbranch_vccnz .LBB47_3001
; %bb.2993:
	s_cmp_lt_i32 s24, 6
	s_mov_b64 s[0:1], -1
	s_cbranch_scc1 .LBB47_2999
; %bb.2994:
	s_cmp_gt_i32 s24, 6
	s_cbranch_scc0 .LBB47_2996
; %bb.2995:
	v_cndmask_b32_e64 v1, 0, 1, s[16:17]
	v_cvt_f64_u32_e32 v[5:6], v1
	s_mov_b64 s[0:1], 0
	global_store_dwordx2 v[3:4], v[5:6], off
.LBB47_2996:
	s_andn2_b64 vcc, exec, s[0:1]
	s_cbranch_vccnz .LBB47_2998
; %bb.2997:
	v_cndmask_b32_e64 v1, 0, 1.0, s[16:17]
	global_store_dword v[3:4], v1, off
.LBB47_2998:
	s_mov_b64 s[0:1], 0
.LBB47_2999:
	s_andn2_b64 vcc, exec, s[0:1]
	s_cbranch_vccnz .LBB47_3001
; %bb.3000:
	v_cndmask_b32_e64 v1, 0, 1.0, s[16:17]
	v_cvt_f16_f32_e32 v1, v1
	global_store_short v[3:4], v1, off
.LBB47_3001:
	s_mov_b64 s[0:1], 0
.LBB47_3002:
	s_andn2_b64 vcc, exec, s[0:1]
	s_cbranch_vccnz .LBB47_3018
; %bb.3003:
	s_cmp_lt_i32 s24, 2
	s_mov_b64 s[0:1], -1
	s_cbranch_scc1 .LBB47_3013
; %bb.3004:
	s_cmp_lt_i32 s24, 3
	s_cbranch_scc1 .LBB47_3010
; %bb.3005:
	s_cmp_gt_i32 s24, 3
	s_cbranch_scc0 .LBB47_3007
; %bb.3006:
	s_mov_b32 s0, 0
	v_cndmask_b32_e64 v5, 0, 1, s[16:17]
	v_mov_b32_e32 v6, s0
	global_store_dwordx2 v[3:4], v[5:6], off
	s_mov_b64 s[0:1], 0
.LBB47_3007:
	s_andn2_b64 vcc, exec, s[0:1]
	s_cbranch_vccnz .LBB47_3009
; %bb.3008:
	v_cndmask_b32_e64 v1, 0, 1, s[16:17]
	global_store_dword v[3:4], v1, off
.LBB47_3009:
	s_mov_b64 s[0:1], 0
.LBB47_3010:
	s_andn2_b64 vcc, exec, s[0:1]
	s_cbranch_vccnz .LBB47_3012
; %bb.3011:
	v_cndmask_b32_e64 v1, 0, 1, s[16:17]
	global_store_short v[3:4], v1, off
.LBB47_3012:
	s_mov_b64 s[0:1], 0
.LBB47_3013:
	s_andn2_b64 vcc, exec, s[0:1]
	s_cbranch_vccnz .LBB47_3018
; %bb.3014:
	s_mov_b64 s[0:1], -1
	s_cmp_gt_i32 s24, 0
	v_cndmask_b32_e64 v1, 0, 1, s[16:17]
	s_cbranch_scc0 .LBB47_3016
; %bb.3015:
	global_store_byte v[3:4], v1, off
	s_mov_b64 s[0:1], 0
.LBB47_3016:
	s_andn2_b64 vcc, exec, s[0:1]
	s_cbranch_vccnz .LBB47_3018
; %bb.3017:
	global_store_byte v[3:4], v1, off
.LBB47_3018:
	s_mov_b64 s[6:7], -1
.LBB47_3019:
	s_andn2_b64 vcc, exec, s[6:7]
	s_cbranch_vccnz .LBB47_3215
; %bb.3020:
	v_mov_b32_e32 v3, s9
	v_add_co_u32_e32 v1, vcc, s8, v2
	s_cmp_lt_i32 s24, 11
	v_addc_co_u32_e32 v2, vcc, 0, v3, vcc
	s_cbranch_scc1 .LBB47_3098
; %bb.3021:
	s_mov_b64 s[16:17], -1
	s_mov_b64 s[2:3], 0
	s_cmp_gt_i32 s24, 25
	s_mov_b64 s[6:7], 0
	s_mov_b64 s[0:1], 0
	s_cbranch_scc0 .LBB47_3054
; %bb.3022:
	s_cmp_gt_i32 s24, 28
	s_cbranch_scc0 .LBB47_3037
; %bb.3023:
	s_cmp_gt_i32 s24, 43
	;; [unrolled: 3-line block ×3, first 2 shown]
	s_cbranch_scc0 .LBB47_3027
; %bb.3025:
	s_mov_b64 s[0:1], -1
	s_mov_b64 s[16:17], 0
	s_cmp_eq_u32 s24, 46
	s_cbranch_scc0 .LBB47_3027
; %bb.3026:
	v_cndmask_b32_e64 v3, 0, 1.0, s[18:19]
	v_bfe_u32 v4, v3, 16, 1
	s_movk_i32 s0, 0x7fff
	v_add3_u32 v3, v3, v4, s0
	v_lshrrev_b32_e32 v3, 16, v3
	global_store_dword v[1:2], v3, off
	s_mov_b64 s[0:1], 0
	s_mov_b64 s[6:7], -1
.LBB47_3027:
	s_and_b64 vcc, exec, s[16:17]
	s_cbranch_vccz .LBB47_3032
; %bb.3028:
	s_cmp_eq_u32 s24, 44
	s_mov_b64 s[0:1], -1
	s_cbranch_scc0 .LBB47_3032
; %bb.3029:
	v_cndmask_b32_e64 v4, 0, 1.0, s[18:19]
	v_lshrrev_b32_e32 v3, 23, v4
	s_movk_i32 s0, 0xff
	v_cmp_ne_u32_e32 vcc, s0, v3
	v_mov_b32_e32 v5, 0xff
	s_and_saveexec_b64 s[6:7], vcc
; %bb.3030:
	s_mov_b32 s0, 0x3fffff
	v_and_b32_e32 v5, 0x400000, v4
	v_and_or_b32 v4, v4, s0, v3
	v_cmp_ne_u32_e32 vcc, 0, v5
	v_cmp_ne_u32_e64 s[0:1], 0, v4
	s_and_b64 s[0:1], vcc, s[0:1]
	v_cndmask_b32_e64 v4, 0, 1, s[0:1]
	v_add_u32_e32 v5, v3, v4
; %bb.3031:
	s_or_b64 exec, exec, s[6:7]
	s_mov_b64 s[0:1], 0
	s_mov_b64 s[6:7], -1
	global_store_byte v[1:2], v5, off
.LBB47_3032:
	s_mov_b64 s[16:17], 0
.LBB47_3033:
	s_and_b64 vcc, exec, s[16:17]
	s_cbranch_vccz .LBB47_3036
; %bb.3034:
	s_cmp_eq_u32 s24, 29
	s_mov_b64 s[0:1], -1
	s_cbranch_scc0 .LBB47_3036
; %bb.3035:
	s_mov_b32 s0, 0
	v_cndmask_b32_e64 v3, 0, 1, s[18:19]
	v_mov_b32_e32 v4, s0
	global_store_dwordx2 v[1:2], v[3:4], off
	s_mov_b64 s[0:1], 0
	s_mov_b64 s[6:7], -1
.LBB47_3036:
	s_mov_b64 s[16:17], 0
.LBB47_3037:
	s_and_b64 vcc, exec, s[16:17]
	s_cbranch_vccz .LBB47_3053
; %bb.3038:
	s_cmp_lt_i32 s24, 27
	s_mov_b64 s[6:7], -1
	s_cbranch_scc1 .LBB47_3044
; %bb.3039:
	s_cmp_gt_i32 s24, 27
	s_cbranch_scc0 .LBB47_3041
; %bb.3040:
	v_cndmask_b32_e64 v3, 0, 1, s[18:19]
	s_mov_b64 s[6:7], 0
	global_store_dword v[1:2], v3, off
.LBB47_3041:
	s_andn2_b64 vcc, exec, s[6:7]
	s_cbranch_vccnz .LBB47_3043
; %bb.3042:
	v_cndmask_b32_e64 v3, 0, 1, s[18:19]
	global_store_short v[1:2], v3, off
.LBB47_3043:
	s_mov_b64 s[6:7], 0
.LBB47_3044:
	s_andn2_b64 vcc, exec, s[6:7]
	s_cbranch_vccnz .LBB47_3052
; %bb.3045:
	v_cndmask_b32_e64 v4, 0, 1.0, s[18:19]
	s_mov_b32 s6, 0x43800000
	v_cmp_gt_u32_e32 vcc, s6, v4
	v_mov_b32_e32 v5, 0x80
	s_and_saveexec_b64 s[6:7], vcc
	s_cbranch_execz .LBB47_3051
; %bb.3046:
	s_mov_b32 s16, 0x3bffffff
	v_cmp_lt_u32_e32 vcc, s16, v4
	s_mov_b64 s[16:17], 0
                                        ; implicit-def: $vgpr3
	s_and_saveexec_b64 s[20:21], vcc
	s_xor_b64 s[20:21], exec, s[20:21]
	s_cbranch_execz .LBB47_3228
; %bb.3047:
	v_bfe_u32 v3, v4, 20, 1
	s_mov_b32 s22, 0x487ffff
	v_add3_u32 v3, v4, v3, s22
	s_mov_b64 s[16:17], exec
	v_lshrrev_b32_e32 v3, 20, v3
                                        ; implicit-def: $vgpr4
	s_andn2_saveexec_b64 s[20:21], s[20:21]
	s_cbranch_execnz .LBB47_3229
.LBB47_3048:
	s_or_b64 exec, exec, s[20:21]
	v_mov_b32_e32 v5, 0
	s_and_saveexec_b64 s[20:21], s[16:17]
.LBB47_3049:
	v_mov_b32_e32 v5, v3
.LBB47_3050:
	s_or_b64 exec, exec, s[20:21]
.LBB47_3051:
	s_or_b64 exec, exec, s[6:7]
	global_store_byte v[1:2], v5, off
.LBB47_3052:
	s_mov_b64 s[6:7], -1
.LBB47_3053:
	s_mov_b64 s[16:17], 0
.LBB47_3054:
	s_and_b64 vcc, exec, s[16:17]
	s_cbranch_vccz .LBB47_3094
; %bb.3055:
	s_cmp_gt_i32 s24, 22
	s_mov_b64 s[2:3], -1
	s_cbranch_scc0 .LBB47_3087
; %bb.3056:
	s_cmp_lt_i32 s24, 24
	s_cbranch_scc1 .LBB47_3076
; %bb.3057:
	s_cmp_gt_i32 s24, 24
	s_cbranch_scc0 .LBB47_3065
; %bb.3058:
	v_cndmask_b32_e64 v4, 0, 1.0, s[18:19]
	s_mov_b32 s2, 0x47800000
	v_cmp_gt_u32_e32 vcc, s2, v4
	v_mov_b32_e32 v5, 0x80
	s_and_saveexec_b64 s[2:3], vcc
	s_cbranch_execz .LBB47_3064
; %bb.3059:
	s_mov_b32 s6, 0x37ffffff
	v_cmp_lt_u32_e32 vcc, s6, v4
	s_mov_b64 s[6:7], 0
                                        ; implicit-def: $vgpr3
	s_and_saveexec_b64 s[16:17], vcc
	s_xor_b64 s[16:17], exec, s[16:17]
	s_cbranch_execz .LBB47_3231
; %bb.3060:
	v_bfe_u32 v3, v4, 21, 1
	s_mov_b32 s20, 0x88fffff
	v_add3_u32 v3, v4, v3, s20
	s_mov_b64 s[6:7], exec
	v_lshrrev_b32_e32 v3, 21, v3
                                        ; implicit-def: $vgpr4
	s_andn2_saveexec_b64 s[16:17], s[16:17]
	s_cbranch_execnz .LBB47_3232
.LBB47_3061:
	s_or_b64 exec, exec, s[16:17]
	v_mov_b32_e32 v5, 0
	s_and_saveexec_b64 s[16:17], s[6:7]
.LBB47_3062:
	v_mov_b32_e32 v5, v3
.LBB47_3063:
	s_or_b64 exec, exec, s[16:17]
.LBB47_3064:
	s_or_b64 exec, exec, s[2:3]
	s_mov_b64 s[2:3], 0
	global_store_byte v[1:2], v5, off
.LBB47_3065:
	s_and_b64 vcc, exec, s[2:3]
	s_cbranch_vccz .LBB47_3075
; %bb.3066:
	v_cndmask_b32_e64 v3, 0, 1.0, s[18:19]
	s_mov_b32 s2, 0x43f00000
	v_cmp_gt_u32_e32 vcc, s2, v3
                                        ; implicit-def: $vgpr4
	s_and_saveexec_b64 s[2:3], vcc
	s_xor_b64 s[2:3], exec, s[2:3]
	s_cbranch_execz .LBB47_3072
; %bb.3067:
	s_mov_b32 s6, 0x3c7fffff
	v_cmp_lt_u32_e32 vcc, s6, v3
                                        ; implicit-def: $vgpr4
	s_and_saveexec_b64 s[6:7], vcc
	s_xor_b64 s[6:7], exec, s[6:7]
; %bb.3068:
	v_bfe_u32 v4, v3, 20, 1
	s_mov_b32 s16, 0x407ffff
	v_add3_u32 v3, v3, v4, s16
	v_lshrrev_b32_e32 v4, 20, v3
	v_and_b32_e32 v3, 0xff00000, v3
	s_mov_b32 s16, 0x7f00000
	v_mov_b32_e32 v5, 0x7e
	v_cmp_ne_u32_e32 vcc, s16, v3
	v_cndmask_b32_e32 v4, v5, v4, vcc
                                        ; implicit-def: $vgpr3
; %bb.3069:
	s_andn2_saveexec_b64 s[6:7], s[6:7]
; %bb.3070:
	v_add_f32_e32 v4, 0x46800000, v3
; %bb.3071:
	s_or_b64 exec, exec, s[6:7]
                                        ; implicit-def: $vgpr3
.LBB47_3072:
	s_andn2_saveexec_b64 s[2:3], s[2:3]
; %bb.3073:
	s_mov_b32 s6, 0x7f800000
	v_mov_b32_e32 v4, 0x7e
	v_mov_b32_e32 v5, 0x7f
	v_cmp_lt_u32_e32 vcc, s6, v3
	v_cndmask_b32_e32 v4, v4, v5, vcc
; %bb.3074:
	s_or_b64 exec, exec, s[2:3]
	global_store_byte v[1:2], v4, off
.LBB47_3075:
	s_mov_b64 s[2:3], 0
.LBB47_3076:
	s_andn2_b64 vcc, exec, s[2:3]
	s_cbranch_vccnz .LBB47_3086
; %bb.3077:
	v_cndmask_b32_e64 v3, 0, 1.0, s[18:19]
	s_mov_b32 s2, 0x47800000
	v_cmp_gt_u32_e32 vcc, s2, v3
                                        ; implicit-def: $vgpr4
	s_and_saveexec_b64 s[2:3], vcc
	s_xor_b64 s[2:3], exec, s[2:3]
	s_cbranch_execz .LBB47_3083
; %bb.3078:
	s_mov_b32 s6, 0x387fffff
	v_cmp_lt_u32_e32 vcc, s6, v3
                                        ; implicit-def: $vgpr4
	s_and_saveexec_b64 s[6:7], vcc
	s_xor_b64 s[6:7], exec, s[6:7]
; %bb.3079:
	v_bfe_u32 v4, v3, 21, 1
	s_mov_b32 s16, 0x80fffff
	v_add3_u32 v3, v3, v4, s16
	v_lshrrev_b32_e32 v4, 21, v3
                                        ; implicit-def: $vgpr3
; %bb.3080:
	s_andn2_saveexec_b64 s[6:7], s[6:7]
; %bb.3081:
	v_add_f32_e32 v4, 0x43000000, v3
; %bb.3082:
	s_or_b64 exec, exec, s[6:7]
                                        ; implicit-def: $vgpr3
.LBB47_3083:
	s_andn2_saveexec_b64 s[2:3], s[2:3]
; %bb.3084:
	s_mov_b32 s6, 0x7f800000
	v_mov_b32_e32 v4, 0x7c
	v_mov_b32_e32 v5, 0x7f
	v_cmp_lt_u32_e32 vcc, s6, v3
	v_cndmask_b32_e32 v4, v4, v5, vcc
; %bb.3085:
	s_or_b64 exec, exec, s[2:3]
	global_store_byte v[1:2], v4, off
.LBB47_3086:
	s_mov_b64 s[2:3], 0
	s_mov_b64 s[6:7], -1
.LBB47_3087:
	s_andn2_b64 vcc, exec, s[2:3]
	s_mov_b64 s[2:3], 0
	s_cbranch_vccnz .LBB47_3094
; %bb.3088:
	s_cmp_gt_i32 s24, 14
	s_mov_b64 s[16:17], -1
	s_cbranch_scc0 .LBB47_3092
; %bb.3089:
	s_cmp_eq_u32 s24, 15
	s_mov_b64 s[0:1], -1
	s_cbranch_scc0 .LBB47_3091
; %bb.3090:
	v_cndmask_b32_e64 v3, 0, 1.0, s[18:19]
	v_bfe_u32 v4, v3, 16, 1
	s_movk_i32 s0, 0x7fff
	v_add3_u32 v3, v3, v4, s0
	global_store_short_d16_hi v[1:2], v3, off
	s_mov_b64 s[0:1], 0
	s_mov_b64 s[6:7], -1
.LBB47_3091:
	s_mov_b64 s[16:17], 0
.LBB47_3092:
	s_and_b64 vcc, exec, s[16:17]
	s_cbranch_vccz .LBB47_3094
; %bb.3093:
	s_cmp_lg_u32 s24, 11
	s_mov_b64 s[2:3], -1
	s_cselect_b64 s[0:1], -1, 0
.LBB47_3094:
	s_and_b64 vcc, exec, s[0:1]
	s_cbranch_vccnz .LBB47_3230
; %bb.3095:
	s_andn2_b64 vcc, exec, s[2:3]
	s_cbranch_vccnz .LBB47_3097
.LBB47_3096:
	v_cndmask_b32_e64 v3, 0, 1, s[18:19]
	s_mov_b64 s[6:7], -1
	global_store_byte v[1:2], v3, off
.LBB47_3097:
	s_mov_b64 s[0:1], 0
	s_branch .LBB47_3099
.LBB47_3098:
	s_mov_b64 s[0:1], -1
	s_mov_b64 s[6:7], 0
.LBB47_3099:
	s_and_b64 vcc, exec, s[0:1]
	s_cbranch_vccz .LBB47_3138
; %bb.3100:
	s_cmp_lt_i32 s24, 5
	s_mov_b64 s[0:1], -1
	s_cbranch_scc1 .LBB47_3121
; %bb.3101:
	s_cmp_lt_i32 s24, 8
	s_cbranch_scc1 .LBB47_3111
; %bb.3102:
	s_cmp_lt_i32 s24, 9
	s_cbranch_scc1 .LBB47_3108
; %bb.3103:
	s_cmp_gt_i32 s24, 9
	s_cbranch_scc0 .LBB47_3105
; %bb.3104:
	v_cndmask_b32_e64 v3, 0, 1, s[18:19]
	v_cvt_f64_u32_e32 v[3:4], v3
	v_mov_b32_e32 v5, 0
	v_mov_b32_e32 v6, v5
	s_mov_b64 s[0:1], 0
	global_store_dwordx4 v[1:2], v[3:6], off
.LBB47_3105:
	s_andn2_b64 vcc, exec, s[0:1]
	s_cbranch_vccnz .LBB47_3107
; %bb.3106:
	v_cndmask_b32_e64 v3, 0, 1.0, s[18:19]
	v_mov_b32_e32 v4, 0
	global_store_dwordx2 v[1:2], v[3:4], off
.LBB47_3107:
	s_mov_b64 s[0:1], 0
.LBB47_3108:
	s_andn2_b64 vcc, exec, s[0:1]
	s_cbranch_vccnz .LBB47_3110
; %bb.3109:
	v_cndmask_b32_e64 v3, 0, 1.0, s[18:19]
	v_cvt_f16_f32_e32 v3, v3
	global_store_dword v[1:2], v3, off
.LBB47_3110:
	s_mov_b64 s[0:1], 0
.LBB47_3111:
	s_andn2_b64 vcc, exec, s[0:1]
	s_cbranch_vccnz .LBB47_3120
; %bb.3112:
	s_cmp_lt_i32 s24, 6
	s_mov_b64 s[0:1], -1
	s_cbranch_scc1 .LBB47_3118
; %bb.3113:
	s_cmp_gt_i32 s24, 6
	s_cbranch_scc0 .LBB47_3115
; %bb.3114:
	v_cndmask_b32_e64 v3, 0, 1, s[18:19]
	v_cvt_f64_u32_e32 v[3:4], v3
	s_mov_b64 s[0:1], 0
	global_store_dwordx2 v[1:2], v[3:4], off
.LBB47_3115:
	s_andn2_b64 vcc, exec, s[0:1]
	s_cbranch_vccnz .LBB47_3117
; %bb.3116:
	v_cndmask_b32_e64 v3, 0, 1.0, s[18:19]
	global_store_dword v[1:2], v3, off
.LBB47_3117:
	s_mov_b64 s[0:1], 0
.LBB47_3118:
	s_andn2_b64 vcc, exec, s[0:1]
	s_cbranch_vccnz .LBB47_3120
; %bb.3119:
	v_cndmask_b32_e64 v3, 0, 1.0, s[18:19]
	v_cvt_f16_f32_e32 v3, v3
	global_store_short v[1:2], v3, off
.LBB47_3120:
	s_mov_b64 s[0:1], 0
.LBB47_3121:
	s_andn2_b64 vcc, exec, s[0:1]
	s_cbranch_vccnz .LBB47_3137
; %bb.3122:
	s_cmp_lt_i32 s24, 2
	s_mov_b64 s[0:1], -1
	s_cbranch_scc1 .LBB47_3132
; %bb.3123:
	s_cmp_lt_i32 s24, 3
	s_cbranch_scc1 .LBB47_3129
; %bb.3124:
	s_cmp_gt_i32 s24, 3
	s_cbranch_scc0 .LBB47_3126
; %bb.3125:
	s_mov_b32 s0, 0
	v_cndmask_b32_e64 v3, 0, 1, s[18:19]
	v_mov_b32_e32 v4, s0
	global_store_dwordx2 v[1:2], v[3:4], off
	s_mov_b64 s[0:1], 0
.LBB47_3126:
	s_andn2_b64 vcc, exec, s[0:1]
	s_cbranch_vccnz .LBB47_3128
; %bb.3127:
	v_cndmask_b32_e64 v3, 0, 1, s[18:19]
	global_store_dword v[1:2], v3, off
.LBB47_3128:
	s_mov_b64 s[0:1], 0
.LBB47_3129:
	s_andn2_b64 vcc, exec, s[0:1]
	s_cbranch_vccnz .LBB47_3131
; %bb.3130:
	v_cndmask_b32_e64 v3, 0, 1, s[18:19]
	global_store_short v[1:2], v3, off
.LBB47_3131:
	s_mov_b64 s[0:1], 0
.LBB47_3132:
	s_andn2_b64 vcc, exec, s[0:1]
	s_cbranch_vccnz .LBB47_3137
; %bb.3133:
	s_cmp_gt_i32 s24, 0
	s_mov_b64 s[0:1], -1
	s_cbranch_scc0 .LBB47_3135
; %bb.3134:
	v_cndmask_b32_e64 v3, 0, 1, s[18:19]
	global_store_byte v[1:2], v3, off
	s_mov_b64 s[0:1], 0
.LBB47_3135:
	s_andn2_b64 vcc, exec, s[0:1]
	s_cbranch_vccnz .LBB47_3137
; %bb.3136:
	v_cndmask_b32_e64 v3, 0, 1, s[18:19]
	global_store_byte v[1:2], v3, off
.LBB47_3137:
	s_mov_b64 s[6:7], -1
.LBB47_3138:
	s_andn2_b64 vcc, exec, s[6:7]
	s_cbranch_vccnz .LBB47_3215
; %bb.3139:
	v_mov_b32_e32 v1, s9
	v_add_co_u32_e32 v0, vcc, s8, v0
	s_cmp_lt_i32 s24, 11
	v_addc_co_u32_e32 v1, vcc, 0, v1, vcc
	s_cbranch_scc1 .LBB47_3216
; %bb.3140:
	s_mov_b64 s[6:7], -1
	s_mov_b64 s[2:3], 0
	s_cmp_gt_i32 s24, 25
	s_mov_b64 s[0:1], 0
	s_cbranch_scc0 .LBB47_3173
; %bb.3141:
	s_cmp_gt_i32 s24, 28
	s_cbranch_scc0 .LBB47_3157
; %bb.3142:
	s_cmp_gt_i32 s24, 43
	;; [unrolled: 3-line block ×3, first 2 shown]
	s_cbranch_scc0 .LBB47_3147
; %bb.3144:
	s_cmp_eq_u32 s24, 46
	s_mov_b64 s[0:1], -1
	s_cbranch_scc0 .LBB47_3146
; %bb.3145:
	v_cndmask_b32_e64 v2, 0, 1.0, s[10:11]
	v_bfe_u32 v3, v2, 16, 1
	s_movk_i32 s0, 0x7fff
	v_add3_u32 v2, v2, v3, s0
	v_lshrrev_b32_e32 v2, 16, v2
	global_store_dword v[0:1], v2, off
	s_mov_b64 s[0:1], 0
.LBB47_3146:
	s_mov_b64 s[6:7], 0
.LBB47_3147:
	s_and_b64 vcc, exec, s[6:7]
	s_cbranch_vccz .LBB47_3152
; %bb.3148:
	s_cmp_eq_u32 s24, 44
	s_mov_b64 s[0:1], -1
	s_cbranch_scc0 .LBB47_3152
; %bb.3149:
	v_cndmask_b32_e64 v3, 0, 1.0, s[10:11]
	v_lshrrev_b32_e32 v2, 23, v3
	s_movk_i32 s0, 0xff
	v_cmp_ne_u32_e32 vcc, s0, v2
	v_mov_b32_e32 v4, 0xff
	s_and_saveexec_b64 s[6:7], vcc
; %bb.3150:
	s_mov_b32 s0, 0x3fffff
	v_and_b32_e32 v4, 0x400000, v3
	v_and_or_b32 v3, v3, s0, v2
	v_cmp_ne_u32_e32 vcc, 0, v4
	v_cmp_ne_u32_e64 s[0:1], 0, v3
	s_and_b64 s[0:1], vcc, s[0:1]
	v_cndmask_b32_e64 v3, 0, 1, s[0:1]
	v_add_u32_e32 v4, v2, v3
; %bb.3151:
	s_or_b64 exec, exec, s[6:7]
	s_mov_b64 s[0:1], 0
	global_store_byte v[0:1], v4, off
.LBB47_3152:
	s_mov_b64 s[6:7], 0
.LBB47_3153:
	s_and_b64 vcc, exec, s[6:7]
	s_cbranch_vccz .LBB47_3156
; %bb.3154:
	s_cmp_eq_u32 s24, 29
	s_mov_b64 s[0:1], -1
	s_cbranch_scc0 .LBB47_3156
; %bb.3155:
	s_mov_b32 s0, 0
	v_cndmask_b32_e64 v2, 0, 1, s[10:11]
	v_mov_b32_e32 v3, s0
	global_store_dwordx2 v[0:1], v[2:3], off
	s_mov_b64 s[0:1], 0
.LBB47_3156:
	s_mov_b64 s[6:7], 0
.LBB47_3157:
	s_and_b64 vcc, exec, s[6:7]
	s_cbranch_vccz .LBB47_3172
; %bb.3158:
	s_cmp_lt_i32 s24, 27
	s_mov_b64 s[6:7], -1
	s_cbranch_scc1 .LBB47_3164
; %bb.3159:
	s_cmp_gt_i32 s24, 27
	v_cndmask_b32_e64 v2, 0, 1, s[10:11]
	s_cbranch_scc0 .LBB47_3161
; %bb.3160:
	global_store_dword v[0:1], v2, off
	s_mov_b64 s[6:7], 0
.LBB47_3161:
	s_andn2_b64 vcc, exec, s[6:7]
	s_cbranch_vccnz .LBB47_3163
; %bb.3162:
	global_store_short v[0:1], v2, off
.LBB47_3163:
	s_mov_b64 s[6:7], 0
.LBB47_3164:
	s_andn2_b64 vcc, exec, s[6:7]
	s_cbranch_vccnz .LBB47_3172
; %bb.3165:
	v_cndmask_b32_e64 v3, 0, 1.0, s[10:11]
	s_mov_b32 s6, 0x43800000
	v_cmp_gt_u32_e32 vcc, s6, v3
	v_mov_b32_e32 v4, 0x80
	s_and_saveexec_b64 s[6:7], vcc
	s_cbranch_execz .LBB47_3171
; %bb.3166:
	s_mov_b32 s8, 0x3bffffff
	v_cmp_lt_u32_e32 vcc, s8, v3
	s_mov_b64 s[8:9], 0
                                        ; implicit-def: $vgpr2
	s_and_saveexec_b64 s[16:17], vcc
	s_xor_b64 s[16:17], exec, s[16:17]
	s_cbranch_execz .LBB47_3233
; %bb.3167:
	v_bfe_u32 v2, v3, 20, 1
	s_mov_b32 s18, 0x487ffff
	v_add3_u32 v2, v3, v2, s18
	s_mov_b64 s[8:9], exec
	v_lshrrev_b32_e32 v2, 20, v2
                                        ; implicit-def: $vgpr3
	s_andn2_saveexec_b64 s[16:17], s[16:17]
	s_cbranch_execnz .LBB47_3234
.LBB47_3168:
	s_or_b64 exec, exec, s[16:17]
	v_mov_b32_e32 v4, 0
	s_and_saveexec_b64 s[16:17], s[8:9]
.LBB47_3169:
	v_mov_b32_e32 v4, v2
.LBB47_3170:
	s_or_b64 exec, exec, s[16:17]
.LBB47_3171:
	s_or_b64 exec, exec, s[6:7]
	global_store_byte v[0:1], v4, off
.LBB47_3172:
	s_mov_b64 s[6:7], 0
.LBB47_3173:
	s_and_b64 vcc, exec, s[6:7]
	s_cbranch_vccz .LBB47_3213
; %bb.3174:
	s_cmp_gt_i32 s24, 22
	s_mov_b64 s[2:3], -1
	s_cbranch_scc0 .LBB47_3206
; %bb.3175:
	s_cmp_lt_i32 s24, 24
	s_cbranch_scc1 .LBB47_3195
; %bb.3176:
	s_cmp_gt_i32 s24, 24
	s_cbranch_scc0 .LBB47_3184
; %bb.3177:
	v_cndmask_b32_e64 v3, 0, 1.0, s[10:11]
	s_mov_b32 s2, 0x47800000
	v_cmp_gt_u32_e32 vcc, s2, v3
	v_mov_b32_e32 v4, 0x80
	s_and_saveexec_b64 s[2:3], vcc
	s_cbranch_execz .LBB47_3183
; %bb.3178:
	s_mov_b32 s6, 0x37ffffff
	v_cmp_lt_u32_e32 vcc, s6, v3
	s_mov_b64 s[6:7], 0
                                        ; implicit-def: $vgpr2
	s_and_saveexec_b64 s[8:9], vcc
	s_xor_b64 s[8:9], exec, s[8:9]
	s_cbranch_execz .LBB47_3236
; %bb.3179:
	v_bfe_u32 v2, v3, 21, 1
	s_mov_b32 s16, 0x88fffff
	v_add3_u32 v2, v3, v2, s16
	s_mov_b64 s[6:7], exec
	v_lshrrev_b32_e32 v2, 21, v2
                                        ; implicit-def: $vgpr3
	s_andn2_saveexec_b64 s[8:9], s[8:9]
	s_cbranch_execnz .LBB47_3237
.LBB47_3180:
	s_or_b64 exec, exec, s[8:9]
	v_mov_b32_e32 v4, 0
	s_and_saveexec_b64 s[8:9], s[6:7]
.LBB47_3181:
	v_mov_b32_e32 v4, v2
.LBB47_3182:
	s_or_b64 exec, exec, s[8:9]
.LBB47_3183:
	s_or_b64 exec, exec, s[2:3]
	s_mov_b64 s[2:3], 0
	global_store_byte v[0:1], v4, off
.LBB47_3184:
	s_and_b64 vcc, exec, s[2:3]
	s_cbranch_vccz .LBB47_3194
; %bb.3185:
	v_cndmask_b32_e64 v2, 0, 1.0, s[10:11]
	s_mov_b32 s2, 0x43f00000
	v_cmp_gt_u32_e32 vcc, s2, v2
                                        ; implicit-def: $vgpr3
	s_and_saveexec_b64 s[2:3], vcc
	s_xor_b64 s[2:3], exec, s[2:3]
	s_cbranch_execz .LBB47_3191
; %bb.3186:
	s_mov_b32 s6, 0x3c7fffff
	v_cmp_lt_u32_e32 vcc, s6, v2
                                        ; implicit-def: $vgpr3
	s_and_saveexec_b64 s[6:7], vcc
	s_xor_b64 s[6:7], exec, s[6:7]
; %bb.3187:
	v_bfe_u32 v3, v2, 20, 1
	s_mov_b32 s8, 0x407ffff
	v_add3_u32 v2, v2, v3, s8
	v_lshrrev_b32_e32 v3, 20, v2
	v_and_b32_e32 v2, 0xff00000, v2
	s_mov_b32 s8, 0x7f00000
	v_mov_b32_e32 v4, 0x7e
	v_cmp_ne_u32_e32 vcc, s8, v2
	v_cndmask_b32_e32 v3, v4, v3, vcc
                                        ; implicit-def: $vgpr2
; %bb.3188:
	s_andn2_saveexec_b64 s[6:7], s[6:7]
; %bb.3189:
	v_add_f32_e32 v3, 0x46800000, v2
; %bb.3190:
	s_or_b64 exec, exec, s[6:7]
                                        ; implicit-def: $vgpr2
.LBB47_3191:
	s_andn2_saveexec_b64 s[2:3], s[2:3]
; %bb.3192:
	s_mov_b32 s6, 0x7f800000
	v_mov_b32_e32 v3, 0x7e
	v_mov_b32_e32 v4, 0x7f
	v_cmp_lt_u32_e32 vcc, s6, v2
	v_cndmask_b32_e32 v3, v3, v4, vcc
; %bb.3193:
	s_or_b64 exec, exec, s[2:3]
	global_store_byte v[0:1], v3, off
.LBB47_3194:
	s_mov_b64 s[2:3], 0
.LBB47_3195:
	s_andn2_b64 vcc, exec, s[2:3]
	s_cbranch_vccnz .LBB47_3205
; %bb.3196:
	v_cndmask_b32_e64 v2, 0, 1.0, s[10:11]
	s_mov_b32 s2, 0x47800000
	v_cmp_gt_u32_e32 vcc, s2, v2
                                        ; implicit-def: $vgpr3
	s_and_saveexec_b64 s[2:3], vcc
	s_xor_b64 s[2:3], exec, s[2:3]
	s_cbranch_execz .LBB47_3202
; %bb.3197:
	s_mov_b32 s6, 0x387fffff
	v_cmp_lt_u32_e32 vcc, s6, v2
                                        ; implicit-def: $vgpr3
	s_and_saveexec_b64 s[6:7], vcc
	s_xor_b64 s[6:7], exec, s[6:7]
; %bb.3198:
	v_bfe_u32 v3, v2, 21, 1
	s_mov_b32 s8, 0x80fffff
	v_add3_u32 v2, v2, v3, s8
	v_lshrrev_b32_e32 v3, 21, v2
                                        ; implicit-def: $vgpr2
; %bb.3199:
	s_andn2_saveexec_b64 s[6:7], s[6:7]
; %bb.3200:
	v_add_f32_e32 v3, 0x43000000, v2
; %bb.3201:
	s_or_b64 exec, exec, s[6:7]
                                        ; implicit-def: $vgpr2
.LBB47_3202:
	s_andn2_saveexec_b64 s[2:3], s[2:3]
; %bb.3203:
	s_mov_b32 s6, 0x7f800000
	v_mov_b32_e32 v3, 0x7c
	v_mov_b32_e32 v4, 0x7f
	v_cmp_lt_u32_e32 vcc, s6, v2
	v_cndmask_b32_e32 v3, v3, v4, vcc
; %bb.3204:
	s_or_b64 exec, exec, s[2:3]
	global_store_byte v[0:1], v3, off
.LBB47_3205:
	s_mov_b64 s[2:3], 0
.LBB47_3206:
	s_andn2_b64 vcc, exec, s[2:3]
	s_mov_b64 s[2:3], 0
	s_cbranch_vccnz .LBB47_3213
; %bb.3207:
	s_cmp_gt_i32 s24, 14
	s_mov_b64 s[6:7], -1
	s_cbranch_scc0 .LBB47_3211
; %bb.3208:
	s_cmp_eq_u32 s24, 15
	s_mov_b64 s[0:1], -1
	s_cbranch_scc0 .LBB47_3210
; %bb.3209:
	v_cndmask_b32_e64 v2, 0, 1.0, s[10:11]
	v_bfe_u32 v3, v2, 16, 1
	s_movk_i32 s0, 0x7fff
	v_add3_u32 v2, v2, v3, s0
	global_store_short_d16_hi v[0:1], v2, off
	s_mov_b64 s[0:1], 0
.LBB47_3210:
	s_mov_b64 s[6:7], 0
.LBB47_3211:
	s_and_b64 vcc, exec, s[6:7]
	s_cbranch_vccz .LBB47_3213
; %bb.3212:
	s_cmp_lg_u32 s24, 11
	s_mov_b64 s[2:3], -1
	s_cselect_b64 s[0:1], -1, 0
.LBB47_3213:
	s_and_b64 vcc, exec, s[0:1]
	s_cbranch_vccnz .LBB47_3235
.LBB47_3214:
	s_mov_b64 s[0:1], 0
	s_branch .LBB47_2725
.LBB47_3215:
	s_mov_b64 s[0:1], 0
	s_branch .LBB47_2724
.LBB47_3216:
	s_mov_b64 s[2:3], 0
	s_mov_b64 s[0:1], -1
	s_branch .LBB47_2725
.LBB47_3217:
	s_trap 2
	s_or_b64 s[4:5], s[4:5], exec
	s_cbranch_execz .LBB47_2667
	s_branch .LBB47_2668
.LBB47_3218:
	s_andn2_saveexec_b64 s[24:25], s[24:25]
	s_cbranch_execz .LBB47_2808
.LBB47_3219:
	v_add_f32_e32 v1, 0x46000000, v3
	v_and_b32_e32 v1, 0xff, v1
	v_cmp_ne_u32_e32 vcc, 0, v1
	s_andn2_b64 s[22:23], s[22:23], exec
	s_and_b64 s[28:29], vcc, exec
	s_or_b64 s[22:23], s[22:23], s[28:29]
	s_or_b64 exec, exec, s[24:25]
	v_mov_b32_e32 v7, 0
	s_and_saveexec_b64 s[24:25], s[22:23]
	s_cbranch_execnz .LBB47_2809
	s_branch .LBB47_2810
.LBB47_3220:
	s_trap 2
	s_or_b64 s[4:5], s[4:5], exec
	s_cbranch_execz .LBB47_2856
	s_branch .LBB47_2857
.LBB47_3221:
	s_andn2_saveexec_b64 s[22:23], s[22:23]
	s_cbranch_execz .LBB47_2821
.LBB47_3222:
	v_add_f32_e32 v1, 0x42800000, v3
	v_and_b32_e32 v1, 0xff, v1
	v_cmp_ne_u32_e32 vcc, 0, v1
	s_andn2_b64 s[20:21], s[20:21], exec
	s_and_b64 s[24:25], vcc, exec
	s_or_b64 s[20:21], s[20:21], s[24:25]
	s_or_b64 exec, exec, s[22:23]
	v_mov_b32_e32 v7, 0
	s_and_saveexec_b64 s[22:23], s[20:21]
	s_cbranch_execnz .LBB47_2822
	s_branch .LBB47_2823
.LBB47_3223:
	s_andn2_saveexec_b64 s[22:23], s[22:23]
	s_cbranch_execz .LBB47_2929
.LBB47_3224:
	v_add_f32_e32 v1, 0x46000000, v5
	v_and_b32_e32 v1, 0xff, v1
	v_cmp_ne_u32_e32 vcc, 0, v1
	s_andn2_b64 s[20:21], s[20:21], exec
	s_and_b64 s[28:29], vcc, exec
	s_or_b64 s[20:21], s[20:21], s[28:29]
	s_or_b64 exec, exec, s[22:23]
	v_mov_b32_e32 v6, 0
	s_and_saveexec_b64 s[22:23], s[20:21]
	s_cbranch_execnz .LBB47_2930
	s_branch .LBB47_2931
.LBB47_3225:
	s_trap 2
	s_or_b64 s[4:5], s[4:5], exec
	s_cbranch_execz .LBB47_2977
	s_branch .LBB47_2978
.LBB47_3226:
	s_andn2_saveexec_b64 s[20:21], s[20:21]
	s_cbranch_execz .LBB47_2942
.LBB47_3227:
	v_add_f32_e32 v1, 0x42800000, v5
	v_and_b32_e32 v1, 0xff, v1
	v_cmp_ne_u32_e32 vcc, 0, v1
	s_andn2_b64 s[6:7], s[6:7], exec
	s_and_b64 s[22:23], vcc, exec
	s_or_b64 s[6:7], s[6:7], s[22:23]
	s_or_b64 exec, exec, s[20:21]
	v_mov_b32_e32 v6, 0
	s_and_saveexec_b64 s[20:21], s[6:7]
	s_cbranch_execnz .LBB47_2943
	s_branch .LBB47_2944
.LBB47_3228:
	s_andn2_saveexec_b64 s[20:21], s[20:21]
	s_cbranch_execz .LBB47_3048
.LBB47_3229:
	v_add_f32_e32 v3, 0x46000000, v4
	v_and_b32_e32 v3, 0xff, v3
	v_cmp_ne_u32_e32 vcc, 0, v3
	s_andn2_b64 s[16:17], s[16:17], exec
	s_and_b64 s[22:23], vcc, exec
	s_or_b64 s[16:17], s[16:17], s[22:23]
	s_or_b64 exec, exec, s[20:21]
	v_mov_b32_e32 v5, 0
	s_and_saveexec_b64 s[20:21], s[16:17]
	s_cbranch_execnz .LBB47_3049
	s_branch .LBB47_3050
.LBB47_3230:
	s_trap 2
	s_or_b64 s[4:5], s[4:5], exec
	s_cbranch_execz .LBB47_3096
	s_branch .LBB47_3097
.LBB47_3231:
	s_andn2_saveexec_b64 s[16:17], s[16:17]
	s_cbranch_execz .LBB47_3061
.LBB47_3232:
	v_add_f32_e32 v3, 0x42800000, v4
	v_and_b32_e32 v3, 0xff, v3
	v_cmp_ne_u32_e32 vcc, 0, v3
	s_andn2_b64 s[6:7], s[6:7], exec
	s_and_b64 s[20:21], vcc, exec
	s_or_b64 s[6:7], s[6:7], s[20:21]
	s_or_b64 exec, exec, s[16:17]
	v_mov_b32_e32 v5, 0
	s_and_saveexec_b64 s[16:17], s[6:7]
	s_cbranch_execnz .LBB47_3062
	s_branch .LBB47_3063
.LBB47_3233:
	s_andn2_saveexec_b64 s[16:17], s[16:17]
	s_cbranch_execz .LBB47_3168
.LBB47_3234:
	v_add_f32_e32 v2, 0x46000000, v3
	v_and_b32_e32 v2, 0xff, v2
	v_cmp_ne_u32_e32 vcc, 0, v2
	s_andn2_b64 s[8:9], s[8:9], exec
	s_and_b64 s[18:19], vcc, exec
	s_or_b64 s[8:9], s[8:9], s[18:19]
	s_or_b64 exec, exec, s[16:17]
	v_mov_b32_e32 v4, 0
	s_and_saveexec_b64 s[16:17], s[8:9]
	s_cbranch_execnz .LBB47_3169
	s_branch .LBB47_3170
.LBB47_3235:
	s_mov_b64 s[2:3], 0
	s_or_b64 s[4:5], s[4:5], exec
	s_trap 2
	s_branch .LBB47_3214
.LBB47_3236:
	s_andn2_saveexec_b64 s[8:9], s[8:9]
	s_cbranch_execz .LBB47_3180
.LBB47_3237:
	v_add_f32_e32 v2, 0x42800000, v3
	v_and_b32_e32 v2, 0xff, v2
	v_cmp_ne_u32_e32 vcc, 0, v2
	s_andn2_b64 s[6:7], s[6:7], exec
	s_and_b64 s[16:17], vcc, exec
	s_or_b64 s[6:7], s[6:7], s[16:17]
	s_or_b64 exec, exec, s[8:9]
	v_mov_b32_e32 v4, 0
	s_and_saveexec_b64 s[8:9], s[6:7]
	s_cbranch_execnz .LBB47_3181
	s_branch .LBB47_3182
	.section	.rodata,"a",@progbits
	.p2align	6, 0x0
	.amdhsa_kernel _ZN2at6native32elementwise_kernel_manual_unrollILi128ELi4EZNS0_15gpu_kernel_implINS0_12_GLOBAL__N_114CompareFunctorIiEEEEvRNS_18TensorIteratorBaseERKT_EUlibE0_EEviT1_
		.amdhsa_group_segment_fixed_size 0
		.amdhsa_private_segment_fixed_size 0
		.amdhsa_kernarg_size 432
		.amdhsa_user_sgpr_count 6
		.amdhsa_user_sgpr_private_segment_buffer 1
		.amdhsa_user_sgpr_dispatch_ptr 0
		.amdhsa_user_sgpr_queue_ptr 0
		.amdhsa_user_sgpr_kernarg_segment_ptr 1
		.amdhsa_user_sgpr_dispatch_id 0
		.amdhsa_user_sgpr_flat_scratch_init 0
		.amdhsa_user_sgpr_private_segment_size 0
		.amdhsa_uses_dynamic_stack 0
		.amdhsa_system_sgpr_private_segment_wavefront_offset 0
		.amdhsa_system_sgpr_workgroup_id_x 1
		.amdhsa_system_sgpr_workgroup_id_y 0
		.amdhsa_system_sgpr_workgroup_id_z 0
		.amdhsa_system_sgpr_workgroup_info 0
		.amdhsa_system_vgpr_workitem_id 0
		.amdhsa_next_free_vgpr 24
		.amdhsa_next_free_sgpr 80
		.amdhsa_reserve_vcc 1
		.amdhsa_reserve_flat_scratch 0
		.amdhsa_float_round_mode_32 0
		.amdhsa_float_round_mode_16_64 0
		.amdhsa_float_denorm_mode_32 3
		.amdhsa_float_denorm_mode_16_64 3
		.amdhsa_dx10_clamp 1
		.amdhsa_ieee_mode 1
		.amdhsa_fp16_overflow 0
		.amdhsa_exception_fp_ieee_invalid_op 0
		.amdhsa_exception_fp_denorm_src 0
		.amdhsa_exception_fp_ieee_div_zero 0
		.amdhsa_exception_fp_ieee_overflow 0
		.amdhsa_exception_fp_ieee_underflow 0
		.amdhsa_exception_fp_ieee_inexact 0
		.amdhsa_exception_int_div_zero 0
	.end_amdhsa_kernel
	.section	.text._ZN2at6native32elementwise_kernel_manual_unrollILi128ELi4EZNS0_15gpu_kernel_implINS0_12_GLOBAL__N_114CompareFunctorIiEEEEvRNS_18TensorIteratorBaseERKT_EUlibE0_EEviT1_,"axG",@progbits,_ZN2at6native32elementwise_kernel_manual_unrollILi128ELi4EZNS0_15gpu_kernel_implINS0_12_GLOBAL__N_114CompareFunctorIiEEEEvRNS_18TensorIteratorBaseERKT_EUlibE0_EEviT1_,comdat
.Lfunc_end47:
	.size	_ZN2at6native32elementwise_kernel_manual_unrollILi128ELi4EZNS0_15gpu_kernel_implINS0_12_GLOBAL__N_114CompareFunctorIiEEEEvRNS_18TensorIteratorBaseERKT_EUlibE0_EEviT1_, .Lfunc_end47-_ZN2at6native32elementwise_kernel_manual_unrollILi128ELi4EZNS0_15gpu_kernel_implINS0_12_GLOBAL__N_114CompareFunctorIiEEEEvRNS_18TensorIteratorBaseERKT_EUlibE0_EEviT1_
                                        ; -- End function
	.set _ZN2at6native32elementwise_kernel_manual_unrollILi128ELi4EZNS0_15gpu_kernel_implINS0_12_GLOBAL__N_114CompareFunctorIiEEEEvRNS_18TensorIteratorBaseERKT_EUlibE0_EEviT1_.num_vgpr, 24
	.set _ZN2at6native32elementwise_kernel_manual_unrollILi128ELi4EZNS0_15gpu_kernel_implINS0_12_GLOBAL__N_114CompareFunctorIiEEEEvRNS_18TensorIteratorBaseERKT_EUlibE0_EEviT1_.num_agpr, 0
	.set _ZN2at6native32elementwise_kernel_manual_unrollILi128ELi4EZNS0_15gpu_kernel_implINS0_12_GLOBAL__N_114CompareFunctorIiEEEEvRNS_18TensorIteratorBaseERKT_EUlibE0_EEviT1_.numbered_sgpr, 80
	.set _ZN2at6native32elementwise_kernel_manual_unrollILi128ELi4EZNS0_15gpu_kernel_implINS0_12_GLOBAL__N_114CompareFunctorIiEEEEvRNS_18TensorIteratorBaseERKT_EUlibE0_EEviT1_.num_named_barrier, 0
	.set _ZN2at6native32elementwise_kernel_manual_unrollILi128ELi4EZNS0_15gpu_kernel_implINS0_12_GLOBAL__N_114CompareFunctorIiEEEEvRNS_18TensorIteratorBaseERKT_EUlibE0_EEviT1_.private_seg_size, 0
	.set _ZN2at6native32elementwise_kernel_manual_unrollILi128ELi4EZNS0_15gpu_kernel_implINS0_12_GLOBAL__N_114CompareFunctorIiEEEEvRNS_18TensorIteratorBaseERKT_EUlibE0_EEviT1_.uses_vcc, 1
	.set _ZN2at6native32elementwise_kernel_manual_unrollILi128ELi4EZNS0_15gpu_kernel_implINS0_12_GLOBAL__N_114CompareFunctorIiEEEEvRNS_18TensorIteratorBaseERKT_EUlibE0_EEviT1_.uses_flat_scratch, 0
	.set _ZN2at6native32elementwise_kernel_manual_unrollILi128ELi4EZNS0_15gpu_kernel_implINS0_12_GLOBAL__N_114CompareFunctorIiEEEEvRNS_18TensorIteratorBaseERKT_EUlibE0_EEviT1_.has_dyn_sized_stack, 0
	.set _ZN2at6native32elementwise_kernel_manual_unrollILi128ELi4EZNS0_15gpu_kernel_implINS0_12_GLOBAL__N_114CompareFunctorIiEEEEvRNS_18TensorIteratorBaseERKT_EUlibE0_EEviT1_.has_recursion, 0
	.set _ZN2at6native32elementwise_kernel_manual_unrollILi128ELi4EZNS0_15gpu_kernel_implINS0_12_GLOBAL__N_114CompareFunctorIiEEEEvRNS_18TensorIteratorBaseERKT_EUlibE0_EEviT1_.has_indirect_call, 0
	.section	.AMDGPU.csdata,"",@progbits
; Kernel info:
; codeLenInByte = 49596
; TotalNumSgprs: 84
; NumVgprs: 24
; ScratchSize: 0
; MemoryBound: 1
; FloatMode: 240
; IeeeMode: 1
; LDSByteSize: 0 bytes/workgroup (compile time only)
; SGPRBlocks: 10
; VGPRBlocks: 5
; NumSGPRsForWavesPerEU: 84
; NumVGPRsForWavesPerEU: 24
; Occupancy: 9
; WaveLimiterHint : 1
; COMPUTE_PGM_RSRC2:SCRATCH_EN: 0
; COMPUTE_PGM_RSRC2:USER_SGPR: 6
; COMPUTE_PGM_RSRC2:TRAP_HANDLER: 0
; COMPUTE_PGM_RSRC2:TGID_X_EN: 1
; COMPUTE_PGM_RSRC2:TGID_Y_EN: 0
; COMPUTE_PGM_RSRC2:TGID_Z_EN: 0
; COMPUTE_PGM_RSRC2:TIDIG_COMP_CNT: 0
	.section	.text._ZN2at6native29vectorized_elementwise_kernelILi16EZNS0_21compare_scalar_kernelIlEEvRNS_18TensorIteratorBaseENS0_12_GLOBAL__N_16OpTypeET_EUllE_St5arrayIPcLm2EEEEviT0_T1_,"axG",@progbits,_ZN2at6native29vectorized_elementwise_kernelILi16EZNS0_21compare_scalar_kernelIlEEvRNS_18TensorIteratorBaseENS0_12_GLOBAL__N_16OpTypeET_EUllE_St5arrayIPcLm2EEEEviT0_T1_,comdat
	.globl	_ZN2at6native29vectorized_elementwise_kernelILi16EZNS0_21compare_scalar_kernelIlEEvRNS_18TensorIteratorBaseENS0_12_GLOBAL__N_16OpTypeET_EUllE_St5arrayIPcLm2EEEEviT0_T1_ ; -- Begin function _ZN2at6native29vectorized_elementwise_kernelILi16EZNS0_21compare_scalar_kernelIlEEvRNS_18TensorIteratorBaseENS0_12_GLOBAL__N_16OpTypeET_EUllE_St5arrayIPcLm2EEEEviT0_T1_
	.p2align	8
	.type	_ZN2at6native29vectorized_elementwise_kernelILi16EZNS0_21compare_scalar_kernelIlEEvRNS_18TensorIteratorBaseENS0_12_GLOBAL__N_16OpTypeET_EUllE_St5arrayIPcLm2EEEEviT0_T1_,@function
_ZN2at6native29vectorized_elementwise_kernelILi16EZNS0_21compare_scalar_kernelIlEEvRNS_18TensorIteratorBaseENS0_12_GLOBAL__N_16OpTypeET_EUllE_St5arrayIPcLm2EEEEviT0_T1_: ; @_ZN2at6native29vectorized_elementwise_kernelILi16EZNS0_21compare_scalar_kernelIlEEvRNS_18TensorIteratorBaseENS0_12_GLOBAL__N_16OpTypeET_EUllE_St5arrayIPcLm2EEEEviT0_T1_
; %bb.0:
	s_load_dword s0, s[4:5], 0x0
	s_load_dword s48, s[4:5], 0x8
	s_load_dwordx4 s[8:11], s[4:5], 0x10
	s_load_dwordx2 s[12:13], s[4:5], 0x20
	s_lshl_b32 s2, s6, 12
	s_waitcnt lgkmcnt(0)
	s_sub_i32 s33, s0, s2
	s_cmpk_gt_i32 s33, 0xfff
	s_mov_b64 s[0:1], -1
	s_cbranch_scc0 .LBB48_211
; %bb.1:
	s_ashr_i32 s3, s2, 31
	s_lshl_b64 s[0:1], s[2:3], 3
	s_add_u32 s0, s12, s0
	s_addc_u32 s1, s13, s1
	v_lshlrev_b32_e32 v33, 7, v0
	global_load_dwordx4 v[17:20], v33, s[0:1] offset:48
	global_load_dwordx4 v[21:24], v33, s[0:1] offset:32
	;; [unrolled: 1-line block ×3, first 2 shown]
	global_load_dwordx4 v[29:32], v33, s[0:1]
	global_load_dwordx4 v[1:4], v33, s[0:1] offset:112
	global_load_dwordx4 v[5:8], v33, s[0:1] offset:96
	;; [unrolled: 1-line block ×4, first 2 shown]
	s_cmp_lt_i32 s48, 1
	s_mov_b64 s[4:5], 0
	s_cbranch_scc1 .LBB48_5
; %bb.2:
	s_cmp_gt_i32 s48, 1
	s_cbranch_scc0 .LBB48_6
; %bb.3:
	s_cmp_eq_u32 s48, 2
	s_cbranch_scc0 .LBB48_7
; %bb.4:
	s_waitcnt vmcnt(4)
	v_cmp_ge_i64_e64 s[0:1], s[8:9], v[29:30]
	s_mov_b64 s[6:7], 0
	s_branch .LBB48_8
.LBB48_5:
                                        ; implicit-def: $sgpr0_sgpr1
	s_mov_b64 s[6:7], 0
	s_cbranch_execnz .LBB48_11
	s_branch .LBB48_12
.LBB48_6:
	s_mov_b64 s[6:7], 0
                                        ; implicit-def: $sgpr0_sgpr1
	s_cbranch_execnz .LBB48_9
	s_branch .LBB48_10
.LBB48_7:
	s_mov_b64 s[6:7], -1
                                        ; implicit-def: $sgpr0_sgpr1
.LBB48_8:
	s_branch .LBB48_10
.LBB48_9:
	s_waitcnt vmcnt(4)
	v_cmp_lt_i64_e32 vcc, s[8:9], v[29:30]
	s_andn2_b64 s[0:1], s[0:1], exec
	s_and_b64 s[14:15], vcc, exec
	s_or_b64 s[0:1], s[0:1], s[14:15]
.LBB48_10:
	s_branch .LBB48_12
.LBB48_11:
	s_cmp_lg_u32 s48, 0
	s_mov_b64 s[4:5], -1
	s_cselect_b64 s[6:7], -1, 0
.LBB48_12:
	s_andn2_b64 vcc, exec, s[6:7]
	s_cbranch_vccz .LBB48_18
; %bb.13:
	s_andn2_b64 vcc, exec, s[4:5]
	s_cbranch_vccz .LBB48_19
.LBB48_14:
	s_cmp_lt_i32 s48, 1
	s_mov_b64 s[6:7], 0
	s_cbranch_scc1 .LBB48_20
.LBB48_15:
	s_cmp_gt_i32 s48, 1
	s_cbranch_scc0 .LBB48_21
; %bb.16:
	s_cmp_eq_u32 s48, 2
	s_cbranch_scc0 .LBB48_251
; %bb.17:
	s_waitcnt vmcnt(4)
	v_cmp_ge_i64_e64 s[4:5], s[8:9], v[31:32]
	s_mov_b64 s[14:15], 0
	s_branch .LBB48_23
.LBB48_18:
	s_waitcnt vmcnt(4)
	v_cmp_gt_i64_e32 vcc, s[8:9], v[29:30]
	s_andn2_b64 s[0:1], s[0:1], exec
	s_and_b64 s[6:7], vcc, exec
	s_or_b64 s[0:1], s[0:1], s[6:7]
	s_cbranch_execnz .LBB48_14
.LBB48_19:
	s_waitcnt vmcnt(4)
	v_cmp_le_i64_e32 vcc, s[8:9], v[29:30]
	s_andn2_b64 s[0:1], s[0:1], exec
	s_and_b64 s[4:5], vcc, exec
	s_or_b64 s[0:1], s[0:1], s[4:5]
	s_cmp_lt_i32 s48, 1
	s_mov_b64 s[6:7], 0
	s_cbranch_scc0 .LBB48_15
.LBB48_20:
                                        ; implicit-def: $sgpr4_sgpr5
	s_mov_b64 s[14:15], 0
	s_cbranch_execnz .LBB48_24
	s_branch .LBB48_25
.LBB48_21:
	s_mov_b64 s[14:15], 0
                                        ; implicit-def: $sgpr4_sgpr5
	s_cbranch_execz .LBB48_23
; %bb.22:
	s_waitcnt vmcnt(4)
	v_cmp_lt_i64_e32 vcc, s[8:9], v[31:32]
	s_andn2_b64 s[4:5], s[4:5], exec
	s_and_b64 s[16:17], vcc, exec
	s_or_b64 s[4:5], s[4:5], s[16:17]
.LBB48_23:
	s_branch .LBB48_25
.LBB48_24:
	s_cmp_lg_u32 s48, 0
	s_mov_b64 s[6:7], -1
	s_cselect_b64 s[14:15], -1, 0
.LBB48_25:
	s_andn2_b64 vcc, exec, s[14:15]
	s_cbranch_vccz .LBB48_31
; %bb.26:
	s_andn2_b64 vcc, exec, s[6:7]
	s_cbranch_vccz .LBB48_32
.LBB48_27:
	s_cmp_lt_i32 s48, 1
	s_mov_b64 s[14:15], 0
	s_cbranch_scc1 .LBB48_33
.LBB48_28:
	s_cmp_gt_i32 s48, 1
	s_cbranch_scc0 .LBB48_34
; %bb.29:
	s_cmp_eq_u32 s48, 2
	s_cbranch_scc0 .LBB48_252
; %bb.30:
	s_waitcnt vmcnt(5)
	v_cmp_ge_i64_e64 s[6:7], s[8:9], v[25:26]
	s_mov_b64 s[16:17], 0
	s_branch .LBB48_36
.LBB48_31:
	s_waitcnt vmcnt(4)
	v_cmp_gt_i64_e32 vcc, s[8:9], v[31:32]
	s_andn2_b64 s[4:5], s[4:5], exec
	s_and_b64 s[14:15], vcc, exec
	s_or_b64 s[4:5], s[4:5], s[14:15]
	s_cbranch_execnz .LBB48_27
.LBB48_32:
	s_waitcnt vmcnt(4)
	v_cmp_le_i64_e32 vcc, s[8:9], v[31:32]
	s_andn2_b64 s[4:5], s[4:5], exec
	s_and_b64 s[6:7], vcc, exec
	s_or_b64 s[4:5], s[4:5], s[6:7]
	s_cmp_lt_i32 s48, 1
	s_mov_b64 s[14:15], 0
	s_cbranch_scc0 .LBB48_28
.LBB48_33:
                                        ; implicit-def: $sgpr6_sgpr7
	s_mov_b64 s[16:17], 0
	s_cbranch_execnz .LBB48_37
	s_branch .LBB48_38
.LBB48_34:
	s_mov_b64 s[16:17], 0
                                        ; implicit-def: $sgpr6_sgpr7
	s_cbranch_execz .LBB48_36
; %bb.35:
	s_waitcnt vmcnt(5)
	v_cmp_lt_i64_e32 vcc, s[8:9], v[25:26]
	s_andn2_b64 s[6:7], s[6:7], exec
	s_and_b64 s[18:19], vcc, exec
	s_or_b64 s[6:7], s[6:7], s[18:19]
.LBB48_36:
	s_branch .LBB48_38
.LBB48_37:
	s_cmp_lg_u32 s48, 0
	s_mov_b64 s[14:15], -1
	s_cselect_b64 s[16:17], -1, 0
.LBB48_38:
	s_andn2_b64 vcc, exec, s[16:17]
	s_cbranch_vccz .LBB48_44
; %bb.39:
	s_andn2_b64 vcc, exec, s[14:15]
	s_cbranch_vccz .LBB48_45
.LBB48_40:
	s_cmp_lt_i32 s48, 1
	s_mov_b64 s[16:17], 0
	s_cbranch_scc1 .LBB48_46
.LBB48_41:
	s_cmp_gt_i32 s48, 1
	s_cbranch_scc0 .LBB48_47
; %bb.42:
	s_cmp_eq_u32 s48, 2
	s_cbranch_scc0 .LBB48_253
; %bb.43:
	s_waitcnt vmcnt(5)
	v_cmp_ge_i64_e64 s[14:15], s[8:9], v[27:28]
	s_mov_b64 s[18:19], 0
	s_branch .LBB48_49
.LBB48_44:
	s_waitcnt vmcnt(5)
	v_cmp_gt_i64_e32 vcc, s[8:9], v[25:26]
	s_andn2_b64 s[6:7], s[6:7], exec
	s_and_b64 s[16:17], vcc, exec
	s_or_b64 s[6:7], s[6:7], s[16:17]
	s_cbranch_execnz .LBB48_40
.LBB48_45:
	s_waitcnt vmcnt(5)
	v_cmp_le_i64_e32 vcc, s[8:9], v[25:26]
	s_andn2_b64 s[6:7], s[6:7], exec
	s_and_b64 s[14:15], vcc, exec
	s_or_b64 s[6:7], s[6:7], s[14:15]
	s_cmp_lt_i32 s48, 1
	s_mov_b64 s[16:17], 0
	s_cbranch_scc0 .LBB48_41
.LBB48_46:
                                        ; implicit-def: $sgpr14_sgpr15
	s_mov_b64 s[18:19], 0
	s_cbranch_execnz .LBB48_50
	s_branch .LBB48_51
.LBB48_47:
	s_mov_b64 s[18:19], 0
                                        ; implicit-def: $sgpr14_sgpr15
	s_cbranch_execz .LBB48_49
; %bb.48:
	s_waitcnt vmcnt(5)
	v_cmp_lt_i64_e32 vcc, s[8:9], v[27:28]
	s_andn2_b64 s[14:15], s[14:15], exec
	s_and_b64 s[20:21], vcc, exec
	s_or_b64 s[14:15], s[14:15], s[20:21]
.LBB48_49:
	s_branch .LBB48_51
.LBB48_50:
	s_cmp_lg_u32 s48, 0
	s_mov_b64 s[16:17], -1
	s_cselect_b64 s[18:19], -1, 0
.LBB48_51:
	s_andn2_b64 vcc, exec, s[18:19]
	s_cbranch_vccz .LBB48_57
; %bb.52:
	s_andn2_b64 vcc, exec, s[16:17]
	s_cbranch_vccz .LBB48_58
.LBB48_53:
	s_cmp_lt_i32 s48, 1
	s_mov_b64 s[18:19], 0
	s_cbranch_scc1 .LBB48_59
.LBB48_54:
	s_cmp_gt_i32 s48, 1
	s_cbranch_scc0 .LBB48_60
; %bb.55:
	s_cmp_eq_u32 s48, 2
	s_cbranch_scc0 .LBB48_254
; %bb.56:
	s_waitcnt vmcnt(6)
	v_cmp_ge_i64_e64 s[16:17], s[8:9], v[21:22]
	s_mov_b64 s[20:21], 0
	s_branch .LBB48_62
.LBB48_57:
	s_waitcnt vmcnt(5)
	v_cmp_gt_i64_e32 vcc, s[8:9], v[27:28]
	s_andn2_b64 s[14:15], s[14:15], exec
	s_and_b64 s[18:19], vcc, exec
	s_or_b64 s[14:15], s[14:15], s[18:19]
	s_cbranch_execnz .LBB48_53
.LBB48_58:
	s_waitcnt vmcnt(5)
	v_cmp_le_i64_e32 vcc, s[8:9], v[27:28]
	s_andn2_b64 s[14:15], s[14:15], exec
	s_and_b64 s[16:17], vcc, exec
	s_or_b64 s[14:15], s[14:15], s[16:17]
	s_cmp_lt_i32 s48, 1
	s_mov_b64 s[18:19], 0
	s_cbranch_scc0 .LBB48_54
.LBB48_59:
                                        ; implicit-def: $sgpr16_sgpr17
	s_mov_b64 s[20:21], 0
	s_cbranch_execnz .LBB48_63
	s_branch .LBB48_64
.LBB48_60:
	s_mov_b64 s[20:21], 0
                                        ; implicit-def: $sgpr16_sgpr17
	s_cbranch_execz .LBB48_62
; %bb.61:
	s_waitcnt vmcnt(6)
	v_cmp_lt_i64_e32 vcc, s[8:9], v[21:22]
	s_andn2_b64 s[16:17], s[16:17], exec
	s_and_b64 s[22:23], vcc, exec
	s_or_b64 s[16:17], s[16:17], s[22:23]
.LBB48_62:
	s_branch .LBB48_64
.LBB48_63:
	s_cmp_lg_u32 s48, 0
	s_mov_b64 s[18:19], -1
	s_cselect_b64 s[20:21], -1, 0
.LBB48_64:
	s_andn2_b64 vcc, exec, s[20:21]
	s_cbranch_vccz .LBB48_70
; %bb.65:
	s_andn2_b64 vcc, exec, s[18:19]
	s_cbranch_vccz .LBB48_71
.LBB48_66:
	s_cmp_lt_i32 s48, 1
	s_mov_b64 s[20:21], 0
	s_cbranch_scc1 .LBB48_72
.LBB48_67:
	s_cmp_gt_i32 s48, 1
	s_cbranch_scc0 .LBB48_73
; %bb.68:
	s_cmp_eq_u32 s48, 2
	s_cbranch_scc0 .LBB48_255
; %bb.69:
	s_waitcnt vmcnt(6)
	v_cmp_ge_i64_e64 s[18:19], s[8:9], v[23:24]
	s_mov_b64 s[22:23], 0
	s_branch .LBB48_75
.LBB48_70:
	s_waitcnt vmcnt(6)
	v_cmp_gt_i64_e32 vcc, s[8:9], v[21:22]
	s_andn2_b64 s[16:17], s[16:17], exec
	s_and_b64 s[20:21], vcc, exec
	s_or_b64 s[16:17], s[16:17], s[20:21]
	s_cbranch_execnz .LBB48_66
.LBB48_71:
	s_waitcnt vmcnt(6)
	v_cmp_le_i64_e32 vcc, s[8:9], v[21:22]
	s_andn2_b64 s[16:17], s[16:17], exec
	s_and_b64 s[18:19], vcc, exec
	s_or_b64 s[16:17], s[16:17], s[18:19]
	s_cmp_lt_i32 s48, 1
	s_mov_b64 s[20:21], 0
	s_cbranch_scc0 .LBB48_67
.LBB48_72:
                                        ; implicit-def: $sgpr18_sgpr19
	s_mov_b64 s[22:23], 0
	s_cbranch_execnz .LBB48_76
	s_branch .LBB48_77
.LBB48_73:
	s_mov_b64 s[22:23], 0
                                        ; implicit-def: $sgpr18_sgpr19
	s_cbranch_execz .LBB48_75
; %bb.74:
	s_waitcnt vmcnt(6)
	v_cmp_lt_i64_e32 vcc, s[8:9], v[23:24]
	s_andn2_b64 s[18:19], s[18:19], exec
	s_and_b64 s[24:25], vcc, exec
	s_or_b64 s[18:19], s[18:19], s[24:25]
.LBB48_75:
	s_branch .LBB48_77
.LBB48_76:
	s_cmp_lg_u32 s48, 0
	s_mov_b64 s[20:21], -1
	s_cselect_b64 s[22:23], -1, 0
.LBB48_77:
	s_andn2_b64 vcc, exec, s[22:23]
	s_cbranch_vccz .LBB48_83
; %bb.78:
	s_andn2_b64 vcc, exec, s[20:21]
	s_cbranch_vccz .LBB48_84
.LBB48_79:
	s_cmp_lt_i32 s48, 1
	s_mov_b64 s[22:23], 0
	s_cbranch_scc1 .LBB48_85
.LBB48_80:
	s_cmp_gt_i32 s48, 1
	s_cbranch_scc0 .LBB48_86
; %bb.81:
	s_cmp_eq_u32 s48, 2
	s_cbranch_scc0 .LBB48_256
; %bb.82:
	s_waitcnt vmcnt(7)
	v_cmp_ge_i64_e64 s[20:21], s[8:9], v[17:18]
	s_mov_b64 s[24:25], 0
	s_branch .LBB48_88
.LBB48_83:
	s_waitcnt vmcnt(6)
	v_cmp_gt_i64_e32 vcc, s[8:9], v[23:24]
	s_andn2_b64 s[18:19], s[18:19], exec
	s_and_b64 s[22:23], vcc, exec
	s_or_b64 s[18:19], s[18:19], s[22:23]
	s_cbranch_execnz .LBB48_79
.LBB48_84:
	s_waitcnt vmcnt(6)
	v_cmp_le_i64_e32 vcc, s[8:9], v[23:24]
	s_andn2_b64 s[18:19], s[18:19], exec
	s_and_b64 s[20:21], vcc, exec
	s_or_b64 s[18:19], s[18:19], s[20:21]
	s_cmp_lt_i32 s48, 1
	s_mov_b64 s[22:23], 0
	s_cbranch_scc0 .LBB48_80
.LBB48_85:
                                        ; implicit-def: $sgpr20_sgpr21
	s_mov_b64 s[24:25], 0
	s_cbranch_execnz .LBB48_89
	s_branch .LBB48_90
.LBB48_86:
	s_mov_b64 s[24:25], 0
                                        ; implicit-def: $sgpr20_sgpr21
	s_cbranch_execz .LBB48_88
; %bb.87:
	s_waitcnt vmcnt(7)
	v_cmp_lt_i64_e32 vcc, s[8:9], v[17:18]
	s_andn2_b64 s[20:21], s[20:21], exec
	s_and_b64 s[26:27], vcc, exec
	s_or_b64 s[20:21], s[20:21], s[26:27]
.LBB48_88:
	s_branch .LBB48_90
.LBB48_89:
	s_cmp_lg_u32 s48, 0
	s_mov_b64 s[22:23], -1
	s_cselect_b64 s[24:25], -1, 0
.LBB48_90:
	s_andn2_b64 vcc, exec, s[24:25]
	s_cbranch_vccz .LBB48_96
; %bb.91:
	s_andn2_b64 vcc, exec, s[22:23]
	s_cbranch_vccz .LBB48_97
.LBB48_92:
	s_cmp_lt_i32 s48, 1
	s_mov_b64 s[24:25], 0
	s_cbranch_scc1 .LBB48_98
.LBB48_93:
	s_cmp_gt_i32 s48, 1
	s_cbranch_scc0 .LBB48_99
; %bb.94:
	s_cmp_eq_u32 s48, 2
	s_cbranch_scc0 .LBB48_257
; %bb.95:
	s_waitcnt vmcnt(7)
	v_cmp_ge_i64_e64 s[22:23], s[8:9], v[19:20]
	s_mov_b64 s[26:27], 0
	s_branch .LBB48_101
.LBB48_96:
	s_waitcnt vmcnt(7)
	v_cmp_gt_i64_e32 vcc, s[8:9], v[17:18]
	s_andn2_b64 s[20:21], s[20:21], exec
	s_and_b64 s[24:25], vcc, exec
	s_or_b64 s[20:21], s[20:21], s[24:25]
	s_cbranch_execnz .LBB48_92
.LBB48_97:
	s_waitcnt vmcnt(7)
	v_cmp_le_i64_e32 vcc, s[8:9], v[17:18]
	s_andn2_b64 s[20:21], s[20:21], exec
	s_and_b64 s[22:23], vcc, exec
	s_or_b64 s[20:21], s[20:21], s[22:23]
	s_cmp_lt_i32 s48, 1
	s_mov_b64 s[24:25], 0
	s_cbranch_scc0 .LBB48_93
.LBB48_98:
                                        ; implicit-def: $sgpr22_sgpr23
	s_mov_b64 s[26:27], 0
	s_cbranch_execnz .LBB48_102
	s_branch .LBB48_103
.LBB48_99:
	s_mov_b64 s[26:27], 0
                                        ; implicit-def: $sgpr22_sgpr23
	s_cbranch_execz .LBB48_101
; %bb.100:
	s_waitcnt vmcnt(7)
	v_cmp_lt_i64_e32 vcc, s[8:9], v[19:20]
	s_andn2_b64 s[22:23], s[22:23], exec
	s_and_b64 s[28:29], vcc, exec
	s_or_b64 s[22:23], s[22:23], s[28:29]
.LBB48_101:
	s_branch .LBB48_103
.LBB48_102:
	s_cmp_lg_u32 s48, 0
	s_mov_b64 s[24:25], -1
	s_cselect_b64 s[26:27], -1, 0
.LBB48_103:
	s_andn2_b64 vcc, exec, s[26:27]
	s_cbranch_vccz .LBB48_109
; %bb.104:
	s_andn2_b64 vcc, exec, s[24:25]
	s_cbranch_vccz .LBB48_110
.LBB48_105:
	s_cmp_lt_i32 s48, 1
	s_mov_b64 s[26:27], 0
	s_cbranch_scc1 .LBB48_111
.LBB48_106:
	s_cmp_gt_i32 s48, 1
	s_cbranch_scc0 .LBB48_112
; %bb.107:
	s_cmp_eq_u32 s48, 2
	s_cbranch_scc0 .LBB48_258
; %bb.108:
	s_waitcnt vmcnt(0)
	v_cmp_ge_i64_e64 s[24:25], s[8:9], v[13:14]
	s_mov_b64 s[28:29], 0
	s_branch .LBB48_114
.LBB48_109:
	s_waitcnt vmcnt(7)
	v_cmp_gt_i64_e32 vcc, s[8:9], v[19:20]
	s_andn2_b64 s[22:23], s[22:23], exec
	s_and_b64 s[26:27], vcc, exec
	s_or_b64 s[22:23], s[22:23], s[26:27]
	s_cbranch_execnz .LBB48_105
.LBB48_110:
	s_waitcnt vmcnt(7)
	v_cmp_le_i64_e32 vcc, s[8:9], v[19:20]
	s_andn2_b64 s[22:23], s[22:23], exec
	s_and_b64 s[24:25], vcc, exec
	s_or_b64 s[22:23], s[22:23], s[24:25]
	s_cmp_lt_i32 s48, 1
	s_mov_b64 s[26:27], 0
	s_cbranch_scc0 .LBB48_106
.LBB48_111:
                                        ; implicit-def: $sgpr24_sgpr25
	s_mov_b64 s[28:29], 0
	s_cbranch_execnz .LBB48_115
	s_branch .LBB48_116
.LBB48_112:
	s_mov_b64 s[28:29], 0
                                        ; implicit-def: $sgpr24_sgpr25
	s_cbranch_execz .LBB48_114
; %bb.113:
	s_waitcnt vmcnt(0)
	v_cmp_lt_i64_e32 vcc, s[8:9], v[13:14]
	s_andn2_b64 s[24:25], s[24:25], exec
	s_and_b64 s[30:31], vcc, exec
	s_or_b64 s[24:25], s[24:25], s[30:31]
.LBB48_114:
	s_branch .LBB48_116
.LBB48_115:
	s_cmp_lg_u32 s48, 0
	s_mov_b64 s[26:27], -1
	s_cselect_b64 s[28:29], -1, 0
.LBB48_116:
	s_andn2_b64 vcc, exec, s[28:29]
	s_cbranch_vccz .LBB48_122
; %bb.117:
	s_andn2_b64 vcc, exec, s[26:27]
	s_cbranch_vccz .LBB48_123
.LBB48_118:
	s_cmp_lt_i32 s48, 1
	s_mov_b64 s[28:29], 0
	s_cbranch_scc1 .LBB48_124
.LBB48_119:
	s_cmp_gt_i32 s48, 1
	s_cbranch_scc0 .LBB48_125
; %bb.120:
	s_cmp_eq_u32 s48, 2
	s_cbranch_scc0 .LBB48_259
; %bb.121:
	s_waitcnt vmcnt(0)
	v_cmp_ge_i64_e64 s[26:27], s[8:9], v[15:16]
	s_mov_b64 s[30:31], 0
	s_branch .LBB48_127
.LBB48_122:
	s_waitcnt vmcnt(0)
	v_cmp_gt_i64_e32 vcc, s[8:9], v[13:14]
	s_andn2_b64 s[24:25], s[24:25], exec
	s_and_b64 s[28:29], vcc, exec
	s_or_b64 s[24:25], s[24:25], s[28:29]
	s_cbranch_execnz .LBB48_118
.LBB48_123:
	s_waitcnt vmcnt(0)
	v_cmp_le_i64_e32 vcc, s[8:9], v[13:14]
	s_andn2_b64 s[24:25], s[24:25], exec
	s_and_b64 s[26:27], vcc, exec
	s_or_b64 s[24:25], s[24:25], s[26:27]
	s_cmp_lt_i32 s48, 1
	s_mov_b64 s[28:29], 0
	s_cbranch_scc0 .LBB48_119
.LBB48_124:
                                        ; implicit-def: $sgpr26_sgpr27
	s_mov_b64 s[30:31], 0
	s_cbranch_execnz .LBB48_128
	s_branch .LBB48_129
.LBB48_125:
	s_mov_b64 s[30:31], 0
                                        ; implicit-def: $sgpr26_sgpr27
	s_cbranch_execz .LBB48_127
; %bb.126:
	s_waitcnt vmcnt(0)
	v_cmp_lt_i64_e32 vcc, s[8:9], v[15:16]
	s_andn2_b64 s[26:27], s[26:27], exec
	s_and_b64 s[34:35], vcc, exec
	s_or_b64 s[26:27], s[26:27], s[34:35]
.LBB48_127:
	s_branch .LBB48_129
.LBB48_128:
	s_cmp_lg_u32 s48, 0
	s_mov_b64 s[28:29], -1
	s_cselect_b64 s[30:31], -1, 0
.LBB48_129:
	s_andn2_b64 vcc, exec, s[30:31]
	s_cbranch_vccz .LBB48_135
; %bb.130:
	s_andn2_b64 vcc, exec, s[28:29]
	s_cbranch_vccz .LBB48_136
.LBB48_131:
	s_cmp_lt_i32 s48, 1
	s_mov_b64 s[30:31], 0
	s_cbranch_scc1 .LBB48_137
.LBB48_132:
	s_cmp_gt_i32 s48, 1
	s_cbranch_scc0 .LBB48_138
; %bb.133:
	s_cmp_eq_u32 s48, 2
	s_cbranch_scc0 .LBB48_260
; %bb.134:
	s_waitcnt vmcnt(1)
	v_cmp_ge_i64_e64 s[28:29], s[8:9], v[9:10]
	s_mov_b64 s[34:35], 0
	s_branch .LBB48_140
.LBB48_135:
	s_waitcnt vmcnt(0)
	v_cmp_gt_i64_e32 vcc, s[8:9], v[15:16]
	s_andn2_b64 s[26:27], s[26:27], exec
	s_and_b64 s[30:31], vcc, exec
	s_or_b64 s[26:27], s[26:27], s[30:31]
	s_cbranch_execnz .LBB48_131
.LBB48_136:
	s_waitcnt vmcnt(0)
	v_cmp_le_i64_e32 vcc, s[8:9], v[15:16]
	s_andn2_b64 s[26:27], s[26:27], exec
	s_and_b64 s[28:29], vcc, exec
	s_or_b64 s[26:27], s[26:27], s[28:29]
	s_cmp_lt_i32 s48, 1
	s_mov_b64 s[30:31], 0
	s_cbranch_scc0 .LBB48_132
.LBB48_137:
                                        ; implicit-def: $sgpr28_sgpr29
	s_mov_b64 s[34:35], 0
	s_cbranch_execnz .LBB48_141
	s_branch .LBB48_142
.LBB48_138:
	s_mov_b64 s[34:35], 0
                                        ; implicit-def: $sgpr28_sgpr29
	s_cbranch_execz .LBB48_140
; %bb.139:
	s_waitcnt vmcnt(1)
	v_cmp_lt_i64_e32 vcc, s[8:9], v[9:10]
	s_andn2_b64 s[28:29], s[28:29], exec
	s_and_b64 s[36:37], vcc, exec
	s_or_b64 s[28:29], s[28:29], s[36:37]
.LBB48_140:
	s_branch .LBB48_142
.LBB48_141:
	s_cmp_lg_u32 s48, 0
	s_mov_b64 s[30:31], -1
	s_cselect_b64 s[34:35], -1, 0
.LBB48_142:
	s_andn2_b64 vcc, exec, s[34:35]
	s_cbranch_vccz .LBB48_148
; %bb.143:
	s_andn2_b64 vcc, exec, s[30:31]
	s_cbranch_vccz .LBB48_149
.LBB48_144:
	s_cmp_lt_i32 s48, 1
	s_mov_b64 s[34:35], 0
	s_cbranch_scc1 .LBB48_150
.LBB48_145:
	s_cmp_gt_i32 s48, 1
	s_cbranch_scc0 .LBB48_151
; %bb.146:
	s_cmp_eq_u32 s48, 2
	s_cbranch_scc0 .LBB48_261
; %bb.147:
	s_waitcnt vmcnt(1)
	v_cmp_ge_i64_e64 s[30:31], s[8:9], v[11:12]
	s_mov_b64 s[36:37], 0
	s_branch .LBB48_153
.LBB48_148:
	s_waitcnt vmcnt(1)
	v_cmp_gt_i64_e32 vcc, s[8:9], v[9:10]
	s_andn2_b64 s[28:29], s[28:29], exec
	s_and_b64 s[34:35], vcc, exec
	s_or_b64 s[28:29], s[28:29], s[34:35]
	s_cbranch_execnz .LBB48_144
.LBB48_149:
	s_waitcnt vmcnt(1)
	v_cmp_le_i64_e32 vcc, s[8:9], v[9:10]
	s_andn2_b64 s[28:29], s[28:29], exec
	s_and_b64 s[30:31], vcc, exec
	s_or_b64 s[28:29], s[28:29], s[30:31]
	s_cmp_lt_i32 s48, 1
	s_mov_b64 s[34:35], 0
	s_cbranch_scc0 .LBB48_145
.LBB48_150:
                                        ; implicit-def: $sgpr30_sgpr31
	s_mov_b64 s[36:37], 0
	s_cbranch_execnz .LBB48_154
	s_branch .LBB48_155
.LBB48_151:
	s_mov_b64 s[36:37], 0
                                        ; implicit-def: $sgpr30_sgpr31
	s_cbranch_execz .LBB48_153
; %bb.152:
	s_waitcnt vmcnt(1)
	v_cmp_lt_i64_e32 vcc, s[8:9], v[11:12]
	s_andn2_b64 s[30:31], s[30:31], exec
	s_and_b64 s[38:39], vcc, exec
	s_or_b64 s[30:31], s[30:31], s[38:39]
.LBB48_153:
	s_branch .LBB48_155
.LBB48_154:
	s_cmp_lg_u32 s48, 0
	s_mov_b64 s[34:35], -1
	s_cselect_b64 s[36:37], -1, 0
.LBB48_155:
	s_andn2_b64 vcc, exec, s[36:37]
	s_cbranch_vccz .LBB48_161
; %bb.156:
	s_andn2_b64 vcc, exec, s[34:35]
	s_cbranch_vccz .LBB48_162
.LBB48_157:
	s_cmp_lt_i32 s48, 1
	s_mov_b64 s[36:37], 0
	s_cbranch_scc1 .LBB48_163
.LBB48_158:
	s_cmp_gt_i32 s48, 1
	s_cbranch_scc0 .LBB48_164
; %bb.159:
	s_cmp_eq_u32 s48, 2
	s_cbranch_scc0 .LBB48_262
; %bb.160:
	s_waitcnt vmcnt(2)
	v_cmp_ge_i64_e64 s[34:35], s[8:9], v[5:6]
	s_mov_b64 s[38:39], 0
	s_branch .LBB48_166
.LBB48_161:
	s_waitcnt vmcnt(1)
	v_cmp_gt_i64_e32 vcc, s[8:9], v[11:12]
	s_andn2_b64 s[30:31], s[30:31], exec
	s_and_b64 s[36:37], vcc, exec
	s_or_b64 s[30:31], s[30:31], s[36:37]
	s_cbranch_execnz .LBB48_157
.LBB48_162:
	s_waitcnt vmcnt(1)
	v_cmp_le_i64_e32 vcc, s[8:9], v[11:12]
	s_andn2_b64 s[30:31], s[30:31], exec
	s_and_b64 s[34:35], vcc, exec
	s_or_b64 s[30:31], s[30:31], s[34:35]
	s_cmp_lt_i32 s48, 1
	s_mov_b64 s[36:37], 0
	s_cbranch_scc0 .LBB48_158
.LBB48_163:
                                        ; implicit-def: $sgpr34_sgpr35
	s_mov_b64 s[38:39], 0
	s_cbranch_execnz .LBB48_167
	s_branch .LBB48_168
.LBB48_164:
	s_mov_b64 s[38:39], 0
                                        ; implicit-def: $sgpr34_sgpr35
	s_cbranch_execz .LBB48_166
; %bb.165:
	s_waitcnt vmcnt(2)
	v_cmp_lt_i64_e32 vcc, s[8:9], v[5:6]
	s_andn2_b64 s[34:35], s[34:35], exec
	s_and_b64 s[40:41], vcc, exec
	s_or_b64 s[34:35], s[34:35], s[40:41]
.LBB48_166:
	s_branch .LBB48_168
.LBB48_167:
	s_cmp_lg_u32 s48, 0
	s_mov_b64 s[36:37], -1
	s_cselect_b64 s[38:39], -1, 0
.LBB48_168:
	s_andn2_b64 vcc, exec, s[38:39]
	s_cbranch_vccz .LBB48_174
; %bb.169:
	s_andn2_b64 vcc, exec, s[36:37]
	s_cbranch_vccz .LBB48_175
.LBB48_170:
	s_cmp_lt_i32 s48, 1
	s_mov_b64 s[38:39], 0
	s_cbranch_scc1 .LBB48_176
.LBB48_171:
	s_cmp_gt_i32 s48, 1
	s_cbranch_scc0 .LBB48_177
; %bb.172:
	s_cmp_eq_u32 s48, 2
	s_cbranch_scc0 .LBB48_263
; %bb.173:
	s_waitcnt vmcnt(2)
	v_cmp_ge_i64_e64 s[36:37], s[8:9], v[7:8]
	s_mov_b64 s[40:41], 0
	s_branch .LBB48_179
.LBB48_174:
	s_waitcnt vmcnt(2)
	v_cmp_gt_i64_e32 vcc, s[8:9], v[5:6]
	s_andn2_b64 s[34:35], s[34:35], exec
	s_and_b64 s[38:39], vcc, exec
	s_or_b64 s[34:35], s[34:35], s[38:39]
	s_cbranch_execnz .LBB48_170
.LBB48_175:
	s_waitcnt vmcnt(2)
	v_cmp_le_i64_e32 vcc, s[8:9], v[5:6]
	s_andn2_b64 s[34:35], s[34:35], exec
	s_and_b64 s[36:37], vcc, exec
	s_or_b64 s[34:35], s[34:35], s[36:37]
	s_cmp_lt_i32 s48, 1
	s_mov_b64 s[38:39], 0
	s_cbranch_scc0 .LBB48_171
.LBB48_176:
                                        ; implicit-def: $sgpr36_sgpr37
	s_mov_b64 s[40:41], 0
	s_cbranch_execnz .LBB48_180
	s_branch .LBB48_181
.LBB48_177:
	s_mov_b64 s[40:41], 0
                                        ; implicit-def: $sgpr36_sgpr37
	s_cbranch_execz .LBB48_179
; %bb.178:
	s_waitcnt vmcnt(2)
	v_cmp_lt_i64_e32 vcc, s[8:9], v[7:8]
	s_andn2_b64 s[36:37], s[36:37], exec
	s_and_b64 s[42:43], vcc, exec
	s_or_b64 s[36:37], s[36:37], s[42:43]
.LBB48_179:
	s_branch .LBB48_181
.LBB48_180:
	s_cmp_lg_u32 s48, 0
	s_mov_b64 s[38:39], -1
	s_cselect_b64 s[40:41], -1, 0
.LBB48_181:
	s_andn2_b64 vcc, exec, s[40:41]
	s_cbranch_vccz .LBB48_187
; %bb.182:
	s_andn2_b64 vcc, exec, s[38:39]
	s_cbranch_vccz .LBB48_188
.LBB48_183:
	s_cmp_lt_i32 s48, 1
	s_mov_b64 s[40:41], 0
	s_cbranch_scc1 .LBB48_189
.LBB48_184:
	s_cmp_gt_i32 s48, 1
	s_cbranch_scc0 .LBB48_190
; %bb.185:
	s_cmp_eq_u32 s48, 2
	s_cbranch_scc0 .LBB48_264
; %bb.186:
	s_waitcnt vmcnt(3)
	v_cmp_ge_i64_e64 s[38:39], s[8:9], v[1:2]
	s_mov_b64 s[42:43], 0
	s_branch .LBB48_192
.LBB48_187:
	s_waitcnt vmcnt(2)
	v_cmp_gt_i64_e32 vcc, s[8:9], v[7:8]
	s_andn2_b64 s[36:37], s[36:37], exec
	s_and_b64 s[40:41], vcc, exec
	s_or_b64 s[36:37], s[36:37], s[40:41]
	s_cbranch_execnz .LBB48_183
.LBB48_188:
	s_waitcnt vmcnt(2)
	v_cmp_le_i64_e32 vcc, s[8:9], v[7:8]
	s_andn2_b64 s[36:37], s[36:37], exec
	s_and_b64 s[38:39], vcc, exec
	s_or_b64 s[36:37], s[36:37], s[38:39]
	s_cmp_lt_i32 s48, 1
	s_mov_b64 s[40:41], 0
	s_cbranch_scc0 .LBB48_184
.LBB48_189:
                                        ; implicit-def: $sgpr38_sgpr39
	s_mov_b64 s[42:43], 0
	s_cbranch_execnz .LBB48_193
	s_branch .LBB48_194
.LBB48_190:
	s_mov_b64 s[42:43], 0
                                        ; implicit-def: $sgpr38_sgpr39
	s_cbranch_execz .LBB48_192
; %bb.191:
	s_waitcnt vmcnt(3)
	v_cmp_lt_i64_e32 vcc, s[8:9], v[1:2]
	s_andn2_b64 s[38:39], s[38:39], exec
	s_and_b64 s[44:45], vcc, exec
	s_or_b64 s[38:39], s[38:39], s[44:45]
.LBB48_192:
	s_branch .LBB48_194
.LBB48_193:
	s_cmp_lg_u32 s48, 0
	s_mov_b64 s[40:41], -1
	s_cselect_b64 s[42:43], -1, 0
.LBB48_194:
	s_andn2_b64 vcc, exec, s[42:43]
	s_cbranch_vccz .LBB48_200
; %bb.195:
	s_andn2_b64 vcc, exec, s[40:41]
	s_cbranch_vccz .LBB48_201
.LBB48_196:
	s_cmp_lt_i32 s48, 1
	s_mov_b64 s[42:43], 0
	s_cbranch_scc1 .LBB48_202
.LBB48_197:
	s_cmp_gt_i32 s48, 1
	s_cbranch_scc0 .LBB48_203
; %bb.198:
	s_cmp_eq_u32 s48, 2
	s_cbranch_scc0 .LBB48_265
; %bb.199:
	s_waitcnt vmcnt(3)
	v_cmp_ge_i64_e64 s[40:41], s[8:9], v[3:4]
	s_mov_b64 s[44:45], 0
	s_branch .LBB48_205
.LBB48_200:
	s_waitcnt vmcnt(3)
	v_cmp_gt_i64_e32 vcc, s[8:9], v[1:2]
	s_andn2_b64 s[38:39], s[38:39], exec
	s_and_b64 s[42:43], vcc, exec
	s_or_b64 s[38:39], s[38:39], s[42:43]
	s_cbranch_execnz .LBB48_196
.LBB48_201:
	s_waitcnt vmcnt(3)
	v_cmp_le_i64_e32 vcc, s[8:9], v[1:2]
	s_andn2_b64 s[38:39], s[38:39], exec
	s_and_b64 s[40:41], vcc, exec
	s_or_b64 s[38:39], s[38:39], s[40:41]
	s_cmp_lt_i32 s48, 1
	s_mov_b64 s[42:43], 0
	s_cbranch_scc0 .LBB48_197
.LBB48_202:
                                        ; implicit-def: $sgpr40_sgpr41
	s_mov_b64 s[44:45], 0
	s_cbranch_execnz .LBB48_206
	s_branch .LBB48_207
.LBB48_203:
	s_mov_b64 s[44:45], 0
                                        ; implicit-def: $sgpr40_sgpr41
	s_cbranch_execz .LBB48_205
; %bb.204:
	s_waitcnt vmcnt(3)
	v_cmp_lt_i64_e32 vcc, s[8:9], v[3:4]
	s_andn2_b64 s[40:41], s[40:41], exec
	s_and_b64 s[46:47], vcc, exec
	s_or_b64 s[40:41], s[40:41], s[46:47]
.LBB48_205:
	s_branch .LBB48_207
.LBB48_206:
	s_cmp_lg_u32 s48, 0
	s_mov_b64 s[42:43], -1
	s_cselect_b64 s[44:45], -1, 0
.LBB48_207:
	s_andn2_b64 vcc, exec, s[44:45]
	s_cbranch_vccz .LBB48_243
; %bb.208:
	s_andn2_b64 vcc, exec, s[42:43]
	s_cbranch_vccnz .LBB48_210
.LBB48_209:
	s_waitcnt vmcnt(3)
	v_cmp_le_i64_e32 vcc, s[8:9], v[3:4]
	s_andn2_b64 s[40:41], s[40:41], exec
	s_and_b64 s[42:43], vcc, exec
	s_or_b64 s[40:41], s[40:41], s[42:43]
.LBB48_210:
	s_waitcnt vmcnt(3)
	v_cndmask_b32_e64 v1, 0, 1, s[4:5]
	v_lshlrev_b16_e32 v1, 8, v1
	v_cndmask_b32_e64 v2, 0, 1, s[0:1]
	v_or_b32_e32 v1, v2, v1
	v_cndmask_b32_e64 v2, 0, 1, s[14:15]
	v_lshlrev_b16_e32 v2, 8, v2
	v_cndmask_b32_e64 v3, 0, 1, s[6:7]
	v_or_b32_sdwa v2, v3, v2 dst_sel:WORD_1 dst_unused:UNUSED_PAD src0_sel:DWORD src1_sel:DWORD
	v_or_b32_sdwa v1, v1, v2 dst_sel:DWORD dst_unused:UNUSED_PAD src0_sel:WORD_0 src1_sel:DWORD
	v_cndmask_b32_e64 v2, 0, 1, s[18:19]
	v_lshlrev_b16_e32 v2, 8, v2
	v_cndmask_b32_e64 v3, 0, 1, s[16:17]
	v_or_b32_e32 v2, v3, v2
	v_cndmask_b32_e64 v3, 0, 1, s[22:23]
	v_lshlrev_b16_e32 v3, 8, v3
	v_cndmask_b32_e64 v4, 0, 1, s[20:21]
	v_or_b32_sdwa v3, v4, v3 dst_sel:WORD_1 dst_unused:UNUSED_PAD src0_sel:DWORD src1_sel:DWORD
	v_or_b32_sdwa v2, v2, v3 dst_sel:DWORD dst_unused:UNUSED_PAD src0_sel:WORD_0 src1_sel:DWORD
	v_cndmask_b32_e64 v3, 0, 1, s[26:27]
	v_lshlrev_b16_e32 v3, 8, v3
	v_cndmask_b32_e64 v4, 0, 1, s[24:25]
	v_or_b32_e32 v3, v4, v3
	v_cndmask_b32_e64 v4, 0, 1, s[30:31]
	v_lshlrev_b16_e32 v4, 8, v4
	s_waitcnt vmcnt(2)
	v_cndmask_b32_e64 v6, 0, 1, s[28:29]
	v_or_b32_sdwa v4, v6, v4 dst_sel:WORD_1 dst_unused:UNUSED_PAD src0_sel:DWORD src1_sel:DWORD
	v_or_b32_sdwa v3, v3, v4 dst_sel:DWORD dst_unused:UNUSED_PAD src0_sel:WORD_0 src1_sel:DWORD
	v_cndmask_b32_e64 v4, 0, 1, s[36:37]
	v_lshlrev_b16_e32 v4, 8, v4
	v_cndmask_b32_e64 v6, 0, 1, s[34:35]
	v_or_b32_e32 v4, v6, v4
	v_cndmask_b32_e64 v6, 0, 1, s[40:41]
	v_lshlrev_b16_e32 v6, 8, v6
	v_cndmask_b32_e64 v7, 0, 1, s[38:39]
	s_add_u32 s42, s10, s2
	v_or_b32_sdwa v6, v7, v6 dst_sel:WORD_1 dst_unused:UNUSED_PAD src0_sel:DWORD src1_sel:DWORD
	s_addc_u32 s43, s11, s3
	v_lshlrev_b32_e32 v5, 4, v0
	v_or_b32_sdwa v4, v4, v6 dst_sel:DWORD dst_unused:UNUSED_PAD src0_sel:WORD_0 src1_sel:DWORD
	global_store_dwordx4 v5, v[1:4], s[42:43]
	s_mov_b64 s[0:1], 0
.LBB48_211:
	s_and_b64 vcc, exec, s[0:1]
	s_cbranch_vccz .LBB48_519
; %bb.212:
	v_mov_b32_e32 v30, 0
	v_mov_b32_e32 v32, 0
	v_cmp_gt_i32_e64 s[0:1], s33, v0
	v_mov_b32_e32 v31, 0
	v_or_b32_e32 v1, s2, v0
	v_mov_b32_e32 v33, 0
	v_mov_b32_e32 v34, v0
	s_and_saveexec_b64 s[4:5], s[0:1]
	s_cbranch_execz .LBB48_214
; %bb.213:
	v_mov_b32_e32 v2, 0
	v_lshlrev_b64 v[2:3], 3, v[1:2]
	v_mov_b32_e32 v4, s13
	v_add_co_u32_e32 v2, vcc, s12, v2
	v_addc_co_u32_e32 v3, vcc, v4, v3, vcc
	global_load_dwordx2 v[32:33], v[2:3], off
	v_or_b32_e32 v34, 0x100, v0
.LBB48_214:
	s_or_b64 exec, exec, s[4:5]
	v_cmp_gt_i32_e32 vcc, s33, v34
	s_and_saveexec_b64 s[4:5], vcc
	s_cbranch_execz .LBB48_216
; %bb.215:
	v_add_u32_e32 v2, s2, v34
	v_mov_b32_e32 v3, 0
	v_lshlrev_b64 v[2:3], 3, v[2:3]
	v_mov_b32_e32 v4, s13
	v_add_co_u32_e32 v2, vcc, s12, v2
	v_addc_co_u32_e32 v3, vcc, v4, v3, vcc
	global_load_dwordx2 v[30:31], v[2:3], off
	v_add_u32_e32 v34, 0x100, v34
.LBB48_216:
	s_or_b64 exec, exec, s[4:5]
	v_mov_b32_e32 v26, 0
	v_mov_b32_e32 v28, 0
	v_mov_b32_e32 v27, 0
	v_mov_b32_e32 v29, 0
	v_cmp_gt_i32_e32 vcc, s33, v34
	s_and_saveexec_b64 s[4:5], vcc
	s_cbranch_execz .LBB48_218
; %bb.217:
	v_add_u32_e32 v2, s2, v34
	v_mov_b32_e32 v3, 0
	v_lshlrev_b64 v[2:3], 3, v[2:3]
	v_mov_b32_e32 v4, s13
	v_add_co_u32_e32 v2, vcc, s12, v2
	v_addc_co_u32_e32 v3, vcc, v4, v3, vcc
	global_load_dwordx2 v[28:29], v[2:3], off
	v_add_u32_e32 v34, 0x100, v34
.LBB48_218:
	s_or_b64 exec, exec, s[4:5]
	v_cmp_gt_i32_e32 vcc, s33, v34
	s_and_saveexec_b64 s[4:5], vcc
	s_cbranch_execz .LBB48_220
; %bb.219:
	v_add_u32_e32 v2, s2, v34
	v_mov_b32_e32 v3, 0
	v_lshlrev_b64 v[2:3], 3, v[2:3]
	v_mov_b32_e32 v4, s13
	v_add_co_u32_e32 v2, vcc, s12, v2
	v_addc_co_u32_e32 v3, vcc, v4, v3, vcc
	global_load_dwordx2 v[26:27], v[2:3], off
	v_add_u32_e32 v34, 0x100, v34
.LBB48_220:
	s_or_b64 exec, exec, s[4:5]
	v_mov_b32_e32 v22, 0
	v_mov_b32_e32 v24, 0
	v_mov_b32_e32 v23, 0
	v_mov_b32_e32 v25, 0
	v_cmp_gt_i32_e32 vcc, s33, v34
	s_and_saveexec_b64 s[4:5], vcc
	s_cbranch_execz .LBB48_222
; %bb.221:
	v_add_u32_e32 v2, s2, v34
	v_mov_b32_e32 v3, 0
	v_lshlrev_b64 v[2:3], 3, v[2:3]
	v_mov_b32_e32 v4, s13
	v_add_co_u32_e32 v2, vcc, s12, v2
	v_addc_co_u32_e32 v3, vcc, v4, v3, vcc
	global_load_dwordx2 v[24:25], v[2:3], off
	v_add_u32_e32 v34, 0x100, v34
.LBB48_222:
	s_or_b64 exec, exec, s[4:5]
	v_cmp_gt_i32_e32 vcc, s33, v34
	s_and_saveexec_b64 s[4:5], vcc
	s_cbranch_execz .LBB48_224
; %bb.223:
	v_add_u32_e32 v2, s2, v34
	v_mov_b32_e32 v3, 0
	v_lshlrev_b64 v[2:3], 3, v[2:3]
	v_mov_b32_e32 v4, s13
	v_add_co_u32_e32 v2, vcc, s12, v2
	v_addc_co_u32_e32 v3, vcc, v4, v3, vcc
	global_load_dwordx2 v[22:23], v[2:3], off
	v_add_u32_e32 v34, 0x100, v34
.LBB48_224:
	s_or_b64 exec, exec, s[4:5]
	v_mov_b32_e32 v18, 0
	v_mov_b32_e32 v20, 0
	v_mov_b32_e32 v19, 0
	v_mov_b32_e32 v21, 0
	v_cmp_gt_i32_e32 vcc, s33, v34
	s_and_saveexec_b64 s[4:5], vcc
	s_cbranch_execz .LBB48_226
; %bb.225:
	v_add_u32_e32 v2, s2, v34
	v_mov_b32_e32 v3, 0
	v_lshlrev_b64 v[2:3], 3, v[2:3]
	v_mov_b32_e32 v4, s13
	v_add_co_u32_e32 v2, vcc, s12, v2
	v_addc_co_u32_e32 v3, vcc, v4, v3, vcc
	global_load_dwordx2 v[20:21], v[2:3], off
	v_add_u32_e32 v34, 0x100, v34
.LBB48_226:
	s_or_b64 exec, exec, s[4:5]
	v_cmp_gt_i32_e32 vcc, s33, v34
	s_and_saveexec_b64 s[4:5], vcc
	s_cbranch_execz .LBB48_228
; %bb.227:
	v_add_u32_e32 v2, s2, v34
	v_mov_b32_e32 v3, 0
	v_lshlrev_b64 v[2:3], 3, v[2:3]
	v_mov_b32_e32 v4, s13
	v_add_co_u32_e32 v2, vcc, s12, v2
	v_addc_co_u32_e32 v3, vcc, v4, v3, vcc
	global_load_dwordx2 v[18:19], v[2:3], off
	v_add_u32_e32 v34, 0x100, v34
.LBB48_228:
	s_or_b64 exec, exec, s[4:5]
	s_waitcnt vmcnt(1)
	v_mov_b32_e32 v14, 0
	v_mov_b32_e32 v16, 0
	v_mov_b32_e32 v15, 0
	v_mov_b32_e32 v17, 0
	v_cmp_gt_i32_e32 vcc, s33, v34
	s_and_saveexec_b64 s[4:5], vcc
	s_cbranch_execz .LBB48_230
; %bb.229:
	v_add_u32_e32 v2, s2, v34
	v_mov_b32_e32 v3, 0
	v_lshlrev_b64 v[2:3], 3, v[2:3]
	v_mov_b32_e32 v4, s13
	v_add_co_u32_e32 v2, vcc, s12, v2
	v_addc_co_u32_e32 v3, vcc, v4, v3, vcc
	global_load_dwordx2 v[16:17], v[2:3], off
	v_add_u32_e32 v34, 0x100, v34
.LBB48_230:
	s_or_b64 exec, exec, s[4:5]
	v_cmp_gt_i32_e32 vcc, s33, v34
	s_and_saveexec_b64 s[4:5], vcc
	s_cbranch_execz .LBB48_232
; %bb.231:
	v_add_u32_e32 v2, s2, v34
	v_mov_b32_e32 v3, 0
	v_lshlrev_b64 v[2:3], 3, v[2:3]
	v_mov_b32_e32 v4, s13
	v_add_co_u32_e32 v2, vcc, s12, v2
	v_addc_co_u32_e32 v3, vcc, v4, v3, vcc
	global_load_dwordx2 v[14:15], v[2:3], off
	v_add_u32_e32 v34, 0x100, v34
.LBB48_232:
	s_or_b64 exec, exec, s[4:5]
	v_mov_b32_e32 v10, 0
	v_mov_b32_e32 v12, 0
	v_mov_b32_e32 v11, 0
	v_mov_b32_e32 v13, 0
	v_cmp_gt_i32_e32 vcc, s33, v34
	s_and_saveexec_b64 s[4:5], vcc
	s_cbranch_execz .LBB48_234
; %bb.233:
	v_add_u32_e32 v2, s2, v34
	v_mov_b32_e32 v3, 0
	v_lshlrev_b64 v[2:3], 3, v[2:3]
	v_mov_b32_e32 v4, s13
	v_add_co_u32_e32 v2, vcc, s12, v2
	v_addc_co_u32_e32 v3, vcc, v4, v3, vcc
	global_load_dwordx2 v[12:13], v[2:3], off
	v_add_u32_e32 v34, 0x100, v34
.LBB48_234:
	s_or_b64 exec, exec, s[4:5]
	v_cmp_gt_i32_e32 vcc, s33, v34
	s_and_saveexec_b64 s[4:5], vcc
	s_cbranch_execz .LBB48_236
; %bb.235:
	v_add_u32_e32 v2, s2, v34
	v_mov_b32_e32 v3, 0
	v_lshlrev_b64 v[2:3], 3, v[2:3]
	v_mov_b32_e32 v4, s13
	v_add_co_u32_e32 v2, vcc, s12, v2
	v_addc_co_u32_e32 v3, vcc, v4, v3, vcc
	global_load_dwordx2 v[10:11], v[2:3], off
	v_add_u32_e32 v34, 0x100, v34
.LBB48_236:
	s_or_b64 exec, exec, s[4:5]
	;; [unrolled: 32-line block ×3, first 2 shown]
	v_mov_b32_e32 v2, 0
	v_mov_b32_e32 v4, 0
	;; [unrolled: 1-line block ×4, first 2 shown]
	v_cmp_gt_i32_e32 vcc, s33, v34
	s_and_saveexec_b64 s[4:5], vcc
	s_cbranch_execnz .LBB48_244
; %bb.241:
	s_or_b64 exec, exec, s[4:5]
	v_cmp_gt_i32_e32 vcc, s33, v34
	s_and_saveexec_b64 s[4:5], vcc
	s_cbranch_execnz .LBB48_245
.LBB48_242:
	s_or_b64 exec, exec, s[4:5]
                                        ; implicit-def: $vgpr34
	s_and_saveexec_b64 s[4:5], s[0:1]
	s_cbranch_execnz .LBB48_246
	s_branch .LBB48_276
.LBB48_243:
	s_waitcnt vmcnt(3)
	v_cmp_gt_i64_e32 vcc, s[8:9], v[3:4]
	s_andn2_b64 s[40:41], s[40:41], exec
	s_and_b64 s[44:45], vcc, exec
	s_or_b64 s[40:41], s[40:41], s[44:45]
	s_cbranch_execz .LBB48_209
	s_branch .LBB48_210
.LBB48_244:
	v_add_u32_e32 v4, s2, v34
	v_mov_b32_e32 v5, 0
	v_lshlrev_b64 v[4:5], 3, v[4:5]
	v_mov_b32_e32 v35, s13
	v_add_co_u32_e32 v4, vcc, s12, v4
	v_addc_co_u32_e32 v5, vcc, v35, v5, vcc
	global_load_dwordx2 v[4:5], v[4:5], off
	v_add_u32_e32 v34, 0x100, v34
	s_or_b64 exec, exec, s[4:5]
	v_cmp_gt_i32_e32 vcc, s33, v34
	s_and_saveexec_b64 s[4:5], vcc
	s_cbranch_execz .LBB48_242
.LBB48_245:
	v_add_u32_e32 v2, s2, v34
	v_mov_b32_e32 v3, 0
	v_lshlrev_b64 v[2:3], 3, v[2:3]
	v_mov_b32_e32 v34, s13
	v_add_co_u32_e32 v2, vcc, s12, v2
	v_addc_co_u32_e32 v3, vcc, v34, v3, vcc
	global_load_dwordx2 v[2:3], v[2:3], off
	s_or_b64 exec, exec, s[4:5]
                                        ; implicit-def: $vgpr34
	s_and_saveexec_b64 s[4:5], s[0:1]
	s_cbranch_execz .LBB48_276
.LBB48_246:
	s_cmp_lt_i32 s48, 1
	s_mov_b64 s[6:7], 0
	s_cbranch_scc1 .LBB48_250
; %bb.247:
	s_cmp_gt_i32 s48, 1
	s_cbranch_scc0 .LBB48_266
; %bb.248:
	s_cmp_eq_u32 s48, 2
	s_cbranch_scc0 .LBB48_267
; %bb.249:
	s_waitcnt vmcnt(0)
	v_cmp_ge_i64_e64 s[12:13], s[8:9], v[32:33]
	s_mov_b64 s[14:15], 0
	s_branch .LBB48_268
.LBB48_250:
                                        ; implicit-def: $sgpr12_sgpr13
	s_mov_b64 s[14:15], 0
	s_cbranch_execnz .LBB48_271
	s_branch .LBB48_272
.LBB48_251:
	s_mov_b64 s[14:15], -1
                                        ; implicit-def: $sgpr4_sgpr5
	s_branch .LBB48_23
.LBB48_252:
	s_mov_b64 s[16:17], -1
                                        ; implicit-def: $sgpr6_sgpr7
	s_branch .LBB48_36
.LBB48_253:
	s_mov_b64 s[18:19], -1
                                        ; implicit-def: $sgpr14_sgpr15
	s_branch .LBB48_49
.LBB48_254:
	s_mov_b64 s[20:21], -1
                                        ; implicit-def: $sgpr16_sgpr17
	s_branch .LBB48_62
.LBB48_255:
	s_mov_b64 s[22:23], -1
                                        ; implicit-def: $sgpr18_sgpr19
	s_branch .LBB48_75
.LBB48_256:
	s_mov_b64 s[24:25], -1
                                        ; implicit-def: $sgpr20_sgpr21
	s_branch .LBB48_88
.LBB48_257:
	s_mov_b64 s[26:27], -1
                                        ; implicit-def: $sgpr22_sgpr23
	s_branch .LBB48_101
.LBB48_258:
	s_mov_b64 s[28:29], -1
                                        ; implicit-def: $sgpr24_sgpr25
	s_branch .LBB48_114
.LBB48_259:
	s_mov_b64 s[30:31], -1
                                        ; implicit-def: $sgpr26_sgpr27
	s_branch .LBB48_127
.LBB48_260:
	s_mov_b64 s[34:35], -1
                                        ; implicit-def: $sgpr28_sgpr29
	s_branch .LBB48_140
.LBB48_261:
	s_mov_b64 s[36:37], -1
                                        ; implicit-def: $sgpr30_sgpr31
	s_branch .LBB48_153
.LBB48_262:
	s_mov_b64 s[38:39], -1
                                        ; implicit-def: $sgpr34_sgpr35
	s_branch .LBB48_166
.LBB48_263:
	s_mov_b64 s[40:41], -1
                                        ; implicit-def: $sgpr36_sgpr37
	s_branch .LBB48_179
.LBB48_264:
	s_mov_b64 s[42:43], -1
                                        ; implicit-def: $sgpr38_sgpr39
	s_branch .LBB48_192
.LBB48_265:
	s_mov_b64 s[44:45], -1
                                        ; implicit-def: $sgpr40_sgpr41
	s_branch .LBB48_205
.LBB48_266:
	s_mov_b64 s[14:15], 0
                                        ; implicit-def: $sgpr12_sgpr13
	s_cbranch_execnz .LBB48_269
	s_branch .LBB48_270
.LBB48_267:
	s_mov_b64 s[14:15], -1
                                        ; implicit-def: $sgpr12_sgpr13
.LBB48_268:
	s_branch .LBB48_270
.LBB48_269:
	s_waitcnt vmcnt(0)
	v_cmp_lt_i64_e32 vcc, s[8:9], v[32:33]
	s_andn2_b64 s[12:13], s[12:13], exec
	s_and_b64 s[16:17], vcc, exec
	s_or_b64 s[12:13], s[12:13], s[16:17]
.LBB48_270:
	s_branch .LBB48_272
.LBB48_271:
	s_cmp_lg_u32 s48, 0
	s_mov_b64 s[6:7], -1
	s_cselect_b64 s[14:15], -1, 0
.LBB48_272:
	s_andn2_b64 vcc, exec, s[14:15]
	s_cbranch_vccz .LBB48_281
; %bb.273:
	s_andn2_b64 vcc, exec, s[6:7]
	s_cbranch_vccnz .LBB48_275
.LBB48_274:
	s_waitcnt vmcnt(0)
	v_cmp_le_i64_e32 vcc, s[8:9], v[32:33]
	s_andn2_b64 s[6:7], s[12:13], exec
	s_and_b64 s[12:13], vcc, exec
	s_or_b64 s[12:13], s[6:7], s[12:13]
.LBB48_275:
	v_cndmask_b32_e64 v34, 0, 1, s[12:13]
.LBB48_276:
	s_or_b64 exec, exec, s[4:5]
	s_waitcnt vmcnt(0)
	v_or_b32_e32 v32, 0x100, v0
	v_cmp_gt_i32_e32 vcc, s33, v32
                                        ; implicit-def: $vgpr33
	s_and_saveexec_b64 s[4:5], vcc
	s_cbranch_execz .LBB48_291
; %bb.277:
	s_cmp_lt_i32 s48, 1
	s_mov_b64 s[6:7], 0
	s_cbranch_scc1 .LBB48_282
; %bb.278:
	s_cmp_gt_i32 s48, 1
	s_cbranch_scc0 .LBB48_283
; %bb.279:
	s_cmp_eq_u32 s48, 2
	s_cbranch_scc0 .LBB48_535
; %bb.280:
	v_cmp_ge_i64_e64 s[12:13], s[8:9], v[30:31]
	s_mov_b64 s[14:15], 0
	s_branch .LBB48_285
.LBB48_281:
	s_waitcnt vmcnt(0)
	v_cmp_gt_i64_e32 vcc, s[8:9], v[32:33]
	s_andn2_b64 s[12:13], s[12:13], exec
	s_and_b64 s[14:15], vcc, exec
	s_or_b64 s[12:13], s[12:13], s[14:15]
	s_cbranch_execz .LBB48_274
	s_branch .LBB48_275
.LBB48_282:
                                        ; implicit-def: $sgpr12_sgpr13
	s_mov_b64 s[14:15], 0
	s_cbranch_execnz .LBB48_286
	s_branch .LBB48_287
.LBB48_283:
	s_mov_b64 s[14:15], 0
                                        ; implicit-def: $sgpr12_sgpr13
	s_cbranch_execz .LBB48_285
; %bb.284:
	v_cmp_lt_i64_e32 vcc, s[8:9], v[30:31]
	s_andn2_b64 s[12:13], s[12:13], exec
	s_and_b64 s[16:17], vcc, exec
	s_or_b64 s[12:13], s[12:13], s[16:17]
.LBB48_285:
	s_branch .LBB48_287
.LBB48_286:
	s_cmp_lg_u32 s48, 0
	s_mov_b64 s[6:7], -1
	s_cselect_b64 s[14:15], -1, 0
.LBB48_287:
	s_andn2_b64 vcc, exec, s[14:15]
	s_cbranch_vccz .LBB48_296
; %bb.288:
	s_andn2_b64 vcc, exec, s[6:7]
	s_cbranch_vccnz .LBB48_290
.LBB48_289:
	v_cmp_le_i64_e32 vcc, s[8:9], v[30:31]
	s_andn2_b64 s[6:7], s[12:13], exec
	s_and_b64 s[12:13], vcc, exec
	s_or_b64 s[12:13], s[6:7], s[12:13]
.LBB48_290:
	v_cndmask_b32_e64 v33, 0, 1, s[12:13]
.LBB48_291:
	s_or_b64 exec, exec, s[4:5]
	v_or_b32_e32 v30, 0x200, v0
	v_cmp_gt_i32_e32 vcc, s33, v30
                                        ; implicit-def: $vgpr30
	s_and_saveexec_b64 s[4:5], vcc
	s_cbranch_execz .LBB48_306
; %bb.292:
	s_cmp_lt_i32 s48, 1
	s_mov_b64 s[6:7], 0
	s_cbranch_scc1 .LBB48_297
; %bb.293:
	s_cmp_gt_i32 s48, 1
	s_cbranch_scc0 .LBB48_298
; %bb.294:
	s_cmp_eq_u32 s48, 2
	s_cbranch_scc0 .LBB48_536
; %bb.295:
	v_cmp_ge_i64_e64 s[12:13], s[8:9], v[28:29]
	s_mov_b64 s[14:15], 0
	s_branch .LBB48_300
.LBB48_296:
	v_cmp_gt_i64_e32 vcc, s[8:9], v[30:31]
	s_andn2_b64 s[12:13], s[12:13], exec
	s_and_b64 s[14:15], vcc, exec
	s_or_b64 s[12:13], s[12:13], s[14:15]
	s_cbranch_execz .LBB48_289
	s_branch .LBB48_290
.LBB48_297:
                                        ; implicit-def: $sgpr12_sgpr13
	s_mov_b64 s[14:15], 0
	s_cbranch_execnz .LBB48_301
	s_branch .LBB48_302
.LBB48_298:
	s_mov_b64 s[14:15], 0
                                        ; implicit-def: $sgpr12_sgpr13
	s_cbranch_execz .LBB48_300
; %bb.299:
	v_cmp_lt_i64_e32 vcc, s[8:9], v[28:29]
	s_andn2_b64 s[12:13], s[12:13], exec
	s_and_b64 s[16:17], vcc, exec
	s_or_b64 s[12:13], s[12:13], s[16:17]
.LBB48_300:
	s_branch .LBB48_302
.LBB48_301:
	s_cmp_lg_u32 s48, 0
	s_mov_b64 s[6:7], -1
	s_cselect_b64 s[14:15], -1, 0
.LBB48_302:
	s_andn2_b64 vcc, exec, s[14:15]
	s_cbranch_vccz .LBB48_311
; %bb.303:
	s_andn2_b64 vcc, exec, s[6:7]
	s_cbranch_vccnz .LBB48_305
.LBB48_304:
	v_cmp_le_i64_e32 vcc, s[8:9], v[28:29]
	s_andn2_b64 s[6:7], s[12:13], exec
	s_and_b64 s[12:13], vcc, exec
	s_or_b64 s[12:13], s[6:7], s[12:13]
.LBB48_305:
	v_cndmask_b32_e64 v30, 0, 1, s[12:13]
.LBB48_306:
	s_or_b64 exec, exec, s[4:5]
	v_or_b32_e32 v28, 0x300, v0
	v_cmp_gt_i32_e32 vcc, s33, v28
                                        ; implicit-def: $vgpr28
	s_and_saveexec_b64 s[4:5], vcc
	s_cbranch_execz .LBB48_321
; %bb.307:
	s_cmp_lt_i32 s48, 1
	s_mov_b64 s[6:7], 0
	s_cbranch_scc1 .LBB48_312
; %bb.308:
	s_cmp_gt_i32 s48, 1
	s_cbranch_scc0 .LBB48_313
; %bb.309:
	s_cmp_eq_u32 s48, 2
	s_cbranch_scc0 .LBB48_537
; %bb.310:
	v_cmp_ge_i64_e64 s[12:13], s[8:9], v[26:27]
	s_mov_b64 s[14:15], 0
	s_branch .LBB48_315
.LBB48_311:
	v_cmp_gt_i64_e32 vcc, s[8:9], v[28:29]
	s_andn2_b64 s[12:13], s[12:13], exec
	s_and_b64 s[14:15], vcc, exec
	s_or_b64 s[12:13], s[12:13], s[14:15]
	s_cbranch_execz .LBB48_304
	s_branch .LBB48_305
.LBB48_312:
                                        ; implicit-def: $sgpr12_sgpr13
	s_mov_b64 s[14:15], 0
	s_cbranch_execnz .LBB48_316
	s_branch .LBB48_317
.LBB48_313:
	s_mov_b64 s[14:15], 0
                                        ; implicit-def: $sgpr12_sgpr13
	s_cbranch_execz .LBB48_315
; %bb.314:
	v_cmp_lt_i64_e32 vcc, s[8:9], v[26:27]
	s_andn2_b64 s[12:13], s[12:13], exec
	s_and_b64 s[16:17], vcc, exec
	s_or_b64 s[12:13], s[12:13], s[16:17]
.LBB48_315:
	s_branch .LBB48_317
.LBB48_316:
	s_cmp_lg_u32 s48, 0
	s_mov_b64 s[6:7], -1
	s_cselect_b64 s[14:15], -1, 0
.LBB48_317:
	s_andn2_b64 vcc, exec, s[14:15]
	s_cbranch_vccz .LBB48_326
; %bb.318:
	s_andn2_b64 vcc, exec, s[6:7]
	s_cbranch_vccnz .LBB48_320
.LBB48_319:
	v_cmp_le_i64_e32 vcc, s[8:9], v[26:27]
	s_andn2_b64 s[6:7], s[12:13], exec
	s_and_b64 s[12:13], vcc, exec
	s_or_b64 s[12:13], s[6:7], s[12:13]
.LBB48_320:
	v_cndmask_b32_e64 v28, 0, 1, s[12:13]
.LBB48_321:
	s_or_b64 exec, exec, s[4:5]
	v_or_b32_e32 v26, 0x400, v0
	v_cmp_gt_i32_e32 vcc, s33, v26
                                        ; implicit-def: $vgpr26
	s_and_saveexec_b64 s[4:5], vcc
	s_cbranch_execz .LBB48_336
; %bb.322:
	s_cmp_lt_i32 s48, 1
	s_mov_b64 s[6:7], 0
	s_cbranch_scc1 .LBB48_327
; %bb.323:
	s_cmp_gt_i32 s48, 1
	s_cbranch_scc0 .LBB48_328
; %bb.324:
	s_cmp_eq_u32 s48, 2
	s_cbranch_scc0 .LBB48_538
; %bb.325:
	v_cmp_ge_i64_e64 s[12:13], s[8:9], v[24:25]
	s_mov_b64 s[14:15], 0
	s_branch .LBB48_330
.LBB48_326:
	v_cmp_gt_i64_e32 vcc, s[8:9], v[26:27]
	s_andn2_b64 s[12:13], s[12:13], exec
	s_and_b64 s[14:15], vcc, exec
	s_or_b64 s[12:13], s[12:13], s[14:15]
	s_cbranch_execz .LBB48_319
	s_branch .LBB48_320
.LBB48_327:
                                        ; implicit-def: $sgpr12_sgpr13
	s_mov_b64 s[14:15], 0
	s_cbranch_execnz .LBB48_331
	s_branch .LBB48_332
.LBB48_328:
	s_mov_b64 s[14:15], 0
                                        ; implicit-def: $sgpr12_sgpr13
	s_cbranch_execz .LBB48_330
; %bb.329:
	v_cmp_lt_i64_e32 vcc, s[8:9], v[24:25]
	s_andn2_b64 s[12:13], s[12:13], exec
	s_and_b64 s[16:17], vcc, exec
	s_or_b64 s[12:13], s[12:13], s[16:17]
.LBB48_330:
	s_branch .LBB48_332
.LBB48_331:
	s_cmp_lg_u32 s48, 0
	s_mov_b64 s[6:7], -1
	s_cselect_b64 s[14:15], -1, 0
.LBB48_332:
	s_andn2_b64 vcc, exec, s[14:15]
	s_cbranch_vccz .LBB48_341
; %bb.333:
	s_andn2_b64 vcc, exec, s[6:7]
	s_cbranch_vccnz .LBB48_335
.LBB48_334:
	v_cmp_le_i64_e32 vcc, s[8:9], v[24:25]
	s_andn2_b64 s[6:7], s[12:13], exec
	s_and_b64 s[12:13], vcc, exec
	s_or_b64 s[12:13], s[6:7], s[12:13]
.LBB48_335:
	v_cndmask_b32_e64 v26, 0, 1, s[12:13]
.LBB48_336:
	s_or_b64 exec, exec, s[4:5]
	v_or_b32_e32 v24, 0x500, v0
	v_cmp_gt_i32_e32 vcc, s33, v24
                                        ; implicit-def: $vgpr24
	s_and_saveexec_b64 s[4:5], vcc
	s_cbranch_execz .LBB48_351
; %bb.337:
	s_cmp_lt_i32 s48, 1
	s_mov_b64 s[6:7], 0
	s_cbranch_scc1 .LBB48_342
; %bb.338:
	s_cmp_gt_i32 s48, 1
	s_cbranch_scc0 .LBB48_343
; %bb.339:
	s_cmp_eq_u32 s48, 2
	s_cbranch_scc0 .LBB48_539
; %bb.340:
	v_cmp_ge_i64_e64 s[12:13], s[8:9], v[22:23]
	s_mov_b64 s[14:15], 0
	s_branch .LBB48_345
.LBB48_341:
	v_cmp_gt_i64_e32 vcc, s[8:9], v[24:25]
	s_andn2_b64 s[12:13], s[12:13], exec
	s_and_b64 s[14:15], vcc, exec
	s_or_b64 s[12:13], s[12:13], s[14:15]
	s_cbranch_execz .LBB48_334
	s_branch .LBB48_335
.LBB48_342:
                                        ; implicit-def: $sgpr12_sgpr13
	s_mov_b64 s[14:15], 0
	s_cbranch_execnz .LBB48_346
	s_branch .LBB48_347
.LBB48_343:
	s_mov_b64 s[14:15], 0
                                        ; implicit-def: $sgpr12_sgpr13
	s_cbranch_execz .LBB48_345
; %bb.344:
	v_cmp_lt_i64_e32 vcc, s[8:9], v[22:23]
	s_andn2_b64 s[12:13], s[12:13], exec
	s_and_b64 s[16:17], vcc, exec
	s_or_b64 s[12:13], s[12:13], s[16:17]
.LBB48_345:
	s_branch .LBB48_347
.LBB48_346:
	s_cmp_lg_u32 s48, 0
	s_mov_b64 s[6:7], -1
	s_cselect_b64 s[14:15], -1, 0
.LBB48_347:
	s_andn2_b64 vcc, exec, s[14:15]
	s_cbranch_vccz .LBB48_356
; %bb.348:
	s_andn2_b64 vcc, exec, s[6:7]
	s_cbranch_vccnz .LBB48_350
.LBB48_349:
	v_cmp_le_i64_e32 vcc, s[8:9], v[22:23]
	s_andn2_b64 s[6:7], s[12:13], exec
	s_and_b64 s[12:13], vcc, exec
	s_or_b64 s[12:13], s[6:7], s[12:13]
.LBB48_350:
	v_cndmask_b32_e64 v24, 0, 1, s[12:13]
.LBB48_351:
	s_or_b64 exec, exec, s[4:5]
	v_or_b32_e32 v22, 0x600, v0
	v_cmp_gt_i32_e32 vcc, s33, v22
                                        ; implicit-def: $vgpr22
	s_and_saveexec_b64 s[4:5], vcc
	s_cbranch_execz .LBB48_366
; %bb.352:
	s_cmp_lt_i32 s48, 1
	s_mov_b64 s[6:7], 0
	s_cbranch_scc1 .LBB48_357
; %bb.353:
	s_cmp_gt_i32 s48, 1
	s_cbranch_scc0 .LBB48_358
; %bb.354:
	s_cmp_eq_u32 s48, 2
	s_cbranch_scc0 .LBB48_540
; %bb.355:
	v_cmp_ge_i64_e64 s[12:13], s[8:9], v[20:21]
	s_mov_b64 s[14:15], 0
	s_branch .LBB48_360
.LBB48_356:
	v_cmp_gt_i64_e32 vcc, s[8:9], v[22:23]
	s_andn2_b64 s[12:13], s[12:13], exec
	s_and_b64 s[14:15], vcc, exec
	s_or_b64 s[12:13], s[12:13], s[14:15]
	s_cbranch_execz .LBB48_349
	s_branch .LBB48_350
.LBB48_357:
                                        ; implicit-def: $sgpr12_sgpr13
	s_mov_b64 s[14:15], 0
	s_cbranch_execnz .LBB48_361
	s_branch .LBB48_362
.LBB48_358:
	s_mov_b64 s[14:15], 0
                                        ; implicit-def: $sgpr12_sgpr13
	s_cbranch_execz .LBB48_360
; %bb.359:
	v_cmp_lt_i64_e32 vcc, s[8:9], v[20:21]
	s_andn2_b64 s[12:13], s[12:13], exec
	s_and_b64 s[16:17], vcc, exec
	s_or_b64 s[12:13], s[12:13], s[16:17]
.LBB48_360:
	s_branch .LBB48_362
.LBB48_361:
	s_cmp_lg_u32 s48, 0
	s_mov_b64 s[6:7], -1
	s_cselect_b64 s[14:15], -1, 0
.LBB48_362:
	s_andn2_b64 vcc, exec, s[14:15]
	s_cbranch_vccz .LBB48_371
; %bb.363:
	s_andn2_b64 vcc, exec, s[6:7]
	s_cbranch_vccnz .LBB48_365
.LBB48_364:
	v_cmp_le_i64_e32 vcc, s[8:9], v[20:21]
	s_andn2_b64 s[6:7], s[12:13], exec
	s_and_b64 s[12:13], vcc, exec
	s_or_b64 s[12:13], s[6:7], s[12:13]
.LBB48_365:
	v_cndmask_b32_e64 v22, 0, 1, s[12:13]
.LBB48_366:
	s_or_b64 exec, exec, s[4:5]
	v_or_b32_e32 v20, 0x700, v0
	v_cmp_gt_i32_e32 vcc, s33, v20
                                        ; implicit-def: $vgpr20
	s_and_saveexec_b64 s[4:5], vcc
	s_cbranch_execz .LBB48_381
; %bb.367:
	s_cmp_lt_i32 s48, 1
	s_mov_b64 s[6:7], 0
	s_cbranch_scc1 .LBB48_372
; %bb.368:
	s_cmp_gt_i32 s48, 1
	s_cbranch_scc0 .LBB48_373
; %bb.369:
	s_cmp_eq_u32 s48, 2
	s_cbranch_scc0 .LBB48_541
; %bb.370:
	v_cmp_ge_i64_e64 s[12:13], s[8:9], v[18:19]
	s_mov_b64 s[14:15], 0
	s_branch .LBB48_375
.LBB48_371:
	v_cmp_gt_i64_e32 vcc, s[8:9], v[20:21]
	s_andn2_b64 s[12:13], s[12:13], exec
	s_and_b64 s[14:15], vcc, exec
	s_or_b64 s[12:13], s[12:13], s[14:15]
	s_cbranch_execz .LBB48_364
	s_branch .LBB48_365
.LBB48_372:
                                        ; implicit-def: $sgpr12_sgpr13
	s_mov_b64 s[14:15], 0
	s_cbranch_execnz .LBB48_376
	s_branch .LBB48_377
.LBB48_373:
	s_mov_b64 s[14:15], 0
                                        ; implicit-def: $sgpr12_sgpr13
	s_cbranch_execz .LBB48_375
; %bb.374:
	v_cmp_lt_i64_e32 vcc, s[8:9], v[18:19]
	s_andn2_b64 s[12:13], s[12:13], exec
	s_and_b64 s[16:17], vcc, exec
	s_or_b64 s[12:13], s[12:13], s[16:17]
.LBB48_375:
	s_branch .LBB48_377
.LBB48_376:
	s_cmp_lg_u32 s48, 0
	s_mov_b64 s[6:7], -1
	s_cselect_b64 s[14:15], -1, 0
.LBB48_377:
	s_andn2_b64 vcc, exec, s[14:15]
	s_cbranch_vccz .LBB48_386
; %bb.378:
	s_andn2_b64 vcc, exec, s[6:7]
	s_cbranch_vccnz .LBB48_380
.LBB48_379:
	v_cmp_le_i64_e32 vcc, s[8:9], v[18:19]
	s_andn2_b64 s[6:7], s[12:13], exec
	s_and_b64 s[12:13], vcc, exec
	s_or_b64 s[12:13], s[6:7], s[12:13]
.LBB48_380:
	v_cndmask_b32_e64 v20, 0, 1, s[12:13]
.LBB48_381:
	s_or_b64 exec, exec, s[4:5]
	v_or_b32_e32 v18, 0x800, v0
	v_cmp_gt_i32_e32 vcc, s33, v18
                                        ; implicit-def: $vgpr18
	s_and_saveexec_b64 s[4:5], vcc
	s_cbranch_execz .LBB48_396
; %bb.382:
	s_cmp_lt_i32 s48, 1
	s_mov_b64 s[6:7], 0
	s_cbranch_scc1 .LBB48_387
; %bb.383:
	s_cmp_gt_i32 s48, 1
	s_cbranch_scc0 .LBB48_388
; %bb.384:
	s_cmp_eq_u32 s48, 2
	s_cbranch_scc0 .LBB48_542
; %bb.385:
	v_cmp_ge_i64_e64 s[12:13], s[8:9], v[16:17]
	s_mov_b64 s[14:15], 0
	s_branch .LBB48_390
.LBB48_386:
	v_cmp_gt_i64_e32 vcc, s[8:9], v[18:19]
	s_andn2_b64 s[12:13], s[12:13], exec
	s_and_b64 s[14:15], vcc, exec
	s_or_b64 s[12:13], s[12:13], s[14:15]
	s_cbranch_execz .LBB48_379
	s_branch .LBB48_380
.LBB48_387:
                                        ; implicit-def: $sgpr12_sgpr13
	s_mov_b64 s[14:15], 0
	s_cbranch_execnz .LBB48_391
	s_branch .LBB48_392
.LBB48_388:
	s_mov_b64 s[14:15], 0
                                        ; implicit-def: $sgpr12_sgpr13
	s_cbranch_execz .LBB48_390
; %bb.389:
	v_cmp_lt_i64_e32 vcc, s[8:9], v[16:17]
	s_andn2_b64 s[12:13], s[12:13], exec
	s_and_b64 s[16:17], vcc, exec
	s_or_b64 s[12:13], s[12:13], s[16:17]
.LBB48_390:
	s_branch .LBB48_392
.LBB48_391:
	s_cmp_lg_u32 s48, 0
	s_mov_b64 s[6:7], -1
	s_cselect_b64 s[14:15], -1, 0
.LBB48_392:
	s_andn2_b64 vcc, exec, s[14:15]
	s_cbranch_vccz .LBB48_401
; %bb.393:
	s_andn2_b64 vcc, exec, s[6:7]
	s_cbranch_vccnz .LBB48_395
.LBB48_394:
	v_cmp_le_i64_e32 vcc, s[8:9], v[16:17]
	s_andn2_b64 s[6:7], s[12:13], exec
	s_and_b64 s[12:13], vcc, exec
	s_or_b64 s[12:13], s[6:7], s[12:13]
.LBB48_395:
	v_cndmask_b32_e64 v18, 0, 1, s[12:13]
.LBB48_396:
	s_or_b64 exec, exec, s[4:5]
	v_or_b32_e32 v16, 0x900, v0
	v_cmp_gt_i32_e32 vcc, s33, v16
                                        ; implicit-def: $vgpr16
	s_and_saveexec_b64 s[4:5], vcc
	s_cbranch_execz .LBB48_411
; %bb.397:
	s_cmp_lt_i32 s48, 1
	s_mov_b64 s[6:7], 0
	s_cbranch_scc1 .LBB48_402
; %bb.398:
	s_cmp_gt_i32 s48, 1
	s_cbranch_scc0 .LBB48_403
; %bb.399:
	s_cmp_eq_u32 s48, 2
	s_cbranch_scc0 .LBB48_543
; %bb.400:
	v_cmp_ge_i64_e64 s[12:13], s[8:9], v[14:15]
	s_mov_b64 s[14:15], 0
	s_branch .LBB48_405
.LBB48_401:
	v_cmp_gt_i64_e32 vcc, s[8:9], v[16:17]
	s_andn2_b64 s[12:13], s[12:13], exec
	s_and_b64 s[14:15], vcc, exec
	s_or_b64 s[12:13], s[12:13], s[14:15]
	s_cbranch_execz .LBB48_394
	s_branch .LBB48_395
.LBB48_402:
                                        ; implicit-def: $sgpr12_sgpr13
	s_mov_b64 s[14:15], 0
	s_cbranch_execnz .LBB48_406
	s_branch .LBB48_407
.LBB48_403:
	s_mov_b64 s[14:15], 0
                                        ; implicit-def: $sgpr12_sgpr13
	s_cbranch_execz .LBB48_405
; %bb.404:
	v_cmp_lt_i64_e32 vcc, s[8:9], v[14:15]
	s_andn2_b64 s[12:13], s[12:13], exec
	s_and_b64 s[16:17], vcc, exec
	s_or_b64 s[12:13], s[12:13], s[16:17]
.LBB48_405:
	s_branch .LBB48_407
.LBB48_406:
	s_cmp_lg_u32 s48, 0
	s_mov_b64 s[6:7], -1
	s_cselect_b64 s[14:15], -1, 0
.LBB48_407:
	s_andn2_b64 vcc, exec, s[14:15]
	s_cbranch_vccz .LBB48_416
; %bb.408:
	s_andn2_b64 vcc, exec, s[6:7]
	s_cbranch_vccnz .LBB48_410
.LBB48_409:
	v_cmp_le_i64_e32 vcc, s[8:9], v[14:15]
	s_andn2_b64 s[6:7], s[12:13], exec
	s_and_b64 s[12:13], vcc, exec
	s_or_b64 s[12:13], s[6:7], s[12:13]
.LBB48_410:
	v_cndmask_b32_e64 v16, 0, 1, s[12:13]
.LBB48_411:
	s_or_b64 exec, exec, s[4:5]
	v_or_b32_e32 v14, 0xa00, v0
	v_cmp_gt_i32_e32 vcc, s33, v14
                                        ; implicit-def: $vgpr14
	s_and_saveexec_b64 s[4:5], vcc
	s_cbranch_execz .LBB48_426
; %bb.412:
	s_cmp_lt_i32 s48, 1
	s_mov_b64 s[6:7], 0
	s_cbranch_scc1 .LBB48_417
; %bb.413:
	s_cmp_gt_i32 s48, 1
	s_cbranch_scc0 .LBB48_418
; %bb.414:
	s_cmp_eq_u32 s48, 2
	s_cbranch_scc0 .LBB48_544
; %bb.415:
	v_cmp_ge_i64_e64 s[12:13], s[8:9], v[12:13]
	s_mov_b64 s[14:15], 0
	s_branch .LBB48_420
.LBB48_416:
	v_cmp_gt_i64_e32 vcc, s[8:9], v[14:15]
	s_andn2_b64 s[12:13], s[12:13], exec
	s_and_b64 s[14:15], vcc, exec
	s_or_b64 s[12:13], s[12:13], s[14:15]
	s_cbranch_execz .LBB48_409
	s_branch .LBB48_410
.LBB48_417:
                                        ; implicit-def: $sgpr12_sgpr13
	s_mov_b64 s[14:15], 0
	s_cbranch_execnz .LBB48_421
	s_branch .LBB48_422
.LBB48_418:
	s_mov_b64 s[14:15], 0
                                        ; implicit-def: $sgpr12_sgpr13
	s_cbranch_execz .LBB48_420
; %bb.419:
	v_cmp_lt_i64_e32 vcc, s[8:9], v[12:13]
	s_andn2_b64 s[12:13], s[12:13], exec
	s_and_b64 s[16:17], vcc, exec
	s_or_b64 s[12:13], s[12:13], s[16:17]
.LBB48_420:
	s_branch .LBB48_422
.LBB48_421:
	s_cmp_lg_u32 s48, 0
	s_mov_b64 s[6:7], -1
	s_cselect_b64 s[14:15], -1, 0
.LBB48_422:
	s_andn2_b64 vcc, exec, s[14:15]
	s_cbranch_vccz .LBB48_431
; %bb.423:
	s_andn2_b64 vcc, exec, s[6:7]
	s_cbranch_vccnz .LBB48_425
.LBB48_424:
	v_cmp_le_i64_e32 vcc, s[8:9], v[12:13]
	s_andn2_b64 s[6:7], s[12:13], exec
	s_and_b64 s[12:13], vcc, exec
	s_or_b64 s[12:13], s[6:7], s[12:13]
.LBB48_425:
	v_cndmask_b32_e64 v14, 0, 1, s[12:13]
.LBB48_426:
	s_or_b64 exec, exec, s[4:5]
	v_or_b32_e32 v12, 0xb00, v0
	v_cmp_gt_i32_e32 vcc, s33, v12
                                        ; implicit-def: $vgpr12
	s_and_saveexec_b64 s[4:5], vcc
	s_cbranch_execz .LBB48_441
; %bb.427:
	s_cmp_lt_i32 s48, 1
	s_mov_b64 s[6:7], 0
	s_cbranch_scc1 .LBB48_432
; %bb.428:
	s_cmp_gt_i32 s48, 1
	s_cbranch_scc0 .LBB48_433
; %bb.429:
	s_cmp_eq_u32 s48, 2
	s_cbranch_scc0 .LBB48_545
; %bb.430:
	v_cmp_ge_i64_e64 s[12:13], s[8:9], v[10:11]
	s_mov_b64 s[14:15], 0
	s_branch .LBB48_435
.LBB48_431:
	v_cmp_gt_i64_e32 vcc, s[8:9], v[12:13]
	s_andn2_b64 s[12:13], s[12:13], exec
	s_and_b64 s[14:15], vcc, exec
	s_or_b64 s[12:13], s[12:13], s[14:15]
	s_cbranch_execz .LBB48_424
	s_branch .LBB48_425
.LBB48_432:
                                        ; implicit-def: $sgpr12_sgpr13
	s_mov_b64 s[14:15], 0
	s_cbranch_execnz .LBB48_436
	s_branch .LBB48_437
.LBB48_433:
	s_mov_b64 s[14:15], 0
                                        ; implicit-def: $sgpr12_sgpr13
	s_cbranch_execz .LBB48_435
; %bb.434:
	v_cmp_lt_i64_e32 vcc, s[8:9], v[10:11]
	s_andn2_b64 s[12:13], s[12:13], exec
	s_and_b64 s[16:17], vcc, exec
	s_or_b64 s[12:13], s[12:13], s[16:17]
.LBB48_435:
	s_branch .LBB48_437
.LBB48_436:
	s_cmp_lg_u32 s48, 0
	s_mov_b64 s[6:7], -1
	s_cselect_b64 s[14:15], -1, 0
.LBB48_437:
	s_andn2_b64 vcc, exec, s[14:15]
	s_cbranch_vccz .LBB48_446
; %bb.438:
	s_andn2_b64 vcc, exec, s[6:7]
	s_cbranch_vccnz .LBB48_440
.LBB48_439:
	v_cmp_le_i64_e32 vcc, s[8:9], v[10:11]
	s_andn2_b64 s[6:7], s[12:13], exec
	s_and_b64 s[12:13], vcc, exec
	s_or_b64 s[12:13], s[6:7], s[12:13]
.LBB48_440:
	v_cndmask_b32_e64 v12, 0, 1, s[12:13]
.LBB48_441:
	s_or_b64 exec, exec, s[4:5]
	v_or_b32_e32 v10, 0xc00, v0
	v_cmp_gt_i32_e32 vcc, s33, v10
                                        ; implicit-def: $vgpr10
	s_and_saveexec_b64 s[4:5], vcc
	s_cbranch_execz .LBB48_456
; %bb.442:
	s_cmp_lt_i32 s48, 1
	s_mov_b64 s[6:7], 0
	s_cbranch_scc1 .LBB48_447
; %bb.443:
	s_cmp_gt_i32 s48, 1
	s_cbranch_scc0 .LBB48_448
; %bb.444:
	s_cmp_eq_u32 s48, 2
	s_cbranch_scc0 .LBB48_546
; %bb.445:
	v_cmp_ge_i64_e64 s[12:13], s[8:9], v[8:9]
	s_mov_b64 s[14:15], 0
	s_branch .LBB48_450
.LBB48_446:
	v_cmp_gt_i64_e32 vcc, s[8:9], v[10:11]
	s_andn2_b64 s[12:13], s[12:13], exec
	s_and_b64 s[14:15], vcc, exec
	s_or_b64 s[12:13], s[12:13], s[14:15]
	s_cbranch_execz .LBB48_439
	s_branch .LBB48_440
.LBB48_447:
                                        ; implicit-def: $sgpr12_sgpr13
	s_mov_b64 s[14:15], 0
	s_cbranch_execnz .LBB48_451
	s_branch .LBB48_452
.LBB48_448:
	s_mov_b64 s[14:15], 0
                                        ; implicit-def: $sgpr12_sgpr13
	s_cbranch_execz .LBB48_450
; %bb.449:
	v_cmp_lt_i64_e32 vcc, s[8:9], v[8:9]
	s_andn2_b64 s[12:13], s[12:13], exec
	s_and_b64 s[16:17], vcc, exec
	s_or_b64 s[12:13], s[12:13], s[16:17]
.LBB48_450:
	s_branch .LBB48_452
.LBB48_451:
	s_cmp_lg_u32 s48, 0
	s_mov_b64 s[6:7], -1
	s_cselect_b64 s[14:15], -1, 0
.LBB48_452:
	s_andn2_b64 vcc, exec, s[14:15]
	s_cbranch_vccz .LBB48_461
; %bb.453:
	s_andn2_b64 vcc, exec, s[6:7]
	s_cbranch_vccnz .LBB48_455
.LBB48_454:
	v_cmp_le_i64_e32 vcc, s[8:9], v[8:9]
	s_andn2_b64 s[6:7], s[12:13], exec
	s_and_b64 s[12:13], vcc, exec
	s_or_b64 s[12:13], s[6:7], s[12:13]
.LBB48_455:
	v_cndmask_b32_e64 v10, 0, 1, s[12:13]
.LBB48_456:
	s_or_b64 exec, exec, s[4:5]
	v_or_b32_e32 v8, 0xd00, v0
	v_cmp_gt_i32_e32 vcc, s33, v8
                                        ; implicit-def: $vgpr8
	s_and_saveexec_b64 s[4:5], vcc
	s_cbranch_execz .LBB48_471
; %bb.457:
	s_cmp_lt_i32 s48, 1
	s_mov_b64 s[6:7], 0
	s_cbranch_scc1 .LBB48_462
; %bb.458:
	s_cmp_gt_i32 s48, 1
	s_cbranch_scc0 .LBB48_463
; %bb.459:
	s_cmp_eq_u32 s48, 2
	s_cbranch_scc0 .LBB48_547
; %bb.460:
	v_cmp_ge_i64_e64 s[12:13], s[8:9], v[6:7]
	s_mov_b64 s[14:15], 0
	s_branch .LBB48_465
.LBB48_461:
	v_cmp_gt_i64_e32 vcc, s[8:9], v[8:9]
	s_andn2_b64 s[12:13], s[12:13], exec
	s_and_b64 s[14:15], vcc, exec
	s_or_b64 s[12:13], s[12:13], s[14:15]
	s_cbranch_execz .LBB48_454
	s_branch .LBB48_455
.LBB48_462:
                                        ; implicit-def: $sgpr12_sgpr13
	s_mov_b64 s[14:15], 0
	s_cbranch_execnz .LBB48_466
	s_branch .LBB48_467
.LBB48_463:
	s_mov_b64 s[14:15], 0
                                        ; implicit-def: $sgpr12_sgpr13
	s_cbranch_execz .LBB48_465
; %bb.464:
	v_cmp_lt_i64_e32 vcc, s[8:9], v[6:7]
	s_andn2_b64 s[12:13], s[12:13], exec
	s_and_b64 s[16:17], vcc, exec
	s_or_b64 s[12:13], s[12:13], s[16:17]
.LBB48_465:
	s_branch .LBB48_467
.LBB48_466:
	s_cmp_lg_u32 s48, 0
	s_mov_b64 s[6:7], -1
	s_cselect_b64 s[14:15], -1, 0
.LBB48_467:
	s_andn2_b64 vcc, exec, s[14:15]
	s_cbranch_vccz .LBB48_476
; %bb.468:
	s_andn2_b64 vcc, exec, s[6:7]
	s_cbranch_vccnz .LBB48_470
.LBB48_469:
	v_cmp_le_i64_e32 vcc, s[8:9], v[6:7]
	s_andn2_b64 s[6:7], s[12:13], exec
	s_and_b64 s[12:13], vcc, exec
	s_or_b64 s[12:13], s[6:7], s[12:13]
.LBB48_470:
	v_cndmask_b32_e64 v8, 0, 1, s[12:13]
.LBB48_471:
	s_or_b64 exec, exec, s[4:5]
	v_or_b32_e32 v6, 0xe00, v0
	v_cmp_gt_i32_e32 vcc, s33, v6
                                        ; implicit-def: $vgpr6
	s_and_saveexec_b64 s[4:5], vcc
	s_cbranch_execz .LBB48_486
; %bb.472:
	s_cmp_lt_i32 s48, 1
	s_mov_b64 s[6:7], 0
	s_cbranch_scc1 .LBB48_477
; %bb.473:
	s_cmp_gt_i32 s48, 1
	s_cbranch_scc0 .LBB48_478
; %bb.474:
	s_cmp_eq_u32 s48, 2
	s_cbranch_scc0 .LBB48_548
; %bb.475:
	v_cmp_ge_i64_e64 s[12:13], s[8:9], v[4:5]
	s_mov_b64 s[14:15], 0
	s_branch .LBB48_480
.LBB48_476:
	v_cmp_gt_i64_e32 vcc, s[8:9], v[6:7]
	s_andn2_b64 s[12:13], s[12:13], exec
	s_and_b64 s[14:15], vcc, exec
	s_or_b64 s[12:13], s[12:13], s[14:15]
	s_cbranch_execz .LBB48_469
	s_branch .LBB48_470
.LBB48_477:
                                        ; implicit-def: $sgpr12_sgpr13
	s_mov_b64 s[14:15], 0
	s_cbranch_execnz .LBB48_481
	s_branch .LBB48_482
.LBB48_478:
	s_mov_b64 s[14:15], 0
                                        ; implicit-def: $sgpr12_sgpr13
	s_cbranch_execz .LBB48_480
; %bb.479:
	v_cmp_lt_i64_e32 vcc, s[8:9], v[4:5]
	s_andn2_b64 s[12:13], s[12:13], exec
	s_and_b64 s[16:17], vcc, exec
	s_or_b64 s[12:13], s[12:13], s[16:17]
.LBB48_480:
	s_branch .LBB48_482
.LBB48_481:
	s_cmp_lg_u32 s48, 0
	s_mov_b64 s[6:7], -1
	s_cselect_b64 s[14:15], -1, 0
.LBB48_482:
	s_andn2_b64 vcc, exec, s[14:15]
	s_cbranch_vccz .LBB48_491
; %bb.483:
	s_andn2_b64 vcc, exec, s[6:7]
	s_cbranch_vccnz .LBB48_485
.LBB48_484:
	v_cmp_le_i64_e32 vcc, s[8:9], v[4:5]
	s_andn2_b64 s[6:7], s[12:13], exec
	s_and_b64 s[12:13], vcc, exec
	s_or_b64 s[12:13], s[6:7], s[12:13]
.LBB48_485:
	v_cndmask_b32_e64 v6, 0, 1, s[12:13]
.LBB48_486:
	s_or_b64 exec, exec, s[4:5]
	v_or_b32_e32 v4, 0xf00, v0
	v_cmp_gt_i32_e32 vcc, s33, v4
                                        ; implicit-def: $vgpr4
	s_and_saveexec_b64 s[4:5], vcc
	s_cbranch_execz .LBB48_501
; %bb.487:
	s_cmp_lt_i32 s48, 1
	s_mov_b64 s[6:7], 0
	s_cbranch_scc1 .LBB48_492
; %bb.488:
	s_cmp_gt_i32 s48, 1
	s_cbranch_scc0 .LBB48_493
; %bb.489:
	s_cmp_eq_u32 s48, 2
	s_cbranch_scc0 .LBB48_549
; %bb.490:
	v_cmp_ge_i64_e64 s[12:13], s[8:9], v[2:3]
	s_mov_b64 s[14:15], 0
	s_branch .LBB48_495
.LBB48_491:
	v_cmp_gt_i64_e32 vcc, s[8:9], v[4:5]
	s_andn2_b64 s[12:13], s[12:13], exec
	s_and_b64 s[14:15], vcc, exec
	s_or_b64 s[12:13], s[12:13], s[14:15]
	s_cbranch_execz .LBB48_484
	s_branch .LBB48_485
.LBB48_492:
                                        ; implicit-def: $sgpr12_sgpr13
	s_mov_b64 s[14:15], 0
	s_cbranch_execnz .LBB48_496
	s_branch .LBB48_497
.LBB48_493:
	s_mov_b64 s[14:15], 0
                                        ; implicit-def: $sgpr12_sgpr13
	s_cbranch_execz .LBB48_495
; %bb.494:
	v_cmp_lt_i64_e32 vcc, s[8:9], v[2:3]
	s_andn2_b64 s[12:13], s[12:13], exec
	s_and_b64 s[16:17], vcc, exec
	s_or_b64 s[12:13], s[12:13], s[16:17]
.LBB48_495:
	s_branch .LBB48_497
.LBB48_496:
	s_cmp_lg_u32 s48, 0
	s_mov_b64 s[6:7], -1
	s_cselect_b64 s[14:15], -1, 0
.LBB48_497:
	s_andn2_b64 vcc, exec, s[14:15]
	s_cbranch_vccz .LBB48_534
; %bb.498:
	s_andn2_b64 vcc, exec, s[6:7]
	s_cbranch_vccnz .LBB48_500
.LBB48_499:
	v_cmp_le_i64_e32 vcc, s[8:9], v[2:3]
	s_andn2_b64 s[6:7], s[12:13], exec
	s_and_b64 s[8:9], vcc, exec
	s_or_b64 s[12:13], s[6:7], s[8:9]
.LBB48_500:
	v_cndmask_b32_e64 v4, 0, 1, s[12:13]
.LBB48_501:
	s_or_b64 exec, exec, s[4:5]
	s_and_saveexec_b64 s[4:5], s[0:1]
	s_xor_b64 s[0:1], exec, s[4:5]
	s_cbranch_execz .LBB48_503
; %bb.502:
	v_mov_b32_e32 v0, v32
	global_store_byte v1, v34, s[10:11]
.LBB48_503:
	s_or_b64 exec, exec, s[0:1]
	v_cmp_gt_i32_e32 vcc, s33, v0
	s_and_saveexec_b64 s[0:1], vcc
	s_cbranch_execnz .LBB48_520
; %bb.504:
	s_or_b64 exec, exec, s[0:1]
	v_cmp_gt_i32_e32 vcc, s33, v0
	s_and_saveexec_b64 s[0:1], vcc
	s_cbranch_execnz .LBB48_521
.LBB48_505:
	s_or_b64 exec, exec, s[0:1]
	v_cmp_gt_i32_e32 vcc, s33, v0
	s_and_saveexec_b64 s[0:1], vcc
	s_cbranch_execnz .LBB48_522
.LBB48_506:
	s_or_b64 exec, exec, s[0:1]
	v_cmp_gt_i32_e32 vcc, s33, v0
	s_and_saveexec_b64 s[0:1], vcc
	s_cbranch_execnz .LBB48_523
.LBB48_507:
	s_or_b64 exec, exec, s[0:1]
	v_cmp_gt_i32_e32 vcc, s33, v0
	s_and_saveexec_b64 s[0:1], vcc
	s_cbranch_execnz .LBB48_524
.LBB48_508:
	s_or_b64 exec, exec, s[0:1]
	v_cmp_gt_i32_e32 vcc, s33, v0
	s_and_saveexec_b64 s[0:1], vcc
	s_cbranch_execnz .LBB48_525
.LBB48_509:
	s_or_b64 exec, exec, s[0:1]
	v_cmp_gt_i32_e32 vcc, s33, v0
	s_and_saveexec_b64 s[0:1], vcc
	s_cbranch_execnz .LBB48_526
.LBB48_510:
	s_or_b64 exec, exec, s[0:1]
	v_cmp_gt_i32_e32 vcc, s33, v0
	s_and_saveexec_b64 s[0:1], vcc
	s_cbranch_execnz .LBB48_527
.LBB48_511:
	s_or_b64 exec, exec, s[0:1]
	v_cmp_gt_i32_e32 vcc, s33, v0
	s_and_saveexec_b64 s[0:1], vcc
	s_cbranch_execnz .LBB48_528
.LBB48_512:
	s_or_b64 exec, exec, s[0:1]
	v_cmp_gt_i32_e32 vcc, s33, v0
	s_and_saveexec_b64 s[0:1], vcc
	s_cbranch_execnz .LBB48_529
.LBB48_513:
	s_or_b64 exec, exec, s[0:1]
	v_cmp_gt_i32_e32 vcc, s33, v0
	s_and_saveexec_b64 s[0:1], vcc
	s_cbranch_execnz .LBB48_530
.LBB48_514:
	s_or_b64 exec, exec, s[0:1]
	v_cmp_gt_i32_e32 vcc, s33, v0
	s_and_saveexec_b64 s[0:1], vcc
	s_cbranch_execnz .LBB48_531
.LBB48_515:
	s_or_b64 exec, exec, s[0:1]
	v_cmp_gt_i32_e32 vcc, s33, v0
	s_and_saveexec_b64 s[0:1], vcc
	s_cbranch_execnz .LBB48_532
.LBB48_516:
	s_or_b64 exec, exec, s[0:1]
	v_cmp_gt_i32_e32 vcc, s33, v0
	s_and_saveexec_b64 s[0:1], vcc
	s_cbranch_execnz .LBB48_533
.LBB48_517:
	s_or_b64 exec, exec, s[0:1]
	v_cmp_gt_i32_e32 vcc, s33, v0
	s_and_saveexec_b64 s[0:1], vcc
	s_cbranch_execz .LBB48_519
.LBB48_518:
	v_add_u32_e32 v0, s2, v0
	global_store_byte v0, v4, s[10:11]
.LBB48_519:
	s_endpgm
.LBB48_520:
	v_add_u32_e32 v1, s2, v0
	v_add_u32_e32 v0, 0x100, v0
	global_store_byte v1, v33, s[10:11]
	s_or_b64 exec, exec, s[0:1]
	v_cmp_gt_i32_e32 vcc, s33, v0
	s_and_saveexec_b64 s[0:1], vcc
	s_cbranch_execz .LBB48_505
.LBB48_521:
	v_add_u32_e32 v1, s2, v0
	v_add_u32_e32 v0, 0x100, v0
	global_store_byte v1, v30, s[10:11]
	s_or_b64 exec, exec, s[0:1]
	v_cmp_gt_i32_e32 vcc, s33, v0
	s_and_saveexec_b64 s[0:1], vcc
	s_cbranch_execz .LBB48_506
.LBB48_522:
	v_add_u32_e32 v1, s2, v0
	v_add_u32_e32 v0, 0x100, v0
	global_store_byte v1, v28, s[10:11]
	s_or_b64 exec, exec, s[0:1]
	v_cmp_gt_i32_e32 vcc, s33, v0
	s_and_saveexec_b64 s[0:1], vcc
	s_cbranch_execz .LBB48_507
.LBB48_523:
	v_add_u32_e32 v1, s2, v0
	v_add_u32_e32 v0, 0x100, v0
	global_store_byte v1, v26, s[10:11]
	s_or_b64 exec, exec, s[0:1]
	v_cmp_gt_i32_e32 vcc, s33, v0
	s_and_saveexec_b64 s[0:1], vcc
	s_cbranch_execz .LBB48_508
.LBB48_524:
	v_add_u32_e32 v1, s2, v0
	v_add_u32_e32 v0, 0x100, v0
	global_store_byte v1, v24, s[10:11]
	s_or_b64 exec, exec, s[0:1]
	v_cmp_gt_i32_e32 vcc, s33, v0
	s_and_saveexec_b64 s[0:1], vcc
	s_cbranch_execz .LBB48_509
.LBB48_525:
	v_add_u32_e32 v1, s2, v0
	v_add_u32_e32 v0, 0x100, v0
	global_store_byte v1, v22, s[10:11]
	s_or_b64 exec, exec, s[0:1]
	v_cmp_gt_i32_e32 vcc, s33, v0
	s_and_saveexec_b64 s[0:1], vcc
	s_cbranch_execz .LBB48_510
.LBB48_526:
	v_add_u32_e32 v1, s2, v0
	v_add_u32_e32 v0, 0x100, v0
	global_store_byte v1, v20, s[10:11]
	s_or_b64 exec, exec, s[0:1]
	v_cmp_gt_i32_e32 vcc, s33, v0
	s_and_saveexec_b64 s[0:1], vcc
	s_cbranch_execz .LBB48_511
.LBB48_527:
	v_add_u32_e32 v1, s2, v0
	v_add_u32_e32 v0, 0x100, v0
	global_store_byte v1, v18, s[10:11]
	s_or_b64 exec, exec, s[0:1]
	v_cmp_gt_i32_e32 vcc, s33, v0
	s_and_saveexec_b64 s[0:1], vcc
	s_cbranch_execz .LBB48_512
.LBB48_528:
	v_add_u32_e32 v1, s2, v0
	v_add_u32_e32 v0, 0x100, v0
	global_store_byte v1, v16, s[10:11]
	s_or_b64 exec, exec, s[0:1]
	v_cmp_gt_i32_e32 vcc, s33, v0
	s_and_saveexec_b64 s[0:1], vcc
	s_cbranch_execz .LBB48_513
.LBB48_529:
	v_add_u32_e32 v1, s2, v0
	v_add_u32_e32 v0, 0x100, v0
	global_store_byte v1, v14, s[10:11]
	s_or_b64 exec, exec, s[0:1]
	v_cmp_gt_i32_e32 vcc, s33, v0
	s_and_saveexec_b64 s[0:1], vcc
	s_cbranch_execz .LBB48_514
.LBB48_530:
	v_add_u32_e32 v1, s2, v0
	v_add_u32_e32 v0, 0x100, v0
	global_store_byte v1, v12, s[10:11]
	s_or_b64 exec, exec, s[0:1]
	v_cmp_gt_i32_e32 vcc, s33, v0
	s_and_saveexec_b64 s[0:1], vcc
	s_cbranch_execz .LBB48_515
.LBB48_531:
	v_add_u32_e32 v1, s2, v0
	v_add_u32_e32 v0, 0x100, v0
	global_store_byte v1, v10, s[10:11]
	s_or_b64 exec, exec, s[0:1]
	v_cmp_gt_i32_e32 vcc, s33, v0
	s_and_saveexec_b64 s[0:1], vcc
	s_cbranch_execz .LBB48_516
.LBB48_532:
	v_add_u32_e32 v1, s2, v0
	v_add_u32_e32 v0, 0x100, v0
	global_store_byte v1, v8, s[10:11]
	s_or_b64 exec, exec, s[0:1]
	v_cmp_gt_i32_e32 vcc, s33, v0
	s_and_saveexec_b64 s[0:1], vcc
	s_cbranch_execz .LBB48_517
.LBB48_533:
	v_add_u32_e32 v1, s2, v0
	v_add_u32_e32 v0, 0x100, v0
	global_store_byte v1, v6, s[10:11]
	s_or_b64 exec, exec, s[0:1]
	v_cmp_gt_i32_e32 vcc, s33, v0
	s_and_saveexec_b64 s[0:1], vcc
	s_cbranch_execnz .LBB48_518
	s_branch .LBB48_519
.LBB48_534:
	v_cmp_gt_i64_e32 vcc, s[8:9], v[2:3]
	s_andn2_b64 s[12:13], s[12:13], exec
	s_and_b64 s[14:15], vcc, exec
	s_or_b64 s[12:13], s[12:13], s[14:15]
	s_cbranch_execz .LBB48_499
	s_branch .LBB48_500
.LBB48_535:
	s_mov_b64 s[14:15], -1
                                        ; implicit-def: $sgpr12_sgpr13
	s_branch .LBB48_285
.LBB48_536:
	s_mov_b64 s[14:15], -1
                                        ; implicit-def: $sgpr12_sgpr13
	s_branch .LBB48_300
.LBB48_537:
	s_mov_b64 s[14:15], -1
                                        ; implicit-def: $sgpr12_sgpr13
	s_branch .LBB48_315
.LBB48_538:
	s_mov_b64 s[14:15], -1
                                        ; implicit-def: $sgpr12_sgpr13
	s_branch .LBB48_330
.LBB48_539:
	s_mov_b64 s[14:15], -1
                                        ; implicit-def: $sgpr12_sgpr13
	s_branch .LBB48_345
.LBB48_540:
	s_mov_b64 s[14:15], -1
                                        ; implicit-def: $sgpr12_sgpr13
	s_branch .LBB48_360
.LBB48_541:
	s_mov_b64 s[14:15], -1
                                        ; implicit-def: $sgpr12_sgpr13
	s_branch .LBB48_375
.LBB48_542:
	s_mov_b64 s[14:15], -1
                                        ; implicit-def: $sgpr12_sgpr13
	s_branch .LBB48_390
.LBB48_543:
	s_mov_b64 s[14:15], -1
                                        ; implicit-def: $sgpr12_sgpr13
	s_branch .LBB48_405
.LBB48_544:
	s_mov_b64 s[14:15], -1
                                        ; implicit-def: $sgpr12_sgpr13
	s_branch .LBB48_420
.LBB48_545:
	s_mov_b64 s[14:15], -1
                                        ; implicit-def: $sgpr12_sgpr13
	s_branch .LBB48_435
.LBB48_546:
	s_mov_b64 s[14:15], -1
                                        ; implicit-def: $sgpr12_sgpr13
	s_branch .LBB48_450
.LBB48_547:
	s_mov_b64 s[14:15], -1
                                        ; implicit-def: $sgpr12_sgpr13
	s_branch .LBB48_465
.LBB48_548:
	s_mov_b64 s[14:15], -1
                                        ; implicit-def: $sgpr12_sgpr13
	s_branch .LBB48_480
.LBB48_549:
	s_mov_b64 s[14:15], -1
                                        ; implicit-def: $sgpr12_sgpr13
	s_branch .LBB48_495
	.section	.rodata,"a",@progbits
	.p2align	6, 0x0
	.amdhsa_kernel _ZN2at6native29vectorized_elementwise_kernelILi16EZNS0_21compare_scalar_kernelIlEEvRNS_18TensorIteratorBaseENS0_12_GLOBAL__N_16OpTypeET_EUllE_St5arrayIPcLm2EEEEviT0_T1_
		.amdhsa_group_segment_fixed_size 0
		.amdhsa_private_segment_fixed_size 0
		.amdhsa_kernarg_size 40
		.amdhsa_user_sgpr_count 6
		.amdhsa_user_sgpr_private_segment_buffer 1
		.amdhsa_user_sgpr_dispatch_ptr 0
		.amdhsa_user_sgpr_queue_ptr 0
		.amdhsa_user_sgpr_kernarg_segment_ptr 1
		.amdhsa_user_sgpr_dispatch_id 0
		.amdhsa_user_sgpr_flat_scratch_init 0
		.amdhsa_user_sgpr_private_segment_size 0
		.amdhsa_uses_dynamic_stack 0
		.amdhsa_system_sgpr_private_segment_wavefront_offset 0
		.amdhsa_system_sgpr_workgroup_id_x 1
		.amdhsa_system_sgpr_workgroup_id_y 0
		.amdhsa_system_sgpr_workgroup_id_z 0
		.amdhsa_system_sgpr_workgroup_info 0
		.amdhsa_system_vgpr_workitem_id 0
		.amdhsa_next_free_vgpr 36
		.amdhsa_next_free_sgpr 49
		.amdhsa_reserve_vcc 1
		.amdhsa_reserve_flat_scratch 0
		.amdhsa_float_round_mode_32 0
		.amdhsa_float_round_mode_16_64 0
		.amdhsa_float_denorm_mode_32 3
		.amdhsa_float_denorm_mode_16_64 3
		.amdhsa_dx10_clamp 1
		.amdhsa_ieee_mode 1
		.amdhsa_fp16_overflow 0
		.amdhsa_exception_fp_ieee_invalid_op 0
		.amdhsa_exception_fp_denorm_src 0
		.amdhsa_exception_fp_ieee_div_zero 0
		.amdhsa_exception_fp_ieee_overflow 0
		.amdhsa_exception_fp_ieee_underflow 0
		.amdhsa_exception_fp_ieee_inexact 0
		.amdhsa_exception_int_div_zero 0
	.end_amdhsa_kernel
	.section	.text._ZN2at6native29vectorized_elementwise_kernelILi16EZNS0_21compare_scalar_kernelIlEEvRNS_18TensorIteratorBaseENS0_12_GLOBAL__N_16OpTypeET_EUllE_St5arrayIPcLm2EEEEviT0_T1_,"axG",@progbits,_ZN2at6native29vectorized_elementwise_kernelILi16EZNS0_21compare_scalar_kernelIlEEvRNS_18TensorIteratorBaseENS0_12_GLOBAL__N_16OpTypeET_EUllE_St5arrayIPcLm2EEEEviT0_T1_,comdat
.Lfunc_end48:
	.size	_ZN2at6native29vectorized_elementwise_kernelILi16EZNS0_21compare_scalar_kernelIlEEvRNS_18TensorIteratorBaseENS0_12_GLOBAL__N_16OpTypeET_EUllE_St5arrayIPcLm2EEEEviT0_T1_, .Lfunc_end48-_ZN2at6native29vectorized_elementwise_kernelILi16EZNS0_21compare_scalar_kernelIlEEvRNS_18TensorIteratorBaseENS0_12_GLOBAL__N_16OpTypeET_EUllE_St5arrayIPcLm2EEEEviT0_T1_
                                        ; -- End function
	.set _ZN2at6native29vectorized_elementwise_kernelILi16EZNS0_21compare_scalar_kernelIlEEvRNS_18TensorIteratorBaseENS0_12_GLOBAL__N_16OpTypeET_EUllE_St5arrayIPcLm2EEEEviT0_T1_.num_vgpr, 36
	.set _ZN2at6native29vectorized_elementwise_kernelILi16EZNS0_21compare_scalar_kernelIlEEvRNS_18TensorIteratorBaseENS0_12_GLOBAL__N_16OpTypeET_EUllE_St5arrayIPcLm2EEEEviT0_T1_.num_agpr, 0
	.set _ZN2at6native29vectorized_elementwise_kernelILi16EZNS0_21compare_scalar_kernelIlEEvRNS_18TensorIteratorBaseENS0_12_GLOBAL__N_16OpTypeET_EUllE_St5arrayIPcLm2EEEEviT0_T1_.numbered_sgpr, 49
	.set _ZN2at6native29vectorized_elementwise_kernelILi16EZNS0_21compare_scalar_kernelIlEEvRNS_18TensorIteratorBaseENS0_12_GLOBAL__N_16OpTypeET_EUllE_St5arrayIPcLm2EEEEviT0_T1_.num_named_barrier, 0
	.set _ZN2at6native29vectorized_elementwise_kernelILi16EZNS0_21compare_scalar_kernelIlEEvRNS_18TensorIteratorBaseENS0_12_GLOBAL__N_16OpTypeET_EUllE_St5arrayIPcLm2EEEEviT0_T1_.private_seg_size, 0
	.set _ZN2at6native29vectorized_elementwise_kernelILi16EZNS0_21compare_scalar_kernelIlEEvRNS_18TensorIteratorBaseENS0_12_GLOBAL__N_16OpTypeET_EUllE_St5arrayIPcLm2EEEEviT0_T1_.uses_vcc, 1
	.set _ZN2at6native29vectorized_elementwise_kernelILi16EZNS0_21compare_scalar_kernelIlEEvRNS_18TensorIteratorBaseENS0_12_GLOBAL__N_16OpTypeET_EUllE_St5arrayIPcLm2EEEEviT0_T1_.uses_flat_scratch, 0
	.set _ZN2at6native29vectorized_elementwise_kernelILi16EZNS0_21compare_scalar_kernelIlEEvRNS_18TensorIteratorBaseENS0_12_GLOBAL__N_16OpTypeET_EUllE_St5arrayIPcLm2EEEEviT0_T1_.has_dyn_sized_stack, 0
	.set _ZN2at6native29vectorized_elementwise_kernelILi16EZNS0_21compare_scalar_kernelIlEEvRNS_18TensorIteratorBaseENS0_12_GLOBAL__N_16OpTypeET_EUllE_St5arrayIPcLm2EEEEviT0_T1_.has_recursion, 0
	.set _ZN2at6native29vectorized_elementwise_kernelILi16EZNS0_21compare_scalar_kernelIlEEvRNS_18TensorIteratorBaseENS0_12_GLOBAL__N_16OpTypeET_EUllE_St5arrayIPcLm2EEEEviT0_T1_.has_indirect_call, 0
	.section	.AMDGPU.csdata,"",@progbits
; Kernel info:
; codeLenInByte = 8356
; TotalNumSgprs: 53
; NumVgprs: 36
; ScratchSize: 0
; MemoryBound: 1
; FloatMode: 240
; IeeeMode: 1
; LDSByteSize: 0 bytes/workgroup (compile time only)
; SGPRBlocks: 6
; VGPRBlocks: 8
; NumSGPRsForWavesPerEU: 53
; NumVGPRsForWavesPerEU: 36
; Occupancy: 7
; WaveLimiterHint : 0
; COMPUTE_PGM_RSRC2:SCRATCH_EN: 0
; COMPUTE_PGM_RSRC2:USER_SGPR: 6
; COMPUTE_PGM_RSRC2:TRAP_HANDLER: 0
; COMPUTE_PGM_RSRC2:TGID_X_EN: 1
; COMPUTE_PGM_RSRC2:TGID_Y_EN: 0
; COMPUTE_PGM_RSRC2:TGID_Z_EN: 0
; COMPUTE_PGM_RSRC2:TIDIG_COMP_CNT: 0
	.section	.text._ZN2at6native29vectorized_elementwise_kernelILi8EZNS0_21compare_scalar_kernelIlEEvRNS_18TensorIteratorBaseENS0_12_GLOBAL__N_16OpTypeET_EUllE_St5arrayIPcLm2EEEEviT0_T1_,"axG",@progbits,_ZN2at6native29vectorized_elementwise_kernelILi8EZNS0_21compare_scalar_kernelIlEEvRNS_18TensorIteratorBaseENS0_12_GLOBAL__N_16OpTypeET_EUllE_St5arrayIPcLm2EEEEviT0_T1_,comdat
	.globl	_ZN2at6native29vectorized_elementwise_kernelILi8EZNS0_21compare_scalar_kernelIlEEvRNS_18TensorIteratorBaseENS0_12_GLOBAL__N_16OpTypeET_EUllE_St5arrayIPcLm2EEEEviT0_T1_ ; -- Begin function _ZN2at6native29vectorized_elementwise_kernelILi8EZNS0_21compare_scalar_kernelIlEEvRNS_18TensorIteratorBaseENS0_12_GLOBAL__N_16OpTypeET_EUllE_St5arrayIPcLm2EEEEviT0_T1_
	.p2align	8
	.type	_ZN2at6native29vectorized_elementwise_kernelILi8EZNS0_21compare_scalar_kernelIlEEvRNS_18TensorIteratorBaseENS0_12_GLOBAL__N_16OpTypeET_EUllE_St5arrayIPcLm2EEEEviT0_T1_,@function
_ZN2at6native29vectorized_elementwise_kernelILi8EZNS0_21compare_scalar_kernelIlEEvRNS_18TensorIteratorBaseENS0_12_GLOBAL__N_16OpTypeET_EUllE_St5arrayIPcLm2EEEEviT0_T1_: ; @_ZN2at6native29vectorized_elementwise_kernelILi8EZNS0_21compare_scalar_kernelIlEEvRNS_18TensorIteratorBaseENS0_12_GLOBAL__N_16OpTypeET_EUllE_St5arrayIPcLm2EEEEviT0_T1_
; %bb.0:
	s_load_dword s0, s[4:5], 0x0
	s_load_dword s48, s[4:5], 0x8
	s_load_dwordx4 s[8:11], s[4:5], 0x10
	s_load_dwordx2 s[12:13], s[4:5], 0x20
	s_lshl_b32 s2, s6, 12
	s_waitcnt lgkmcnt(0)
	s_sub_i32 s33, s0, s2
	s_cmpk_gt_i32 s33, 0xfff
	s_mov_b64 s[0:1], -1
	s_cbranch_scc0 .LBB49_211
; %bb.1:
	s_ashr_i32 s3, s2, 31
	s_lshl_b64 s[0:1], s[2:3], 3
	s_add_u32 s0, s12, s0
	s_addc_u32 s1, s13, s1
	v_lshlrev_b32_e32 v1, 6, v0
	v_mov_b32_e32 v2, s1
	v_add_co_u32_e32 v3, vcc, s0, v1
	v_addc_co_u32_e32 v2, vcc, 0, v2, vcc
	global_load_dwordx4 v[17:20], v1, s[0:1] offset:48
	global_load_dwordx4 v[21:24], v1, s[0:1] offset:32
	;; [unrolled: 1-line block ×3, first 2 shown]
	global_load_dwordx4 v[29:32], v1, s[0:1]
	s_movk_i32 s0, 0x4000
	v_add_co_u32_e32 v33, vcc, s0, v3
	v_addc_co_u32_e32 v34, vcc, 0, v2, vcc
	v_add_co_u32_e32 v35, vcc, 0x4000, v3
	v_addc_co_u32_e32 v36, vcc, 0, v2, vcc
	global_load_dwordx4 v[13:16], v[35:36], off
	global_load_dwordx4 v[1:4], v[33:34], off offset:48
	global_load_dwordx4 v[5:8], v[33:34], off offset:32
	;; [unrolled: 1-line block ×3, first 2 shown]
	s_cmp_lt_i32 s48, 1
	s_mov_b64 s[4:5], 0
	s_cbranch_scc1 .LBB49_5
; %bb.2:
	s_cmp_gt_i32 s48, 1
	s_cbranch_scc0 .LBB49_6
; %bb.3:
	s_cmp_eq_u32 s48, 2
	s_cbranch_scc0 .LBB49_7
; %bb.4:
	s_waitcnt vmcnt(4)
	v_cmp_ge_i64_e64 s[0:1], s[8:9], v[29:30]
	s_mov_b64 s[6:7], 0
	s_branch .LBB49_8
.LBB49_5:
                                        ; implicit-def: $sgpr0_sgpr1
	s_mov_b64 s[6:7], 0
	s_cbranch_execnz .LBB49_11
	s_branch .LBB49_12
.LBB49_6:
	s_mov_b64 s[6:7], 0
                                        ; implicit-def: $sgpr0_sgpr1
	s_cbranch_execnz .LBB49_9
	s_branch .LBB49_10
.LBB49_7:
	s_mov_b64 s[6:7], -1
                                        ; implicit-def: $sgpr0_sgpr1
.LBB49_8:
	s_branch .LBB49_10
.LBB49_9:
	s_waitcnt vmcnt(4)
	v_cmp_lt_i64_e32 vcc, s[8:9], v[29:30]
	s_andn2_b64 s[0:1], s[0:1], exec
	s_and_b64 s[14:15], vcc, exec
	s_or_b64 s[0:1], s[0:1], s[14:15]
.LBB49_10:
	s_branch .LBB49_12
.LBB49_11:
	s_cmp_lg_u32 s48, 0
	s_mov_b64 s[4:5], -1
	s_cselect_b64 s[6:7], -1, 0
.LBB49_12:
	s_andn2_b64 vcc, exec, s[6:7]
	s_cbranch_vccz .LBB49_18
; %bb.13:
	s_andn2_b64 vcc, exec, s[4:5]
	s_cbranch_vccz .LBB49_19
.LBB49_14:
	s_cmp_lt_i32 s48, 1
	s_mov_b64 s[6:7], 0
	s_cbranch_scc1 .LBB49_20
.LBB49_15:
	s_cmp_gt_i32 s48, 1
	s_cbranch_scc0 .LBB49_21
; %bb.16:
	s_cmp_eq_u32 s48, 2
	s_cbranch_scc0 .LBB49_251
; %bb.17:
	s_waitcnt vmcnt(4)
	v_cmp_ge_i64_e64 s[4:5], s[8:9], v[31:32]
	s_mov_b64 s[14:15], 0
	s_branch .LBB49_23
.LBB49_18:
	s_waitcnt vmcnt(4)
	v_cmp_gt_i64_e32 vcc, s[8:9], v[29:30]
	s_andn2_b64 s[0:1], s[0:1], exec
	s_and_b64 s[6:7], vcc, exec
	s_or_b64 s[0:1], s[0:1], s[6:7]
	s_cbranch_execnz .LBB49_14
.LBB49_19:
	s_waitcnt vmcnt(4)
	v_cmp_le_i64_e32 vcc, s[8:9], v[29:30]
	s_andn2_b64 s[0:1], s[0:1], exec
	s_and_b64 s[4:5], vcc, exec
	s_or_b64 s[0:1], s[0:1], s[4:5]
	s_cmp_lt_i32 s48, 1
	s_mov_b64 s[6:7], 0
	s_cbranch_scc0 .LBB49_15
.LBB49_20:
                                        ; implicit-def: $sgpr4_sgpr5
	s_mov_b64 s[14:15], 0
	s_cbranch_execnz .LBB49_24
	s_branch .LBB49_25
.LBB49_21:
	s_mov_b64 s[14:15], 0
                                        ; implicit-def: $sgpr4_sgpr5
	s_cbranch_execz .LBB49_23
; %bb.22:
	s_waitcnt vmcnt(4)
	v_cmp_lt_i64_e32 vcc, s[8:9], v[31:32]
	s_andn2_b64 s[4:5], s[4:5], exec
	s_and_b64 s[16:17], vcc, exec
	s_or_b64 s[4:5], s[4:5], s[16:17]
.LBB49_23:
	s_branch .LBB49_25
.LBB49_24:
	s_cmp_lg_u32 s48, 0
	s_mov_b64 s[6:7], -1
	s_cselect_b64 s[14:15], -1, 0
.LBB49_25:
	s_andn2_b64 vcc, exec, s[14:15]
	s_cbranch_vccz .LBB49_31
; %bb.26:
	s_andn2_b64 vcc, exec, s[6:7]
	s_cbranch_vccz .LBB49_32
.LBB49_27:
	s_cmp_lt_i32 s48, 1
	s_mov_b64 s[14:15], 0
	s_cbranch_scc1 .LBB49_33
.LBB49_28:
	s_cmp_gt_i32 s48, 1
	s_cbranch_scc0 .LBB49_34
; %bb.29:
	s_cmp_eq_u32 s48, 2
	s_cbranch_scc0 .LBB49_252
; %bb.30:
	s_waitcnt vmcnt(5)
	v_cmp_ge_i64_e64 s[6:7], s[8:9], v[25:26]
	s_mov_b64 s[16:17], 0
	s_branch .LBB49_36
.LBB49_31:
	s_waitcnt vmcnt(4)
	v_cmp_gt_i64_e32 vcc, s[8:9], v[31:32]
	s_andn2_b64 s[4:5], s[4:5], exec
	s_and_b64 s[14:15], vcc, exec
	s_or_b64 s[4:5], s[4:5], s[14:15]
	s_cbranch_execnz .LBB49_27
.LBB49_32:
	s_waitcnt vmcnt(4)
	v_cmp_le_i64_e32 vcc, s[8:9], v[31:32]
	s_andn2_b64 s[4:5], s[4:5], exec
	s_and_b64 s[6:7], vcc, exec
	s_or_b64 s[4:5], s[4:5], s[6:7]
	s_cmp_lt_i32 s48, 1
	s_mov_b64 s[14:15], 0
	s_cbranch_scc0 .LBB49_28
.LBB49_33:
                                        ; implicit-def: $sgpr6_sgpr7
	s_mov_b64 s[16:17], 0
	s_cbranch_execnz .LBB49_37
	s_branch .LBB49_38
.LBB49_34:
	s_mov_b64 s[16:17], 0
                                        ; implicit-def: $sgpr6_sgpr7
	s_cbranch_execz .LBB49_36
; %bb.35:
	s_waitcnt vmcnt(5)
	v_cmp_lt_i64_e32 vcc, s[8:9], v[25:26]
	s_andn2_b64 s[6:7], s[6:7], exec
	s_and_b64 s[18:19], vcc, exec
	s_or_b64 s[6:7], s[6:7], s[18:19]
.LBB49_36:
	s_branch .LBB49_38
.LBB49_37:
	s_cmp_lg_u32 s48, 0
	s_mov_b64 s[14:15], -1
	s_cselect_b64 s[16:17], -1, 0
.LBB49_38:
	s_andn2_b64 vcc, exec, s[16:17]
	s_cbranch_vccz .LBB49_44
; %bb.39:
	s_andn2_b64 vcc, exec, s[14:15]
	s_cbranch_vccz .LBB49_45
.LBB49_40:
	s_cmp_lt_i32 s48, 1
	s_mov_b64 s[16:17], 0
	s_cbranch_scc1 .LBB49_46
.LBB49_41:
	s_cmp_gt_i32 s48, 1
	s_cbranch_scc0 .LBB49_47
; %bb.42:
	s_cmp_eq_u32 s48, 2
	s_cbranch_scc0 .LBB49_253
; %bb.43:
	s_waitcnt vmcnt(5)
	v_cmp_ge_i64_e64 s[14:15], s[8:9], v[27:28]
	s_mov_b64 s[18:19], 0
	s_branch .LBB49_49
.LBB49_44:
	s_waitcnt vmcnt(5)
	v_cmp_gt_i64_e32 vcc, s[8:9], v[25:26]
	s_andn2_b64 s[6:7], s[6:7], exec
	s_and_b64 s[16:17], vcc, exec
	s_or_b64 s[6:7], s[6:7], s[16:17]
	s_cbranch_execnz .LBB49_40
.LBB49_45:
	s_waitcnt vmcnt(5)
	v_cmp_le_i64_e32 vcc, s[8:9], v[25:26]
	s_andn2_b64 s[6:7], s[6:7], exec
	s_and_b64 s[14:15], vcc, exec
	s_or_b64 s[6:7], s[6:7], s[14:15]
	s_cmp_lt_i32 s48, 1
	s_mov_b64 s[16:17], 0
	s_cbranch_scc0 .LBB49_41
.LBB49_46:
                                        ; implicit-def: $sgpr14_sgpr15
	s_mov_b64 s[18:19], 0
	s_cbranch_execnz .LBB49_50
	s_branch .LBB49_51
.LBB49_47:
	s_mov_b64 s[18:19], 0
                                        ; implicit-def: $sgpr14_sgpr15
	s_cbranch_execz .LBB49_49
; %bb.48:
	s_waitcnt vmcnt(5)
	v_cmp_lt_i64_e32 vcc, s[8:9], v[27:28]
	s_andn2_b64 s[14:15], s[14:15], exec
	s_and_b64 s[20:21], vcc, exec
	s_or_b64 s[14:15], s[14:15], s[20:21]
.LBB49_49:
	s_branch .LBB49_51
.LBB49_50:
	s_cmp_lg_u32 s48, 0
	s_mov_b64 s[16:17], -1
	s_cselect_b64 s[18:19], -1, 0
.LBB49_51:
	s_andn2_b64 vcc, exec, s[18:19]
	s_cbranch_vccz .LBB49_57
; %bb.52:
	s_andn2_b64 vcc, exec, s[16:17]
	s_cbranch_vccz .LBB49_58
.LBB49_53:
	s_cmp_lt_i32 s48, 1
	s_mov_b64 s[18:19], 0
	s_cbranch_scc1 .LBB49_59
.LBB49_54:
	s_cmp_gt_i32 s48, 1
	s_cbranch_scc0 .LBB49_60
; %bb.55:
	s_cmp_eq_u32 s48, 2
	s_cbranch_scc0 .LBB49_254
; %bb.56:
	s_waitcnt vmcnt(6)
	v_cmp_ge_i64_e64 s[16:17], s[8:9], v[21:22]
	s_mov_b64 s[20:21], 0
	s_branch .LBB49_62
.LBB49_57:
	s_waitcnt vmcnt(5)
	v_cmp_gt_i64_e32 vcc, s[8:9], v[27:28]
	s_andn2_b64 s[14:15], s[14:15], exec
	s_and_b64 s[18:19], vcc, exec
	s_or_b64 s[14:15], s[14:15], s[18:19]
	s_cbranch_execnz .LBB49_53
.LBB49_58:
	s_waitcnt vmcnt(5)
	v_cmp_le_i64_e32 vcc, s[8:9], v[27:28]
	s_andn2_b64 s[14:15], s[14:15], exec
	s_and_b64 s[16:17], vcc, exec
	s_or_b64 s[14:15], s[14:15], s[16:17]
	s_cmp_lt_i32 s48, 1
	s_mov_b64 s[18:19], 0
	s_cbranch_scc0 .LBB49_54
.LBB49_59:
                                        ; implicit-def: $sgpr16_sgpr17
	s_mov_b64 s[20:21], 0
	s_cbranch_execnz .LBB49_63
	s_branch .LBB49_64
.LBB49_60:
	s_mov_b64 s[20:21], 0
                                        ; implicit-def: $sgpr16_sgpr17
	s_cbranch_execz .LBB49_62
; %bb.61:
	s_waitcnt vmcnt(6)
	v_cmp_lt_i64_e32 vcc, s[8:9], v[21:22]
	s_andn2_b64 s[16:17], s[16:17], exec
	s_and_b64 s[22:23], vcc, exec
	s_or_b64 s[16:17], s[16:17], s[22:23]
.LBB49_62:
	s_branch .LBB49_64
.LBB49_63:
	s_cmp_lg_u32 s48, 0
	s_mov_b64 s[18:19], -1
	s_cselect_b64 s[20:21], -1, 0
.LBB49_64:
	s_andn2_b64 vcc, exec, s[20:21]
	s_cbranch_vccz .LBB49_70
; %bb.65:
	s_andn2_b64 vcc, exec, s[18:19]
	s_cbranch_vccz .LBB49_71
.LBB49_66:
	s_cmp_lt_i32 s48, 1
	s_mov_b64 s[20:21], 0
	s_cbranch_scc1 .LBB49_72
.LBB49_67:
	s_cmp_gt_i32 s48, 1
	s_cbranch_scc0 .LBB49_73
; %bb.68:
	s_cmp_eq_u32 s48, 2
	s_cbranch_scc0 .LBB49_255
; %bb.69:
	s_waitcnt vmcnt(6)
	v_cmp_ge_i64_e64 s[18:19], s[8:9], v[23:24]
	s_mov_b64 s[22:23], 0
	s_branch .LBB49_75
.LBB49_70:
	s_waitcnt vmcnt(6)
	v_cmp_gt_i64_e32 vcc, s[8:9], v[21:22]
	s_andn2_b64 s[16:17], s[16:17], exec
	s_and_b64 s[20:21], vcc, exec
	s_or_b64 s[16:17], s[16:17], s[20:21]
	s_cbranch_execnz .LBB49_66
.LBB49_71:
	s_waitcnt vmcnt(6)
	v_cmp_le_i64_e32 vcc, s[8:9], v[21:22]
	s_andn2_b64 s[16:17], s[16:17], exec
	s_and_b64 s[18:19], vcc, exec
	s_or_b64 s[16:17], s[16:17], s[18:19]
	s_cmp_lt_i32 s48, 1
	s_mov_b64 s[20:21], 0
	s_cbranch_scc0 .LBB49_67
.LBB49_72:
                                        ; implicit-def: $sgpr18_sgpr19
	s_mov_b64 s[22:23], 0
	s_cbranch_execnz .LBB49_76
	s_branch .LBB49_77
.LBB49_73:
	s_mov_b64 s[22:23], 0
                                        ; implicit-def: $sgpr18_sgpr19
	s_cbranch_execz .LBB49_75
; %bb.74:
	s_waitcnt vmcnt(6)
	v_cmp_lt_i64_e32 vcc, s[8:9], v[23:24]
	s_andn2_b64 s[18:19], s[18:19], exec
	s_and_b64 s[24:25], vcc, exec
	s_or_b64 s[18:19], s[18:19], s[24:25]
.LBB49_75:
	s_branch .LBB49_77
.LBB49_76:
	s_cmp_lg_u32 s48, 0
	s_mov_b64 s[20:21], -1
	s_cselect_b64 s[22:23], -1, 0
.LBB49_77:
	s_andn2_b64 vcc, exec, s[22:23]
	s_cbranch_vccz .LBB49_83
; %bb.78:
	s_andn2_b64 vcc, exec, s[20:21]
	s_cbranch_vccz .LBB49_84
.LBB49_79:
	s_cmp_lt_i32 s48, 1
	s_mov_b64 s[22:23], 0
	s_cbranch_scc1 .LBB49_85
.LBB49_80:
	s_cmp_gt_i32 s48, 1
	s_cbranch_scc0 .LBB49_86
; %bb.81:
	s_cmp_eq_u32 s48, 2
	s_cbranch_scc0 .LBB49_256
; %bb.82:
	s_waitcnt vmcnt(7)
	v_cmp_ge_i64_e64 s[20:21], s[8:9], v[17:18]
	s_mov_b64 s[24:25], 0
	s_branch .LBB49_88
.LBB49_83:
	s_waitcnt vmcnt(6)
	v_cmp_gt_i64_e32 vcc, s[8:9], v[23:24]
	s_andn2_b64 s[18:19], s[18:19], exec
	s_and_b64 s[22:23], vcc, exec
	s_or_b64 s[18:19], s[18:19], s[22:23]
	s_cbranch_execnz .LBB49_79
.LBB49_84:
	s_waitcnt vmcnt(6)
	v_cmp_le_i64_e32 vcc, s[8:9], v[23:24]
	s_andn2_b64 s[18:19], s[18:19], exec
	s_and_b64 s[20:21], vcc, exec
	s_or_b64 s[18:19], s[18:19], s[20:21]
	s_cmp_lt_i32 s48, 1
	s_mov_b64 s[22:23], 0
	s_cbranch_scc0 .LBB49_80
.LBB49_85:
                                        ; implicit-def: $sgpr20_sgpr21
	s_mov_b64 s[24:25], 0
	s_cbranch_execnz .LBB49_89
	s_branch .LBB49_90
.LBB49_86:
	s_mov_b64 s[24:25], 0
                                        ; implicit-def: $sgpr20_sgpr21
	s_cbranch_execz .LBB49_88
; %bb.87:
	s_waitcnt vmcnt(7)
	v_cmp_lt_i64_e32 vcc, s[8:9], v[17:18]
	s_andn2_b64 s[20:21], s[20:21], exec
	s_and_b64 s[26:27], vcc, exec
	s_or_b64 s[20:21], s[20:21], s[26:27]
.LBB49_88:
	s_branch .LBB49_90
.LBB49_89:
	s_cmp_lg_u32 s48, 0
	s_mov_b64 s[22:23], -1
	s_cselect_b64 s[24:25], -1, 0
.LBB49_90:
	s_andn2_b64 vcc, exec, s[24:25]
	s_cbranch_vccz .LBB49_96
; %bb.91:
	s_andn2_b64 vcc, exec, s[22:23]
	s_cbranch_vccz .LBB49_97
.LBB49_92:
	s_cmp_lt_i32 s48, 1
	s_mov_b64 s[24:25], 0
	s_cbranch_scc1 .LBB49_98
.LBB49_93:
	s_cmp_gt_i32 s48, 1
	s_cbranch_scc0 .LBB49_99
; %bb.94:
	s_cmp_eq_u32 s48, 2
	s_cbranch_scc0 .LBB49_257
; %bb.95:
	s_waitcnt vmcnt(7)
	v_cmp_ge_i64_e64 s[22:23], s[8:9], v[19:20]
	s_mov_b64 s[26:27], 0
	s_branch .LBB49_101
.LBB49_96:
	s_waitcnt vmcnt(7)
	v_cmp_gt_i64_e32 vcc, s[8:9], v[17:18]
	s_andn2_b64 s[20:21], s[20:21], exec
	s_and_b64 s[24:25], vcc, exec
	s_or_b64 s[20:21], s[20:21], s[24:25]
	s_cbranch_execnz .LBB49_92
.LBB49_97:
	s_waitcnt vmcnt(7)
	v_cmp_le_i64_e32 vcc, s[8:9], v[17:18]
	s_andn2_b64 s[20:21], s[20:21], exec
	s_and_b64 s[22:23], vcc, exec
	s_or_b64 s[20:21], s[20:21], s[22:23]
	s_cmp_lt_i32 s48, 1
	s_mov_b64 s[24:25], 0
	s_cbranch_scc0 .LBB49_93
.LBB49_98:
                                        ; implicit-def: $sgpr22_sgpr23
	s_mov_b64 s[26:27], 0
	s_cbranch_execnz .LBB49_102
	s_branch .LBB49_103
.LBB49_99:
	s_mov_b64 s[26:27], 0
                                        ; implicit-def: $sgpr22_sgpr23
	s_cbranch_execz .LBB49_101
; %bb.100:
	s_waitcnt vmcnt(7)
	v_cmp_lt_i64_e32 vcc, s[8:9], v[19:20]
	s_andn2_b64 s[22:23], s[22:23], exec
	s_and_b64 s[28:29], vcc, exec
	s_or_b64 s[22:23], s[22:23], s[28:29]
.LBB49_101:
	s_branch .LBB49_103
.LBB49_102:
	s_cmp_lg_u32 s48, 0
	s_mov_b64 s[24:25], -1
	s_cselect_b64 s[26:27], -1, 0
.LBB49_103:
	s_andn2_b64 vcc, exec, s[26:27]
	s_cbranch_vccz .LBB49_109
; %bb.104:
	s_andn2_b64 vcc, exec, s[24:25]
	s_cbranch_vccz .LBB49_110
.LBB49_105:
	s_cmp_lt_i32 s48, 1
	s_mov_b64 s[26:27], 0
	s_cbranch_scc1 .LBB49_111
.LBB49_106:
	s_cmp_gt_i32 s48, 1
	s_cbranch_scc0 .LBB49_112
; %bb.107:
	s_cmp_eq_u32 s48, 2
	s_cbranch_scc0 .LBB49_258
; %bb.108:
	s_waitcnt vmcnt(3)
	v_cmp_ge_i64_e64 s[24:25], s[8:9], v[13:14]
	s_mov_b64 s[28:29], 0
	s_branch .LBB49_114
.LBB49_109:
	s_waitcnt vmcnt(7)
	v_cmp_gt_i64_e32 vcc, s[8:9], v[19:20]
	s_andn2_b64 s[22:23], s[22:23], exec
	s_and_b64 s[26:27], vcc, exec
	s_or_b64 s[22:23], s[22:23], s[26:27]
	s_cbranch_execnz .LBB49_105
.LBB49_110:
	s_waitcnt vmcnt(7)
	v_cmp_le_i64_e32 vcc, s[8:9], v[19:20]
	s_andn2_b64 s[22:23], s[22:23], exec
	s_and_b64 s[24:25], vcc, exec
	s_or_b64 s[22:23], s[22:23], s[24:25]
	s_cmp_lt_i32 s48, 1
	s_mov_b64 s[26:27], 0
	s_cbranch_scc0 .LBB49_106
.LBB49_111:
                                        ; implicit-def: $sgpr24_sgpr25
	s_mov_b64 s[28:29], 0
	s_cbranch_execnz .LBB49_115
	s_branch .LBB49_116
.LBB49_112:
	s_mov_b64 s[28:29], 0
                                        ; implicit-def: $sgpr24_sgpr25
	s_cbranch_execz .LBB49_114
; %bb.113:
	s_waitcnt vmcnt(3)
	v_cmp_lt_i64_e32 vcc, s[8:9], v[13:14]
	s_andn2_b64 s[24:25], s[24:25], exec
	s_and_b64 s[30:31], vcc, exec
	s_or_b64 s[24:25], s[24:25], s[30:31]
.LBB49_114:
	s_branch .LBB49_116
.LBB49_115:
	s_cmp_lg_u32 s48, 0
	s_mov_b64 s[26:27], -1
	s_cselect_b64 s[28:29], -1, 0
.LBB49_116:
	s_andn2_b64 vcc, exec, s[28:29]
	s_cbranch_vccz .LBB49_122
; %bb.117:
	s_andn2_b64 vcc, exec, s[26:27]
	s_cbranch_vccz .LBB49_123
.LBB49_118:
	s_cmp_lt_i32 s48, 1
	s_mov_b64 s[28:29], 0
	s_cbranch_scc1 .LBB49_124
.LBB49_119:
	s_cmp_gt_i32 s48, 1
	s_cbranch_scc0 .LBB49_125
; %bb.120:
	s_cmp_eq_u32 s48, 2
	s_cbranch_scc0 .LBB49_259
; %bb.121:
	s_waitcnt vmcnt(3)
	v_cmp_ge_i64_e64 s[26:27], s[8:9], v[15:16]
	s_mov_b64 s[30:31], 0
	s_branch .LBB49_127
.LBB49_122:
	s_waitcnt vmcnt(3)
	v_cmp_gt_i64_e32 vcc, s[8:9], v[13:14]
	s_andn2_b64 s[24:25], s[24:25], exec
	s_and_b64 s[28:29], vcc, exec
	s_or_b64 s[24:25], s[24:25], s[28:29]
	s_cbranch_execnz .LBB49_118
.LBB49_123:
	s_waitcnt vmcnt(3)
	v_cmp_le_i64_e32 vcc, s[8:9], v[13:14]
	s_andn2_b64 s[24:25], s[24:25], exec
	s_and_b64 s[26:27], vcc, exec
	s_or_b64 s[24:25], s[24:25], s[26:27]
	s_cmp_lt_i32 s48, 1
	s_mov_b64 s[28:29], 0
	s_cbranch_scc0 .LBB49_119
.LBB49_124:
                                        ; implicit-def: $sgpr26_sgpr27
	s_mov_b64 s[30:31], 0
	s_cbranch_execnz .LBB49_128
	s_branch .LBB49_129
.LBB49_125:
	s_mov_b64 s[30:31], 0
                                        ; implicit-def: $sgpr26_sgpr27
	s_cbranch_execz .LBB49_127
; %bb.126:
	s_waitcnt vmcnt(3)
	v_cmp_lt_i64_e32 vcc, s[8:9], v[15:16]
	s_andn2_b64 s[26:27], s[26:27], exec
	s_and_b64 s[34:35], vcc, exec
	s_or_b64 s[26:27], s[26:27], s[34:35]
.LBB49_127:
	s_branch .LBB49_129
.LBB49_128:
	s_cmp_lg_u32 s48, 0
	s_mov_b64 s[28:29], -1
	s_cselect_b64 s[30:31], -1, 0
.LBB49_129:
	s_andn2_b64 vcc, exec, s[30:31]
	s_cbranch_vccz .LBB49_135
; %bb.130:
	s_andn2_b64 vcc, exec, s[28:29]
	s_cbranch_vccz .LBB49_136
.LBB49_131:
	s_cmp_lt_i32 s48, 1
	s_mov_b64 s[30:31], 0
	s_cbranch_scc1 .LBB49_137
.LBB49_132:
	s_cmp_gt_i32 s48, 1
	s_cbranch_scc0 .LBB49_138
; %bb.133:
	s_cmp_eq_u32 s48, 2
	s_cbranch_scc0 .LBB49_260
; %bb.134:
	s_waitcnt vmcnt(0)
	v_cmp_ge_i64_e64 s[28:29], s[8:9], v[9:10]
	s_mov_b64 s[34:35], 0
	s_branch .LBB49_140
.LBB49_135:
	s_waitcnt vmcnt(3)
	v_cmp_gt_i64_e32 vcc, s[8:9], v[15:16]
	s_andn2_b64 s[26:27], s[26:27], exec
	s_and_b64 s[30:31], vcc, exec
	s_or_b64 s[26:27], s[26:27], s[30:31]
	s_cbranch_execnz .LBB49_131
.LBB49_136:
	s_waitcnt vmcnt(3)
	v_cmp_le_i64_e32 vcc, s[8:9], v[15:16]
	s_andn2_b64 s[26:27], s[26:27], exec
	s_and_b64 s[28:29], vcc, exec
	s_or_b64 s[26:27], s[26:27], s[28:29]
	s_cmp_lt_i32 s48, 1
	s_mov_b64 s[30:31], 0
	s_cbranch_scc0 .LBB49_132
.LBB49_137:
                                        ; implicit-def: $sgpr28_sgpr29
	s_mov_b64 s[34:35], 0
	s_cbranch_execnz .LBB49_141
	s_branch .LBB49_142
.LBB49_138:
	s_mov_b64 s[34:35], 0
                                        ; implicit-def: $sgpr28_sgpr29
	s_cbranch_execz .LBB49_140
; %bb.139:
	s_waitcnt vmcnt(0)
	v_cmp_lt_i64_e32 vcc, s[8:9], v[9:10]
	s_andn2_b64 s[28:29], s[28:29], exec
	s_and_b64 s[36:37], vcc, exec
	s_or_b64 s[28:29], s[28:29], s[36:37]
.LBB49_140:
	s_branch .LBB49_142
.LBB49_141:
	s_cmp_lg_u32 s48, 0
	s_mov_b64 s[30:31], -1
	s_cselect_b64 s[34:35], -1, 0
.LBB49_142:
	s_andn2_b64 vcc, exec, s[34:35]
	s_cbranch_vccz .LBB49_148
; %bb.143:
	s_andn2_b64 vcc, exec, s[30:31]
	s_cbranch_vccz .LBB49_149
.LBB49_144:
	s_cmp_lt_i32 s48, 1
	s_mov_b64 s[34:35], 0
	s_cbranch_scc1 .LBB49_150
.LBB49_145:
	s_cmp_gt_i32 s48, 1
	s_cbranch_scc0 .LBB49_151
; %bb.146:
	s_cmp_eq_u32 s48, 2
	s_cbranch_scc0 .LBB49_261
; %bb.147:
	s_waitcnt vmcnt(0)
	v_cmp_ge_i64_e64 s[30:31], s[8:9], v[11:12]
	s_mov_b64 s[36:37], 0
	s_branch .LBB49_153
.LBB49_148:
	s_waitcnt vmcnt(0)
	v_cmp_gt_i64_e32 vcc, s[8:9], v[9:10]
	s_andn2_b64 s[28:29], s[28:29], exec
	s_and_b64 s[34:35], vcc, exec
	s_or_b64 s[28:29], s[28:29], s[34:35]
	s_cbranch_execnz .LBB49_144
.LBB49_149:
	s_waitcnt vmcnt(0)
	v_cmp_le_i64_e32 vcc, s[8:9], v[9:10]
	s_andn2_b64 s[28:29], s[28:29], exec
	s_and_b64 s[30:31], vcc, exec
	s_or_b64 s[28:29], s[28:29], s[30:31]
	s_cmp_lt_i32 s48, 1
	s_mov_b64 s[34:35], 0
	s_cbranch_scc0 .LBB49_145
.LBB49_150:
                                        ; implicit-def: $sgpr30_sgpr31
	s_mov_b64 s[36:37], 0
	s_cbranch_execnz .LBB49_154
	s_branch .LBB49_155
.LBB49_151:
	s_mov_b64 s[36:37], 0
                                        ; implicit-def: $sgpr30_sgpr31
	s_cbranch_execz .LBB49_153
; %bb.152:
	s_waitcnt vmcnt(0)
	v_cmp_lt_i64_e32 vcc, s[8:9], v[11:12]
	s_andn2_b64 s[30:31], s[30:31], exec
	s_and_b64 s[38:39], vcc, exec
	s_or_b64 s[30:31], s[30:31], s[38:39]
.LBB49_153:
	s_branch .LBB49_155
.LBB49_154:
	s_cmp_lg_u32 s48, 0
	s_mov_b64 s[34:35], -1
	s_cselect_b64 s[36:37], -1, 0
.LBB49_155:
	s_andn2_b64 vcc, exec, s[36:37]
	s_cbranch_vccz .LBB49_161
; %bb.156:
	s_andn2_b64 vcc, exec, s[34:35]
	s_cbranch_vccz .LBB49_162
.LBB49_157:
	s_cmp_lt_i32 s48, 1
	s_mov_b64 s[36:37], 0
	s_cbranch_scc1 .LBB49_163
.LBB49_158:
	s_cmp_gt_i32 s48, 1
	s_cbranch_scc0 .LBB49_164
; %bb.159:
	s_cmp_eq_u32 s48, 2
	s_cbranch_scc0 .LBB49_262
; %bb.160:
	s_waitcnt vmcnt(1)
	v_cmp_ge_i64_e64 s[34:35], s[8:9], v[5:6]
	s_mov_b64 s[38:39], 0
	s_branch .LBB49_166
.LBB49_161:
	s_waitcnt vmcnt(0)
	v_cmp_gt_i64_e32 vcc, s[8:9], v[11:12]
	s_andn2_b64 s[30:31], s[30:31], exec
	s_and_b64 s[36:37], vcc, exec
	s_or_b64 s[30:31], s[30:31], s[36:37]
	s_cbranch_execnz .LBB49_157
.LBB49_162:
	s_waitcnt vmcnt(0)
	v_cmp_le_i64_e32 vcc, s[8:9], v[11:12]
	s_andn2_b64 s[30:31], s[30:31], exec
	s_and_b64 s[34:35], vcc, exec
	s_or_b64 s[30:31], s[30:31], s[34:35]
	s_cmp_lt_i32 s48, 1
	s_mov_b64 s[36:37], 0
	s_cbranch_scc0 .LBB49_158
.LBB49_163:
                                        ; implicit-def: $sgpr34_sgpr35
	s_mov_b64 s[38:39], 0
	s_cbranch_execnz .LBB49_167
	s_branch .LBB49_168
.LBB49_164:
	s_mov_b64 s[38:39], 0
                                        ; implicit-def: $sgpr34_sgpr35
	s_cbranch_execz .LBB49_166
; %bb.165:
	s_waitcnt vmcnt(1)
	v_cmp_lt_i64_e32 vcc, s[8:9], v[5:6]
	s_andn2_b64 s[34:35], s[34:35], exec
	s_and_b64 s[40:41], vcc, exec
	s_or_b64 s[34:35], s[34:35], s[40:41]
.LBB49_166:
	s_branch .LBB49_168
.LBB49_167:
	s_cmp_lg_u32 s48, 0
	s_mov_b64 s[36:37], -1
	s_cselect_b64 s[38:39], -1, 0
.LBB49_168:
	s_andn2_b64 vcc, exec, s[38:39]
	s_cbranch_vccz .LBB49_174
; %bb.169:
	s_andn2_b64 vcc, exec, s[36:37]
	s_cbranch_vccz .LBB49_175
.LBB49_170:
	s_cmp_lt_i32 s48, 1
	s_mov_b64 s[38:39], 0
	s_cbranch_scc1 .LBB49_176
.LBB49_171:
	s_cmp_gt_i32 s48, 1
	s_cbranch_scc0 .LBB49_177
; %bb.172:
	s_cmp_eq_u32 s48, 2
	s_cbranch_scc0 .LBB49_263
; %bb.173:
	s_waitcnt vmcnt(1)
	v_cmp_ge_i64_e64 s[36:37], s[8:9], v[7:8]
	s_mov_b64 s[40:41], 0
	s_branch .LBB49_179
.LBB49_174:
	s_waitcnt vmcnt(1)
	v_cmp_gt_i64_e32 vcc, s[8:9], v[5:6]
	s_andn2_b64 s[34:35], s[34:35], exec
	s_and_b64 s[38:39], vcc, exec
	s_or_b64 s[34:35], s[34:35], s[38:39]
	s_cbranch_execnz .LBB49_170
.LBB49_175:
	s_waitcnt vmcnt(1)
	v_cmp_le_i64_e32 vcc, s[8:9], v[5:6]
	s_andn2_b64 s[34:35], s[34:35], exec
	s_and_b64 s[36:37], vcc, exec
	s_or_b64 s[34:35], s[34:35], s[36:37]
	s_cmp_lt_i32 s48, 1
	s_mov_b64 s[38:39], 0
	s_cbranch_scc0 .LBB49_171
.LBB49_176:
                                        ; implicit-def: $sgpr36_sgpr37
	s_mov_b64 s[40:41], 0
	s_cbranch_execnz .LBB49_180
	s_branch .LBB49_181
.LBB49_177:
	s_mov_b64 s[40:41], 0
                                        ; implicit-def: $sgpr36_sgpr37
	s_cbranch_execz .LBB49_179
; %bb.178:
	s_waitcnt vmcnt(1)
	v_cmp_lt_i64_e32 vcc, s[8:9], v[7:8]
	s_andn2_b64 s[36:37], s[36:37], exec
	s_and_b64 s[42:43], vcc, exec
	s_or_b64 s[36:37], s[36:37], s[42:43]
.LBB49_179:
	s_branch .LBB49_181
.LBB49_180:
	s_cmp_lg_u32 s48, 0
	s_mov_b64 s[38:39], -1
	s_cselect_b64 s[40:41], -1, 0
.LBB49_181:
	s_andn2_b64 vcc, exec, s[40:41]
	s_cbranch_vccz .LBB49_187
; %bb.182:
	s_andn2_b64 vcc, exec, s[38:39]
	s_cbranch_vccz .LBB49_188
.LBB49_183:
	s_cmp_lt_i32 s48, 1
	s_mov_b64 s[40:41], 0
	s_cbranch_scc1 .LBB49_189
.LBB49_184:
	s_cmp_gt_i32 s48, 1
	s_cbranch_scc0 .LBB49_190
; %bb.185:
	s_cmp_eq_u32 s48, 2
	s_cbranch_scc0 .LBB49_264
; %bb.186:
	s_waitcnt vmcnt(2)
	v_cmp_ge_i64_e64 s[38:39], s[8:9], v[1:2]
	s_mov_b64 s[42:43], 0
	s_branch .LBB49_192
.LBB49_187:
	s_waitcnt vmcnt(1)
	v_cmp_gt_i64_e32 vcc, s[8:9], v[7:8]
	s_andn2_b64 s[36:37], s[36:37], exec
	s_and_b64 s[40:41], vcc, exec
	s_or_b64 s[36:37], s[36:37], s[40:41]
	s_cbranch_execnz .LBB49_183
.LBB49_188:
	s_waitcnt vmcnt(1)
	v_cmp_le_i64_e32 vcc, s[8:9], v[7:8]
	s_andn2_b64 s[36:37], s[36:37], exec
	s_and_b64 s[38:39], vcc, exec
	s_or_b64 s[36:37], s[36:37], s[38:39]
	s_cmp_lt_i32 s48, 1
	s_mov_b64 s[40:41], 0
	s_cbranch_scc0 .LBB49_184
.LBB49_189:
                                        ; implicit-def: $sgpr38_sgpr39
	s_mov_b64 s[42:43], 0
	s_cbranch_execnz .LBB49_193
	s_branch .LBB49_194
.LBB49_190:
	s_mov_b64 s[42:43], 0
                                        ; implicit-def: $sgpr38_sgpr39
	s_cbranch_execz .LBB49_192
; %bb.191:
	s_waitcnt vmcnt(2)
	v_cmp_lt_i64_e32 vcc, s[8:9], v[1:2]
	s_andn2_b64 s[38:39], s[38:39], exec
	s_and_b64 s[44:45], vcc, exec
	s_or_b64 s[38:39], s[38:39], s[44:45]
.LBB49_192:
	s_branch .LBB49_194
.LBB49_193:
	s_cmp_lg_u32 s48, 0
	s_mov_b64 s[40:41], -1
	s_cselect_b64 s[42:43], -1, 0
.LBB49_194:
	s_andn2_b64 vcc, exec, s[42:43]
	s_cbranch_vccz .LBB49_200
; %bb.195:
	s_andn2_b64 vcc, exec, s[40:41]
	s_cbranch_vccz .LBB49_201
.LBB49_196:
	s_cmp_lt_i32 s48, 1
	s_mov_b64 s[42:43], 0
	s_cbranch_scc1 .LBB49_202
.LBB49_197:
	s_cmp_gt_i32 s48, 1
	s_cbranch_scc0 .LBB49_203
; %bb.198:
	s_cmp_eq_u32 s48, 2
	s_cbranch_scc0 .LBB49_265
; %bb.199:
	s_waitcnt vmcnt(2)
	v_cmp_ge_i64_e64 s[40:41], s[8:9], v[3:4]
	s_mov_b64 s[44:45], 0
	s_branch .LBB49_205
.LBB49_200:
	s_waitcnt vmcnt(2)
	v_cmp_gt_i64_e32 vcc, s[8:9], v[1:2]
	s_andn2_b64 s[38:39], s[38:39], exec
	s_and_b64 s[42:43], vcc, exec
	s_or_b64 s[38:39], s[38:39], s[42:43]
	s_cbranch_execnz .LBB49_196
.LBB49_201:
	s_waitcnt vmcnt(2)
	v_cmp_le_i64_e32 vcc, s[8:9], v[1:2]
	s_andn2_b64 s[38:39], s[38:39], exec
	s_and_b64 s[40:41], vcc, exec
	s_or_b64 s[38:39], s[38:39], s[40:41]
	s_cmp_lt_i32 s48, 1
	s_mov_b64 s[42:43], 0
	s_cbranch_scc0 .LBB49_197
.LBB49_202:
                                        ; implicit-def: $sgpr40_sgpr41
	s_mov_b64 s[44:45], 0
	s_cbranch_execnz .LBB49_206
	s_branch .LBB49_207
.LBB49_203:
	s_mov_b64 s[44:45], 0
                                        ; implicit-def: $sgpr40_sgpr41
	s_cbranch_execz .LBB49_205
; %bb.204:
	s_waitcnt vmcnt(2)
	v_cmp_lt_i64_e32 vcc, s[8:9], v[3:4]
	s_andn2_b64 s[40:41], s[40:41], exec
	s_and_b64 s[46:47], vcc, exec
	s_or_b64 s[40:41], s[40:41], s[46:47]
.LBB49_205:
	s_branch .LBB49_207
.LBB49_206:
	s_cmp_lg_u32 s48, 0
	s_mov_b64 s[42:43], -1
	s_cselect_b64 s[44:45], -1, 0
.LBB49_207:
	s_andn2_b64 vcc, exec, s[44:45]
	s_cbranch_vccz .LBB49_243
; %bb.208:
	s_andn2_b64 vcc, exec, s[42:43]
	s_cbranch_vccnz .LBB49_210
.LBB49_209:
	s_waitcnt vmcnt(2)
	v_cmp_le_i64_e32 vcc, s[8:9], v[3:4]
	s_andn2_b64 s[40:41], s[40:41], exec
	s_and_b64 s[42:43], vcc, exec
	s_or_b64 s[40:41], s[40:41], s[42:43]
.LBB49_210:
	s_waitcnt vmcnt(2)
	v_mov_b32_e32 v1, 0x100
	v_cndmask_b32_e64 v2, 0, v1, s[26:27]
	v_cndmask_b32_e64 v3, 0, 1, s[24:25]
	v_or_b32_e32 v2, v2, v3
	v_mov_b32_e32 v3, 0x10000
	s_waitcnt vmcnt(1)
	v_mov_b32_e32 v5, 0x1000000
	v_cndmask_b32_e64 v4, 0, v3, s[28:29]
	v_cndmask_b32_e64 v6, 0, v5, s[30:31]
	v_or3_b32 v7, 0, 0, 0
	v_or3_b32 v2, v2, v4, v6
	v_cndmask_b32_e64 v4, 0, 1, s[34:35]
	v_cndmask_b32_e64 v6, 0, v1, s[36:37]
	v_or3_b32 v4, v7, v4, v6
	v_or3_b32 v6, v2, 0, 0
	v_cndmask_b32_e64 v2, 0, v1, s[4:5]
	s_waitcnt vmcnt(0)
	v_cndmask_b32_e64 v9, 0, 1, s[0:1]
	v_or_b32_e32 v2, v2, v9
	v_cndmask_b32_e64 v9, 0, v3, s[6:7]
	v_cndmask_b32_e64 v10, 0, v5, s[14:15]
	v_or3_b32 v2, v2, v9, v10
	v_cndmask_b32_e64 v9, 0, 1, s[16:17]
	v_cndmask_b32_e64 v1, 0, v1, s[18:19]
	;; [unrolled: 1-line block ×3, first 2 shown]
	v_or3_b32 v1, v7, v9, v1
	v_or3_b32 v7, v2, 0, 0
	v_cndmask_b32_e64 v2, 0, v3, s[20:21]
	v_cndmask_b32_e64 v3, 0, v5, s[22:23]
	s_add_u32 s0, s10, s2
	v_or3_b32 v2, v1, v2, v3
	v_or3_b32 v1, v7, 0, 0
	v_cndmask_b32_e64 v3, 0, v5, s[40:41]
	s_addc_u32 s1, s11, s3
	v_lshlrev_b32_e32 v5, 3, v0
	v_or3_b32 v4, v4, v8, v3
	v_or3_b32 v3, v6, 0, 0
	global_store_dwordx2 v5, v[1:2], s[0:1]
	global_store_dwordx2 v5, v[3:4], s[0:1] offset:2048
	s_mov_b64 s[0:1], 0
.LBB49_211:
	s_and_b64 vcc, exec, s[0:1]
	s_cbranch_vccz .LBB49_519
; %bb.212:
	v_mov_b32_e32 v30, 0
	v_mov_b32_e32 v32, 0
	v_cmp_gt_i32_e64 s[0:1], s33, v0
	v_mov_b32_e32 v31, 0
	v_or_b32_e32 v1, s2, v0
	v_mov_b32_e32 v33, 0
	v_mov_b32_e32 v34, v0
	s_and_saveexec_b64 s[4:5], s[0:1]
	s_cbranch_execz .LBB49_214
; %bb.213:
	v_mov_b32_e32 v2, 0
	v_lshlrev_b64 v[2:3], 3, v[1:2]
	v_mov_b32_e32 v4, s13
	v_add_co_u32_e32 v2, vcc, s12, v2
	v_addc_co_u32_e32 v3, vcc, v4, v3, vcc
	global_load_dwordx2 v[32:33], v[2:3], off
	v_or_b32_e32 v34, 0x100, v0
.LBB49_214:
	s_or_b64 exec, exec, s[4:5]
	v_cmp_gt_i32_e32 vcc, s33, v34
	s_and_saveexec_b64 s[4:5], vcc
	s_cbranch_execz .LBB49_216
; %bb.215:
	v_add_u32_e32 v2, s2, v34
	v_mov_b32_e32 v3, 0
	v_lshlrev_b64 v[2:3], 3, v[2:3]
	v_mov_b32_e32 v4, s13
	v_add_co_u32_e32 v2, vcc, s12, v2
	v_addc_co_u32_e32 v3, vcc, v4, v3, vcc
	global_load_dwordx2 v[30:31], v[2:3], off
	v_add_u32_e32 v34, 0x100, v34
.LBB49_216:
	s_or_b64 exec, exec, s[4:5]
	v_mov_b32_e32 v26, 0
	v_mov_b32_e32 v28, 0
	v_mov_b32_e32 v27, 0
	v_mov_b32_e32 v29, 0
	v_cmp_gt_i32_e32 vcc, s33, v34
	s_and_saveexec_b64 s[4:5], vcc
	s_cbranch_execz .LBB49_218
; %bb.217:
	v_add_u32_e32 v2, s2, v34
	v_mov_b32_e32 v3, 0
	v_lshlrev_b64 v[2:3], 3, v[2:3]
	v_mov_b32_e32 v4, s13
	v_add_co_u32_e32 v2, vcc, s12, v2
	v_addc_co_u32_e32 v3, vcc, v4, v3, vcc
	global_load_dwordx2 v[28:29], v[2:3], off
	v_add_u32_e32 v34, 0x100, v34
.LBB49_218:
	s_or_b64 exec, exec, s[4:5]
	v_cmp_gt_i32_e32 vcc, s33, v34
	s_and_saveexec_b64 s[4:5], vcc
	s_cbranch_execz .LBB49_220
; %bb.219:
	v_add_u32_e32 v2, s2, v34
	v_mov_b32_e32 v3, 0
	v_lshlrev_b64 v[2:3], 3, v[2:3]
	v_mov_b32_e32 v4, s13
	v_add_co_u32_e32 v2, vcc, s12, v2
	v_addc_co_u32_e32 v3, vcc, v4, v3, vcc
	global_load_dwordx2 v[26:27], v[2:3], off
	v_add_u32_e32 v34, 0x100, v34
.LBB49_220:
	s_or_b64 exec, exec, s[4:5]
	v_mov_b32_e32 v22, 0
	v_mov_b32_e32 v24, 0
	v_mov_b32_e32 v23, 0
	v_mov_b32_e32 v25, 0
	v_cmp_gt_i32_e32 vcc, s33, v34
	s_and_saveexec_b64 s[4:5], vcc
	s_cbranch_execz .LBB49_222
; %bb.221:
	v_add_u32_e32 v2, s2, v34
	v_mov_b32_e32 v3, 0
	v_lshlrev_b64 v[2:3], 3, v[2:3]
	v_mov_b32_e32 v4, s13
	v_add_co_u32_e32 v2, vcc, s12, v2
	v_addc_co_u32_e32 v3, vcc, v4, v3, vcc
	global_load_dwordx2 v[24:25], v[2:3], off
	v_add_u32_e32 v34, 0x100, v34
.LBB49_222:
	;; [unrolled: 32-line block ×6, first 2 shown]
	s_or_b64 exec, exec, s[4:5]
	v_cmp_gt_i32_e32 vcc, s33, v34
	s_and_saveexec_b64 s[4:5], vcc
	s_cbranch_execz .LBB49_240
; %bb.239:
	v_add_u32_e32 v2, s2, v34
	v_mov_b32_e32 v3, 0
	v_lshlrev_b64 v[2:3], 3, v[2:3]
	v_mov_b32_e32 v4, s13
	v_add_co_u32_e32 v2, vcc, s12, v2
	v_addc_co_u32_e32 v3, vcc, v4, v3, vcc
	global_load_dwordx2 v[6:7], v[2:3], off
	v_add_u32_e32 v34, 0x100, v34
.LBB49_240:
	s_or_b64 exec, exec, s[4:5]
	v_mov_b32_e32 v2, 0
	v_mov_b32_e32 v4, 0
	;; [unrolled: 1-line block ×4, first 2 shown]
	v_cmp_gt_i32_e32 vcc, s33, v34
	s_and_saveexec_b64 s[4:5], vcc
	s_cbranch_execnz .LBB49_244
; %bb.241:
	s_or_b64 exec, exec, s[4:5]
	v_cmp_gt_i32_e32 vcc, s33, v34
	s_and_saveexec_b64 s[4:5], vcc
	s_cbranch_execnz .LBB49_245
.LBB49_242:
	s_or_b64 exec, exec, s[4:5]
                                        ; implicit-def: $vgpr34
	s_and_saveexec_b64 s[4:5], s[0:1]
	s_cbranch_execnz .LBB49_246
	s_branch .LBB49_276
.LBB49_243:
	s_waitcnt vmcnt(2)
	v_cmp_gt_i64_e32 vcc, s[8:9], v[3:4]
	s_andn2_b64 s[40:41], s[40:41], exec
	s_and_b64 s[44:45], vcc, exec
	s_or_b64 s[40:41], s[40:41], s[44:45]
	s_cbranch_execz .LBB49_209
	s_branch .LBB49_210
.LBB49_244:
	v_add_u32_e32 v4, s2, v34
	v_mov_b32_e32 v5, 0
	v_lshlrev_b64 v[4:5], 3, v[4:5]
	v_mov_b32_e32 v35, s13
	v_add_co_u32_e32 v4, vcc, s12, v4
	v_addc_co_u32_e32 v5, vcc, v35, v5, vcc
	global_load_dwordx2 v[4:5], v[4:5], off
	v_add_u32_e32 v34, 0x100, v34
	s_or_b64 exec, exec, s[4:5]
	v_cmp_gt_i32_e32 vcc, s33, v34
	s_and_saveexec_b64 s[4:5], vcc
	s_cbranch_execz .LBB49_242
.LBB49_245:
	v_add_u32_e32 v2, s2, v34
	v_mov_b32_e32 v3, 0
	v_lshlrev_b64 v[2:3], 3, v[2:3]
	v_mov_b32_e32 v34, s13
	v_add_co_u32_e32 v2, vcc, s12, v2
	v_addc_co_u32_e32 v3, vcc, v34, v3, vcc
	global_load_dwordx2 v[2:3], v[2:3], off
	s_or_b64 exec, exec, s[4:5]
                                        ; implicit-def: $vgpr34
	s_and_saveexec_b64 s[4:5], s[0:1]
	s_cbranch_execz .LBB49_276
.LBB49_246:
	s_cmp_lt_i32 s48, 1
	s_mov_b64 s[6:7], 0
	s_cbranch_scc1 .LBB49_250
; %bb.247:
	s_cmp_gt_i32 s48, 1
	s_cbranch_scc0 .LBB49_266
; %bb.248:
	s_cmp_eq_u32 s48, 2
	s_cbranch_scc0 .LBB49_267
; %bb.249:
	s_waitcnt vmcnt(0)
	v_cmp_ge_i64_e64 s[12:13], s[8:9], v[32:33]
	s_mov_b64 s[14:15], 0
	s_branch .LBB49_268
.LBB49_250:
                                        ; implicit-def: $sgpr12_sgpr13
	s_mov_b64 s[14:15], 0
	s_cbranch_execnz .LBB49_271
	s_branch .LBB49_272
.LBB49_251:
	s_mov_b64 s[14:15], -1
                                        ; implicit-def: $sgpr4_sgpr5
	s_branch .LBB49_23
.LBB49_252:
	s_mov_b64 s[16:17], -1
                                        ; implicit-def: $sgpr6_sgpr7
	s_branch .LBB49_36
.LBB49_253:
	s_mov_b64 s[18:19], -1
                                        ; implicit-def: $sgpr14_sgpr15
	s_branch .LBB49_49
.LBB49_254:
	s_mov_b64 s[20:21], -1
                                        ; implicit-def: $sgpr16_sgpr17
	s_branch .LBB49_62
.LBB49_255:
	s_mov_b64 s[22:23], -1
                                        ; implicit-def: $sgpr18_sgpr19
	s_branch .LBB49_75
.LBB49_256:
	s_mov_b64 s[24:25], -1
                                        ; implicit-def: $sgpr20_sgpr21
	s_branch .LBB49_88
.LBB49_257:
	s_mov_b64 s[26:27], -1
                                        ; implicit-def: $sgpr22_sgpr23
	s_branch .LBB49_101
.LBB49_258:
	s_mov_b64 s[28:29], -1
                                        ; implicit-def: $sgpr24_sgpr25
	s_branch .LBB49_114
.LBB49_259:
	s_mov_b64 s[30:31], -1
                                        ; implicit-def: $sgpr26_sgpr27
	s_branch .LBB49_127
.LBB49_260:
	s_mov_b64 s[34:35], -1
                                        ; implicit-def: $sgpr28_sgpr29
	s_branch .LBB49_140
.LBB49_261:
	s_mov_b64 s[36:37], -1
                                        ; implicit-def: $sgpr30_sgpr31
	s_branch .LBB49_153
.LBB49_262:
	s_mov_b64 s[38:39], -1
                                        ; implicit-def: $sgpr34_sgpr35
	s_branch .LBB49_166
.LBB49_263:
	s_mov_b64 s[40:41], -1
                                        ; implicit-def: $sgpr36_sgpr37
	s_branch .LBB49_179
.LBB49_264:
	s_mov_b64 s[42:43], -1
                                        ; implicit-def: $sgpr38_sgpr39
	s_branch .LBB49_192
.LBB49_265:
	s_mov_b64 s[44:45], -1
                                        ; implicit-def: $sgpr40_sgpr41
	s_branch .LBB49_205
.LBB49_266:
	s_mov_b64 s[14:15], 0
                                        ; implicit-def: $sgpr12_sgpr13
	s_cbranch_execnz .LBB49_269
	s_branch .LBB49_270
.LBB49_267:
	s_mov_b64 s[14:15], -1
                                        ; implicit-def: $sgpr12_sgpr13
.LBB49_268:
	s_branch .LBB49_270
.LBB49_269:
	s_waitcnt vmcnt(0)
	v_cmp_lt_i64_e32 vcc, s[8:9], v[32:33]
	s_andn2_b64 s[12:13], s[12:13], exec
	s_and_b64 s[16:17], vcc, exec
	s_or_b64 s[12:13], s[12:13], s[16:17]
.LBB49_270:
	s_branch .LBB49_272
.LBB49_271:
	s_cmp_lg_u32 s48, 0
	s_mov_b64 s[6:7], -1
	s_cselect_b64 s[14:15], -1, 0
.LBB49_272:
	s_andn2_b64 vcc, exec, s[14:15]
	s_cbranch_vccz .LBB49_281
; %bb.273:
	s_andn2_b64 vcc, exec, s[6:7]
	s_cbranch_vccnz .LBB49_275
.LBB49_274:
	s_waitcnt vmcnt(0)
	v_cmp_le_i64_e32 vcc, s[8:9], v[32:33]
	s_andn2_b64 s[6:7], s[12:13], exec
	s_and_b64 s[12:13], vcc, exec
	s_or_b64 s[12:13], s[6:7], s[12:13]
.LBB49_275:
	v_cndmask_b32_e64 v34, 0, 1, s[12:13]
.LBB49_276:
	s_or_b64 exec, exec, s[4:5]
	s_waitcnt vmcnt(0)
	v_or_b32_e32 v32, 0x100, v0
	v_cmp_gt_i32_e32 vcc, s33, v32
                                        ; implicit-def: $vgpr33
	s_and_saveexec_b64 s[4:5], vcc
	s_cbranch_execz .LBB49_291
; %bb.277:
	s_cmp_lt_i32 s48, 1
	s_mov_b64 s[6:7], 0
	s_cbranch_scc1 .LBB49_282
; %bb.278:
	s_cmp_gt_i32 s48, 1
	s_cbranch_scc0 .LBB49_283
; %bb.279:
	s_cmp_eq_u32 s48, 2
	s_cbranch_scc0 .LBB49_535
; %bb.280:
	v_cmp_ge_i64_e64 s[12:13], s[8:9], v[30:31]
	s_mov_b64 s[14:15], 0
	s_branch .LBB49_285
.LBB49_281:
	s_waitcnt vmcnt(0)
	v_cmp_gt_i64_e32 vcc, s[8:9], v[32:33]
	s_andn2_b64 s[12:13], s[12:13], exec
	s_and_b64 s[14:15], vcc, exec
	s_or_b64 s[12:13], s[12:13], s[14:15]
	s_cbranch_execz .LBB49_274
	s_branch .LBB49_275
.LBB49_282:
                                        ; implicit-def: $sgpr12_sgpr13
	s_mov_b64 s[14:15], 0
	s_cbranch_execnz .LBB49_286
	s_branch .LBB49_287
.LBB49_283:
	s_mov_b64 s[14:15], 0
                                        ; implicit-def: $sgpr12_sgpr13
	s_cbranch_execz .LBB49_285
; %bb.284:
	v_cmp_lt_i64_e32 vcc, s[8:9], v[30:31]
	s_andn2_b64 s[12:13], s[12:13], exec
	s_and_b64 s[16:17], vcc, exec
	s_or_b64 s[12:13], s[12:13], s[16:17]
.LBB49_285:
	s_branch .LBB49_287
.LBB49_286:
	s_cmp_lg_u32 s48, 0
	s_mov_b64 s[6:7], -1
	s_cselect_b64 s[14:15], -1, 0
.LBB49_287:
	s_andn2_b64 vcc, exec, s[14:15]
	s_cbranch_vccz .LBB49_296
; %bb.288:
	s_andn2_b64 vcc, exec, s[6:7]
	s_cbranch_vccnz .LBB49_290
.LBB49_289:
	v_cmp_le_i64_e32 vcc, s[8:9], v[30:31]
	s_andn2_b64 s[6:7], s[12:13], exec
	s_and_b64 s[12:13], vcc, exec
	s_or_b64 s[12:13], s[6:7], s[12:13]
.LBB49_290:
	v_cndmask_b32_e64 v33, 0, 1, s[12:13]
.LBB49_291:
	s_or_b64 exec, exec, s[4:5]
	v_or_b32_e32 v30, 0x200, v0
	v_cmp_gt_i32_e32 vcc, s33, v30
                                        ; implicit-def: $vgpr30
	s_and_saveexec_b64 s[4:5], vcc
	s_cbranch_execz .LBB49_306
; %bb.292:
	s_cmp_lt_i32 s48, 1
	s_mov_b64 s[6:7], 0
	s_cbranch_scc1 .LBB49_297
; %bb.293:
	s_cmp_gt_i32 s48, 1
	s_cbranch_scc0 .LBB49_298
; %bb.294:
	s_cmp_eq_u32 s48, 2
	s_cbranch_scc0 .LBB49_536
; %bb.295:
	v_cmp_ge_i64_e64 s[12:13], s[8:9], v[28:29]
	s_mov_b64 s[14:15], 0
	s_branch .LBB49_300
.LBB49_296:
	v_cmp_gt_i64_e32 vcc, s[8:9], v[30:31]
	s_andn2_b64 s[12:13], s[12:13], exec
	s_and_b64 s[14:15], vcc, exec
	s_or_b64 s[12:13], s[12:13], s[14:15]
	s_cbranch_execz .LBB49_289
	s_branch .LBB49_290
.LBB49_297:
                                        ; implicit-def: $sgpr12_sgpr13
	s_mov_b64 s[14:15], 0
	s_cbranch_execnz .LBB49_301
	s_branch .LBB49_302
.LBB49_298:
	s_mov_b64 s[14:15], 0
                                        ; implicit-def: $sgpr12_sgpr13
	s_cbranch_execz .LBB49_300
; %bb.299:
	v_cmp_lt_i64_e32 vcc, s[8:9], v[28:29]
	s_andn2_b64 s[12:13], s[12:13], exec
	s_and_b64 s[16:17], vcc, exec
	s_or_b64 s[12:13], s[12:13], s[16:17]
.LBB49_300:
	s_branch .LBB49_302
.LBB49_301:
	s_cmp_lg_u32 s48, 0
	s_mov_b64 s[6:7], -1
	s_cselect_b64 s[14:15], -1, 0
.LBB49_302:
	s_andn2_b64 vcc, exec, s[14:15]
	s_cbranch_vccz .LBB49_311
; %bb.303:
	s_andn2_b64 vcc, exec, s[6:7]
	s_cbranch_vccnz .LBB49_305
.LBB49_304:
	v_cmp_le_i64_e32 vcc, s[8:9], v[28:29]
	s_andn2_b64 s[6:7], s[12:13], exec
	s_and_b64 s[12:13], vcc, exec
	s_or_b64 s[12:13], s[6:7], s[12:13]
.LBB49_305:
	v_cndmask_b32_e64 v30, 0, 1, s[12:13]
.LBB49_306:
	s_or_b64 exec, exec, s[4:5]
	v_or_b32_e32 v28, 0x300, v0
	v_cmp_gt_i32_e32 vcc, s33, v28
                                        ; implicit-def: $vgpr28
	s_and_saveexec_b64 s[4:5], vcc
	s_cbranch_execz .LBB49_321
; %bb.307:
	s_cmp_lt_i32 s48, 1
	s_mov_b64 s[6:7], 0
	s_cbranch_scc1 .LBB49_312
; %bb.308:
	s_cmp_gt_i32 s48, 1
	s_cbranch_scc0 .LBB49_313
; %bb.309:
	s_cmp_eq_u32 s48, 2
	s_cbranch_scc0 .LBB49_537
; %bb.310:
	v_cmp_ge_i64_e64 s[12:13], s[8:9], v[26:27]
	s_mov_b64 s[14:15], 0
	s_branch .LBB49_315
.LBB49_311:
	v_cmp_gt_i64_e32 vcc, s[8:9], v[28:29]
	s_andn2_b64 s[12:13], s[12:13], exec
	s_and_b64 s[14:15], vcc, exec
	s_or_b64 s[12:13], s[12:13], s[14:15]
	s_cbranch_execz .LBB49_304
	s_branch .LBB49_305
.LBB49_312:
                                        ; implicit-def: $sgpr12_sgpr13
	s_mov_b64 s[14:15], 0
	s_cbranch_execnz .LBB49_316
	s_branch .LBB49_317
.LBB49_313:
	s_mov_b64 s[14:15], 0
                                        ; implicit-def: $sgpr12_sgpr13
	s_cbranch_execz .LBB49_315
; %bb.314:
	v_cmp_lt_i64_e32 vcc, s[8:9], v[26:27]
	s_andn2_b64 s[12:13], s[12:13], exec
	s_and_b64 s[16:17], vcc, exec
	s_or_b64 s[12:13], s[12:13], s[16:17]
.LBB49_315:
	s_branch .LBB49_317
.LBB49_316:
	s_cmp_lg_u32 s48, 0
	s_mov_b64 s[6:7], -1
	s_cselect_b64 s[14:15], -1, 0
.LBB49_317:
	s_andn2_b64 vcc, exec, s[14:15]
	s_cbranch_vccz .LBB49_326
; %bb.318:
	s_andn2_b64 vcc, exec, s[6:7]
	s_cbranch_vccnz .LBB49_320
.LBB49_319:
	v_cmp_le_i64_e32 vcc, s[8:9], v[26:27]
	s_andn2_b64 s[6:7], s[12:13], exec
	s_and_b64 s[12:13], vcc, exec
	s_or_b64 s[12:13], s[6:7], s[12:13]
.LBB49_320:
	v_cndmask_b32_e64 v28, 0, 1, s[12:13]
.LBB49_321:
	s_or_b64 exec, exec, s[4:5]
	v_or_b32_e32 v26, 0x400, v0
	v_cmp_gt_i32_e32 vcc, s33, v26
                                        ; implicit-def: $vgpr26
	s_and_saveexec_b64 s[4:5], vcc
	s_cbranch_execz .LBB49_336
; %bb.322:
	s_cmp_lt_i32 s48, 1
	s_mov_b64 s[6:7], 0
	s_cbranch_scc1 .LBB49_327
; %bb.323:
	s_cmp_gt_i32 s48, 1
	s_cbranch_scc0 .LBB49_328
; %bb.324:
	s_cmp_eq_u32 s48, 2
	s_cbranch_scc0 .LBB49_538
; %bb.325:
	v_cmp_ge_i64_e64 s[12:13], s[8:9], v[24:25]
	s_mov_b64 s[14:15], 0
	s_branch .LBB49_330
.LBB49_326:
	v_cmp_gt_i64_e32 vcc, s[8:9], v[26:27]
	s_andn2_b64 s[12:13], s[12:13], exec
	s_and_b64 s[14:15], vcc, exec
	s_or_b64 s[12:13], s[12:13], s[14:15]
	s_cbranch_execz .LBB49_319
	s_branch .LBB49_320
.LBB49_327:
                                        ; implicit-def: $sgpr12_sgpr13
	s_mov_b64 s[14:15], 0
	s_cbranch_execnz .LBB49_331
	s_branch .LBB49_332
.LBB49_328:
	s_mov_b64 s[14:15], 0
                                        ; implicit-def: $sgpr12_sgpr13
	s_cbranch_execz .LBB49_330
; %bb.329:
	v_cmp_lt_i64_e32 vcc, s[8:9], v[24:25]
	s_andn2_b64 s[12:13], s[12:13], exec
	s_and_b64 s[16:17], vcc, exec
	s_or_b64 s[12:13], s[12:13], s[16:17]
.LBB49_330:
	s_branch .LBB49_332
.LBB49_331:
	s_cmp_lg_u32 s48, 0
	s_mov_b64 s[6:7], -1
	s_cselect_b64 s[14:15], -1, 0
.LBB49_332:
	s_andn2_b64 vcc, exec, s[14:15]
	s_cbranch_vccz .LBB49_341
; %bb.333:
	s_andn2_b64 vcc, exec, s[6:7]
	s_cbranch_vccnz .LBB49_335
.LBB49_334:
	v_cmp_le_i64_e32 vcc, s[8:9], v[24:25]
	s_andn2_b64 s[6:7], s[12:13], exec
	s_and_b64 s[12:13], vcc, exec
	s_or_b64 s[12:13], s[6:7], s[12:13]
.LBB49_335:
	v_cndmask_b32_e64 v26, 0, 1, s[12:13]
.LBB49_336:
	s_or_b64 exec, exec, s[4:5]
	v_or_b32_e32 v24, 0x500, v0
	v_cmp_gt_i32_e32 vcc, s33, v24
                                        ; implicit-def: $vgpr24
	s_and_saveexec_b64 s[4:5], vcc
	s_cbranch_execz .LBB49_351
; %bb.337:
	s_cmp_lt_i32 s48, 1
	s_mov_b64 s[6:7], 0
	s_cbranch_scc1 .LBB49_342
; %bb.338:
	s_cmp_gt_i32 s48, 1
	s_cbranch_scc0 .LBB49_343
; %bb.339:
	s_cmp_eq_u32 s48, 2
	s_cbranch_scc0 .LBB49_539
; %bb.340:
	v_cmp_ge_i64_e64 s[12:13], s[8:9], v[22:23]
	s_mov_b64 s[14:15], 0
	s_branch .LBB49_345
.LBB49_341:
	v_cmp_gt_i64_e32 vcc, s[8:9], v[24:25]
	s_andn2_b64 s[12:13], s[12:13], exec
	s_and_b64 s[14:15], vcc, exec
	s_or_b64 s[12:13], s[12:13], s[14:15]
	s_cbranch_execz .LBB49_334
	s_branch .LBB49_335
.LBB49_342:
                                        ; implicit-def: $sgpr12_sgpr13
	s_mov_b64 s[14:15], 0
	s_cbranch_execnz .LBB49_346
	s_branch .LBB49_347
.LBB49_343:
	s_mov_b64 s[14:15], 0
                                        ; implicit-def: $sgpr12_sgpr13
	s_cbranch_execz .LBB49_345
; %bb.344:
	v_cmp_lt_i64_e32 vcc, s[8:9], v[22:23]
	s_andn2_b64 s[12:13], s[12:13], exec
	s_and_b64 s[16:17], vcc, exec
	s_or_b64 s[12:13], s[12:13], s[16:17]
.LBB49_345:
	s_branch .LBB49_347
.LBB49_346:
	s_cmp_lg_u32 s48, 0
	s_mov_b64 s[6:7], -1
	s_cselect_b64 s[14:15], -1, 0
.LBB49_347:
	s_andn2_b64 vcc, exec, s[14:15]
	s_cbranch_vccz .LBB49_356
; %bb.348:
	s_andn2_b64 vcc, exec, s[6:7]
	s_cbranch_vccnz .LBB49_350
.LBB49_349:
	v_cmp_le_i64_e32 vcc, s[8:9], v[22:23]
	s_andn2_b64 s[6:7], s[12:13], exec
	s_and_b64 s[12:13], vcc, exec
	s_or_b64 s[12:13], s[6:7], s[12:13]
.LBB49_350:
	v_cndmask_b32_e64 v24, 0, 1, s[12:13]
.LBB49_351:
	s_or_b64 exec, exec, s[4:5]
	v_or_b32_e32 v22, 0x600, v0
	v_cmp_gt_i32_e32 vcc, s33, v22
                                        ; implicit-def: $vgpr22
	s_and_saveexec_b64 s[4:5], vcc
	s_cbranch_execz .LBB49_366
; %bb.352:
	s_cmp_lt_i32 s48, 1
	s_mov_b64 s[6:7], 0
	s_cbranch_scc1 .LBB49_357
; %bb.353:
	s_cmp_gt_i32 s48, 1
	s_cbranch_scc0 .LBB49_358
; %bb.354:
	s_cmp_eq_u32 s48, 2
	s_cbranch_scc0 .LBB49_540
; %bb.355:
	v_cmp_ge_i64_e64 s[12:13], s[8:9], v[20:21]
	s_mov_b64 s[14:15], 0
	s_branch .LBB49_360
.LBB49_356:
	v_cmp_gt_i64_e32 vcc, s[8:9], v[22:23]
	s_andn2_b64 s[12:13], s[12:13], exec
	s_and_b64 s[14:15], vcc, exec
	s_or_b64 s[12:13], s[12:13], s[14:15]
	s_cbranch_execz .LBB49_349
	s_branch .LBB49_350
.LBB49_357:
                                        ; implicit-def: $sgpr12_sgpr13
	s_mov_b64 s[14:15], 0
	s_cbranch_execnz .LBB49_361
	s_branch .LBB49_362
.LBB49_358:
	s_mov_b64 s[14:15], 0
                                        ; implicit-def: $sgpr12_sgpr13
	s_cbranch_execz .LBB49_360
; %bb.359:
	v_cmp_lt_i64_e32 vcc, s[8:9], v[20:21]
	s_andn2_b64 s[12:13], s[12:13], exec
	s_and_b64 s[16:17], vcc, exec
	s_or_b64 s[12:13], s[12:13], s[16:17]
.LBB49_360:
	s_branch .LBB49_362
.LBB49_361:
	s_cmp_lg_u32 s48, 0
	s_mov_b64 s[6:7], -1
	s_cselect_b64 s[14:15], -1, 0
.LBB49_362:
	s_andn2_b64 vcc, exec, s[14:15]
	s_cbranch_vccz .LBB49_371
; %bb.363:
	s_andn2_b64 vcc, exec, s[6:7]
	s_cbranch_vccnz .LBB49_365
.LBB49_364:
	v_cmp_le_i64_e32 vcc, s[8:9], v[20:21]
	s_andn2_b64 s[6:7], s[12:13], exec
	s_and_b64 s[12:13], vcc, exec
	s_or_b64 s[12:13], s[6:7], s[12:13]
.LBB49_365:
	v_cndmask_b32_e64 v22, 0, 1, s[12:13]
.LBB49_366:
	s_or_b64 exec, exec, s[4:5]
	v_or_b32_e32 v20, 0x700, v0
	v_cmp_gt_i32_e32 vcc, s33, v20
                                        ; implicit-def: $vgpr20
	s_and_saveexec_b64 s[4:5], vcc
	s_cbranch_execz .LBB49_381
; %bb.367:
	s_cmp_lt_i32 s48, 1
	s_mov_b64 s[6:7], 0
	s_cbranch_scc1 .LBB49_372
; %bb.368:
	s_cmp_gt_i32 s48, 1
	s_cbranch_scc0 .LBB49_373
; %bb.369:
	s_cmp_eq_u32 s48, 2
	s_cbranch_scc0 .LBB49_541
; %bb.370:
	v_cmp_ge_i64_e64 s[12:13], s[8:9], v[18:19]
	s_mov_b64 s[14:15], 0
	s_branch .LBB49_375
.LBB49_371:
	v_cmp_gt_i64_e32 vcc, s[8:9], v[20:21]
	s_andn2_b64 s[12:13], s[12:13], exec
	s_and_b64 s[14:15], vcc, exec
	s_or_b64 s[12:13], s[12:13], s[14:15]
	s_cbranch_execz .LBB49_364
	s_branch .LBB49_365
.LBB49_372:
                                        ; implicit-def: $sgpr12_sgpr13
	s_mov_b64 s[14:15], 0
	s_cbranch_execnz .LBB49_376
	s_branch .LBB49_377
.LBB49_373:
	s_mov_b64 s[14:15], 0
                                        ; implicit-def: $sgpr12_sgpr13
	s_cbranch_execz .LBB49_375
; %bb.374:
	v_cmp_lt_i64_e32 vcc, s[8:9], v[18:19]
	s_andn2_b64 s[12:13], s[12:13], exec
	s_and_b64 s[16:17], vcc, exec
	s_or_b64 s[12:13], s[12:13], s[16:17]
.LBB49_375:
	s_branch .LBB49_377
.LBB49_376:
	s_cmp_lg_u32 s48, 0
	s_mov_b64 s[6:7], -1
	s_cselect_b64 s[14:15], -1, 0
.LBB49_377:
	s_andn2_b64 vcc, exec, s[14:15]
	s_cbranch_vccz .LBB49_386
; %bb.378:
	s_andn2_b64 vcc, exec, s[6:7]
	s_cbranch_vccnz .LBB49_380
.LBB49_379:
	v_cmp_le_i64_e32 vcc, s[8:9], v[18:19]
	s_andn2_b64 s[6:7], s[12:13], exec
	s_and_b64 s[12:13], vcc, exec
	s_or_b64 s[12:13], s[6:7], s[12:13]
.LBB49_380:
	v_cndmask_b32_e64 v20, 0, 1, s[12:13]
.LBB49_381:
	s_or_b64 exec, exec, s[4:5]
	v_or_b32_e32 v18, 0x800, v0
	v_cmp_gt_i32_e32 vcc, s33, v18
                                        ; implicit-def: $vgpr18
	s_and_saveexec_b64 s[4:5], vcc
	s_cbranch_execz .LBB49_396
; %bb.382:
	s_cmp_lt_i32 s48, 1
	s_mov_b64 s[6:7], 0
	s_cbranch_scc1 .LBB49_387
; %bb.383:
	s_cmp_gt_i32 s48, 1
	s_cbranch_scc0 .LBB49_388
; %bb.384:
	s_cmp_eq_u32 s48, 2
	s_cbranch_scc0 .LBB49_542
; %bb.385:
	v_cmp_ge_i64_e64 s[12:13], s[8:9], v[16:17]
	s_mov_b64 s[14:15], 0
	s_branch .LBB49_390
.LBB49_386:
	v_cmp_gt_i64_e32 vcc, s[8:9], v[18:19]
	s_andn2_b64 s[12:13], s[12:13], exec
	s_and_b64 s[14:15], vcc, exec
	s_or_b64 s[12:13], s[12:13], s[14:15]
	s_cbranch_execz .LBB49_379
	s_branch .LBB49_380
.LBB49_387:
                                        ; implicit-def: $sgpr12_sgpr13
	s_mov_b64 s[14:15], 0
	s_cbranch_execnz .LBB49_391
	s_branch .LBB49_392
.LBB49_388:
	s_mov_b64 s[14:15], 0
                                        ; implicit-def: $sgpr12_sgpr13
	s_cbranch_execz .LBB49_390
; %bb.389:
	v_cmp_lt_i64_e32 vcc, s[8:9], v[16:17]
	s_andn2_b64 s[12:13], s[12:13], exec
	s_and_b64 s[16:17], vcc, exec
	s_or_b64 s[12:13], s[12:13], s[16:17]
.LBB49_390:
	s_branch .LBB49_392
.LBB49_391:
	s_cmp_lg_u32 s48, 0
	s_mov_b64 s[6:7], -1
	s_cselect_b64 s[14:15], -1, 0
.LBB49_392:
	s_andn2_b64 vcc, exec, s[14:15]
	s_cbranch_vccz .LBB49_401
; %bb.393:
	s_andn2_b64 vcc, exec, s[6:7]
	s_cbranch_vccnz .LBB49_395
.LBB49_394:
	v_cmp_le_i64_e32 vcc, s[8:9], v[16:17]
	s_andn2_b64 s[6:7], s[12:13], exec
	s_and_b64 s[12:13], vcc, exec
	s_or_b64 s[12:13], s[6:7], s[12:13]
.LBB49_395:
	v_cndmask_b32_e64 v18, 0, 1, s[12:13]
.LBB49_396:
	s_or_b64 exec, exec, s[4:5]
	v_or_b32_e32 v16, 0x900, v0
	v_cmp_gt_i32_e32 vcc, s33, v16
                                        ; implicit-def: $vgpr16
	s_and_saveexec_b64 s[4:5], vcc
	s_cbranch_execz .LBB49_411
; %bb.397:
	s_cmp_lt_i32 s48, 1
	s_mov_b64 s[6:7], 0
	s_cbranch_scc1 .LBB49_402
; %bb.398:
	s_cmp_gt_i32 s48, 1
	s_cbranch_scc0 .LBB49_403
; %bb.399:
	s_cmp_eq_u32 s48, 2
	s_cbranch_scc0 .LBB49_543
; %bb.400:
	v_cmp_ge_i64_e64 s[12:13], s[8:9], v[14:15]
	s_mov_b64 s[14:15], 0
	s_branch .LBB49_405
.LBB49_401:
	v_cmp_gt_i64_e32 vcc, s[8:9], v[16:17]
	s_andn2_b64 s[12:13], s[12:13], exec
	s_and_b64 s[14:15], vcc, exec
	s_or_b64 s[12:13], s[12:13], s[14:15]
	s_cbranch_execz .LBB49_394
	s_branch .LBB49_395
.LBB49_402:
                                        ; implicit-def: $sgpr12_sgpr13
	s_mov_b64 s[14:15], 0
	s_cbranch_execnz .LBB49_406
	s_branch .LBB49_407
.LBB49_403:
	s_mov_b64 s[14:15], 0
                                        ; implicit-def: $sgpr12_sgpr13
	s_cbranch_execz .LBB49_405
; %bb.404:
	v_cmp_lt_i64_e32 vcc, s[8:9], v[14:15]
	s_andn2_b64 s[12:13], s[12:13], exec
	s_and_b64 s[16:17], vcc, exec
	s_or_b64 s[12:13], s[12:13], s[16:17]
.LBB49_405:
	s_branch .LBB49_407
.LBB49_406:
	s_cmp_lg_u32 s48, 0
	s_mov_b64 s[6:7], -1
	s_cselect_b64 s[14:15], -1, 0
.LBB49_407:
	s_andn2_b64 vcc, exec, s[14:15]
	s_cbranch_vccz .LBB49_416
; %bb.408:
	s_andn2_b64 vcc, exec, s[6:7]
	s_cbranch_vccnz .LBB49_410
.LBB49_409:
	v_cmp_le_i64_e32 vcc, s[8:9], v[14:15]
	s_andn2_b64 s[6:7], s[12:13], exec
	s_and_b64 s[12:13], vcc, exec
	s_or_b64 s[12:13], s[6:7], s[12:13]
.LBB49_410:
	v_cndmask_b32_e64 v16, 0, 1, s[12:13]
.LBB49_411:
	s_or_b64 exec, exec, s[4:5]
	v_or_b32_e32 v14, 0xa00, v0
	v_cmp_gt_i32_e32 vcc, s33, v14
                                        ; implicit-def: $vgpr14
	s_and_saveexec_b64 s[4:5], vcc
	s_cbranch_execz .LBB49_426
; %bb.412:
	s_cmp_lt_i32 s48, 1
	s_mov_b64 s[6:7], 0
	s_cbranch_scc1 .LBB49_417
; %bb.413:
	s_cmp_gt_i32 s48, 1
	s_cbranch_scc0 .LBB49_418
; %bb.414:
	s_cmp_eq_u32 s48, 2
	s_cbranch_scc0 .LBB49_544
; %bb.415:
	v_cmp_ge_i64_e64 s[12:13], s[8:9], v[12:13]
	s_mov_b64 s[14:15], 0
	s_branch .LBB49_420
.LBB49_416:
	v_cmp_gt_i64_e32 vcc, s[8:9], v[14:15]
	s_andn2_b64 s[12:13], s[12:13], exec
	s_and_b64 s[14:15], vcc, exec
	s_or_b64 s[12:13], s[12:13], s[14:15]
	s_cbranch_execz .LBB49_409
	s_branch .LBB49_410
.LBB49_417:
                                        ; implicit-def: $sgpr12_sgpr13
	s_mov_b64 s[14:15], 0
	s_cbranch_execnz .LBB49_421
	s_branch .LBB49_422
.LBB49_418:
	s_mov_b64 s[14:15], 0
                                        ; implicit-def: $sgpr12_sgpr13
	s_cbranch_execz .LBB49_420
; %bb.419:
	v_cmp_lt_i64_e32 vcc, s[8:9], v[12:13]
	s_andn2_b64 s[12:13], s[12:13], exec
	s_and_b64 s[16:17], vcc, exec
	s_or_b64 s[12:13], s[12:13], s[16:17]
.LBB49_420:
	s_branch .LBB49_422
.LBB49_421:
	s_cmp_lg_u32 s48, 0
	s_mov_b64 s[6:7], -1
	s_cselect_b64 s[14:15], -1, 0
.LBB49_422:
	s_andn2_b64 vcc, exec, s[14:15]
	s_cbranch_vccz .LBB49_431
; %bb.423:
	s_andn2_b64 vcc, exec, s[6:7]
	s_cbranch_vccnz .LBB49_425
.LBB49_424:
	v_cmp_le_i64_e32 vcc, s[8:9], v[12:13]
	s_andn2_b64 s[6:7], s[12:13], exec
	s_and_b64 s[12:13], vcc, exec
	s_or_b64 s[12:13], s[6:7], s[12:13]
.LBB49_425:
	v_cndmask_b32_e64 v14, 0, 1, s[12:13]
.LBB49_426:
	s_or_b64 exec, exec, s[4:5]
	v_or_b32_e32 v12, 0xb00, v0
	v_cmp_gt_i32_e32 vcc, s33, v12
                                        ; implicit-def: $vgpr12
	s_and_saveexec_b64 s[4:5], vcc
	s_cbranch_execz .LBB49_441
; %bb.427:
	s_cmp_lt_i32 s48, 1
	s_mov_b64 s[6:7], 0
	s_cbranch_scc1 .LBB49_432
; %bb.428:
	s_cmp_gt_i32 s48, 1
	s_cbranch_scc0 .LBB49_433
; %bb.429:
	s_cmp_eq_u32 s48, 2
	s_cbranch_scc0 .LBB49_545
; %bb.430:
	v_cmp_ge_i64_e64 s[12:13], s[8:9], v[10:11]
	s_mov_b64 s[14:15], 0
	s_branch .LBB49_435
.LBB49_431:
	v_cmp_gt_i64_e32 vcc, s[8:9], v[12:13]
	s_andn2_b64 s[12:13], s[12:13], exec
	s_and_b64 s[14:15], vcc, exec
	s_or_b64 s[12:13], s[12:13], s[14:15]
	s_cbranch_execz .LBB49_424
	s_branch .LBB49_425
.LBB49_432:
                                        ; implicit-def: $sgpr12_sgpr13
	s_mov_b64 s[14:15], 0
	s_cbranch_execnz .LBB49_436
	s_branch .LBB49_437
.LBB49_433:
	s_mov_b64 s[14:15], 0
                                        ; implicit-def: $sgpr12_sgpr13
	s_cbranch_execz .LBB49_435
; %bb.434:
	v_cmp_lt_i64_e32 vcc, s[8:9], v[10:11]
	s_andn2_b64 s[12:13], s[12:13], exec
	s_and_b64 s[16:17], vcc, exec
	s_or_b64 s[12:13], s[12:13], s[16:17]
.LBB49_435:
	s_branch .LBB49_437
.LBB49_436:
	s_cmp_lg_u32 s48, 0
	s_mov_b64 s[6:7], -1
	s_cselect_b64 s[14:15], -1, 0
.LBB49_437:
	s_andn2_b64 vcc, exec, s[14:15]
	s_cbranch_vccz .LBB49_446
; %bb.438:
	s_andn2_b64 vcc, exec, s[6:7]
	s_cbranch_vccnz .LBB49_440
.LBB49_439:
	v_cmp_le_i64_e32 vcc, s[8:9], v[10:11]
	s_andn2_b64 s[6:7], s[12:13], exec
	s_and_b64 s[12:13], vcc, exec
	s_or_b64 s[12:13], s[6:7], s[12:13]
.LBB49_440:
	v_cndmask_b32_e64 v12, 0, 1, s[12:13]
.LBB49_441:
	s_or_b64 exec, exec, s[4:5]
	v_or_b32_e32 v10, 0xc00, v0
	v_cmp_gt_i32_e32 vcc, s33, v10
                                        ; implicit-def: $vgpr10
	s_and_saveexec_b64 s[4:5], vcc
	s_cbranch_execz .LBB49_456
; %bb.442:
	s_cmp_lt_i32 s48, 1
	s_mov_b64 s[6:7], 0
	s_cbranch_scc1 .LBB49_447
; %bb.443:
	s_cmp_gt_i32 s48, 1
	s_cbranch_scc0 .LBB49_448
; %bb.444:
	s_cmp_eq_u32 s48, 2
	s_cbranch_scc0 .LBB49_546
; %bb.445:
	v_cmp_ge_i64_e64 s[12:13], s[8:9], v[8:9]
	s_mov_b64 s[14:15], 0
	s_branch .LBB49_450
.LBB49_446:
	v_cmp_gt_i64_e32 vcc, s[8:9], v[10:11]
	s_andn2_b64 s[12:13], s[12:13], exec
	s_and_b64 s[14:15], vcc, exec
	s_or_b64 s[12:13], s[12:13], s[14:15]
	s_cbranch_execz .LBB49_439
	s_branch .LBB49_440
.LBB49_447:
                                        ; implicit-def: $sgpr12_sgpr13
	s_mov_b64 s[14:15], 0
	s_cbranch_execnz .LBB49_451
	s_branch .LBB49_452
.LBB49_448:
	s_mov_b64 s[14:15], 0
                                        ; implicit-def: $sgpr12_sgpr13
	s_cbranch_execz .LBB49_450
; %bb.449:
	v_cmp_lt_i64_e32 vcc, s[8:9], v[8:9]
	s_andn2_b64 s[12:13], s[12:13], exec
	s_and_b64 s[16:17], vcc, exec
	s_or_b64 s[12:13], s[12:13], s[16:17]
.LBB49_450:
	s_branch .LBB49_452
.LBB49_451:
	s_cmp_lg_u32 s48, 0
	s_mov_b64 s[6:7], -1
	s_cselect_b64 s[14:15], -1, 0
.LBB49_452:
	s_andn2_b64 vcc, exec, s[14:15]
	s_cbranch_vccz .LBB49_461
; %bb.453:
	s_andn2_b64 vcc, exec, s[6:7]
	s_cbranch_vccnz .LBB49_455
.LBB49_454:
	v_cmp_le_i64_e32 vcc, s[8:9], v[8:9]
	s_andn2_b64 s[6:7], s[12:13], exec
	s_and_b64 s[12:13], vcc, exec
	s_or_b64 s[12:13], s[6:7], s[12:13]
.LBB49_455:
	v_cndmask_b32_e64 v10, 0, 1, s[12:13]
.LBB49_456:
	s_or_b64 exec, exec, s[4:5]
	v_or_b32_e32 v8, 0xd00, v0
	v_cmp_gt_i32_e32 vcc, s33, v8
                                        ; implicit-def: $vgpr8
	s_and_saveexec_b64 s[4:5], vcc
	s_cbranch_execz .LBB49_471
; %bb.457:
	s_cmp_lt_i32 s48, 1
	s_mov_b64 s[6:7], 0
	s_cbranch_scc1 .LBB49_462
; %bb.458:
	s_cmp_gt_i32 s48, 1
	s_cbranch_scc0 .LBB49_463
; %bb.459:
	s_cmp_eq_u32 s48, 2
	s_cbranch_scc0 .LBB49_547
; %bb.460:
	v_cmp_ge_i64_e64 s[12:13], s[8:9], v[6:7]
	s_mov_b64 s[14:15], 0
	s_branch .LBB49_465
.LBB49_461:
	v_cmp_gt_i64_e32 vcc, s[8:9], v[8:9]
	s_andn2_b64 s[12:13], s[12:13], exec
	s_and_b64 s[14:15], vcc, exec
	s_or_b64 s[12:13], s[12:13], s[14:15]
	s_cbranch_execz .LBB49_454
	s_branch .LBB49_455
.LBB49_462:
                                        ; implicit-def: $sgpr12_sgpr13
	s_mov_b64 s[14:15], 0
	s_cbranch_execnz .LBB49_466
	s_branch .LBB49_467
.LBB49_463:
	s_mov_b64 s[14:15], 0
                                        ; implicit-def: $sgpr12_sgpr13
	s_cbranch_execz .LBB49_465
; %bb.464:
	v_cmp_lt_i64_e32 vcc, s[8:9], v[6:7]
	s_andn2_b64 s[12:13], s[12:13], exec
	s_and_b64 s[16:17], vcc, exec
	s_or_b64 s[12:13], s[12:13], s[16:17]
.LBB49_465:
	s_branch .LBB49_467
.LBB49_466:
	s_cmp_lg_u32 s48, 0
	s_mov_b64 s[6:7], -1
	s_cselect_b64 s[14:15], -1, 0
.LBB49_467:
	s_andn2_b64 vcc, exec, s[14:15]
	s_cbranch_vccz .LBB49_476
; %bb.468:
	s_andn2_b64 vcc, exec, s[6:7]
	s_cbranch_vccnz .LBB49_470
.LBB49_469:
	v_cmp_le_i64_e32 vcc, s[8:9], v[6:7]
	s_andn2_b64 s[6:7], s[12:13], exec
	s_and_b64 s[12:13], vcc, exec
	s_or_b64 s[12:13], s[6:7], s[12:13]
.LBB49_470:
	v_cndmask_b32_e64 v8, 0, 1, s[12:13]
.LBB49_471:
	s_or_b64 exec, exec, s[4:5]
	v_or_b32_e32 v6, 0xe00, v0
	v_cmp_gt_i32_e32 vcc, s33, v6
                                        ; implicit-def: $vgpr6
	s_and_saveexec_b64 s[4:5], vcc
	s_cbranch_execz .LBB49_486
; %bb.472:
	s_cmp_lt_i32 s48, 1
	s_mov_b64 s[6:7], 0
	s_cbranch_scc1 .LBB49_477
; %bb.473:
	s_cmp_gt_i32 s48, 1
	s_cbranch_scc0 .LBB49_478
; %bb.474:
	s_cmp_eq_u32 s48, 2
	s_cbranch_scc0 .LBB49_548
; %bb.475:
	v_cmp_ge_i64_e64 s[12:13], s[8:9], v[4:5]
	s_mov_b64 s[14:15], 0
	s_branch .LBB49_480
.LBB49_476:
	v_cmp_gt_i64_e32 vcc, s[8:9], v[6:7]
	s_andn2_b64 s[12:13], s[12:13], exec
	s_and_b64 s[14:15], vcc, exec
	s_or_b64 s[12:13], s[12:13], s[14:15]
	s_cbranch_execz .LBB49_469
	s_branch .LBB49_470
.LBB49_477:
                                        ; implicit-def: $sgpr12_sgpr13
	s_mov_b64 s[14:15], 0
	s_cbranch_execnz .LBB49_481
	s_branch .LBB49_482
.LBB49_478:
	s_mov_b64 s[14:15], 0
                                        ; implicit-def: $sgpr12_sgpr13
	s_cbranch_execz .LBB49_480
; %bb.479:
	v_cmp_lt_i64_e32 vcc, s[8:9], v[4:5]
	s_andn2_b64 s[12:13], s[12:13], exec
	s_and_b64 s[16:17], vcc, exec
	s_or_b64 s[12:13], s[12:13], s[16:17]
.LBB49_480:
	s_branch .LBB49_482
.LBB49_481:
	s_cmp_lg_u32 s48, 0
	s_mov_b64 s[6:7], -1
	s_cselect_b64 s[14:15], -1, 0
.LBB49_482:
	s_andn2_b64 vcc, exec, s[14:15]
	s_cbranch_vccz .LBB49_491
; %bb.483:
	s_andn2_b64 vcc, exec, s[6:7]
	s_cbranch_vccnz .LBB49_485
.LBB49_484:
	v_cmp_le_i64_e32 vcc, s[8:9], v[4:5]
	s_andn2_b64 s[6:7], s[12:13], exec
	s_and_b64 s[12:13], vcc, exec
	s_or_b64 s[12:13], s[6:7], s[12:13]
.LBB49_485:
	v_cndmask_b32_e64 v6, 0, 1, s[12:13]
.LBB49_486:
	s_or_b64 exec, exec, s[4:5]
	v_or_b32_e32 v4, 0xf00, v0
	v_cmp_gt_i32_e32 vcc, s33, v4
                                        ; implicit-def: $vgpr4
	s_and_saveexec_b64 s[4:5], vcc
	s_cbranch_execz .LBB49_501
; %bb.487:
	s_cmp_lt_i32 s48, 1
	s_mov_b64 s[6:7], 0
	s_cbranch_scc1 .LBB49_492
; %bb.488:
	s_cmp_gt_i32 s48, 1
	s_cbranch_scc0 .LBB49_493
; %bb.489:
	s_cmp_eq_u32 s48, 2
	s_cbranch_scc0 .LBB49_549
; %bb.490:
	v_cmp_ge_i64_e64 s[12:13], s[8:9], v[2:3]
	s_mov_b64 s[14:15], 0
	s_branch .LBB49_495
.LBB49_491:
	v_cmp_gt_i64_e32 vcc, s[8:9], v[4:5]
	s_andn2_b64 s[12:13], s[12:13], exec
	s_and_b64 s[14:15], vcc, exec
	s_or_b64 s[12:13], s[12:13], s[14:15]
	s_cbranch_execz .LBB49_484
	s_branch .LBB49_485
.LBB49_492:
                                        ; implicit-def: $sgpr12_sgpr13
	s_mov_b64 s[14:15], 0
	s_cbranch_execnz .LBB49_496
	s_branch .LBB49_497
.LBB49_493:
	s_mov_b64 s[14:15], 0
                                        ; implicit-def: $sgpr12_sgpr13
	s_cbranch_execz .LBB49_495
; %bb.494:
	v_cmp_lt_i64_e32 vcc, s[8:9], v[2:3]
	s_andn2_b64 s[12:13], s[12:13], exec
	s_and_b64 s[16:17], vcc, exec
	s_or_b64 s[12:13], s[12:13], s[16:17]
.LBB49_495:
	s_branch .LBB49_497
.LBB49_496:
	s_cmp_lg_u32 s48, 0
	s_mov_b64 s[6:7], -1
	s_cselect_b64 s[14:15], -1, 0
.LBB49_497:
	s_andn2_b64 vcc, exec, s[14:15]
	s_cbranch_vccz .LBB49_534
; %bb.498:
	s_andn2_b64 vcc, exec, s[6:7]
	s_cbranch_vccnz .LBB49_500
.LBB49_499:
	v_cmp_le_i64_e32 vcc, s[8:9], v[2:3]
	s_andn2_b64 s[6:7], s[12:13], exec
	s_and_b64 s[8:9], vcc, exec
	s_or_b64 s[12:13], s[6:7], s[8:9]
.LBB49_500:
	v_cndmask_b32_e64 v4, 0, 1, s[12:13]
.LBB49_501:
	s_or_b64 exec, exec, s[4:5]
	s_and_saveexec_b64 s[4:5], s[0:1]
	s_xor_b64 s[0:1], exec, s[4:5]
	s_cbranch_execz .LBB49_503
; %bb.502:
	v_mov_b32_e32 v0, v32
	global_store_byte v1, v34, s[10:11]
.LBB49_503:
	s_or_b64 exec, exec, s[0:1]
	v_cmp_gt_i32_e32 vcc, s33, v0
	s_and_saveexec_b64 s[0:1], vcc
	s_cbranch_execnz .LBB49_520
; %bb.504:
	s_or_b64 exec, exec, s[0:1]
	v_cmp_gt_i32_e32 vcc, s33, v0
	s_and_saveexec_b64 s[0:1], vcc
	s_cbranch_execnz .LBB49_521
.LBB49_505:
	s_or_b64 exec, exec, s[0:1]
	v_cmp_gt_i32_e32 vcc, s33, v0
	s_and_saveexec_b64 s[0:1], vcc
	s_cbranch_execnz .LBB49_522
.LBB49_506:
	s_or_b64 exec, exec, s[0:1]
	v_cmp_gt_i32_e32 vcc, s33, v0
	s_and_saveexec_b64 s[0:1], vcc
	s_cbranch_execnz .LBB49_523
.LBB49_507:
	s_or_b64 exec, exec, s[0:1]
	v_cmp_gt_i32_e32 vcc, s33, v0
	s_and_saveexec_b64 s[0:1], vcc
	s_cbranch_execnz .LBB49_524
.LBB49_508:
	s_or_b64 exec, exec, s[0:1]
	v_cmp_gt_i32_e32 vcc, s33, v0
	s_and_saveexec_b64 s[0:1], vcc
	s_cbranch_execnz .LBB49_525
.LBB49_509:
	s_or_b64 exec, exec, s[0:1]
	v_cmp_gt_i32_e32 vcc, s33, v0
	s_and_saveexec_b64 s[0:1], vcc
	s_cbranch_execnz .LBB49_526
.LBB49_510:
	s_or_b64 exec, exec, s[0:1]
	v_cmp_gt_i32_e32 vcc, s33, v0
	s_and_saveexec_b64 s[0:1], vcc
	s_cbranch_execnz .LBB49_527
.LBB49_511:
	s_or_b64 exec, exec, s[0:1]
	v_cmp_gt_i32_e32 vcc, s33, v0
	s_and_saveexec_b64 s[0:1], vcc
	s_cbranch_execnz .LBB49_528
.LBB49_512:
	s_or_b64 exec, exec, s[0:1]
	v_cmp_gt_i32_e32 vcc, s33, v0
	s_and_saveexec_b64 s[0:1], vcc
	s_cbranch_execnz .LBB49_529
.LBB49_513:
	s_or_b64 exec, exec, s[0:1]
	v_cmp_gt_i32_e32 vcc, s33, v0
	s_and_saveexec_b64 s[0:1], vcc
	s_cbranch_execnz .LBB49_530
.LBB49_514:
	s_or_b64 exec, exec, s[0:1]
	v_cmp_gt_i32_e32 vcc, s33, v0
	s_and_saveexec_b64 s[0:1], vcc
	s_cbranch_execnz .LBB49_531
.LBB49_515:
	s_or_b64 exec, exec, s[0:1]
	v_cmp_gt_i32_e32 vcc, s33, v0
	s_and_saveexec_b64 s[0:1], vcc
	s_cbranch_execnz .LBB49_532
.LBB49_516:
	s_or_b64 exec, exec, s[0:1]
	v_cmp_gt_i32_e32 vcc, s33, v0
	s_and_saveexec_b64 s[0:1], vcc
	s_cbranch_execnz .LBB49_533
.LBB49_517:
	s_or_b64 exec, exec, s[0:1]
	v_cmp_gt_i32_e32 vcc, s33, v0
	s_and_saveexec_b64 s[0:1], vcc
	s_cbranch_execz .LBB49_519
.LBB49_518:
	v_add_u32_e32 v0, s2, v0
	global_store_byte v0, v4, s[10:11]
.LBB49_519:
	s_endpgm
.LBB49_520:
	v_add_u32_e32 v1, s2, v0
	v_add_u32_e32 v0, 0x100, v0
	global_store_byte v1, v33, s[10:11]
	s_or_b64 exec, exec, s[0:1]
	v_cmp_gt_i32_e32 vcc, s33, v0
	s_and_saveexec_b64 s[0:1], vcc
	s_cbranch_execz .LBB49_505
.LBB49_521:
	v_add_u32_e32 v1, s2, v0
	v_add_u32_e32 v0, 0x100, v0
	global_store_byte v1, v30, s[10:11]
	s_or_b64 exec, exec, s[0:1]
	v_cmp_gt_i32_e32 vcc, s33, v0
	s_and_saveexec_b64 s[0:1], vcc
	s_cbranch_execz .LBB49_506
.LBB49_522:
	v_add_u32_e32 v1, s2, v0
	v_add_u32_e32 v0, 0x100, v0
	global_store_byte v1, v28, s[10:11]
	s_or_b64 exec, exec, s[0:1]
	v_cmp_gt_i32_e32 vcc, s33, v0
	s_and_saveexec_b64 s[0:1], vcc
	s_cbranch_execz .LBB49_507
.LBB49_523:
	v_add_u32_e32 v1, s2, v0
	v_add_u32_e32 v0, 0x100, v0
	global_store_byte v1, v26, s[10:11]
	s_or_b64 exec, exec, s[0:1]
	v_cmp_gt_i32_e32 vcc, s33, v0
	s_and_saveexec_b64 s[0:1], vcc
	s_cbranch_execz .LBB49_508
.LBB49_524:
	v_add_u32_e32 v1, s2, v0
	v_add_u32_e32 v0, 0x100, v0
	global_store_byte v1, v24, s[10:11]
	s_or_b64 exec, exec, s[0:1]
	v_cmp_gt_i32_e32 vcc, s33, v0
	s_and_saveexec_b64 s[0:1], vcc
	s_cbranch_execz .LBB49_509
.LBB49_525:
	v_add_u32_e32 v1, s2, v0
	v_add_u32_e32 v0, 0x100, v0
	global_store_byte v1, v22, s[10:11]
	s_or_b64 exec, exec, s[0:1]
	v_cmp_gt_i32_e32 vcc, s33, v0
	s_and_saveexec_b64 s[0:1], vcc
	s_cbranch_execz .LBB49_510
.LBB49_526:
	v_add_u32_e32 v1, s2, v0
	v_add_u32_e32 v0, 0x100, v0
	global_store_byte v1, v20, s[10:11]
	s_or_b64 exec, exec, s[0:1]
	v_cmp_gt_i32_e32 vcc, s33, v0
	s_and_saveexec_b64 s[0:1], vcc
	s_cbranch_execz .LBB49_511
.LBB49_527:
	v_add_u32_e32 v1, s2, v0
	v_add_u32_e32 v0, 0x100, v0
	global_store_byte v1, v18, s[10:11]
	s_or_b64 exec, exec, s[0:1]
	v_cmp_gt_i32_e32 vcc, s33, v0
	s_and_saveexec_b64 s[0:1], vcc
	s_cbranch_execz .LBB49_512
.LBB49_528:
	v_add_u32_e32 v1, s2, v0
	v_add_u32_e32 v0, 0x100, v0
	global_store_byte v1, v16, s[10:11]
	s_or_b64 exec, exec, s[0:1]
	v_cmp_gt_i32_e32 vcc, s33, v0
	s_and_saveexec_b64 s[0:1], vcc
	s_cbranch_execz .LBB49_513
.LBB49_529:
	v_add_u32_e32 v1, s2, v0
	v_add_u32_e32 v0, 0x100, v0
	global_store_byte v1, v14, s[10:11]
	s_or_b64 exec, exec, s[0:1]
	v_cmp_gt_i32_e32 vcc, s33, v0
	s_and_saveexec_b64 s[0:1], vcc
	s_cbranch_execz .LBB49_514
.LBB49_530:
	v_add_u32_e32 v1, s2, v0
	v_add_u32_e32 v0, 0x100, v0
	global_store_byte v1, v12, s[10:11]
	s_or_b64 exec, exec, s[0:1]
	v_cmp_gt_i32_e32 vcc, s33, v0
	s_and_saveexec_b64 s[0:1], vcc
	s_cbranch_execz .LBB49_515
.LBB49_531:
	v_add_u32_e32 v1, s2, v0
	v_add_u32_e32 v0, 0x100, v0
	global_store_byte v1, v10, s[10:11]
	s_or_b64 exec, exec, s[0:1]
	v_cmp_gt_i32_e32 vcc, s33, v0
	s_and_saveexec_b64 s[0:1], vcc
	s_cbranch_execz .LBB49_516
.LBB49_532:
	v_add_u32_e32 v1, s2, v0
	v_add_u32_e32 v0, 0x100, v0
	global_store_byte v1, v8, s[10:11]
	s_or_b64 exec, exec, s[0:1]
	v_cmp_gt_i32_e32 vcc, s33, v0
	s_and_saveexec_b64 s[0:1], vcc
	s_cbranch_execz .LBB49_517
.LBB49_533:
	v_add_u32_e32 v1, s2, v0
	v_add_u32_e32 v0, 0x100, v0
	global_store_byte v1, v6, s[10:11]
	s_or_b64 exec, exec, s[0:1]
	v_cmp_gt_i32_e32 vcc, s33, v0
	s_and_saveexec_b64 s[0:1], vcc
	s_cbranch_execnz .LBB49_518
	s_branch .LBB49_519
.LBB49_534:
	v_cmp_gt_i64_e32 vcc, s[8:9], v[2:3]
	s_andn2_b64 s[12:13], s[12:13], exec
	s_and_b64 s[14:15], vcc, exec
	s_or_b64 s[12:13], s[12:13], s[14:15]
	s_cbranch_execz .LBB49_499
	s_branch .LBB49_500
.LBB49_535:
	s_mov_b64 s[14:15], -1
                                        ; implicit-def: $sgpr12_sgpr13
	s_branch .LBB49_285
.LBB49_536:
	s_mov_b64 s[14:15], -1
                                        ; implicit-def: $sgpr12_sgpr13
	s_branch .LBB49_300
.LBB49_537:
	s_mov_b64 s[14:15], -1
                                        ; implicit-def: $sgpr12_sgpr13
	s_branch .LBB49_315
.LBB49_538:
	s_mov_b64 s[14:15], -1
                                        ; implicit-def: $sgpr12_sgpr13
	s_branch .LBB49_330
.LBB49_539:
	s_mov_b64 s[14:15], -1
                                        ; implicit-def: $sgpr12_sgpr13
	s_branch .LBB49_345
.LBB49_540:
	s_mov_b64 s[14:15], -1
                                        ; implicit-def: $sgpr12_sgpr13
	s_branch .LBB49_360
.LBB49_541:
	s_mov_b64 s[14:15], -1
                                        ; implicit-def: $sgpr12_sgpr13
	s_branch .LBB49_375
.LBB49_542:
	s_mov_b64 s[14:15], -1
                                        ; implicit-def: $sgpr12_sgpr13
	s_branch .LBB49_390
.LBB49_543:
	s_mov_b64 s[14:15], -1
                                        ; implicit-def: $sgpr12_sgpr13
	s_branch .LBB49_405
.LBB49_544:
	s_mov_b64 s[14:15], -1
                                        ; implicit-def: $sgpr12_sgpr13
	s_branch .LBB49_420
.LBB49_545:
	s_mov_b64 s[14:15], -1
                                        ; implicit-def: $sgpr12_sgpr13
	s_branch .LBB49_435
.LBB49_546:
	s_mov_b64 s[14:15], -1
                                        ; implicit-def: $sgpr12_sgpr13
	s_branch .LBB49_450
.LBB49_547:
	s_mov_b64 s[14:15], -1
                                        ; implicit-def: $sgpr12_sgpr13
	s_branch .LBB49_465
.LBB49_548:
	s_mov_b64 s[14:15], -1
                                        ; implicit-def: $sgpr12_sgpr13
	s_branch .LBB49_480
.LBB49_549:
	s_mov_b64 s[14:15], -1
                                        ; implicit-def: $sgpr12_sgpr13
	s_branch .LBB49_495
	.section	.rodata,"a",@progbits
	.p2align	6, 0x0
	.amdhsa_kernel _ZN2at6native29vectorized_elementwise_kernelILi8EZNS0_21compare_scalar_kernelIlEEvRNS_18TensorIteratorBaseENS0_12_GLOBAL__N_16OpTypeET_EUllE_St5arrayIPcLm2EEEEviT0_T1_
		.amdhsa_group_segment_fixed_size 0
		.amdhsa_private_segment_fixed_size 0
		.amdhsa_kernarg_size 40
		.amdhsa_user_sgpr_count 6
		.amdhsa_user_sgpr_private_segment_buffer 1
		.amdhsa_user_sgpr_dispatch_ptr 0
		.amdhsa_user_sgpr_queue_ptr 0
		.amdhsa_user_sgpr_kernarg_segment_ptr 1
		.amdhsa_user_sgpr_dispatch_id 0
		.amdhsa_user_sgpr_flat_scratch_init 0
		.amdhsa_user_sgpr_private_segment_size 0
		.amdhsa_uses_dynamic_stack 0
		.amdhsa_system_sgpr_private_segment_wavefront_offset 0
		.amdhsa_system_sgpr_workgroup_id_x 1
		.amdhsa_system_sgpr_workgroup_id_y 0
		.amdhsa_system_sgpr_workgroup_id_z 0
		.amdhsa_system_sgpr_workgroup_info 0
		.amdhsa_system_vgpr_workitem_id 0
		.amdhsa_next_free_vgpr 37
		.amdhsa_next_free_sgpr 49
		.amdhsa_reserve_vcc 1
		.amdhsa_reserve_flat_scratch 0
		.amdhsa_float_round_mode_32 0
		.amdhsa_float_round_mode_16_64 0
		.amdhsa_float_denorm_mode_32 3
		.amdhsa_float_denorm_mode_16_64 3
		.amdhsa_dx10_clamp 1
		.amdhsa_ieee_mode 1
		.amdhsa_fp16_overflow 0
		.amdhsa_exception_fp_ieee_invalid_op 0
		.amdhsa_exception_fp_denorm_src 0
		.amdhsa_exception_fp_ieee_div_zero 0
		.amdhsa_exception_fp_ieee_overflow 0
		.amdhsa_exception_fp_ieee_underflow 0
		.amdhsa_exception_fp_ieee_inexact 0
		.amdhsa_exception_int_div_zero 0
	.end_amdhsa_kernel
	.section	.text._ZN2at6native29vectorized_elementwise_kernelILi8EZNS0_21compare_scalar_kernelIlEEvRNS_18TensorIteratorBaseENS0_12_GLOBAL__N_16OpTypeET_EUllE_St5arrayIPcLm2EEEEviT0_T1_,"axG",@progbits,_ZN2at6native29vectorized_elementwise_kernelILi8EZNS0_21compare_scalar_kernelIlEEvRNS_18TensorIteratorBaseENS0_12_GLOBAL__N_16OpTypeET_EUllE_St5arrayIPcLm2EEEEviT0_T1_,comdat
.Lfunc_end49:
	.size	_ZN2at6native29vectorized_elementwise_kernelILi8EZNS0_21compare_scalar_kernelIlEEvRNS_18TensorIteratorBaseENS0_12_GLOBAL__N_16OpTypeET_EUllE_St5arrayIPcLm2EEEEviT0_T1_, .Lfunc_end49-_ZN2at6native29vectorized_elementwise_kernelILi8EZNS0_21compare_scalar_kernelIlEEvRNS_18TensorIteratorBaseENS0_12_GLOBAL__N_16OpTypeET_EUllE_St5arrayIPcLm2EEEEviT0_T1_
                                        ; -- End function
	.set _ZN2at6native29vectorized_elementwise_kernelILi8EZNS0_21compare_scalar_kernelIlEEvRNS_18TensorIteratorBaseENS0_12_GLOBAL__N_16OpTypeET_EUllE_St5arrayIPcLm2EEEEviT0_T1_.num_vgpr, 37
	.set _ZN2at6native29vectorized_elementwise_kernelILi8EZNS0_21compare_scalar_kernelIlEEvRNS_18TensorIteratorBaseENS0_12_GLOBAL__N_16OpTypeET_EUllE_St5arrayIPcLm2EEEEviT0_T1_.num_agpr, 0
	.set _ZN2at6native29vectorized_elementwise_kernelILi8EZNS0_21compare_scalar_kernelIlEEvRNS_18TensorIteratorBaseENS0_12_GLOBAL__N_16OpTypeET_EUllE_St5arrayIPcLm2EEEEviT0_T1_.numbered_sgpr, 49
	.set _ZN2at6native29vectorized_elementwise_kernelILi8EZNS0_21compare_scalar_kernelIlEEvRNS_18TensorIteratorBaseENS0_12_GLOBAL__N_16OpTypeET_EUllE_St5arrayIPcLm2EEEEviT0_T1_.num_named_barrier, 0
	.set _ZN2at6native29vectorized_elementwise_kernelILi8EZNS0_21compare_scalar_kernelIlEEvRNS_18TensorIteratorBaseENS0_12_GLOBAL__N_16OpTypeET_EUllE_St5arrayIPcLm2EEEEviT0_T1_.private_seg_size, 0
	.set _ZN2at6native29vectorized_elementwise_kernelILi8EZNS0_21compare_scalar_kernelIlEEvRNS_18TensorIteratorBaseENS0_12_GLOBAL__N_16OpTypeET_EUllE_St5arrayIPcLm2EEEEviT0_T1_.uses_vcc, 1
	.set _ZN2at6native29vectorized_elementwise_kernelILi8EZNS0_21compare_scalar_kernelIlEEvRNS_18TensorIteratorBaseENS0_12_GLOBAL__N_16OpTypeET_EUllE_St5arrayIPcLm2EEEEviT0_T1_.uses_flat_scratch, 0
	.set _ZN2at6native29vectorized_elementwise_kernelILi8EZNS0_21compare_scalar_kernelIlEEvRNS_18TensorIteratorBaseENS0_12_GLOBAL__N_16OpTypeET_EUllE_St5arrayIPcLm2EEEEviT0_T1_.has_dyn_sized_stack, 0
	.set _ZN2at6native29vectorized_elementwise_kernelILi8EZNS0_21compare_scalar_kernelIlEEvRNS_18TensorIteratorBaseENS0_12_GLOBAL__N_16OpTypeET_EUllE_St5arrayIPcLm2EEEEviT0_T1_.has_recursion, 0
	.set _ZN2at6native29vectorized_elementwise_kernelILi8EZNS0_21compare_scalar_kernelIlEEvRNS_18TensorIteratorBaseENS0_12_GLOBAL__N_16OpTypeET_EUllE_St5arrayIPcLm2EEEEviT0_T1_.has_indirect_call, 0
	.section	.AMDGPU.csdata,"",@progbits
; Kernel info:
; codeLenInByte = 8408
; TotalNumSgprs: 53
; NumVgprs: 37
; ScratchSize: 0
; MemoryBound: 1
; FloatMode: 240
; IeeeMode: 1
; LDSByteSize: 0 bytes/workgroup (compile time only)
; SGPRBlocks: 6
; VGPRBlocks: 9
; NumSGPRsForWavesPerEU: 53
; NumVGPRsForWavesPerEU: 37
; Occupancy: 6
; WaveLimiterHint : 1
; COMPUTE_PGM_RSRC2:SCRATCH_EN: 0
; COMPUTE_PGM_RSRC2:USER_SGPR: 6
; COMPUTE_PGM_RSRC2:TRAP_HANDLER: 0
; COMPUTE_PGM_RSRC2:TGID_X_EN: 1
; COMPUTE_PGM_RSRC2:TGID_Y_EN: 0
; COMPUTE_PGM_RSRC2:TGID_Z_EN: 0
; COMPUTE_PGM_RSRC2:TIDIG_COMP_CNT: 0
	.section	.text._ZN2at6native29vectorized_elementwise_kernelILi4EZNS0_21compare_scalar_kernelIlEEvRNS_18TensorIteratorBaseENS0_12_GLOBAL__N_16OpTypeET_EUllE_St5arrayIPcLm2EEEEviT0_T1_,"axG",@progbits,_ZN2at6native29vectorized_elementwise_kernelILi4EZNS0_21compare_scalar_kernelIlEEvRNS_18TensorIteratorBaseENS0_12_GLOBAL__N_16OpTypeET_EUllE_St5arrayIPcLm2EEEEviT0_T1_,comdat
	.globl	_ZN2at6native29vectorized_elementwise_kernelILi4EZNS0_21compare_scalar_kernelIlEEvRNS_18TensorIteratorBaseENS0_12_GLOBAL__N_16OpTypeET_EUllE_St5arrayIPcLm2EEEEviT0_T1_ ; -- Begin function _ZN2at6native29vectorized_elementwise_kernelILi4EZNS0_21compare_scalar_kernelIlEEvRNS_18TensorIteratorBaseENS0_12_GLOBAL__N_16OpTypeET_EUllE_St5arrayIPcLm2EEEEviT0_T1_
	.p2align	8
	.type	_ZN2at6native29vectorized_elementwise_kernelILi4EZNS0_21compare_scalar_kernelIlEEvRNS_18TensorIteratorBaseENS0_12_GLOBAL__N_16OpTypeET_EUllE_St5arrayIPcLm2EEEEviT0_T1_,@function
_ZN2at6native29vectorized_elementwise_kernelILi4EZNS0_21compare_scalar_kernelIlEEvRNS_18TensorIteratorBaseENS0_12_GLOBAL__N_16OpTypeET_EUllE_St5arrayIPcLm2EEEEviT0_T1_: ; @_ZN2at6native29vectorized_elementwise_kernelILi4EZNS0_21compare_scalar_kernelIlEEvRNS_18TensorIteratorBaseENS0_12_GLOBAL__N_16OpTypeET_EUllE_St5arrayIPcLm2EEEEviT0_T1_
; %bb.0:
	s_load_dword s0, s[4:5], 0x0
	s_load_dword s48, s[4:5], 0x8
	s_load_dwordx4 s[8:11], s[4:5], 0x10
	s_load_dwordx2 s[12:13], s[4:5], 0x20
	s_lshl_b32 s2, s6, 12
	s_waitcnt lgkmcnt(0)
	s_sub_i32 s33, s0, s2
	s_cmpk_gt_i32 s33, 0xfff
	s_mov_b64 s[0:1], -1
	s_cbranch_scc0 .LBB50_211
; %bb.1:
	s_ashr_i32 s3, s2, 31
	s_lshl_b64 s[0:1], s[2:3], 3
	s_add_u32 s0, s12, s0
	s_addc_u32 s1, s13, s1
	v_lshlrev_b32_e32 v1, 5, v0
	v_mov_b32_e32 v2, s1
	v_add_co_u32_e32 v5, vcc, s0, v1
	v_addc_co_u32_e32 v6, vcc, 0, v2, vcc
	global_load_dwordx4 v[25:28], v1, s[0:1] offset:16
	global_load_dwordx4 v[29:32], v1, s[0:1]
	v_add_co_u32_e32 v1, vcc, 0x2000, v5
	v_addc_co_u32_e64 v2, s[0:1], 0, v6, vcc
	v_addc_co_u32_e32 v4, vcc, 0, v6, vcc
	v_mov_b32_e32 v3, v1
	global_load_dwordx4 v[21:24], v[3:4], off
	global_load_dwordx4 v[17:20], v[1:2], off offset:16
	v_add_co_u32_e32 v1, vcc, 0x4000, v5
	v_addc_co_u32_e64 v2, s[0:1], 0, v6, vcc
	v_addc_co_u32_e32 v4, vcc, 0, v6, vcc
	v_add_co_u32_e32 v33, vcc, 0x6000, v5
	v_mov_b32_e32 v3, v1
	v_addc_co_u32_e64 v34, s[0:1], 0, v6, vcc
	v_addc_co_u32_e32 v36, vcc, 0, v6, vcc
	v_mov_b32_e32 v35, v33
	global_load_dwordx4 v[13:16], v[3:4], off
	global_load_dwordx4 v[9:12], v[1:2], off offset:16
	global_load_dwordx4 v[5:8], v[35:36], off
	s_nop 0
	global_load_dwordx4 v[1:4], v[33:34], off offset:16
	s_cmp_lt_i32 s48, 1
	s_mov_b64 s[4:5], 0
	s_cbranch_scc1 .LBB50_5
; %bb.2:
	s_cmp_gt_i32 s48, 1
	s_cbranch_scc0 .LBB50_6
; %bb.3:
	s_cmp_eq_u32 s48, 2
	s_cbranch_scc0 .LBB50_7
; %bb.4:
	s_waitcnt vmcnt(6)
	v_cmp_ge_i64_e64 s[0:1], s[8:9], v[29:30]
	s_mov_b64 s[6:7], 0
	s_branch .LBB50_8
.LBB50_5:
                                        ; implicit-def: $sgpr0_sgpr1
	s_mov_b64 s[6:7], 0
	s_cbranch_execnz .LBB50_11
	s_branch .LBB50_12
.LBB50_6:
	s_mov_b64 s[6:7], 0
                                        ; implicit-def: $sgpr0_sgpr1
	s_cbranch_execnz .LBB50_9
	s_branch .LBB50_10
.LBB50_7:
	s_mov_b64 s[6:7], -1
                                        ; implicit-def: $sgpr0_sgpr1
.LBB50_8:
	s_branch .LBB50_10
.LBB50_9:
	s_waitcnt vmcnt(6)
	v_cmp_lt_i64_e32 vcc, s[8:9], v[29:30]
	s_andn2_b64 s[0:1], s[0:1], exec
	s_and_b64 s[14:15], vcc, exec
	s_or_b64 s[0:1], s[0:1], s[14:15]
.LBB50_10:
	s_branch .LBB50_12
.LBB50_11:
	s_cmp_lg_u32 s48, 0
	s_mov_b64 s[4:5], -1
	s_cselect_b64 s[6:7], -1, 0
.LBB50_12:
	s_andn2_b64 vcc, exec, s[6:7]
	s_cbranch_vccz .LBB50_18
; %bb.13:
	s_andn2_b64 vcc, exec, s[4:5]
	s_cbranch_vccz .LBB50_19
.LBB50_14:
	s_cmp_lt_i32 s48, 1
	s_mov_b64 s[6:7], 0
	s_cbranch_scc1 .LBB50_20
.LBB50_15:
	s_cmp_gt_i32 s48, 1
	s_cbranch_scc0 .LBB50_21
; %bb.16:
	s_cmp_eq_u32 s48, 2
	s_cbranch_scc0 .LBB50_251
; %bb.17:
	s_waitcnt vmcnt(6)
	v_cmp_ge_i64_e64 s[4:5], s[8:9], v[31:32]
	s_mov_b64 s[14:15], 0
	s_branch .LBB50_23
.LBB50_18:
	s_waitcnt vmcnt(6)
	v_cmp_gt_i64_e32 vcc, s[8:9], v[29:30]
	s_andn2_b64 s[0:1], s[0:1], exec
	s_and_b64 s[6:7], vcc, exec
	s_or_b64 s[0:1], s[0:1], s[6:7]
	s_cbranch_execnz .LBB50_14
.LBB50_19:
	s_waitcnt vmcnt(6)
	v_cmp_le_i64_e32 vcc, s[8:9], v[29:30]
	s_andn2_b64 s[0:1], s[0:1], exec
	s_and_b64 s[4:5], vcc, exec
	s_or_b64 s[0:1], s[0:1], s[4:5]
	s_cmp_lt_i32 s48, 1
	s_mov_b64 s[6:7], 0
	s_cbranch_scc0 .LBB50_15
.LBB50_20:
                                        ; implicit-def: $sgpr4_sgpr5
	s_mov_b64 s[14:15], 0
	s_cbranch_execnz .LBB50_24
	s_branch .LBB50_25
.LBB50_21:
	s_mov_b64 s[14:15], 0
                                        ; implicit-def: $sgpr4_sgpr5
	s_cbranch_execz .LBB50_23
; %bb.22:
	s_waitcnt vmcnt(6)
	v_cmp_lt_i64_e32 vcc, s[8:9], v[31:32]
	s_andn2_b64 s[4:5], s[4:5], exec
	s_and_b64 s[16:17], vcc, exec
	s_or_b64 s[4:5], s[4:5], s[16:17]
.LBB50_23:
	s_branch .LBB50_25
.LBB50_24:
	s_cmp_lg_u32 s48, 0
	s_mov_b64 s[6:7], -1
	s_cselect_b64 s[14:15], -1, 0
.LBB50_25:
	s_andn2_b64 vcc, exec, s[14:15]
	s_cbranch_vccz .LBB50_31
; %bb.26:
	s_andn2_b64 vcc, exec, s[6:7]
	s_cbranch_vccz .LBB50_32
.LBB50_27:
	s_cmp_lt_i32 s48, 1
	s_mov_b64 s[14:15], 0
	s_cbranch_scc1 .LBB50_33
.LBB50_28:
	s_cmp_gt_i32 s48, 1
	s_cbranch_scc0 .LBB50_34
; %bb.29:
	s_cmp_eq_u32 s48, 2
	s_cbranch_scc0 .LBB50_252
; %bb.30:
	s_waitcnt vmcnt(7)
	v_cmp_ge_i64_e64 s[6:7], s[8:9], v[25:26]
	s_mov_b64 s[16:17], 0
	s_branch .LBB50_36
.LBB50_31:
	s_waitcnt vmcnt(6)
	v_cmp_gt_i64_e32 vcc, s[8:9], v[31:32]
	s_andn2_b64 s[4:5], s[4:5], exec
	s_and_b64 s[14:15], vcc, exec
	s_or_b64 s[4:5], s[4:5], s[14:15]
	s_cbranch_execnz .LBB50_27
.LBB50_32:
	s_waitcnt vmcnt(6)
	v_cmp_le_i64_e32 vcc, s[8:9], v[31:32]
	s_andn2_b64 s[4:5], s[4:5], exec
	s_and_b64 s[6:7], vcc, exec
	s_or_b64 s[4:5], s[4:5], s[6:7]
	s_cmp_lt_i32 s48, 1
	s_mov_b64 s[14:15], 0
	s_cbranch_scc0 .LBB50_28
.LBB50_33:
                                        ; implicit-def: $sgpr6_sgpr7
	s_mov_b64 s[16:17], 0
	s_cbranch_execnz .LBB50_37
	s_branch .LBB50_38
.LBB50_34:
	s_mov_b64 s[16:17], 0
                                        ; implicit-def: $sgpr6_sgpr7
	s_cbranch_execz .LBB50_36
; %bb.35:
	s_waitcnt vmcnt(7)
	v_cmp_lt_i64_e32 vcc, s[8:9], v[25:26]
	s_andn2_b64 s[6:7], s[6:7], exec
	s_and_b64 s[18:19], vcc, exec
	s_or_b64 s[6:7], s[6:7], s[18:19]
.LBB50_36:
	s_branch .LBB50_38
.LBB50_37:
	s_cmp_lg_u32 s48, 0
	s_mov_b64 s[14:15], -1
	s_cselect_b64 s[16:17], -1, 0
.LBB50_38:
	s_andn2_b64 vcc, exec, s[16:17]
	s_cbranch_vccz .LBB50_44
; %bb.39:
	s_andn2_b64 vcc, exec, s[14:15]
	s_cbranch_vccz .LBB50_45
.LBB50_40:
	s_cmp_lt_i32 s48, 1
	s_mov_b64 s[16:17], 0
	s_cbranch_scc1 .LBB50_46
.LBB50_41:
	s_cmp_gt_i32 s48, 1
	s_cbranch_scc0 .LBB50_47
; %bb.42:
	s_cmp_eq_u32 s48, 2
	s_cbranch_scc0 .LBB50_253
; %bb.43:
	s_waitcnt vmcnt(7)
	v_cmp_ge_i64_e64 s[14:15], s[8:9], v[27:28]
	s_mov_b64 s[18:19], 0
	s_branch .LBB50_49
.LBB50_44:
	s_waitcnt vmcnt(7)
	v_cmp_gt_i64_e32 vcc, s[8:9], v[25:26]
	s_andn2_b64 s[6:7], s[6:7], exec
	s_and_b64 s[16:17], vcc, exec
	s_or_b64 s[6:7], s[6:7], s[16:17]
	s_cbranch_execnz .LBB50_40
.LBB50_45:
	s_waitcnt vmcnt(7)
	v_cmp_le_i64_e32 vcc, s[8:9], v[25:26]
	s_andn2_b64 s[6:7], s[6:7], exec
	s_and_b64 s[14:15], vcc, exec
	s_or_b64 s[6:7], s[6:7], s[14:15]
	s_cmp_lt_i32 s48, 1
	s_mov_b64 s[16:17], 0
	s_cbranch_scc0 .LBB50_41
.LBB50_46:
                                        ; implicit-def: $sgpr14_sgpr15
	s_mov_b64 s[18:19], 0
	s_cbranch_execnz .LBB50_50
	s_branch .LBB50_51
.LBB50_47:
	s_mov_b64 s[18:19], 0
                                        ; implicit-def: $sgpr14_sgpr15
	s_cbranch_execz .LBB50_49
; %bb.48:
	s_waitcnt vmcnt(7)
	v_cmp_lt_i64_e32 vcc, s[8:9], v[27:28]
	s_andn2_b64 s[14:15], s[14:15], exec
	s_and_b64 s[20:21], vcc, exec
	s_or_b64 s[14:15], s[14:15], s[20:21]
.LBB50_49:
	s_branch .LBB50_51
.LBB50_50:
	s_cmp_lg_u32 s48, 0
	s_mov_b64 s[16:17], -1
	s_cselect_b64 s[18:19], -1, 0
.LBB50_51:
	s_andn2_b64 vcc, exec, s[18:19]
	s_cbranch_vccz .LBB50_57
; %bb.52:
	s_andn2_b64 vcc, exec, s[16:17]
	s_cbranch_vccz .LBB50_58
.LBB50_53:
	s_cmp_lt_i32 s48, 1
	s_mov_b64 s[18:19], 0
	s_cbranch_scc1 .LBB50_59
.LBB50_54:
	s_cmp_gt_i32 s48, 1
	s_cbranch_scc0 .LBB50_60
; %bb.55:
	s_cmp_eq_u32 s48, 2
	s_cbranch_scc0 .LBB50_254
; %bb.56:
	s_waitcnt vmcnt(5)
	v_cmp_ge_i64_e64 s[16:17], s[8:9], v[21:22]
	s_mov_b64 s[20:21], 0
	s_branch .LBB50_62
.LBB50_57:
	s_waitcnt vmcnt(7)
	v_cmp_gt_i64_e32 vcc, s[8:9], v[27:28]
	s_andn2_b64 s[14:15], s[14:15], exec
	s_and_b64 s[18:19], vcc, exec
	s_or_b64 s[14:15], s[14:15], s[18:19]
	s_cbranch_execnz .LBB50_53
.LBB50_58:
	s_waitcnt vmcnt(7)
	v_cmp_le_i64_e32 vcc, s[8:9], v[27:28]
	s_andn2_b64 s[14:15], s[14:15], exec
	s_and_b64 s[16:17], vcc, exec
	s_or_b64 s[14:15], s[14:15], s[16:17]
	s_cmp_lt_i32 s48, 1
	s_mov_b64 s[18:19], 0
	s_cbranch_scc0 .LBB50_54
.LBB50_59:
                                        ; implicit-def: $sgpr16_sgpr17
	s_mov_b64 s[20:21], 0
	s_cbranch_execnz .LBB50_63
	s_branch .LBB50_64
.LBB50_60:
	s_mov_b64 s[20:21], 0
                                        ; implicit-def: $sgpr16_sgpr17
	s_cbranch_execz .LBB50_62
; %bb.61:
	s_waitcnt vmcnt(5)
	v_cmp_lt_i64_e32 vcc, s[8:9], v[21:22]
	s_andn2_b64 s[16:17], s[16:17], exec
	s_and_b64 s[22:23], vcc, exec
	s_or_b64 s[16:17], s[16:17], s[22:23]
.LBB50_62:
	s_branch .LBB50_64
.LBB50_63:
	s_cmp_lg_u32 s48, 0
	s_mov_b64 s[18:19], -1
	s_cselect_b64 s[20:21], -1, 0
.LBB50_64:
	s_andn2_b64 vcc, exec, s[20:21]
	s_cbranch_vccz .LBB50_70
; %bb.65:
	s_andn2_b64 vcc, exec, s[18:19]
	s_cbranch_vccz .LBB50_71
.LBB50_66:
	s_cmp_lt_i32 s48, 1
	s_mov_b64 s[20:21], 0
	s_cbranch_scc1 .LBB50_72
.LBB50_67:
	s_cmp_gt_i32 s48, 1
	s_cbranch_scc0 .LBB50_73
; %bb.68:
	s_cmp_eq_u32 s48, 2
	s_cbranch_scc0 .LBB50_255
; %bb.69:
	s_waitcnt vmcnt(5)
	v_cmp_ge_i64_e64 s[18:19], s[8:9], v[23:24]
	s_mov_b64 s[22:23], 0
	s_branch .LBB50_75
.LBB50_70:
	s_waitcnt vmcnt(5)
	v_cmp_gt_i64_e32 vcc, s[8:9], v[21:22]
	s_andn2_b64 s[16:17], s[16:17], exec
	s_and_b64 s[20:21], vcc, exec
	s_or_b64 s[16:17], s[16:17], s[20:21]
	s_cbranch_execnz .LBB50_66
.LBB50_71:
	s_waitcnt vmcnt(5)
	v_cmp_le_i64_e32 vcc, s[8:9], v[21:22]
	s_andn2_b64 s[16:17], s[16:17], exec
	s_and_b64 s[18:19], vcc, exec
	s_or_b64 s[16:17], s[16:17], s[18:19]
	s_cmp_lt_i32 s48, 1
	s_mov_b64 s[20:21], 0
	s_cbranch_scc0 .LBB50_67
.LBB50_72:
                                        ; implicit-def: $sgpr18_sgpr19
	s_mov_b64 s[22:23], 0
	s_cbranch_execnz .LBB50_76
	s_branch .LBB50_77
.LBB50_73:
	s_mov_b64 s[22:23], 0
                                        ; implicit-def: $sgpr18_sgpr19
	s_cbranch_execz .LBB50_75
; %bb.74:
	s_waitcnt vmcnt(5)
	v_cmp_lt_i64_e32 vcc, s[8:9], v[23:24]
	s_andn2_b64 s[18:19], s[18:19], exec
	s_and_b64 s[24:25], vcc, exec
	s_or_b64 s[18:19], s[18:19], s[24:25]
.LBB50_75:
	s_branch .LBB50_77
.LBB50_76:
	s_cmp_lg_u32 s48, 0
	s_mov_b64 s[20:21], -1
	s_cselect_b64 s[22:23], -1, 0
.LBB50_77:
	s_andn2_b64 vcc, exec, s[22:23]
	s_cbranch_vccz .LBB50_83
; %bb.78:
	s_andn2_b64 vcc, exec, s[20:21]
	s_cbranch_vccz .LBB50_84
.LBB50_79:
	s_cmp_lt_i32 s48, 1
	s_mov_b64 s[22:23], 0
	s_cbranch_scc1 .LBB50_85
.LBB50_80:
	s_cmp_gt_i32 s48, 1
	s_cbranch_scc0 .LBB50_86
; %bb.81:
	s_cmp_eq_u32 s48, 2
	s_cbranch_scc0 .LBB50_256
; %bb.82:
	s_waitcnt vmcnt(4)
	v_cmp_ge_i64_e64 s[20:21], s[8:9], v[17:18]
	s_mov_b64 s[24:25], 0
	s_branch .LBB50_88
.LBB50_83:
	s_waitcnt vmcnt(5)
	v_cmp_gt_i64_e32 vcc, s[8:9], v[23:24]
	s_andn2_b64 s[18:19], s[18:19], exec
	s_and_b64 s[22:23], vcc, exec
	s_or_b64 s[18:19], s[18:19], s[22:23]
	s_cbranch_execnz .LBB50_79
.LBB50_84:
	s_waitcnt vmcnt(5)
	v_cmp_le_i64_e32 vcc, s[8:9], v[23:24]
	s_andn2_b64 s[18:19], s[18:19], exec
	s_and_b64 s[20:21], vcc, exec
	s_or_b64 s[18:19], s[18:19], s[20:21]
	s_cmp_lt_i32 s48, 1
	s_mov_b64 s[22:23], 0
	s_cbranch_scc0 .LBB50_80
.LBB50_85:
                                        ; implicit-def: $sgpr20_sgpr21
	s_mov_b64 s[24:25], 0
	s_cbranch_execnz .LBB50_89
	s_branch .LBB50_90
.LBB50_86:
	s_mov_b64 s[24:25], 0
                                        ; implicit-def: $sgpr20_sgpr21
	s_cbranch_execz .LBB50_88
; %bb.87:
	s_waitcnt vmcnt(4)
	v_cmp_lt_i64_e32 vcc, s[8:9], v[17:18]
	s_andn2_b64 s[20:21], s[20:21], exec
	s_and_b64 s[26:27], vcc, exec
	s_or_b64 s[20:21], s[20:21], s[26:27]
.LBB50_88:
	s_branch .LBB50_90
.LBB50_89:
	s_cmp_lg_u32 s48, 0
	s_mov_b64 s[22:23], -1
	s_cselect_b64 s[24:25], -1, 0
.LBB50_90:
	s_andn2_b64 vcc, exec, s[24:25]
	s_cbranch_vccz .LBB50_96
; %bb.91:
	s_andn2_b64 vcc, exec, s[22:23]
	s_cbranch_vccz .LBB50_97
.LBB50_92:
	s_cmp_lt_i32 s48, 1
	s_mov_b64 s[24:25], 0
	s_cbranch_scc1 .LBB50_98
.LBB50_93:
	s_cmp_gt_i32 s48, 1
	s_cbranch_scc0 .LBB50_99
; %bb.94:
	s_cmp_eq_u32 s48, 2
	s_cbranch_scc0 .LBB50_257
; %bb.95:
	s_waitcnt vmcnt(4)
	v_cmp_ge_i64_e64 s[22:23], s[8:9], v[19:20]
	s_mov_b64 s[26:27], 0
	s_branch .LBB50_101
.LBB50_96:
	s_waitcnt vmcnt(4)
	v_cmp_gt_i64_e32 vcc, s[8:9], v[17:18]
	s_andn2_b64 s[20:21], s[20:21], exec
	s_and_b64 s[24:25], vcc, exec
	s_or_b64 s[20:21], s[20:21], s[24:25]
	s_cbranch_execnz .LBB50_92
.LBB50_97:
	s_waitcnt vmcnt(4)
	v_cmp_le_i64_e32 vcc, s[8:9], v[17:18]
	s_andn2_b64 s[20:21], s[20:21], exec
	s_and_b64 s[22:23], vcc, exec
	s_or_b64 s[20:21], s[20:21], s[22:23]
	s_cmp_lt_i32 s48, 1
	s_mov_b64 s[24:25], 0
	s_cbranch_scc0 .LBB50_93
.LBB50_98:
                                        ; implicit-def: $sgpr22_sgpr23
	s_mov_b64 s[26:27], 0
	s_cbranch_execnz .LBB50_102
	s_branch .LBB50_103
.LBB50_99:
	s_mov_b64 s[26:27], 0
                                        ; implicit-def: $sgpr22_sgpr23
	s_cbranch_execz .LBB50_101
; %bb.100:
	s_waitcnt vmcnt(4)
	v_cmp_lt_i64_e32 vcc, s[8:9], v[19:20]
	s_andn2_b64 s[22:23], s[22:23], exec
	s_and_b64 s[28:29], vcc, exec
	s_or_b64 s[22:23], s[22:23], s[28:29]
.LBB50_101:
	s_branch .LBB50_103
.LBB50_102:
	s_cmp_lg_u32 s48, 0
	s_mov_b64 s[24:25], -1
	s_cselect_b64 s[26:27], -1, 0
.LBB50_103:
	s_andn2_b64 vcc, exec, s[26:27]
	s_cbranch_vccz .LBB50_109
; %bb.104:
	s_andn2_b64 vcc, exec, s[24:25]
	s_cbranch_vccz .LBB50_110
.LBB50_105:
	s_cmp_lt_i32 s48, 1
	s_mov_b64 s[26:27], 0
	s_cbranch_scc1 .LBB50_111
.LBB50_106:
	s_cmp_gt_i32 s48, 1
	s_cbranch_scc0 .LBB50_112
; %bb.107:
	s_cmp_eq_u32 s48, 2
	s_cbranch_scc0 .LBB50_258
; %bb.108:
	s_waitcnt vmcnt(3)
	v_cmp_ge_i64_e64 s[24:25], s[8:9], v[13:14]
	s_mov_b64 s[28:29], 0
	s_branch .LBB50_114
.LBB50_109:
	s_waitcnt vmcnt(4)
	v_cmp_gt_i64_e32 vcc, s[8:9], v[19:20]
	s_andn2_b64 s[22:23], s[22:23], exec
	s_and_b64 s[26:27], vcc, exec
	s_or_b64 s[22:23], s[22:23], s[26:27]
	s_cbranch_execnz .LBB50_105
.LBB50_110:
	s_waitcnt vmcnt(4)
	v_cmp_le_i64_e32 vcc, s[8:9], v[19:20]
	s_andn2_b64 s[22:23], s[22:23], exec
	s_and_b64 s[24:25], vcc, exec
	s_or_b64 s[22:23], s[22:23], s[24:25]
	s_cmp_lt_i32 s48, 1
	s_mov_b64 s[26:27], 0
	s_cbranch_scc0 .LBB50_106
.LBB50_111:
                                        ; implicit-def: $sgpr24_sgpr25
	s_mov_b64 s[28:29], 0
	s_cbranch_execnz .LBB50_115
	s_branch .LBB50_116
.LBB50_112:
	s_mov_b64 s[28:29], 0
                                        ; implicit-def: $sgpr24_sgpr25
	s_cbranch_execz .LBB50_114
; %bb.113:
	s_waitcnt vmcnt(3)
	v_cmp_lt_i64_e32 vcc, s[8:9], v[13:14]
	s_andn2_b64 s[24:25], s[24:25], exec
	s_and_b64 s[30:31], vcc, exec
	s_or_b64 s[24:25], s[24:25], s[30:31]
.LBB50_114:
	s_branch .LBB50_116
.LBB50_115:
	s_cmp_lg_u32 s48, 0
	s_mov_b64 s[26:27], -1
	s_cselect_b64 s[28:29], -1, 0
.LBB50_116:
	s_andn2_b64 vcc, exec, s[28:29]
	s_cbranch_vccz .LBB50_122
; %bb.117:
	s_andn2_b64 vcc, exec, s[26:27]
	s_cbranch_vccz .LBB50_123
.LBB50_118:
	s_cmp_lt_i32 s48, 1
	s_mov_b64 s[28:29], 0
	s_cbranch_scc1 .LBB50_124
.LBB50_119:
	s_cmp_gt_i32 s48, 1
	s_cbranch_scc0 .LBB50_125
; %bb.120:
	s_cmp_eq_u32 s48, 2
	s_cbranch_scc0 .LBB50_259
; %bb.121:
	s_waitcnt vmcnt(3)
	v_cmp_ge_i64_e64 s[26:27], s[8:9], v[15:16]
	s_mov_b64 s[30:31], 0
	s_branch .LBB50_127
.LBB50_122:
	s_waitcnt vmcnt(3)
	v_cmp_gt_i64_e32 vcc, s[8:9], v[13:14]
	s_andn2_b64 s[24:25], s[24:25], exec
	s_and_b64 s[28:29], vcc, exec
	s_or_b64 s[24:25], s[24:25], s[28:29]
	s_cbranch_execnz .LBB50_118
.LBB50_123:
	s_waitcnt vmcnt(3)
	v_cmp_le_i64_e32 vcc, s[8:9], v[13:14]
	s_andn2_b64 s[24:25], s[24:25], exec
	s_and_b64 s[26:27], vcc, exec
	s_or_b64 s[24:25], s[24:25], s[26:27]
	s_cmp_lt_i32 s48, 1
	s_mov_b64 s[28:29], 0
	s_cbranch_scc0 .LBB50_119
.LBB50_124:
                                        ; implicit-def: $sgpr26_sgpr27
	s_mov_b64 s[30:31], 0
	s_cbranch_execnz .LBB50_128
	s_branch .LBB50_129
.LBB50_125:
	s_mov_b64 s[30:31], 0
                                        ; implicit-def: $sgpr26_sgpr27
	s_cbranch_execz .LBB50_127
; %bb.126:
	s_waitcnt vmcnt(3)
	v_cmp_lt_i64_e32 vcc, s[8:9], v[15:16]
	s_andn2_b64 s[26:27], s[26:27], exec
	s_and_b64 s[34:35], vcc, exec
	s_or_b64 s[26:27], s[26:27], s[34:35]
.LBB50_127:
	s_branch .LBB50_129
.LBB50_128:
	s_cmp_lg_u32 s48, 0
	s_mov_b64 s[28:29], -1
	s_cselect_b64 s[30:31], -1, 0
.LBB50_129:
	s_andn2_b64 vcc, exec, s[30:31]
	s_cbranch_vccz .LBB50_135
; %bb.130:
	s_andn2_b64 vcc, exec, s[28:29]
	s_cbranch_vccz .LBB50_136
.LBB50_131:
	s_cmp_lt_i32 s48, 1
	s_mov_b64 s[30:31], 0
	s_cbranch_scc1 .LBB50_137
.LBB50_132:
	s_cmp_gt_i32 s48, 1
	s_cbranch_scc0 .LBB50_138
; %bb.133:
	s_cmp_eq_u32 s48, 2
	s_cbranch_scc0 .LBB50_260
; %bb.134:
	s_waitcnt vmcnt(2)
	v_cmp_ge_i64_e64 s[28:29], s[8:9], v[9:10]
	s_mov_b64 s[34:35], 0
	s_branch .LBB50_140
.LBB50_135:
	s_waitcnt vmcnt(3)
	v_cmp_gt_i64_e32 vcc, s[8:9], v[15:16]
	s_andn2_b64 s[26:27], s[26:27], exec
	s_and_b64 s[30:31], vcc, exec
	s_or_b64 s[26:27], s[26:27], s[30:31]
	s_cbranch_execnz .LBB50_131
.LBB50_136:
	s_waitcnt vmcnt(3)
	v_cmp_le_i64_e32 vcc, s[8:9], v[15:16]
	s_andn2_b64 s[26:27], s[26:27], exec
	s_and_b64 s[28:29], vcc, exec
	s_or_b64 s[26:27], s[26:27], s[28:29]
	s_cmp_lt_i32 s48, 1
	s_mov_b64 s[30:31], 0
	s_cbranch_scc0 .LBB50_132
.LBB50_137:
                                        ; implicit-def: $sgpr28_sgpr29
	s_mov_b64 s[34:35], 0
	s_cbranch_execnz .LBB50_141
	s_branch .LBB50_142
.LBB50_138:
	s_mov_b64 s[34:35], 0
                                        ; implicit-def: $sgpr28_sgpr29
	s_cbranch_execz .LBB50_140
; %bb.139:
	s_waitcnt vmcnt(2)
	v_cmp_lt_i64_e32 vcc, s[8:9], v[9:10]
	s_andn2_b64 s[28:29], s[28:29], exec
	s_and_b64 s[36:37], vcc, exec
	s_or_b64 s[28:29], s[28:29], s[36:37]
.LBB50_140:
	s_branch .LBB50_142
.LBB50_141:
	s_cmp_lg_u32 s48, 0
	s_mov_b64 s[30:31], -1
	s_cselect_b64 s[34:35], -1, 0
.LBB50_142:
	s_andn2_b64 vcc, exec, s[34:35]
	s_cbranch_vccz .LBB50_148
; %bb.143:
	s_andn2_b64 vcc, exec, s[30:31]
	s_cbranch_vccz .LBB50_149
.LBB50_144:
	s_cmp_lt_i32 s48, 1
	s_mov_b64 s[34:35], 0
	s_cbranch_scc1 .LBB50_150
.LBB50_145:
	s_cmp_gt_i32 s48, 1
	s_cbranch_scc0 .LBB50_151
; %bb.146:
	s_cmp_eq_u32 s48, 2
	s_cbranch_scc0 .LBB50_261
; %bb.147:
	s_waitcnt vmcnt(2)
	v_cmp_ge_i64_e64 s[30:31], s[8:9], v[11:12]
	s_mov_b64 s[36:37], 0
	s_branch .LBB50_153
.LBB50_148:
	s_waitcnt vmcnt(2)
	v_cmp_gt_i64_e32 vcc, s[8:9], v[9:10]
	s_andn2_b64 s[28:29], s[28:29], exec
	s_and_b64 s[34:35], vcc, exec
	s_or_b64 s[28:29], s[28:29], s[34:35]
	s_cbranch_execnz .LBB50_144
.LBB50_149:
	s_waitcnt vmcnt(2)
	v_cmp_le_i64_e32 vcc, s[8:9], v[9:10]
	s_andn2_b64 s[28:29], s[28:29], exec
	s_and_b64 s[30:31], vcc, exec
	s_or_b64 s[28:29], s[28:29], s[30:31]
	s_cmp_lt_i32 s48, 1
	s_mov_b64 s[34:35], 0
	s_cbranch_scc0 .LBB50_145
.LBB50_150:
                                        ; implicit-def: $sgpr30_sgpr31
	s_mov_b64 s[36:37], 0
	s_cbranch_execnz .LBB50_154
	s_branch .LBB50_155
.LBB50_151:
	s_mov_b64 s[36:37], 0
                                        ; implicit-def: $sgpr30_sgpr31
	s_cbranch_execz .LBB50_153
; %bb.152:
	s_waitcnt vmcnt(2)
	v_cmp_lt_i64_e32 vcc, s[8:9], v[11:12]
	s_andn2_b64 s[30:31], s[30:31], exec
	s_and_b64 s[38:39], vcc, exec
	s_or_b64 s[30:31], s[30:31], s[38:39]
.LBB50_153:
	s_branch .LBB50_155
.LBB50_154:
	s_cmp_lg_u32 s48, 0
	s_mov_b64 s[34:35], -1
	s_cselect_b64 s[36:37], -1, 0
.LBB50_155:
	s_andn2_b64 vcc, exec, s[36:37]
	s_cbranch_vccz .LBB50_161
; %bb.156:
	s_andn2_b64 vcc, exec, s[34:35]
	s_cbranch_vccz .LBB50_162
.LBB50_157:
	s_cmp_lt_i32 s48, 1
	s_mov_b64 s[36:37], 0
	s_cbranch_scc1 .LBB50_163
.LBB50_158:
	s_cmp_gt_i32 s48, 1
	s_cbranch_scc0 .LBB50_164
; %bb.159:
	s_cmp_eq_u32 s48, 2
	s_cbranch_scc0 .LBB50_262
; %bb.160:
	s_waitcnt vmcnt(1)
	v_cmp_ge_i64_e64 s[34:35], s[8:9], v[5:6]
	s_mov_b64 s[38:39], 0
	s_branch .LBB50_166
.LBB50_161:
	s_waitcnt vmcnt(2)
	v_cmp_gt_i64_e32 vcc, s[8:9], v[11:12]
	s_andn2_b64 s[30:31], s[30:31], exec
	s_and_b64 s[36:37], vcc, exec
	s_or_b64 s[30:31], s[30:31], s[36:37]
	s_cbranch_execnz .LBB50_157
.LBB50_162:
	s_waitcnt vmcnt(2)
	v_cmp_le_i64_e32 vcc, s[8:9], v[11:12]
	s_andn2_b64 s[30:31], s[30:31], exec
	s_and_b64 s[34:35], vcc, exec
	s_or_b64 s[30:31], s[30:31], s[34:35]
	s_cmp_lt_i32 s48, 1
	s_mov_b64 s[36:37], 0
	s_cbranch_scc0 .LBB50_158
.LBB50_163:
                                        ; implicit-def: $sgpr34_sgpr35
	s_mov_b64 s[38:39], 0
	s_cbranch_execnz .LBB50_167
	s_branch .LBB50_168
.LBB50_164:
	s_mov_b64 s[38:39], 0
                                        ; implicit-def: $sgpr34_sgpr35
	s_cbranch_execz .LBB50_166
; %bb.165:
	s_waitcnt vmcnt(1)
	v_cmp_lt_i64_e32 vcc, s[8:9], v[5:6]
	s_andn2_b64 s[34:35], s[34:35], exec
	s_and_b64 s[40:41], vcc, exec
	s_or_b64 s[34:35], s[34:35], s[40:41]
.LBB50_166:
	s_branch .LBB50_168
.LBB50_167:
	s_cmp_lg_u32 s48, 0
	s_mov_b64 s[36:37], -1
	s_cselect_b64 s[38:39], -1, 0
.LBB50_168:
	s_andn2_b64 vcc, exec, s[38:39]
	s_cbranch_vccz .LBB50_174
; %bb.169:
	s_andn2_b64 vcc, exec, s[36:37]
	s_cbranch_vccz .LBB50_175
.LBB50_170:
	s_cmp_lt_i32 s48, 1
	s_mov_b64 s[38:39], 0
	s_cbranch_scc1 .LBB50_176
.LBB50_171:
	s_cmp_gt_i32 s48, 1
	s_cbranch_scc0 .LBB50_177
; %bb.172:
	s_cmp_eq_u32 s48, 2
	s_cbranch_scc0 .LBB50_263
; %bb.173:
	s_waitcnt vmcnt(1)
	v_cmp_ge_i64_e64 s[36:37], s[8:9], v[7:8]
	s_mov_b64 s[40:41], 0
	s_branch .LBB50_179
.LBB50_174:
	s_waitcnt vmcnt(1)
	v_cmp_gt_i64_e32 vcc, s[8:9], v[5:6]
	s_andn2_b64 s[34:35], s[34:35], exec
	s_and_b64 s[38:39], vcc, exec
	s_or_b64 s[34:35], s[34:35], s[38:39]
	s_cbranch_execnz .LBB50_170
.LBB50_175:
	s_waitcnt vmcnt(1)
	v_cmp_le_i64_e32 vcc, s[8:9], v[5:6]
	s_andn2_b64 s[34:35], s[34:35], exec
	s_and_b64 s[36:37], vcc, exec
	s_or_b64 s[34:35], s[34:35], s[36:37]
	s_cmp_lt_i32 s48, 1
	s_mov_b64 s[38:39], 0
	s_cbranch_scc0 .LBB50_171
.LBB50_176:
                                        ; implicit-def: $sgpr36_sgpr37
	s_mov_b64 s[40:41], 0
	s_cbranch_execnz .LBB50_180
	s_branch .LBB50_181
.LBB50_177:
	s_mov_b64 s[40:41], 0
                                        ; implicit-def: $sgpr36_sgpr37
	s_cbranch_execz .LBB50_179
; %bb.178:
	s_waitcnt vmcnt(1)
	v_cmp_lt_i64_e32 vcc, s[8:9], v[7:8]
	s_andn2_b64 s[36:37], s[36:37], exec
	s_and_b64 s[42:43], vcc, exec
	s_or_b64 s[36:37], s[36:37], s[42:43]
.LBB50_179:
	s_branch .LBB50_181
.LBB50_180:
	s_cmp_lg_u32 s48, 0
	s_mov_b64 s[38:39], -1
	s_cselect_b64 s[40:41], -1, 0
.LBB50_181:
	s_andn2_b64 vcc, exec, s[40:41]
	s_cbranch_vccz .LBB50_187
; %bb.182:
	s_andn2_b64 vcc, exec, s[38:39]
	s_cbranch_vccz .LBB50_188
.LBB50_183:
	s_cmp_lt_i32 s48, 1
	s_mov_b64 s[40:41], 0
	s_cbranch_scc1 .LBB50_189
.LBB50_184:
	s_cmp_gt_i32 s48, 1
	s_cbranch_scc0 .LBB50_190
; %bb.185:
	s_cmp_eq_u32 s48, 2
	s_cbranch_scc0 .LBB50_264
; %bb.186:
	s_waitcnt vmcnt(0)
	v_cmp_ge_i64_e64 s[38:39], s[8:9], v[1:2]
	s_mov_b64 s[42:43], 0
	s_branch .LBB50_192
.LBB50_187:
	s_waitcnt vmcnt(1)
	v_cmp_gt_i64_e32 vcc, s[8:9], v[7:8]
	s_andn2_b64 s[36:37], s[36:37], exec
	s_and_b64 s[40:41], vcc, exec
	s_or_b64 s[36:37], s[36:37], s[40:41]
	s_cbranch_execnz .LBB50_183
.LBB50_188:
	s_waitcnt vmcnt(1)
	v_cmp_le_i64_e32 vcc, s[8:9], v[7:8]
	s_andn2_b64 s[36:37], s[36:37], exec
	s_and_b64 s[38:39], vcc, exec
	s_or_b64 s[36:37], s[36:37], s[38:39]
	s_cmp_lt_i32 s48, 1
	s_mov_b64 s[40:41], 0
	s_cbranch_scc0 .LBB50_184
.LBB50_189:
                                        ; implicit-def: $sgpr38_sgpr39
	s_mov_b64 s[42:43], 0
	s_cbranch_execnz .LBB50_193
	s_branch .LBB50_194
.LBB50_190:
	s_mov_b64 s[42:43], 0
                                        ; implicit-def: $sgpr38_sgpr39
	s_cbranch_execz .LBB50_192
; %bb.191:
	s_waitcnt vmcnt(0)
	v_cmp_lt_i64_e32 vcc, s[8:9], v[1:2]
	s_andn2_b64 s[38:39], s[38:39], exec
	s_and_b64 s[44:45], vcc, exec
	s_or_b64 s[38:39], s[38:39], s[44:45]
.LBB50_192:
	s_branch .LBB50_194
.LBB50_193:
	s_cmp_lg_u32 s48, 0
	s_mov_b64 s[40:41], -1
	s_cselect_b64 s[42:43], -1, 0
.LBB50_194:
	s_andn2_b64 vcc, exec, s[42:43]
	s_cbranch_vccz .LBB50_200
; %bb.195:
	s_andn2_b64 vcc, exec, s[40:41]
	s_cbranch_vccz .LBB50_201
.LBB50_196:
	s_cmp_lt_i32 s48, 1
	s_mov_b64 s[42:43], 0
	s_cbranch_scc1 .LBB50_202
.LBB50_197:
	s_cmp_gt_i32 s48, 1
	s_cbranch_scc0 .LBB50_203
; %bb.198:
	s_cmp_eq_u32 s48, 2
	s_cbranch_scc0 .LBB50_265
; %bb.199:
	s_waitcnt vmcnt(0)
	v_cmp_ge_i64_e64 s[40:41], s[8:9], v[3:4]
	s_mov_b64 s[44:45], 0
	s_branch .LBB50_205
.LBB50_200:
	s_waitcnt vmcnt(0)
	v_cmp_gt_i64_e32 vcc, s[8:9], v[1:2]
	s_andn2_b64 s[38:39], s[38:39], exec
	s_and_b64 s[42:43], vcc, exec
	s_or_b64 s[38:39], s[38:39], s[42:43]
	s_cbranch_execnz .LBB50_196
.LBB50_201:
	s_waitcnt vmcnt(0)
	v_cmp_le_i64_e32 vcc, s[8:9], v[1:2]
	s_andn2_b64 s[38:39], s[38:39], exec
	s_and_b64 s[40:41], vcc, exec
	s_or_b64 s[38:39], s[38:39], s[40:41]
	s_cmp_lt_i32 s48, 1
	s_mov_b64 s[42:43], 0
	s_cbranch_scc0 .LBB50_197
.LBB50_202:
                                        ; implicit-def: $sgpr40_sgpr41
	s_mov_b64 s[44:45], 0
	s_cbranch_execnz .LBB50_206
	s_branch .LBB50_207
.LBB50_203:
	s_mov_b64 s[44:45], 0
                                        ; implicit-def: $sgpr40_sgpr41
	s_cbranch_execz .LBB50_205
; %bb.204:
	s_waitcnt vmcnt(0)
	v_cmp_lt_i64_e32 vcc, s[8:9], v[3:4]
	s_andn2_b64 s[40:41], s[40:41], exec
	s_and_b64 s[46:47], vcc, exec
	s_or_b64 s[40:41], s[40:41], s[46:47]
.LBB50_205:
	s_branch .LBB50_207
.LBB50_206:
	s_cmp_lg_u32 s48, 0
	s_mov_b64 s[42:43], -1
	s_cselect_b64 s[44:45], -1, 0
.LBB50_207:
	s_andn2_b64 vcc, exec, s[44:45]
	s_cbranch_vccz .LBB50_243
; %bb.208:
	s_andn2_b64 vcc, exec, s[42:43]
	s_cbranch_vccnz .LBB50_210
.LBB50_209:
	s_waitcnt vmcnt(0)
	v_cmp_le_i64_e32 vcc, s[8:9], v[3:4]
	s_andn2_b64 s[40:41], s[40:41], exec
	s_and_b64 s[42:43], vcc, exec
	s_or_b64 s[40:41], s[40:41], s[42:43]
.LBB50_210:
	s_waitcnt vmcnt(0)
	v_mov_b32_e32 v1, 0x100
	v_cndmask_b32_e64 v2, 0, v1, s[36:37]
	v_cndmask_b32_e64 v3, 0, 1, s[34:35]
	v_or_b32_e32 v2, v2, v3
	v_mov_b32_e32 v3, 0x10000
	v_cndmask_b32_e64 v5, 0, v1, s[26:27]
	v_cndmask_b32_e64 v6, 0, 1, s[24:25]
	v_mov_b32_e32 v7, 0x1000000
	v_or_b32_e32 v5, v5, v6
	v_cndmask_b32_e64 v6, 0, v3, s[28:29]
	v_cndmask_b32_e64 v8, 0, v7, s[30:31]
	v_or3_b32 v5, v5, v6, v8
	v_cndmask_b32_e64 v6, 0, v1, s[18:19]
	v_cndmask_b32_e64 v8, 0, 1, s[16:17]
	v_or_b32_e32 v6, v6, v8
	v_cndmask_b32_e64 v8, 0, v3, s[20:21]
	v_cndmask_b32_e64 v9, 0, v7, s[22:23]
	v_or3_b32 v6, v6, v8, v9
	v_cndmask_b32_e64 v1, 0, v1, s[4:5]
	v_cndmask_b32_e64 v8, 0, 1, s[0:1]
	;; [unrolled: 1-line block ×3, first 2 shown]
	v_or_b32_e32 v1, v1, v8
	v_cndmask_b32_e64 v3, 0, v3, s[6:7]
	v_cndmask_b32_e64 v8, 0, v7, s[14:15]
	v_or3_b32 v1, v1, v3, v8
	v_cndmask_b32_e64 v3, 0, v7, s[40:41]
	s_add_u32 s0, s10, s2
	v_or3_b32 v2, v2, v4, v3
	s_addc_u32 s1, s11, s3
	v_lshlrev_b32_e32 v3, 2, v0
	global_store_dword v3, v1, s[0:1]
	global_store_dword v3, v6, s[0:1] offset:1024
	global_store_dword v3, v5, s[0:1] offset:2048
	;; [unrolled: 1-line block ×3, first 2 shown]
	s_mov_b64 s[0:1], 0
.LBB50_211:
	s_and_b64 vcc, exec, s[0:1]
	s_cbranch_vccz .LBB50_519
; %bb.212:
	v_mov_b32_e32 v30, 0
	v_mov_b32_e32 v32, 0
	v_cmp_gt_i32_e64 s[0:1], s33, v0
	v_mov_b32_e32 v31, 0
	v_or_b32_e32 v1, s2, v0
	v_mov_b32_e32 v33, 0
	v_mov_b32_e32 v34, v0
	s_and_saveexec_b64 s[4:5], s[0:1]
	s_cbranch_execz .LBB50_214
; %bb.213:
	v_mov_b32_e32 v2, 0
	v_lshlrev_b64 v[2:3], 3, v[1:2]
	v_mov_b32_e32 v4, s13
	v_add_co_u32_e32 v2, vcc, s12, v2
	v_addc_co_u32_e32 v3, vcc, v4, v3, vcc
	global_load_dwordx2 v[32:33], v[2:3], off
	v_or_b32_e32 v34, 0x100, v0
.LBB50_214:
	s_or_b64 exec, exec, s[4:5]
	v_cmp_gt_i32_e32 vcc, s33, v34
	s_and_saveexec_b64 s[4:5], vcc
	s_cbranch_execz .LBB50_216
; %bb.215:
	v_add_u32_e32 v2, s2, v34
	v_mov_b32_e32 v3, 0
	v_lshlrev_b64 v[2:3], 3, v[2:3]
	v_mov_b32_e32 v4, s13
	v_add_co_u32_e32 v2, vcc, s12, v2
	v_addc_co_u32_e32 v3, vcc, v4, v3, vcc
	global_load_dwordx2 v[30:31], v[2:3], off
	v_add_u32_e32 v34, 0x100, v34
.LBB50_216:
	s_or_b64 exec, exec, s[4:5]
	v_mov_b32_e32 v26, 0
	v_mov_b32_e32 v28, 0
	v_mov_b32_e32 v27, 0
	v_mov_b32_e32 v29, 0
	v_cmp_gt_i32_e32 vcc, s33, v34
	s_and_saveexec_b64 s[4:5], vcc
	s_cbranch_execz .LBB50_218
; %bb.217:
	v_add_u32_e32 v2, s2, v34
	v_mov_b32_e32 v3, 0
	v_lshlrev_b64 v[2:3], 3, v[2:3]
	v_mov_b32_e32 v4, s13
	v_add_co_u32_e32 v2, vcc, s12, v2
	v_addc_co_u32_e32 v3, vcc, v4, v3, vcc
	global_load_dwordx2 v[28:29], v[2:3], off
	v_add_u32_e32 v34, 0x100, v34
.LBB50_218:
	s_or_b64 exec, exec, s[4:5]
	v_cmp_gt_i32_e32 vcc, s33, v34
	s_and_saveexec_b64 s[4:5], vcc
	s_cbranch_execz .LBB50_220
; %bb.219:
	v_add_u32_e32 v2, s2, v34
	v_mov_b32_e32 v3, 0
	v_lshlrev_b64 v[2:3], 3, v[2:3]
	v_mov_b32_e32 v4, s13
	v_add_co_u32_e32 v2, vcc, s12, v2
	v_addc_co_u32_e32 v3, vcc, v4, v3, vcc
	global_load_dwordx2 v[26:27], v[2:3], off
	v_add_u32_e32 v34, 0x100, v34
.LBB50_220:
	s_or_b64 exec, exec, s[4:5]
	v_mov_b32_e32 v22, 0
	v_mov_b32_e32 v24, 0
	v_mov_b32_e32 v23, 0
	v_mov_b32_e32 v25, 0
	v_cmp_gt_i32_e32 vcc, s33, v34
	s_and_saveexec_b64 s[4:5], vcc
	s_cbranch_execz .LBB50_222
; %bb.221:
	v_add_u32_e32 v2, s2, v34
	v_mov_b32_e32 v3, 0
	v_lshlrev_b64 v[2:3], 3, v[2:3]
	v_mov_b32_e32 v4, s13
	v_add_co_u32_e32 v2, vcc, s12, v2
	v_addc_co_u32_e32 v3, vcc, v4, v3, vcc
	global_load_dwordx2 v[24:25], v[2:3], off
	v_add_u32_e32 v34, 0x100, v34
.LBB50_222:
	;; [unrolled: 32-line block ×6, first 2 shown]
	s_or_b64 exec, exec, s[4:5]
	v_cmp_gt_i32_e32 vcc, s33, v34
	s_and_saveexec_b64 s[4:5], vcc
	s_cbranch_execz .LBB50_240
; %bb.239:
	v_add_u32_e32 v2, s2, v34
	v_mov_b32_e32 v3, 0
	v_lshlrev_b64 v[2:3], 3, v[2:3]
	v_mov_b32_e32 v4, s13
	v_add_co_u32_e32 v2, vcc, s12, v2
	v_addc_co_u32_e32 v3, vcc, v4, v3, vcc
	global_load_dwordx2 v[6:7], v[2:3], off
	v_add_u32_e32 v34, 0x100, v34
.LBB50_240:
	s_or_b64 exec, exec, s[4:5]
	v_mov_b32_e32 v2, 0
	v_mov_b32_e32 v4, 0
	;; [unrolled: 1-line block ×4, first 2 shown]
	v_cmp_gt_i32_e32 vcc, s33, v34
	s_and_saveexec_b64 s[4:5], vcc
	s_cbranch_execnz .LBB50_244
; %bb.241:
	s_or_b64 exec, exec, s[4:5]
	v_cmp_gt_i32_e32 vcc, s33, v34
	s_and_saveexec_b64 s[4:5], vcc
	s_cbranch_execnz .LBB50_245
.LBB50_242:
	s_or_b64 exec, exec, s[4:5]
                                        ; implicit-def: $vgpr34
	s_and_saveexec_b64 s[4:5], s[0:1]
	s_cbranch_execnz .LBB50_246
	s_branch .LBB50_276
.LBB50_243:
	s_waitcnt vmcnt(0)
	v_cmp_gt_i64_e32 vcc, s[8:9], v[3:4]
	s_andn2_b64 s[40:41], s[40:41], exec
	s_and_b64 s[44:45], vcc, exec
	s_or_b64 s[40:41], s[40:41], s[44:45]
	s_cbranch_execz .LBB50_209
	s_branch .LBB50_210
.LBB50_244:
	v_add_u32_e32 v4, s2, v34
	v_mov_b32_e32 v5, 0
	v_lshlrev_b64 v[4:5], 3, v[4:5]
	v_mov_b32_e32 v35, s13
	v_add_co_u32_e32 v4, vcc, s12, v4
	v_addc_co_u32_e32 v5, vcc, v35, v5, vcc
	global_load_dwordx2 v[4:5], v[4:5], off
	v_add_u32_e32 v34, 0x100, v34
	s_or_b64 exec, exec, s[4:5]
	v_cmp_gt_i32_e32 vcc, s33, v34
	s_and_saveexec_b64 s[4:5], vcc
	s_cbranch_execz .LBB50_242
.LBB50_245:
	v_add_u32_e32 v2, s2, v34
	v_mov_b32_e32 v3, 0
	v_lshlrev_b64 v[2:3], 3, v[2:3]
	v_mov_b32_e32 v34, s13
	v_add_co_u32_e32 v2, vcc, s12, v2
	v_addc_co_u32_e32 v3, vcc, v34, v3, vcc
	global_load_dwordx2 v[2:3], v[2:3], off
	s_or_b64 exec, exec, s[4:5]
                                        ; implicit-def: $vgpr34
	s_and_saveexec_b64 s[4:5], s[0:1]
	s_cbranch_execz .LBB50_276
.LBB50_246:
	s_cmp_lt_i32 s48, 1
	s_mov_b64 s[6:7], 0
	s_cbranch_scc1 .LBB50_250
; %bb.247:
	s_cmp_gt_i32 s48, 1
	s_cbranch_scc0 .LBB50_266
; %bb.248:
	s_cmp_eq_u32 s48, 2
	s_cbranch_scc0 .LBB50_267
; %bb.249:
	s_waitcnt vmcnt(0)
	v_cmp_ge_i64_e64 s[12:13], s[8:9], v[32:33]
	s_mov_b64 s[14:15], 0
	s_branch .LBB50_268
.LBB50_250:
                                        ; implicit-def: $sgpr12_sgpr13
	s_mov_b64 s[14:15], 0
	s_cbranch_execnz .LBB50_271
	s_branch .LBB50_272
.LBB50_251:
	s_mov_b64 s[14:15], -1
                                        ; implicit-def: $sgpr4_sgpr5
	s_branch .LBB50_23
.LBB50_252:
	s_mov_b64 s[16:17], -1
                                        ; implicit-def: $sgpr6_sgpr7
	s_branch .LBB50_36
.LBB50_253:
	s_mov_b64 s[18:19], -1
                                        ; implicit-def: $sgpr14_sgpr15
	s_branch .LBB50_49
.LBB50_254:
	s_mov_b64 s[20:21], -1
                                        ; implicit-def: $sgpr16_sgpr17
	s_branch .LBB50_62
.LBB50_255:
	s_mov_b64 s[22:23], -1
                                        ; implicit-def: $sgpr18_sgpr19
	s_branch .LBB50_75
.LBB50_256:
	s_mov_b64 s[24:25], -1
                                        ; implicit-def: $sgpr20_sgpr21
	s_branch .LBB50_88
.LBB50_257:
	s_mov_b64 s[26:27], -1
                                        ; implicit-def: $sgpr22_sgpr23
	s_branch .LBB50_101
.LBB50_258:
	s_mov_b64 s[28:29], -1
                                        ; implicit-def: $sgpr24_sgpr25
	s_branch .LBB50_114
.LBB50_259:
	s_mov_b64 s[30:31], -1
                                        ; implicit-def: $sgpr26_sgpr27
	s_branch .LBB50_127
.LBB50_260:
	s_mov_b64 s[34:35], -1
                                        ; implicit-def: $sgpr28_sgpr29
	s_branch .LBB50_140
.LBB50_261:
	s_mov_b64 s[36:37], -1
                                        ; implicit-def: $sgpr30_sgpr31
	s_branch .LBB50_153
.LBB50_262:
	s_mov_b64 s[38:39], -1
                                        ; implicit-def: $sgpr34_sgpr35
	s_branch .LBB50_166
.LBB50_263:
	s_mov_b64 s[40:41], -1
                                        ; implicit-def: $sgpr36_sgpr37
	s_branch .LBB50_179
.LBB50_264:
	s_mov_b64 s[42:43], -1
                                        ; implicit-def: $sgpr38_sgpr39
	s_branch .LBB50_192
.LBB50_265:
	s_mov_b64 s[44:45], -1
                                        ; implicit-def: $sgpr40_sgpr41
	s_branch .LBB50_205
.LBB50_266:
	s_mov_b64 s[14:15], 0
                                        ; implicit-def: $sgpr12_sgpr13
	s_cbranch_execnz .LBB50_269
	s_branch .LBB50_270
.LBB50_267:
	s_mov_b64 s[14:15], -1
                                        ; implicit-def: $sgpr12_sgpr13
.LBB50_268:
	s_branch .LBB50_270
.LBB50_269:
	s_waitcnt vmcnt(0)
	v_cmp_lt_i64_e32 vcc, s[8:9], v[32:33]
	s_andn2_b64 s[12:13], s[12:13], exec
	s_and_b64 s[16:17], vcc, exec
	s_or_b64 s[12:13], s[12:13], s[16:17]
.LBB50_270:
	s_branch .LBB50_272
.LBB50_271:
	s_cmp_lg_u32 s48, 0
	s_mov_b64 s[6:7], -1
	s_cselect_b64 s[14:15], -1, 0
.LBB50_272:
	s_andn2_b64 vcc, exec, s[14:15]
	s_cbranch_vccz .LBB50_281
; %bb.273:
	s_andn2_b64 vcc, exec, s[6:7]
	s_cbranch_vccnz .LBB50_275
.LBB50_274:
	s_waitcnt vmcnt(0)
	v_cmp_le_i64_e32 vcc, s[8:9], v[32:33]
	s_andn2_b64 s[6:7], s[12:13], exec
	s_and_b64 s[12:13], vcc, exec
	s_or_b64 s[12:13], s[6:7], s[12:13]
.LBB50_275:
	v_cndmask_b32_e64 v34, 0, 1, s[12:13]
.LBB50_276:
	s_or_b64 exec, exec, s[4:5]
	s_waitcnt vmcnt(0)
	v_or_b32_e32 v32, 0x100, v0
	v_cmp_gt_i32_e32 vcc, s33, v32
                                        ; implicit-def: $vgpr33
	s_and_saveexec_b64 s[4:5], vcc
	s_cbranch_execz .LBB50_291
; %bb.277:
	s_cmp_lt_i32 s48, 1
	s_mov_b64 s[6:7], 0
	s_cbranch_scc1 .LBB50_282
; %bb.278:
	s_cmp_gt_i32 s48, 1
	s_cbranch_scc0 .LBB50_283
; %bb.279:
	s_cmp_eq_u32 s48, 2
	s_cbranch_scc0 .LBB50_535
; %bb.280:
	v_cmp_ge_i64_e64 s[12:13], s[8:9], v[30:31]
	s_mov_b64 s[14:15], 0
	s_branch .LBB50_285
.LBB50_281:
	s_waitcnt vmcnt(0)
	v_cmp_gt_i64_e32 vcc, s[8:9], v[32:33]
	s_andn2_b64 s[12:13], s[12:13], exec
	s_and_b64 s[14:15], vcc, exec
	s_or_b64 s[12:13], s[12:13], s[14:15]
	s_cbranch_execz .LBB50_274
	s_branch .LBB50_275
.LBB50_282:
                                        ; implicit-def: $sgpr12_sgpr13
	s_mov_b64 s[14:15], 0
	s_cbranch_execnz .LBB50_286
	s_branch .LBB50_287
.LBB50_283:
	s_mov_b64 s[14:15], 0
                                        ; implicit-def: $sgpr12_sgpr13
	s_cbranch_execz .LBB50_285
; %bb.284:
	v_cmp_lt_i64_e32 vcc, s[8:9], v[30:31]
	s_andn2_b64 s[12:13], s[12:13], exec
	s_and_b64 s[16:17], vcc, exec
	s_or_b64 s[12:13], s[12:13], s[16:17]
.LBB50_285:
	s_branch .LBB50_287
.LBB50_286:
	s_cmp_lg_u32 s48, 0
	s_mov_b64 s[6:7], -1
	s_cselect_b64 s[14:15], -1, 0
.LBB50_287:
	s_andn2_b64 vcc, exec, s[14:15]
	s_cbranch_vccz .LBB50_296
; %bb.288:
	s_andn2_b64 vcc, exec, s[6:7]
	s_cbranch_vccnz .LBB50_290
.LBB50_289:
	v_cmp_le_i64_e32 vcc, s[8:9], v[30:31]
	s_andn2_b64 s[6:7], s[12:13], exec
	s_and_b64 s[12:13], vcc, exec
	s_or_b64 s[12:13], s[6:7], s[12:13]
.LBB50_290:
	v_cndmask_b32_e64 v33, 0, 1, s[12:13]
.LBB50_291:
	s_or_b64 exec, exec, s[4:5]
	v_or_b32_e32 v30, 0x200, v0
	v_cmp_gt_i32_e32 vcc, s33, v30
                                        ; implicit-def: $vgpr30
	s_and_saveexec_b64 s[4:5], vcc
	s_cbranch_execz .LBB50_306
; %bb.292:
	s_cmp_lt_i32 s48, 1
	s_mov_b64 s[6:7], 0
	s_cbranch_scc1 .LBB50_297
; %bb.293:
	s_cmp_gt_i32 s48, 1
	s_cbranch_scc0 .LBB50_298
; %bb.294:
	s_cmp_eq_u32 s48, 2
	s_cbranch_scc0 .LBB50_536
; %bb.295:
	v_cmp_ge_i64_e64 s[12:13], s[8:9], v[28:29]
	s_mov_b64 s[14:15], 0
	s_branch .LBB50_300
.LBB50_296:
	v_cmp_gt_i64_e32 vcc, s[8:9], v[30:31]
	s_andn2_b64 s[12:13], s[12:13], exec
	s_and_b64 s[14:15], vcc, exec
	s_or_b64 s[12:13], s[12:13], s[14:15]
	s_cbranch_execz .LBB50_289
	s_branch .LBB50_290
.LBB50_297:
                                        ; implicit-def: $sgpr12_sgpr13
	s_mov_b64 s[14:15], 0
	s_cbranch_execnz .LBB50_301
	s_branch .LBB50_302
.LBB50_298:
	s_mov_b64 s[14:15], 0
                                        ; implicit-def: $sgpr12_sgpr13
	s_cbranch_execz .LBB50_300
; %bb.299:
	v_cmp_lt_i64_e32 vcc, s[8:9], v[28:29]
	s_andn2_b64 s[12:13], s[12:13], exec
	s_and_b64 s[16:17], vcc, exec
	s_or_b64 s[12:13], s[12:13], s[16:17]
.LBB50_300:
	s_branch .LBB50_302
.LBB50_301:
	s_cmp_lg_u32 s48, 0
	s_mov_b64 s[6:7], -1
	s_cselect_b64 s[14:15], -1, 0
.LBB50_302:
	s_andn2_b64 vcc, exec, s[14:15]
	s_cbranch_vccz .LBB50_311
; %bb.303:
	s_andn2_b64 vcc, exec, s[6:7]
	s_cbranch_vccnz .LBB50_305
.LBB50_304:
	v_cmp_le_i64_e32 vcc, s[8:9], v[28:29]
	s_andn2_b64 s[6:7], s[12:13], exec
	s_and_b64 s[12:13], vcc, exec
	s_or_b64 s[12:13], s[6:7], s[12:13]
.LBB50_305:
	v_cndmask_b32_e64 v30, 0, 1, s[12:13]
.LBB50_306:
	s_or_b64 exec, exec, s[4:5]
	v_or_b32_e32 v28, 0x300, v0
	v_cmp_gt_i32_e32 vcc, s33, v28
                                        ; implicit-def: $vgpr28
	s_and_saveexec_b64 s[4:5], vcc
	s_cbranch_execz .LBB50_321
; %bb.307:
	s_cmp_lt_i32 s48, 1
	s_mov_b64 s[6:7], 0
	s_cbranch_scc1 .LBB50_312
; %bb.308:
	s_cmp_gt_i32 s48, 1
	s_cbranch_scc0 .LBB50_313
; %bb.309:
	s_cmp_eq_u32 s48, 2
	s_cbranch_scc0 .LBB50_537
; %bb.310:
	v_cmp_ge_i64_e64 s[12:13], s[8:9], v[26:27]
	s_mov_b64 s[14:15], 0
	s_branch .LBB50_315
.LBB50_311:
	v_cmp_gt_i64_e32 vcc, s[8:9], v[28:29]
	s_andn2_b64 s[12:13], s[12:13], exec
	s_and_b64 s[14:15], vcc, exec
	s_or_b64 s[12:13], s[12:13], s[14:15]
	s_cbranch_execz .LBB50_304
	s_branch .LBB50_305
.LBB50_312:
                                        ; implicit-def: $sgpr12_sgpr13
	s_mov_b64 s[14:15], 0
	s_cbranch_execnz .LBB50_316
	s_branch .LBB50_317
.LBB50_313:
	s_mov_b64 s[14:15], 0
                                        ; implicit-def: $sgpr12_sgpr13
	s_cbranch_execz .LBB50_315
; %bb.314:
	v_cmp_lt_i64_e32 vcc, s[8:9], v[26:27]
	s_andn2_b64 s[12:13], s[12:13], exec
	s_and_b64 s[16:17], vcc, exec
	s_or_b64 s[12:13], s[12:13], s[16:17]
.LBB50_315:
	s_branch .LBB50_317
.LBB50_316:
	s_cmp_lg_u32 s48, 0
	s_mov_b64 s[6:7], -1
	s_cselect_b64 s[14:15], -1, 0
.LBB50_317:
	s_andn2_b64 vcc, exec, s[14:15]
	s_cbranch_vccz .LBB50_326
; %bb.318:
	s_andn2_b64 vcc, exec, s[6:7]
	s_cbranch_vccnz .LBB50_320
.LBB50_319:
	v_cmp_le_i64_e32 vcc, s[8:9], v[26:27]
	s_andn2_b64 s[6:7], s[12:13], exec
	s_and_b64 s[12:13], vcc, exec
	s_or_b64 s[12:13], s[6:7], s[12:13]
.LBB50_320:
	v_cndmask_b32_e64 v28, 0, 1, s[12:13]
.LBB50_321:
	s_or_b64 exec, exec, s[4:5]
	v_or_b32_e32 v26, 0x400, v0
	v_cmp_gt_i32_e32 vcc, s33, v26
                                        ; implicit-def: $vgpr26
	s_and_saveexec_b64 s[4:5], vcc
	s_cbranch_execz .LBB50_336
; %bb.322:
	s_cmp_lt_i32 s48, 1
	s_mov_b64 s[6:7], 0
	s_cbranch_scc1 .LBB50_327
; %bb.323:
	s_cmp_gt_i32 s48, 1
	s_cbranch_scc0 .LBB50_328
; %bb.324:
	s_cmp_eq_u32 s48, 2
	s_cbranch_scc0 .LBB50_538
; %bb.325:
	v_cmp_ge_i64_e64 s[12:13], s[8:9], v[24:25]
	s_mov_b64 s[14:15], 0
	s_branch .LBB50_330
.LBB50_326:
	v_cmp_gt_i64_e32 vcc, s[8:9], v[26:27]
	s_andn2_b64 s[12:13], s[12:13], exec
	s_and_b64 s[14:15], vcc, exec
	s_or_b64 s[12:13], s[12:13], s[14:15]
	s_cbranch_execz .LBB50_319
	s_branch .LBB50_320
.LBB50_327:
                                        ; implicit-def: $sgpr12_sgpr13
	s_mov_b64 s[14:15], 0
	s_cbranch_execnz .LBB50_331
	s_branch .LBB50_332
.LBB50_328:
	s_mov_b64 s[14:15], 0
                                        ; implicit-def: $sgpr12_sgpr13
	s_cbranch_execz .LBB50_330
; %bb.329:
	v_cmp_lt_i64_e32 vcc, s[8:9], v[24:25]
	s_andn2_b64 s[12:13], s[12:13], exec
	s_and_b64 s[16:17], vcc, exec
	s_or_b64 s[12:13], s[12:13], s[16:17]
.LBB50_330:
	s_branch .LBB50_332
.LBB50_331:
	s_cmp_lg_u32 s48, 0
	s_mov_b64 s[6:7], -1
	s_cselect_b64 s[14:15], -1, 0
.LBB50_332:
	s_andn2_b64 vcc, exec, s[14:15]
	s_cbranch_vccz .LBB50_341
; %bb.333:
	s_andn2_b64 vcc, exec, s[6:7]
	s_cbranch_vccnz .LBB50_335
.LBB50_334:
	v_cmp_le_i64_e32 vcc, s[8:9], v[24:25]
	s_andn2_b64 s[6:7], s[12:13], exec
	s_and_b64 s[12:13], vcc, exec
	s_or_b64 s[12:13], s[6:7], s[12:13]
.LBB50_335:
	v_cndmask_b32_e64 v26, 0, 1, s[12:13]
.LBB50_336:
	s_or_b64 exec, exec, s[4:5]
	v_or_b32_e32 v24, 0x500, v0
	v_cmp_gt_i32_e32 vcc, s33, v24
                                        ; implicit-def: $vgpr24
	s_and_saveexec_b64 s[4:5], vcc
	s_cbranch_execz .LBB50_351
; %bb.337:
	s_cmp_lt_i32 s48, 1
	s_mov_b64 s[6:7], 0
	s_cbranch_scc1 .LBB50_342
; %bb.338:
	s_cmp_gt_i32 s48, 1
	s_cbranch_scc0 .LBB50_343
; %bb.339:
	s_cmp_eq_u32 s48, 2
	s_cbranch_scc0 .LBB50_539
; %bb.340:
	v_cmp_ge_i64_e64 s[12:13], s[8:9], v[22:23]
	s_mov_b64 s[14:15], 0
	s_branch .LBB50_345
.LBB50_341:
	v_cmp_gt_i64_e32 vcc, s[8:9], v[24:25]
	s_andn2_b64 s[12:13], s[12:13], exec
	s_and_b64 s[14:15], vcc, exec
	s_or_b64 s[12:13], s[12:13], s[14:15]
	s_cbranch_execz .LBB50_334
	s_branch .LBB50_335
.LBB50_342:
                                        ; implicit-def: $sgpr12_sgpr13
	s_mov_b64 s[14:15], 0
	s_cbranch_execnz .LBB50_346
	s_branch .LBB50_347
.LBB50_343:
	s_mov_b64 s[14:15], 0
                                        ; implicit-def: $sgpr12_sgpr13
	s_cbranch_execz .LBB50_345
; %bb.344:
	v_cmp_lt_i64_e32 vcc, s[8:9], v[22:23]
	s_andn2_b64 s[12:13], s[12:13], exec
	s_and_b64 s[16:17], vcc, exec
	s_or_b64 s[12:13], s[12:13], s[16:17]
.LBB50_345:
	s_branch .LBB50_347
.LBB50_346:
	s_cmp_lg_u32 s48, 0
	s_mov_b64 s[6:7], -1
	s_cselect_b64 s[14:15], -1, 0
.LBB50_347:
	s_andn2_b64 vcc, exec, s[14:15]
	s_cbranch_vccz .LBB50_356
; %bb.348:
	s_andn2_b64 vcc, exec, s[6:7]
	s_cbranch_vccnz .LBB50_350
.LBB50_349:
	v_cmp_le_i64_e32 vcc, s[8:9], v[22:23]
	s_andn2_b64 s[6:7], s[12:13], exec
	s_and_b64 s[12:13], vcc, exec
	s_or_b64 s[12:13], s[6:7], s[12:13]
.LBB50_350:
	v_cndmask_b32_e64 v24, 0, 1, s[12:13]
.LBB50_351:
	s_or_b64 exec, exec, s[4:5]
	v_or_b32_e32 v22, 0x600, v0
	v_cmp_gt_i32_e32 vcc, s33, v22
                                        ; implicit-def: $vgpr22
	s_and_saveexec_b64 s[4:5], vcc
	s_cbranch_execz .LBB50_366
; %bb.352:
	s_cmp_lt_i32 s48, 1
	s_mov_b64 s[6:7], 0
	s_cbranch_scc1 .LBB50_357
; %bb.353:
	s_cmp_gt_i32 s48, 1
	s_cbranch_scc0 .LBB50_358
; %bb.354:
	s_cmp_eq_u32 s48, 2
	s_cbranch_scc0 .LBB50_540
; %bb.355:
	v_cmp_ge_i64_e64 s[12:13], s[8:9], v[20:21]
	s_mov_b64 s[14:15], 0
	s_branch .LBB50_360
.LBB50_356:
	v_cmp_gt_i64_e32 vcc, s[8:9], v[22:23]
	s_andn2_b64 s[12:13], s[12:13], exec
	s_and_b64 s[14:15], vcc, exec
	s_or_b64 s[12:13], s[12:13], s[14:15]
	s_cbranch_execz .LBB50_349
	s_branch .LBB50_350
.LBB50_357:
                                        ; implicit-def: $sgpr12_sgpr13
	s_mov_b64 s[14:15], 0
	s_cbranch_execnz .LBB50_361
	s_branch .LBB50_362
.LBB50_358:
	s_mov_b64 s[14:15], 0
                                        ; implicit-def: $sgpr12_sgpr13
	s_cbranch_execz .LBB50_360
; %bb.359:
	v_cmp_lt_i64_e32 vcc, s[8:9], v[20:21]
	s_andn2_b64 s[12:13], s[12:13], exec
	s_and_b64 s[16:17], vcc, exec
	s_or_b64 s[12:13], s[12:13], s[16:17]
.LBB50_360:
	s_branch .LBB50_362
.LBB50_361:
	s_cmp_lg_u32 s48, 0
	s_mov_b64 s[6:7], -1
	s_cselect_b64 s[14:15], -1, 0
.LBB50_362:
	s_andn2_b64 vcc, exec, s[14:15]
	s_cbranch_vccz .LBB50_371
; %bb.363:
	s_andn2_b64 vcc, exec, s[6:7]
	s_cbranch_vccnz .LBB50_365
.LBB50_364:
	v_cmp_le_i64_e32 vcc, s[8:9], v[20:21]
	s_andn2_b64 s[6:7], s[12:13], exec
	s_and_b64 s[12:13], vcc, exec
	s_or_b64 s[12:13], s[6:7], s[12:13]
.LBB50_365:
	v_cndmask_b32_e64 v22, 0, 1, s[12:13]
.LBB50_366:
	s_or_b64 exec, exec, s[4:5]
	v_or_b32_e32 v20, 0x700, v0
	v_cmp_gt_i32_e32 vcc, s33, v20
                                        ; implicit-def: $vgpr20
	s_and_saveexec_b64 s[4:5], vcc
	s_cbranch_execz .LBB50_381
; %bb.367:
	s_cmp_lt_i32 s48, 1
	s_mov_b64 s[6:7], 0
	s_cbranch_scc1 .LBB50_372
; %bb.368:
	s_cmp_gt_i32 s48, 1
	s_cbranch_scc0 .LBB50_373
; %bb.369:
	s_cmp_eq_u32 s48, 2
	s_cbranch_scc0 .LBB50_541
; %bb.370:
	v_cmp_ge_i64_e64 s[12:13], s[8:9], v[18:19]
	s_mov_b64 s[14:15], 0
	s_branch .LBB50_375
.LBB50_371:
	v_cmp_gt_i64_e32 vcc, s[8:9], v[20:21]
	s_andn2_b64 s[12:13], s[12:13], exec
	s_and_b64 s[14:15], vcc, exec
	s_or_b64 s[12:13], s[12:13], s[14:15]
	s_cbranch_execz .LBB50_364
	s_branch .LBB50_365
.LBB50_372:
                                        ; implicit-def: $sgpr12_sgpr13
	s_mov_b64 s[14:15], 0
	s_cbranch_execnz .LBB50_376
	s_branch .LBB50_377
.LBB50_373:
	s_mov_b64 s[14:15], 0
                                        ; implicit-def: $sgpr12_sgpr13
	s_cbranch_execz .LBB50_375
; %bb.374:
	v_cmp_lt_i64_e32 vcc, s[8:9], v[18:19]
	s_andn2_b64 s[12:13], s[12:13], exec
	s_and_b64 s[16:17], vcc, exec
	s_or_b64 s[12:13], s[12:13], s[16:17]
.LBB50_375:
	s_branch .LBB50_377
.LBB50_376:
	s_cmp_lg_u32 s48, 0
	s_mov_b64 s[6:7], -1
	s_cselect_b64 s[14:15], -1, 0
.LBB50_377:
	s_andn2_b64 vcc, exec, s[14:15]
	s_cbranch_vccz .LBB50_386
; %bb.378:
	s_andn2_b64 vcc, exec, s[6:7]
	s_cbranch_vccnz .LBB50_380
.LBB50_379:
	v_cmp_le_i64_e32 vcc, s[8:9], v[18:19]
	s_andn2_b64 s[6:7], s[12:13], exec
	s_and_b64 s[12:13], vcc, exec
	s_or_b64 s[12:13], s[6:7], s[12:13]
.LBB50_380:
	v_cndmask_b32_e64 v20, 0, 1, s[12:13]
.LBB50_381:
	s_or_b64 exec, exec, s[4:5]
	v_or_b32_e32 v18, 0x800, v0
	v_cmp_gt_i32_e32 vcc, s33, v18
                                        ; implicit-def: $vgpr18
	s_and_saveexec_b64 s[4:5], vcc
	s_cbranch_execz .LBB50_396
; %bb.382:
	s_cmp_lt_i32 s48, 1
	s_mov_b64 s[6:7], 0
	s_cbranch_scc1 .LBB50_387
; %bb.383:
	s_cmp_gt_i32 s48, 1
	s_cbranch_scc0 .LBB50_388
; %bb.384:
	s_cmp_eq_u32 s48, 2
	s_cbranch_scc0 .LBB50_542
; %bb.385:
	v_cmp_ge_i64_e64 s[12:13], s[8:9], v[16:17]
	s_mov_b64 s[14:15], 0
	s_branch .LBB50_390
.LBB50_386:
	v_cmp_gt_i64_e32 vcc, s[8:9], v[18:19]
	s_andn2_b64 s[12:13], s[12:13], exec
	s_and_b64 s[14:15], vcc, exec
	s_or_b64 s[12:13], s[12:13], s[14:15]
	s_cbranch_execz .LBB50_379
	s_branch .LBB50_380
.LBB50_387:
                                        ; implicit-def: $sgpr12_sgpr13
	s_mov_b64 s[14:15], 0
	s_cbranch_execnz .LBB50_391
	s_branch .LBB50_392
.LBB50_388:
	s_mov_b64 s[14:15], 0
                                        ; implicit-def: $sgpr12_sgpr13
	s_cbranch_execz .LBB50_390
; %bb.389:
	v_cmp_lt_i64_e32 vcc, s[8:9], v[16:17]
	s_andn2_b64 s[12:13], s[12:13], exec
	s_and_b64 s[16:17], vcc, exec
	s_or_b64 s[12:13], s[12:13], s[16:17]
.LBB50_390:
	s_branch .LBB50_392
.LBB50_391:
	s_cmp_lg_u32 s48, 0
	s_mov_b64 s[6:7], -1
	s_cselect_b64 s[14:15], -1, 0
.LBB50_392:
	s_andn2_b64 vcc, exec, s[14:15]
	s_cbranch_vccz .LBB50_401
; %bb.393:
	s_andn2_b64 vcc, exec, s[6:7]
	s_cbranch_vccnz .LBB50_395
.LBB50_394:
	v_cmp_le_i64_e32 vcc, s[8:9], v[16:17]
	s_andn2_b64 s[6:7], s[12:13], exec
	s_and_b64 s[12:13], vcc, exec
	s_or_b64 s[12:13], s[6:7], s[12:13]
.LBB50_395:
	v_cndmask_b32_e64 v18, 0, 1, s[12:13]
.LBB50_396:
	s_or_b64 exec, exec, s[4:5]
	v_or_b32_e32 v16, 0x900, v0
	v_cmp_gt_i32_e32 vcc, s33, v16
                                        ; implicit-def: $vgpr16
	s_and_saveexec_b64 s[4:5], vcc
	s_cbranch_execz .LBB50_411
; %bb.397:
	s_cmp_lt_i32 s48, 1
	s_mov_b64 s[6:7], 0
	s_cbranch_scc1 .LBB50_402
; %bb.398:
	s_cmp_gt_i32 s48, 1
	s_cbranch_scc0 .LBB50_403
; %bb.399:
	s_cmp_eq_u32 s48, 2
	s_cbranch_scc0 .LBB50_543
; %bb.400:
	v_cmp_ge_i64_e64 s[12:13], s[8:9], v[14:15]
	s_mov_b64 s[14:15], 0
	s_branch .LBB50_405
.LBB50_401:
	v_cmp_gt_i64_e32 vcc, s[8:9], v[16:17]
	s_andn2_b64 s[12:13], s[12:13], exec
	s_and_b64 s[14:15], vcc, exec
	s_or_b64 s[12:13], s[12:13], s[14:15]
	s_cbranch_execz .LBB50_394
	s_branch .LBB50_395
.LBB50_402:
                                        ; implicit-def: $sgpr12_sgpr13
	s_mov_b64 s[14:15], 0
	s_cbranch_execnz .LBB50_406
	s_branch .LBB50_407
.LBB50_403:
	s_mov_b64 s[14:15], 0
                                        ; implicit-def: $sgpr12_sgpr13
	s_cbranch_execz .LBB50_405
; %bb.404:
	v_cmp_lt_i64_e32 vcc, s[8:9], v[14:15]
	s_andn2_b64 s[12:13], s[12:13], exec
	s_and_b64 s[16:17], vcc, exec
	s_or_b64 s[12:13], s[12:13], s[16:17]
.LBB50_405:
	s_branch .LBB50_407
.LBB50_406:
	s_cmp_lg_u32 s48, 0
	s_mov_b64 s[6:7], -1
	s_cselect_b64 s[14:15], -1, 0
.LBB50_407:
	s_andn2_b64 vcc, exec, s[14:15]
	s_cbranch_vccz .LBB50_416
; %bb.408:
	s_andn2_b64 vcc, exec, s[6:7]
	s_cbranch_vccnz .LBB50_410
.LBB50_409:
	v_cmp_le_i64_e32 vcc, s[8:9], v[14:15]
	s_andn2_b64 s[6:7], s[12:13], exec
	s_and_b64 s[12:13], vcc, exec
	s_or_b64 s[12:13], s[6:7], s[12:13]
.LBB50_410:
	v_cndmask_b32_e64 v16, 0, 1, s[12:13]
.LBB50_411:
	s_or_b64 exec, exec, s[4:5]
	v_or_b32_e32 v14, 0xa00, v0
	v_cmp_gt_i32_e32 vcc, s33, v14
                                        ; implicit-def: $vgpr14
	s_and_saveexec_b64 s[4:5], vcc
	s_cbranch_execz .LBB50_426
; %bb.412:
	s_cmp_lt_i32 s48, 1
	s_mov_b64 s[6:7], 0
	s_cbranch_scc1 .LBB50_417
; %bb.413:
	s_cmp_gt_i32 s48, 1
	s_cbranch_scc0 .LBB50_418
; %bb.414:
	s_cmp_eq_u32 s48, 2
	s_cbranch_scc0 .LBB50_544
; %bb.415:
	v_cmp_ge_i64_e64 s[12:13], s[8:9], v[12:13]
	s_mov_b64 s[14:15], 0
	s_branch .LBB50_420
.LBB50_416:
	v_cmp_gt_i64_e32 vcc, s[8:9], v[14:15]
	s_andn2_b64 s[12:13], s[12:13], exec
	s_and_b64 s[14:15], vcc, exec
	s_or_b64 s[12:13], s[12:13], s[14:15]
	s_cbranch_execz .LBB50_409
	s_branch .LBB50_410
.LBB50_417:
                                        ; implicit-def: $sgpr12_sgpr13
	s_mov_b64 s[14:15], 0
	s_cbranch_execnz .LBB50_421
	s_branch .LBB50_422
.LBB50_418:
	s_mov_b64 s[14:15], 0
                                        ; implicit-def: $sgpr12_sgpr13
	s_cbranch_execz .LBB50_420
; %bb.419:
	v_cmp_lt_i64_e32 vcc, s[8:9], v[12:13]
	s_andn2_b64 s[12:13], s[12:13], exec
	s_and_b64 s[16:17], vcc, exec
	s_or_b64 s[12:13], s[12:13], s[16:17]
.LBB50_420:
	s_branch .LBB50_422
.LBB50_421:
	s_cmp_lg_u32 s48, 0
	s_mov_b64 s[6:7], -1
	s_cselect_b64 s[14:15], -1, 0
.LBB50_422:
	s_andn2_b64 vcc, exec, s[14:15]
	s_cbranch_vccz .LBB50_431
; %bb.423:
	s_andn2_b64 vcc, exec, s[6:7]
	s_cbranch_vccnz .LBB50_425
.LBB50_424:
	v_cmp_le_i64_e32 vcc, s[8:9], v[12:13]
	s_andn2_b64 s[6:7], s[12:13], exec
	s_and_b64 s[12:13], vcc, exec
	s_or_b64 s[12:13], s[6:7], s[12:13]
.LBB50_425:
	v_cndmask_b32_e64 v14, 0, 1, s[12:13]
.LBB50_426:
	s_or_b64 exec, exec, s[4:5]
	v_or_b32_e32 v12, 0xb00, v0
	v_cmp_gt_i32_e32 vcc, s33, v12
                                        ; implicit-def: $vgpr12
	s_and_saveexec_b64 s[4:5], vcc
	s_cbranch_execz .LBB50_441
; %bb.427:
	s_cmp_lt_i32 s48, 1
	s_mov_b64 s[6:7], 0
	s_cbranch_scc1 .LBB50_432
; %bb.428:
	s_cmp_gt_i32 s48, 1
	s_cbranch_scc0 .LBB50_433
; %bb.429:
	s_cmp_eq_u32 s48, 2
	s_cbranch_scc0 .LBB50_545
; %bb.430:
	v_cmp_ge_i64_e64 s[12:13], s[8:9], v[10:11]
	s_mov_b64 s[14:15], 0
	s_branch .LBB50_435
.LBB50_431:
	v_cmp_gt_i64_e32 vcc, s[8:9], v[12:13]
	s_andn2_b64 s[12:13], s[12:13], exec
	s_and_b64 s[14:15], vcc, exec
	s_or_b64 s[12:13], s[12:13], s[14:15]
	s_cbranch_execz .LBB50_424
	s_branch .LBB50_425
.LBB50_432:
                                        ; implicit-def: $sgpr12_sgpr13
	s_mov_b64 s[14:15], 0
	s_cbranch_execnz .LBB50_436
	s_branch .LBB50_437
.LBB50_433:
	s_mov_b64 s[14:15], 0
                                        ; implicit-def: $sgpr12_sgpr13
	s_cbranch_execz .LBB50_435
; %bb.434:
	v_cmp_lt_i64_e32 vcc, s[8:9], v[10:11]
	s_andn2_b64 s[12:13], s[12:13], exec
	s_and_b64 s[16:17], vcc, exec
	s_or_b64 s[12:13], s[12:13], s[16:17]
.LBB50_435:
	s_branch .LBB50_437
.LBB50_436:
	s_cmp_lg_u32 s48, 0
	s_mov_b64 s[6:7], -1
	s_cselect_b64 s[14:15], -1, 0
.LBB50_437:
	s_andn2_b64 vcc, exec, s[14:15]
	s_cbranch_vccz .LBB50_446
; %bb.438:
	s_andn2_b64 vcc, exec, s[6:7]
	s_cbranch_vccnz .LBB50_440
.LBB50_439:
	v_cmp_le_i64_e32 vcc, s[8:9], v[10:11]
	s_andn2_b64 s[6:7], s[12:13], exec
	s_and_b64 s[12:13], vcc, exec
	s_or_b64 s[12:13], s[6:7], s[12:13]
.LBB50_440:
	v_cndmask_b32_e64 v12, 0, 1, s[12:13]
.LBB50_441:
	s_or_b64 exec, exec, s[4:5]
	v_or_b32_e32 v10, 0xc00, v0
	v_cmp_gt_i32_e32 vcc, s33, v10
                                        ; implicit-def: $vgpr10
	s_and_saveexec_b64 s[4:5], vcc
	s_cbranch_execz .LBB50_456
; %bb.442:
	s_cmp_lt_i32 s48, 1
	s_mov_b64 s[6:7], 0
	s_cbranch_scc1 .LBB50_447
; %bb.443:
	s_cmp_gt_i32 s48, 1
	s_cbranch_scc0 .LBB50_448
; %bb.444:
	s_cmp_eq_u32 s48, 2
	s_cbranch_scc0 .LBB50_546
; %bb.445:
	v_cmp_ge_i64_e64 s[12:13], s[8:9], v[8:9]
	s_mov_b64 s[14:15], 0
	s_branch .LBB50_450
.LBB50_446:
	v_cmp_gt_i64_e32 vcc, s[8:9], v[10:11]
	s_andn2_b64 s[12:13], s[12:13], exec
	s_and_b64 s[14:15], vcc, exec
	s_or_b64 s[12:13], s[12:13], s[14:15]
	s_cbranch_execz .LBB50_439
	s_branch .LBB50_440
.LBB50_447:
                                        ; implicit-def: $sgpr12_sgpr13
	s_mov_b64 s[14:15], 0
	s_cbranch_execnz .LBB50_451
	s_branch .LBB50_452
.LBB50_448:
	s_mov_b64 s[14:15], 0
                                        ; implicit-def: $sgpr12_sgpr13
	s_cbranch_execz .LBB50_450
; %bb.449:
	v_cmp_lt_i64_e32 vcc, s[8:9], v[8:9]
	s_andn2_b64 s[12:13], s[12:13], exec
	s_and_b64 s[16:17], vcc, exec
	s_or_b64 s[12:13], s[12:13], s[16:17]
.LBB50_450:
	s_branch .LBB50_452
.LBB50_451:
	s_cmp_lg_u32 s48, 0
	s_mov_b64 s[6:7], -1
	s_cselect_b64 s[14:15], -1, 0
.LBB50_452:
	s_andn2_b64 vcc, exec, s[14:15]
	s_cbranch_vccz .LBB50_461
; %bb.453:
	s_andn2_b64 vcc, exec, s[6:7]
	s_cbranch_vccnz .LBB50_455
.LBB50_454:
	v_cmp_le_i64_e32 vcc, s[8:9], v[8:9]
	s_andn2_b64 s[6:7], s[12:13], exec
	s_and_b64 s[12:13], vcc, exec
	s_or_b64 s[12:13], s[6:7], s[12:13]
.LBB50_455:
	v_cndmask_b32_e64 v10, 0, 1, s[12:13]
.LBB50_456:
	s_or_b64 exec, exec, s[4:5]
	v_or_b32_e32 v8, 0xd00, v0
	v_cmp_gt_i32_e32 vcc, s33, v8
                                        ; implicit-def: $vgpr8
	s_and_saveexec_b64 s[4:5], vcc
	s_cbranch_execz .LBB50_471
; %bb.457:
	s_cmp_lt_i32 s48, 1
	s_mov_b64 s[6:7], 0
	s_cbranch_scc1 .LBB50_462
; %bb.458:
	s_cmp_gt_i32 s48, 1
	s_cbranch_scc0 .LBB50_463
; %bb.459:
	s_cmp_eq_u32 s48, 2
	s_cbranch_scc0 .LBB50_547
; %bb.460:
	v_cmp_ge_i64_e64 s[12:13], s[8:9], v[6:7]
	s_mov_b64 s[14:15], 0
	s_branch .LBB50_465
.LBB50_461:
	v_cmp_gt_i64_e32 vcc, s[8:9], v[8:9]
	s_andn2_b64 s[12:13], s[12:13], exec
	s_and_b64 s[14:15], vcc, exec
	s_or_b64 s[12:13], s[12:13], s[14:15]
	s_cbranch_execz .LBB50_454
	s_branch .LBB50_455
.LBB50_462:
                                        ; implicit-def: $sgpr12_sgpr13
	s_mov_b64 s[14:15], 0
	s_cbranch_execnz .LBB50_466
	s_branch .LBB50_467
.LBB50_463:
	s_mov_b64 s[14:15], 0
                                        ; implicit-def: $sgpr12_sgpr13
	s_cbranch_execz .LBB50_465
; %bb.464:
	v_cmp_lt_i64_e32 vcc, s[8:9], v[6:7]
	s_andn2_b64 s[12:13], s[12:13], exec
	s_and_b64 s[16:17], vcc, exec
	s_or_b64 s[12:13], s[12:13], s[16:17]
.LBB50_465:
	s_branch .LBB50_467
.LBB50_466:
	s_cmp_lg_u32 s48, 0
	s_mov_b64 s[6:7], -1
	s_cselect_b64 s[14:15], -1, 0
.LBB50_467:
	s_andn2_b64 vcc, exec, s[14:15]
	s_cbranch_vccz .LBB50_476
; %bb.468:
	s_andn2_b64 vcc, exec, s[6:7]
	s_cbranch_vccnz .LBB50_470
.LBB50_469:
	v_cmp_le_i64_e32 vcc, s[8:9], v[6:7]
	s_andn2_b64 s[6:7], s[12:13], exec
	s_and_b64 s[12:13], vcc, exec
	s_or_b64 s[12:13], s[6:7], s[12:13]
.LBB50_470:
	v_cndmask_b32_e64 v8, 0, 1, s[12:13]
.LBB50_471:
	s_or_b64 exec, exec, s[4:5]
	v_or_b32_e32 v6, 0xe00, v0
	v_cmp_gt_i32_e32 vcc, s33, v6
                                        ; implicit-def: $vgpr6
	s_and_saveexec_b64 s[4:5], vcc
	s_cbranch_execz .LBB50_486
; %bb.472:
	s_cmp_lt_i32 s48, 1
	s_mov_b64 s[6:7], 0
	s_cbranch_scc1 .LBB50_477
; %bb.473:
	s_cmp_gt_i32 s48, 1
	s_cbranch_scc0 .LBB50_478
; %bb.474:
	s_cmp_eq_u32 s48, 2
	s_cbranch_scc0 .LBB50_548
; %bb.475:
	v_cmp_ge_i64_e64 s[12:13], s[8:9], v[4:5]
	s_mov_b64 s[14:15], 0
	s_branch .LBB50_480
.LBB50_476:
	v_cmp_gt_i64_e32 vcc, s[8:9], v[6:7]
	s_andn2_b64 s[12:13], s[12:13], exec
	s_and_b64 s[14:15], vcc, exec
	s_or_b64 s[12:13], s[12:13], s[14:15]
	s_cbranch_execz .LBB50_469
	s_branch .LBB50_470
.LBB50_477:
                                        ; implicit-def: $sgpr12_sgpr13
	s_mov_b64 s[14:15], 0
	s_cbranch_execnz .LBB50_481
	s_branch .LBB50_482
.LBB50_478:
	s_mov_b64 s[14:15], 0
                                        ; implicit-def: $sgpr12_sgpr13
	s_cbranch_execz .LBB50_480
; %bb.479:
	v_cmp_lt_i64_e32 vcc, s[8:9], v[4:5]
	s_andn2_b64 s[12:13], s[12:13], exec
	s_and_b64 s[16:17], vcc, exec
	s_or_b64 s[12:13], s[12:13], s[16:17]
.LBB50_480:
	s_branch .LBB50_482
.LBB50_481:
	s_cmp_lg_u32 s48, 0
	s_mov_b64 s[6:7], -1
	s_cselect_b64 s[14:15], -1, 0
.LBB50_482:
	s_andn2_b64 vcc, exec, s[14:15]
	s_cbranch_vccz .LBB50_491
; %bb.483:
	s_andn2_b64 vcc, exec, s[6:7]
	s_cbranch_vccnz .LBB50_485
.LBB50_484:
	v_cmp_le_i64_e32 vcc, s[8:9], v[4:5]
	s_andn2_b64 s[6:7], s[12:13], exec
	s_and_b64 s[12:13], vcc, exec
	s_or_b64 s[12:13], s[6:7], s[12:13]
.LBB50_485:
	v_cndmask_b32_e64 v6, 0, 1, s[12:13]
.LBB50_486:
	s_or_b64 exec, exec, s[4:5]
	v_or_b32_e32 v4, 0xf00, v0
	v_cmp_gt_i32_e32 vcc, s33, v4
                                        ; implicit-def: $vgpr4
	s_and_saveexec_b64 s[4:5], vcc
	s_cbranch_execz .LBB50_501
; %bb.487:
	s_cmp_lt_i32 s48, 1
	s_mov_b64 s[6:7], 0
	s_cbranch_scc1 .LBB50_492
; %bb.488:
	s_cmp_gt_i32 s48, 1
	s_cbranch_scc0 .LBB50_493
; %bb.489:
	s_cmp_eq_u32 s48, 2
	s_cbranch_scc0 .LBB50_549
; %bb.490:
	v_cmp_ge_i64_e64 s[12:13], s[8:9], v[2:3]
	s_mov_b64 s[14:15], 0
	s_branch .LBB50_495
.LBB50_491:
	v_cmp_gt_i64_e32 vcc, s[8:9], v[4:5]
	s_andn2_b64 s[12:13], s[12:13], exec
	s_and_b64 s[14:15], vcc, exec
	s_or_b64 s[12:13], s[12:13], s[14:15]
	s_cbranch_execz .LBB50_484
	s_branch .LBB50_485
.LBB50_492:
                                        ; implicit-def: $sgpr12_sgpr13
	s_mov_b64 s[14:15], 0
	s_cbranch_execnz .LBB50_496
	s_branch .LBB50_497
.LBB50_493:
	s_mov_b64 s[14:15], 0
                                        ; implicit-def: $sgpr12_sgpr13
	s_cbranch_execz .LBB50_495
; %bb.494:
	v_cmp_lt_i64_e32 vcc, s[8:9], v[2:3]
	s_andn2_b64 s[12:13], s[12:13], exec
	s_and_b64 s[16:17], vcc, exec
	s_or_b64 s[12:13], s[12:13], s[16:17]
.LBB50_495:
	s_branch .LBB50_497
.LBB50_496:
	s_cmp_lg_u32 s48, 0
	s_mov_b64 s[6:7], -1
	s_cselect_b64 s[14:15], -1, 0
.LBB50_497:
	s_andn2_b64 vcc, exec, s[14:15]
	s_cbranch_vccz .LBB50_534
; %bb.498:
	s_andn2_b64 vcc, exec, s[6:7]
	s_cbranch_vccnz .LBB50_500
.LBB50_499:
	v_cmp_le_i64_e32 vcc, s[8:9], v[2:3]
	s_andn2_b64 s[6:7], s[12:13], exec
	s_and_b64 s[8:9], vcc, exec
	s_or_b64 s[12:13], s[6:7], s[8:9]
.LBB50_500:
	v_cndmask_b32_e64 v4, 0, 1, s[12:13]
.LBB50_501:
	s_or_b64 exec, exec, s[4:5]
	s_and_saveexec_b64 s[4:5], s[0:1]
	s_xor_b64 s[0:1], exec, s[4:5]
	s_cbranch_execz .LBB50_503
; %bb.502:
	v_mov_b32_e32 v0, v32
	global_store_byte v1, v34, s[10:11]
.LBB50_503:
	s_or_b64 exec, exec, s[0:1]
	v_cmp_gt_i32_e32 vcc, s33, v0
	s_and_saveexec_b64 s[0:1], vcc
	s_cbranch_execnz .LBB50_520
; %bb.504:
	s_or_b64 exec, exec, s[0:1]
	v_cmp_gt_i32_e32 vcc, s33, v0
	s_and_saveexec_b64 s[0:1], vcc
	s_cbranch_execnz .LBB50_521
.LBB50_505:
	s_or_b64 exec, exec, s[0:1]
	v_cmp_gt_i32_e32 vcc, s33, v0
	s_and_saveexec_b64 s[0:1], vcc
	s_cbranch_execnz .LBB50_522
.LBB50_506:
	s_or_b64 exec, exec, s[0:1]
	v_cmp_gt_i32_e32 vcc, s33, v0
	s_and_saveexec_b64 s[0:1], vcc
	s_cbranch_execnz .LBB50_523
.LBB50_507:
	s_or_b64 exec, exec, s[0:1]
	v_cmp_gt_i32_e32 vcc, s33, v0
	s_and_saveexec_b64 s[0:1], vcc
	s_cbranch_execnz .LBB50_524
.LBB50_508:
	s_or_b64 exec, exec, s[0:1]
	v_cmp_gt_i32_e32 vcc, s33, v0
	s_and_saveexec_b64 s[0:1], vcc
	s_cbranch_execnz .LBB50_525
.LBB50_509:
	s_or_b64 exec, exec, s[0:1]
	v_cmp_gt_i32_e32 vcc, s33, v0
	s_and_saveexec_b64 s[0:1], vcc
	s_cbranch_execnz .LBB50_526
.LBB50_510:
	s_or_b64 exec, exec, s[0:1]
	v_cmp_gt_i32_e32 vcc, s33, v0
	s_and_saveexec_b64 s[0:1], vcc
	s_cbranch_execnz .LBB50_527
.LBB50_511:
	s_or_b64 exec, exec, s[0:1]
	v_cmp_gt_i32_e32 vcc, s33, v0
	s_and_saveexec_b64 s[0:1], vcc
	s_cbranch_execnz .LBB50_528
.LBB50_512:
	s_or_b64 exec, exec, s[0:1]
	v_cmp_gt_i32_e32 vcc, s33, v0
	s_and_saveexec_b64 s[0:1], vcc
	s_cbranch_execnz .LBB50_529
.LBB50_513:
	s_or_b64 exec, exec, s[0:1]
	v_cmp_gt_i32_e32 vcc, s33, v0
	s_and_saveexec_b64 s[0:1], vcc
	s_cbranch_execnz .LBB50_530
.LBB50_514:
	s_or_b64 exec, exec, s[0:1]
	v_cmp_gt_i32_e32 vcc, s33, v0
	s_and_saveexec_b64 s[0:1], vcc
	s_cbranch_execnz .LBB50_531
.LBB50_515:
	s_or_b64 exec, exec, s[0:1]
	v_cmp_gt_i32_e32 vcc, s33, v0
	s_and_saveexec_b64 s[0:1], vcc
	s_cbranch_execnz .LBB50_532
.LBB50_516:
	s_or_b64 exec, exec, s[0:1]
	v_cmp_gt_i32_e32 vcc, s33, v0
	s_and_saveexec_b64 s[0:1], vcc
	s_cbranch_execnz .LBB50_533
.LBB50_517:
	s_or_b64 exec, exec, s[0:1]
	v_cmp_gt_i32_e32 vcc, s33, v0
	s_and_saveexec_b64 s[0:1], vcc
	s_cbranch_execz .LBB50_519
.LBB50_518:
	v_add_u32_e32 v0, s2, v0
	global_store_byte v0, v4, s[10:11]
.LBB50_519:
	s_endpgm
.LBB50_520:
	v_add_u32_e32 v1, s2, v0
	v_add_u32_e32 v0, 0x100, v0
	global_store_byte v1, v33, s[10:11]
	s_or_b64 exec, exec, s[0:1]
	v_cmp_gt_i32_e32 vcc, s33, v0
	s_and_saveexec_b64 s[0:1], vcc
	s_cbranch_execz .LBB50_505
.LBB50_521:
	v_add_u32_e32 v1, s2, v0
	v_add_u32_e32 v0, 0x100, v0
	global_store_byte v1, v30, s[10:11]
	s_or_b64 exec, exec, s[0:1]
	v_cmp_gt_i32_e32 vcc, s33, v0
	s_and_saveexec_b64 s[0:1], vcc
	s_cbranch_execz .LBB50_506
.LBB50_522:
	v_add_u32_e32 v1, s2, v0
	v_add_u32_e32 v0, 0x100, v0
	global_store_byte v1, v28, s[10:11]
	s_or_b64 exec, exec, s[0:1]
	v_cmp_gt_i32_e32 vcc, s33, v0
	s_and_saveexec_b64 s[0:1], vcc
	s_cbranch_execz .LBB50_507
.LBB50_523:
	v_add_u32_e32 v1, s2, v0
	v_add_u32_e32 v0, 0x100, v0
	global_store_byte v1, v26, s[10:11]
	s_or_b64 exec, exec, s[0:1]
	v_cmp_gt_i32_e32 vcc, s33, v0
	s_and_saveexec_b64 s[0:1], vcc
	s_cbranch_execz .LBB50_508
.LBB50_524:
	v_add_u32_e32 v1, s2, v0
	v_add_u32_e32 v0, 0x100, v0
	global_store_byte v1, v24, s[10:11]
	s_or_b64 exec, exec, s[0:1]
	v_cmp_gt_i32_e32 vcc, s33, v0
	s_and_saveexec_b64 s[0:1], vcc
	s_cbranch_execz .LBB50_509
.LBB50_525:
	v_add_u32_e32 v1, s2, v0
	v_add_u32_e32 v0, 0x100, v0
	global_store_byte v1, v22, s[10:11]
	s_or_b64 exec, exec, s[0:1]
	v_cmp_gt_i32_e32 vcc, s33, v0
	s_and_saveexec_b64 s[0:1], vcc
	s_cbranch_execz .LBB50_510
.LBB50_526:
	v_add_u32_e32 v1, s2, v0
	v_add_u32_e32 v0, 0x100, v0
	global_store_byte v1, v20, s[10:11]
	s_or_b64 exec, exec, s[0:1]
	v_cmp_gt_i32_e32 vcc, s33, v0
	s_and_saveexec_b64 s[0:1], vcc
	s_cbranch_execz .LBB50_511
.LBB50_527:
	v_add_u32_e32 v1, s2, v0
	v_add_u32_e32 v0, 0x100, v0
	global_store_byte v1, v18, s[10:11]
	s_or_b64 exec, exec, s[0:1]
	v_cmp_gt_i32_e32 vcc, s33, v0
	s_and_saveexec_b64 s[0:1], vcc
	s_cbranch_execz .LBB50_512
.LBB50_528:
	v_add_u32_e32 v1, s2, v0
	v_add_u32_e32 v0, 0x100, v0
	global_store_byte v1, v16, s[10:11]
	s_or_b64 exec, exec, s[0:1]
	v_cmp_gt_i32_e32 vcc, s33, v0
	s_and_saveexec_b64 s[0:1], vcc
	s_cbranch_execz .LBB50_513
.LBB50_529:
	v_add_u32_e32 v1, s2, v0
	v_add_u32_e32 v0, 0x100, v0
	global_store_byte v1, v14, s[10:11]
	s_or_b64 exec, exec, s[0:1]
	v_cmp_gt_i32_e32 vcc, s33, v0
	s_and_saveexec_b64 s[0:1], vcc
	s_cbranch_execz .LBB50_514
.LBB50_530:
	v_add_u32_e32 v1, s2, v0
	v_add_u32_e32 v0, 0x100, v0
	global_store_byte v1, v12, s[10:11]
	s_or_b64 exec, exec, s[0:1]
	v_cmp_gt_i32_e32 vcc, s33, v0
	s_and_saveexec_b64 s[0:1], vcc
	s_cbranch_execz .LBB50_515
.LBB50_531:
	v_add_u32_e32 v1, s2, v0
	v_add_u32_e32 v0, 0x100, v0
	global_store_byte v1, v10, s[10:11]
	s_or_b64 exec, exec, s[0:1]
	v_cmp_gt_i32_e32 vcc, s33, v0
	s_and_saveexec_b64 s[0:1], vcc
	s_cbranch_execz .LBB50_516
.LBB50_532:
	v_add_u32_e32 v1, s2, v0
	v_add_u32_e32 v0, 0x100, v0
	global_store_byte v1, v8, s[10:11]
	s_or_b64 exec, exec, s[0:1]
	v_cmp_gt_i32_e32 vcc, s33, v0
	s_and_saveexec_b64 s[0:1], vcc
	s_cbranch_execz .LBB50_517
.LBB50_533:
	v_add_u32_e32 v1, s2, v0
	v_add_u32_e32 v0, 0x100, v0
	global_store_byte v1, v6, s[10:11]
	s_or_b64 exec, exec, s[0:1]
	v_cmp_gt_i32_e32 vcc, s33, v0
	s_and_saveexec_b64 s[0:1], vcc
	s_cbranch_execnz .LBB50_518
	s_branch .LBB50_519
.LBB50_534:
	v_cmp_gt_i64_e32 vcc, s[8:9], v[2:3]
	s_andn2_b64 s[12:13], s[12:13], exec
	s_and_b64 s[14:15], vcc, exec
	s_or_b64 s[12:13], s[12:13], s[14:15]
	s_cbranch_execz .LBB50_499
	s_branch .LBB50_500
.LBB50_535:
	s_mov_b64 s[14:15], -1
                                        ; implicit-def: $sgpr12_sgpr13
	s_branch .LBB50_285
.LBB50_536:
	s_mov_b64 s[14:15], -1
                                        ; implicit-def: $sgpr12_sgpr13
	s_branch .LBB50_300
.LBB50_537:
	s_mov_b64 s[14:15], -1
                                        ; implicit-def: $sgpr12_sgpr13
	s_branch .LBB50_315
.LBB50_538:
	s_mov_b64 s[14:15], -1
                                        ; implicit-def: $sgpr12_sgpr13
	s_branch .LBB50_330
.LBB50_539:
	s_mov_b64 s[14:15], -1
                                        ; implicit-def: $sgpr12_sgpr13
	s_branch .LBB50_345
.LBB50_540:
	s_mov_b64 s[14:15], -1
                                        ; implicit-def: $sgpr12_sgpr13
	s_branch .LBB50_360
.LBB50_541:
	s_mov_b64 s[14:15], -1
                                        ; implicit-def: $sgpr12_sgpr13
	s_branch .LBB50_375
.LBB50_542:
	s_mov_b64 s[14:15], -1
                                        ; implicit-def: $sgpr12_sgpr13
	s_branch .LBB50_390
.LBB50_543:
	s_mov_b64 s[14:15], -1
                                        ; implicit-def: $sgpr12_sgpr13
	s_branch .LBB50_405
.LBB50_544:
	s_mov_b64 s[14:15], -1
                                        ; implicit-def: $sgpr12_sgpr13
	s_branch .LBB50_420
.LBB50_545:
	s_mov_b64 s[14:15], -1
                                        ; implicit-def: $sgpr12_sgpr13
	s_branch .LBB50_435
.LBB50_546:
	s_mov_b64 s[14:15], -1
                                        ; implicit-def: $sgpr12_sgpr13
	s_branch .LBB50_450
.LBB50_547:
	s_mov_b64 s[14:15], -1
                                        ; implicit-def: $sgpr12_sgpr13
	s_branch .LBB50_465
.LBB50_548:
	s_mov_b64 s[14:15], -1
                                        ; implicit-def: $sgpr12_sgpr13
	s_branch .LBB50_480
.LBB50_549:
	s_mov_b64 s[14:15], -1
                                        ; implicit-def: $sgpr12_sgpr13
	s_branch .LBB50_495
	.section	.rodata,"a",@progbits
	.p2align	6, 0x0
	.amdhsa_kernel _ZN2at6native29vectorized_elementwise_kernelILi4EZNS0_21compare_scalar_kernelIlEEvRNS_18TensorIteratorBaseENS0_12_GLOBAL__N_16OpTypeET_EUllE_St5arrayIPcLm2EEEEviT0_T1_
		.amdhsa_group_segment_fixed_size 0
		.amdhsa_private_segment_fixed_size 0
		.amdhsa_kernarg_size 40
		.amdhsa_user_sgpr_count 6
		.amdhsa_user_sgpr_private_segment_buffer 1
		.amdhsa_user_sgpr_dispatch_ptr 0
		.amdhsa_user_sgpr_queue_ptr 0
		.amdhsa_user_sgpr_kernarg_segment_ptr 1
		.amdhsa_user_sgpr_dispatch_id 0
		.amdhsa_user_sgpr_flat_scratch_init 0
		.amdhsa_user_sgpr_private_segment_size 0
		.amdhsa_uses_dynamic_stack 0
		.amdhsa_system_sgpr_private_segment_wavefront_offset 0
		.amdhsa_system_sgpr_workgroup_id_x 1
		.amdhsa_system_sgpr_workgroup_id_y 0
		.amdhsa_system_sgpr_workgroup_id_z 0
		.amdhsa_system_sgpr_workgroup_info 0
		.amdhsa_system_vgpr_workitem_id 0
		.amdhsa_next_free_vgpr 37
		.amdhsa_next_free_sgpr 49
		.amdhsa_reserve_vcc 1
		.amdhsa_reserve_flat_scratch 0
		.amdhsa_float_round_mode_32 0
		.amdhsa_float_round_mode_16_64 0
		.amdhsa_float_denorm_mode_32 3
		.amdhsa_float_denorm_mode_16_64 3
		.amdhsa_dx10_clamp 1
		.amdhsa_ieee_mode 1
		.amdhsa_fp16_overflow 0
		.amdhsa_exception_fp_ieee_invalid_op 0
		.amdhsa_exception_fp_denorm_src 0
		.amdhsa_exception_fp_ieee_div_zero 0
		.amdhsa_exception_fp_ieee_overflow 0
		.amdhsa_exception_fp_ieee_underflow 0
		.amdhsa_exception_fp_ieee_inexact 0
		.amdhsa_exception_int_div_zero 0
	.end_amdhsa_kernel
	.section	.text._ZN2at6native29vectorized_elementwise_kernelILi4EZNS0_21compare_scalar_kernelIlEEvRNS_18TensorIteratorBaseENS0_12_GLOBAL__N_16OpTypeET_EUllE_St5arrayIPcLm2EEEEviT0_T1_,"axG",@progbits,_ZN2at6native29vectorized_elementwise_kernelILi4EZNS0_21compare_scalar_kernelIlEEvRNS_18TensorIteratorBaseENS0_12_GLOBAL__N_16OpTypeET_EUllE_St5arrayIPcLm2EEEEviT0_T1_,comdat
.Lfunc_end50:
	.size	_ZN2at6native29vectorized_elementwise_kernelILi4EZNS0_21compare_scalar_kernelIlEEvRNS_18TensorIteratorBaseENS0_12_GLOBAL__N_16OpTypeET_EUllE_St5arrayIPcLm2EEEEviT0_T1_, .Lfunc_end50-_ZN2at6native29vectorized_elementwise_kernelILi4EZNS0_21compare_scalar_kernelIlEEvRNS_18TensorIteratorBaseENS0_12_GLOBAL__N_16OpTypeET_EUllE_St5arrayIPcLm2EEEEviT0_T1_
                                        ; -- End function
	.set _ZN2at6native29vectorized_elementwise_kernelILi4EZNS0_21compare_scalar_kernelIlEEvRNS_18TensorIteratorBaseENS0_12_GLOBAL__N_16OpTypeET_EUllE_St5arrayIPcLm2EEEEviT0_T1_.num_vgpr, 37
	.set _ZN2at6native29vectorized_elementwise_kernelILi4EZNS0_21compare_scalar_kernelIlEEvRNS_18TensorIteratorBaseENS0_12_GLOBAL__N_16OpTypeET_EUllE_St5arrayIPcLm2EEEEviT0_T1_.num_agpr, 0
	.set _ZN2at6native29vectorized_elementwise_kernelILi4EZNS0_21compare_scalar_kernelIlEEvRNS_18TensorIteratorBaseENS0_12_GLOBAL__N_16OpTypeET_EUllE_St5arrayIPcLm2EEEEviT0_T1_.numbered_sgpr, 49
	.set _ZN2at6native29vectorized_elementwise_kernelILi4EZNS0_21compare_scalar_kernelIlEEvRNS_18TensorIteratorBaseENS0_12_GLOBAL__N_16OpTypeET_EUllE_St5arrayIPcLm2EEEEviT0_T1_.num_named_barrier, 0
	.set _ZN2at6native29vectorized_elementwise_kernelILi4EZNS0_21compare_scalar_kernelIlEEvRNS_18TensorIteratorBaseENS0_12_GLOBAL__N_16OpTypeET_EUllE_St5arrayIPcLm2EEEEviT0_T1_.private_seg_size, 0
	.set _ZN2at6native29vectorized_elementwise_kernelILi4EZNS0_21compare_scalar_kernelIlEEvRNS_18TensorIteratorBaseENS0_12_GLOBAL__N_16OpTypeET_EUllE_St5arrayIPcLm2EEEEviT0_T1_.uses_vcc, 1
	.set _ZN2at6native29vectorized_elementwise_kernelILi4EZNS0_21compare_scalar_kernelIlEEvRNS_18TensorIteratorBaseENS0_12_GLOBAL__N_16OpTypeET_EUllE_St5arrayIPcLm2EEEEviT0_T1_.uses_flat_scratch, 0
	.set _ZN2at6native29vectorized_elementwise_kernelILi4EZNS0_21compare_scalar_kernelIlEEvRNS_18TensorIteratorBaseENS0_12_GLOBAL__N_16OpTypeET_EUllE_St5arrayIPcLm2EEEEviT0_T1_.has_dyn_sized_stack, 0
	.set _ZN2at6native29vectorized_elementwise_kernelILi4EZNS0_21compare_scalar_kernelIlEEvRNS_18TensorIteratorBaseENS0_12_GLOBAL__N_16OpTypeET_EUllE_St5arrayIPcLm2EEEEviT0_T1_.has_recursion, 0
	.set _ZN2at6native29vectorized_elementwise_kernelILi4EZNS0_21compare_scalar_kernelIlEEvRNS_18TensorIteratorBaseENS0_12_GLOBAL__N_16OpTypeET_EUllE_St5arrayIPcLm2EEEEviT0_T1_.has_indirect_call, 0
	.section	.AMDGPU.csdata,"",@progbits
; Kernel info:
; codeLenInByte = 8420
; TotalNumSgprs: 53
; NumVgprs: 37
; ScratchSize: 0
; MemoryBound: 0
; FloatMode: 240
; IeeeMode: 1
; LDSByteSize: 0 bytes/workgroup (compile time only)
; SGPRBlocks: 6
; VGPRBlocks: 9
; NumSGPRsForWavesPerEU: 53
; NumVGPRsForWavesPerEU: 37
; Occupancy: 6
; WaveLimiterHint : 1
; COMPUTE_PGM_RSRC2:SCRATCH_EN: 0
; COMPUTE_PGM_RSRC2:USER_SGPR: 6
; COMPUTE_PGM_RSRC2:TRAP_HANDLER: 0
; COMPUTE_PGM_RSRC2:TGID_X_EN: 1
; COMPUTE_PGM_RSRC2:TGID_Y_EN: 0
; COMPUTE_PGM_RSRC2:TGID_Z_EN: 0
; COMPUTE_PGM_RSRC2:TIDIG_COMP_CNT: 0
	.section	.text._ZN2at6native29vectorized_elementwise_kernelILi2EZNS0_21compare_scalar_kernelIlEEvRNS_18TensorIteratorBaseENS0_12_GLOBAL__N_16OpTypeET_EUllE_St5arrayIPcLm2EEEEviT0_T1_,"axG",@progbits,_ZN2at6native29vectorized_elementwise_kernelILi2EZNS0_21compare_scalar_kernelIlEEvRNS_18TensorIteratorBaseENS0_12_GLOBAL__N_16OpTypeET_EUllE_St5arrayIPcLm2EEEEviT0_T1_,comdat
	.globl	_ZN2at6native29vectorized_elementwise_kernelILi2EZNS0_21compare_scalar_kernelIlEEvRNS_18TensorIteratorBaseENS0_12_GLOBAL__N_16OpTypeET_EUllE_St5arrayIPcLm2EEEEviT0_T1_ ; -- Begin function _ZN2at6native29vectorized_elementwise_kernelILi2EZNS0_21compare_scalar_kernelIlEEvRNS_18TensorIteratorBaseENS0_12_GLOBAL__N_16OpTypeET_EUllE_St5arrayIPcLm2EEEEviT0_T1_
	.p2align	8
	.type	_ZN2at6native29vectorized_elementwise_kernelILi2EZNS0_21compare_scalar_kernelIlEEvRNS_18TensorIteratorBaseENS0_12_GLOBAL__N_16OpTypeET_EUllE_St5arrayIPcLm2EEEEviT0_T1_,@function
_ZN2at6native29vectorized_elementwise_kernelILi2EZNS0_21compare_scalar_kernelIlEEvRNS_18TensorIteratorBaseENS0_12_GLOBAL__N_16OpTypeET_EUllE_St5arrayIPcLm2EEEEviT0_T1_: ; @_ZN2at6native29vectorized_elementwise_kernelILi2EZNS0_21compare_scalar_kernelIlEEvRNS_18TensorIteratorBaseENS0_12_GLOBAL__N_16OpTypeET_EUllE_St5arrayIPcLm2EEEEviT0_T1_
; %bb.0:
	s_load_dword s0, s[4:5], 0x0
	s_load_dword s48, s[4:5], 0x8
	s_load_dwordx4 s[8:11], s[4:5], 0x10
	s_load_dwordx2 s[12:13], s[4:5], 0x20
	s_lshl_b32 s2, s6, 12
	s_waitcnt lgkmcnt(0)
	s_sub_i32 s33, s0, s2
	s_cmpk_gt_i32 s33, 0xfff
	s_mov_b64 s[0:1], -1
	s_cbranch_scc0 .LBB51_211
; %bb.1:
	s_ashr_i32 s3, s2, 31
	s_lshl_b64 s[0:1], s[2:3], 3
	s_add_u32 s0, s12, s0
	s_addc_u32 s1, s13, s1
	v_lshlrev_b32_e32 v3, 4, v0
	v_mov_b32_e32 v1, s1
	v_add_co_u32_e32 v5, vcc, s0, v3
	v_addc_co_u32_e32 v6, vcc, 0, v1, vcc
	v_add_co_u32_e32 v1, vcc, 0x1000, v5
	v_addc_co_u32_e32 v2, vcc, 0, v6, vcc
	global_load_dwordx4 v[29:32], v3, s[0:1]
	global_load_dwordx4 v[25:28], v[1:2], off
	v_add_co_u32_e32 v1, vcc, 0x2000, v5
	v_addc_co_u32_e32 v2, vcc, 0, v6, vcc
	v_add_co_u32_e32 v3, vcc, 0x3000, v5
	v_addc_co_u32_e32 v4, vcc, 0, v6, vcc
	global_load_dwordx4 v[21:24], v[1:2], off
	global_load_dwordx4 v[17:20], v[3:4], off
	v_add_co_u32_e32 v1, vcc, 0x4000, v5
	v_addc_co_u32_e32 v2, vcc, 0, v6, vcc
	v_add_co_u32_e32 v3, vcc, 0x5000, v5
	v_addc_co_u32_e32 v4, vcc, 0, v6, vcc
	;; [unrolled: 2-line block ×3, first 2 shown]
	v_add_co_u32_e32 v35, vcc, 0x7000, v5
	global_load_dwordx4 v[13:16], v[1:2], off
	global_load_dwordx4 v[9:12], v[3:4], off
	v_addc_co_u32_e32 v36, vcc, 0, v6, vcc
	global_load_dwordx4 v[5:8], v[33:34], off
	global_load_dwordx4 v[1:4], v[35:36], off
	s_cmp_lt_i32 s48, 1
	s_mov_b64 s[4:5], 0
	s_cbranch_scc1 .LBB51_5
; %bb.2:
	s_cmp_gt_i32 s48, 1
	s_cbranch_scc0 .LBB51_6
; %bb.3:
	s_cmp_eq_u32 s48, 2
	s_cbranch_scc0 .LBB51_7
; %bb.4:
	s_waitcnt vmcnt(7)
	v_cmp_ge_i64_e64 s[0:1], s[8:9], v[29:30]
	s_mov_b64 s[6:7], 0
	s_branch .LBB51_8
.LBB51_5:
                                        ; implicit-def: $sgpr0_sgpr1
	s_mov_b64 s[6:7], 0
	s_cbranch_execnz .LBB51_11
	s_branch .LBB51_12
.LBB51_6:
	s_mov_b64 s[6:7], 0
                                        ; implicit-def: $sgpr0_sgpr1
	s_cbranch_execnz .LBB51_9
	s_branch .LBB51_10
.LBB51_7:
	s_mov_b64 s[6:7], -1
                                        ; implicit-def: $sgpr0_sgpr1
.LBB51_8:
	s_branch .LBB51_10
.LBB51_9:
	s_waitcnt vmcnt(7)
	v_cmp_lt_i64_e32 vcc, s[8:9], v[29:30]
	s_andn2_b64 s[0:1], s[0:1], exec
	s_and_b64 s[14:15], vcc, exec
	s_or_b64 s[0:1], s[0:1], s[14:15]
.LBB51_10:
	s_branch .LBB51_12
.LBB51_11:
	s_cmp_lg_u32 s48, 0
	s_mov_b64 s[4:5], -1
	s_cselect_b64 s[6:7], -1, 0
.LBB51_12:
	s_andn2_b64 vcc, exec, s[6:7]
	s_cbranch_vccz .LBB51_18
; %bb.13:
	s_andn2_b64 vcc, exec, s[4:5]
	s_cbranch_vccz .LBB51_19
.LBB51_14:
	s_cmp_lt_i32 s48, 1
	s_mov_b64 s[6:7], 0
	s_cbranch_scc1 .LBB51_20
.LBB51_15:
	s_cmp_gt_i32 s48, 1
	s_cbranch_scc0 .LBB51_21
; %bb.16:
	s_cmp_eq_u32 s48, 2
	s_cbranch_scc0 .LBB51_251
; %bb.17:
	s_waitcnt vmcnt(7)
	v_cmp_ge_i64_e64 s[4:5], s[8:9], v[31:32]
	s_mov_b64 s[14:15], 0
	s_branch .LBB51_23
.LBB51_18:
	s_waitcnt vmcnt(7)
	v_cmp_gt_i64_e32 vcc, s[8:9], v[29:30]
	s_andn2_b64 s[0:1], s[0:1], exec
	s_and_b64 s[6:7], vcc, exec
	s_or_b64 s[0:1], s[0:1], s[6:7]
	s_cbranch_execnz .LBB51_14
.LBB51_19:
	s_waitcnt vmcnt(7)
	v_cmp_le_i64_e32 vcc, s[8:9], v[29:30]
	s_andn2_b64 s[0:1], s[0:1], exec
	s_and_b64 s[4:5], vcc, exec
	s_or_b64 s[0:1], s[0:1], s[4:5]
	s_cmp_lt_i32 s48, 1
	s_mov_b64 s[6:7], 0
	s_cbranch_scc0 .LBB51_15
.LBB51_20:
                                        ; implicit-def: $sgpr4_sgpr5
	s_mov_b64 s[14:15], 0
	s_cbranch_execnz .LBB51_24
	s_branch .LBB51_25
.LBB51_21:
	s_mov_b64 s[14:15], 0
                                        ; implicit-def: $sgpr4_sgpr5
	s_cbranch_execz .LBB51_23
; %bb.22:
	s_waitcnt vmcnt(7)
	v_cmp_lt_i64_e32 vcc, s[8:9], v[31:32]
	s_andn2_b64 s[4:5], s[4:5], exec
	s_and_b64 s[16:17], vcc, exec
	s_or_b64 s[4:5], s[4:5], s[16:17]
.LBB51_23:
	s_branch .LBB51_25
.LBB51_24:
	s_cmp_lg_u32 s48, 0
	s_mov_b64 s[6:7], -1
	s_cselect_b64 s[14:15], -1, 0
.LBB51_25:
	s_andn2_b64 vcc, exec, s[14:15]
	s_cbranch_vccz .LBB51_31
; %bb.26:
	s_andn2_b64 vcc, exec, s[6:7]
	s_cbranch_vccz .LBB51_32
.LBB51_27:
	s_cmp_lt_i32 s48, 1
	s_mov_b64 s[14:15], 0
	s_cbranch_scc1 .LBB51_33
.LBB51_28:
	s_cmp_gt_i32 s48, 1
	s_cbranch_scc0 .LBB51_34
; %bb.29:
	s_cmp_eq_u32 s48, 2
	s_cbranch_scc0 .LBB51_252
; %bb.30:
	s_waitcnt vmcnt(6)
	v_cmp_ge_i64_e64 s[6:7], s[8:9], v[25:26]
	s_mov_b64 s[16:17], 0
	s_branch .LBB51_36
.LBB51_31:
	s_waitcnt vmcnt(7)
	v_cmp_gt_i64_e32 vcc, s[8:9], v[31:32]
	s_andn2_b64 s[4:5], s[4:5], exec
	s_and_b64 s[14:15], vcc, exec
	s_or_b64 s[4:5], s[4:5], s[14:15]
	s_cbranch_execnz .LBB51_27
.LBB51_32:
	s_waitcnt vmcnt(7)
	v_cmp_le_i64_e32 vcc, s[8:9], v[31:32]
	s_andn2_b64 s[4:5], s[4:5], exec
	s_and_b64 s[6:7], vcc, exec
	s_or_b64 s[4:5], s[4:5], s[6:7]
	s_cmp_lt_i32 s48, 1
	s_mov_b64 s[14:15], 0
	s_cbranch_scc0 .LBB51_28
.LBB51_33:
                                        ; implicit-def: $sgpr6_sgpr7
	s_mov_b64 s[16:17], 0
	s_cbranch_execnz .LBB51_37
	s_branch .LBB51_38
.LBB51_34:
	s_mov_b64 s[16:17], 0
                                        ; implicit-def: $sgpr6_sgpr7
	s_cbranch_execz .LBB51_36
; %bb.35:
	s_waitcnt vmcnt(6)
	v_cmp_lt_i64_e32 vcc, s[8:9], v[25:26]
	s_andn2_b64 s[6:7], s[6:7], exec
	s_and_b64 s[18:19], vcc, exec
	s_or_b64 s[6:7], s[6:7], s[18:19]
.LBB51_36:
	s_branch .LBB51_38
.LBB51_37:
	s_cmp_lg_u32 s48, 0
	s_mov_b64 s[14:15], -1
	s_cselect_b64 s[16:17], -1, 0
.LBB51_38:
	s_andn2_b64 vcc, exec, s[16:17]
	s_cbranch_vccz .LBB51_44
; %bb.39:
	s_andn2_b64 vcc, exec, s[14:15]
	s_cbranch_vccz .LBB51_45
.LBB51_40:
	s_cmp_lt_i32 s48, 1
	s_mov_b64 s[16:17], 0
	s_cbranch_scc1 .LBB51_46
.LBB51_41:
	s_cmp_gt_i32 s48, 1
	s_cbranch_scc0 .LBB51_47
; %bb.42:
	s_cmp_eq_u32 s48, 2
	s_cbranch_scc0 .LBB51_253
; %bb.43:
	s_waitcnt vmcnt(6)
	v_cmp_ge_i64_e64 s[14:15], s[8:9], v[27:28]
	s_mov_b64 s[18:19], 0
	s_branch .LBB51_49
.LBB51_44:
	s_waitcnt vmcnt(6)
	v_cmp_gt_i64_e32 vcc, s[8:9], v[25:26]
	s_andn2_b64 s[6:7], s[6:7], exec
	s_and_b64 s[16:17], vcc, exec
	s_or_b64 s[6:7], s[6:7], s[16:17]
	s_cbranch_execnz .LBB51_40
.LBB51_45:
	s_waitcnt vmcnt(6)
	v_cmp_le_i64_e32 vcc, s[8:9], v[25:26]
	s_andn2_b64 s[6:7], s[6:7], exec
	s_and_b64 s[14:15], vcc, exec
	s_or_b64 s[6:7], s[6:7], s[14:15]
	s_cmp_lt_i32 s48, 1
	s_mov_b64 s[16:17], 0
	s_cbranch_scc0 .LBB51_41
.LBB51_46:
                                        ; implicit-def: $sgpr14_sgpr15
	s_mov_b64 s[18:19], 0
	s_cbranch_execnz .LBB51_50
	s_branch .LBB51_51
.LBB51_47:
	s_mov_b64 s[18:19], 0
                                        ; implicit-def: $sgpr14_sgpr15
	s_cbranch_execz .LBB51_49
; %bb.48:
	s_waitcnt vmcnt(6)
	v_cmp_lt_i64_e32 vcc, s[8:9], v[27:28]
	s_andn2_b64 s[14:15], s[14:15], exec
	s_and_b64 s[20:21], vcc, exec
	s_or_b64 s[14:15], s[14:15], s[20:21]
.LBB51_49:
	s_branch .LBB51_51
.LBB51_50:
	s_cmp_lg_u32 s48, 0
	s_mov_b64 s[16:17], -1
	s_cselect_b64 s[18:19], -1, 0
.LBB51_51:
	s_andn2_b64 vcc, exec, s[18:19]
	s_cbranch_vccz .LBB51_57
; %bb.52:
	s_andn2_b64 vcc, exec, s[16:17]
	s_cbranch_vccz .LBB51_58
.LBB51_53:
	s_cmp_lt_i32 s48, 1
	s_mov_b64 s[18:19], 0
	s_cbranch_scc1 .LBB51_59
.LBB51_54:
	s_cmp_gt_i32 s48, 1
	s_cbranch_scc0 .LBB51_60
; %bb.55:
	s_cmp_eq_u32 s48, 2
	s_cbranch_scc0 .LBB51_254
; %bb.56:
	s_waitcnt vmcnt(5)
	v_cmp_ge_i64_e64 s[16:17], s[8:9], v[21:22]
	s_mov_b64 s[20:21], 0
	s_branch .LBB51_62
.LBB51_57:
	s_waitcnt vmcnt(6)
	v_cmp_gt_i64_e32 vcc, s[8:9], v[27:28]
	s_andn2_b64 s[14:15], s[14:15], exec
	s_and_b64 s[18:19], vcc, exec
	s_or_b64 s[14:15], s[14:15], s[18:19]
	s_cbranch_execnz .LBB51_53
.LBB51_58:
	s_waitcnt vmcnt(6)
	v_cmp_le_i64_e32 vcc, s[8:9], v[27:28]
	s_andn2_b64 s[14:15], s[14:15], exec
	s_and_b64 s[16:17], vcc, exec
	s_or_b64 s[14:15], s[14:15], s[16:17]
	s_cmp_lt_i32 s48, 1
	s_mov_b64 s[18:19], 0
	s_cbranch_scc0 .LBB51_54
.LBB51_59:
                                        ; implicit-def: $sgpr16_sgpr17
	s_mov_b64 s[20:21], 0
	s_cbranch_execnz .LBB51_63
	s_branch .LBB51_64
.LBB51_60:
	s_mov_b64 s[20:21], 0
                                        ; implicit-def: $sgpr16_sgpr17
	s_cbranch_execz .LBB51_62
; %bb.61:
	s_waitcnt vmcnt(5)
	v_cmp_lt_i64_e32 vcc, s[8:9], v[21:22]
	s_andn2_b64 s[16:17], s[16:17], exec
	s_and_b64 s[22:23], vcc, exec
	s_or_b64 s[16:17], s[16:17], s[22:23]
.LBB51_62:
	s_branch .LBB51_64
.LBB51_63:
	s_cmp_lg_u32 s48, 0
	s_mov_b64 s[18:19], -1
	s_cselect_b64 s[20:21], -1, 0
.LBB51_64:
	s_andn2_b64 vcc, exec, s[20:21]
	s_cbranch_vccz .LBB51_70
; %bb.65:
	s_andn2_b64 vcc, exec, s[18:19]
	s_cbranch_vccz .LBB51_71
.LBB51_66:
	s_cmp_lt_i32 s48, 1
	s_mov_b64 s[20:21], 0
	s_cbranch_scc1 .LBB51_72
.LBB51_67:
	s_cmp_gt_i32 s48, 1
	s_cbranch_scc0 .LBB51_73
; %bb.68:
	s_cmp_eq_u32 s48, 2
	s_cbranch_scc0 .LBB51_255
; %bb.69:
	s_waitcnt vmcnt(5)
	v_cmp_ge_i64_e64 s[18:19], s[8:9], v[23:24]
	s_mov_b64 s[22:23], 0
	s_branch .LBB51_75
.LBB51_70:
	s_waitcnt vmcnt(5)
	v_cmp_gt_i64_e32 vcc, s[8:9], v[21:22]
	s_andn2_b64 s[16:17], s[16:17], exec
	s_and_b64 s[20:21], vcc, exec
	s_or_b64 s[16:17], s[16:17], s[20:21]
	s_cbranch_execnz .LBB51_66
.LBB51_71:
	s_waitcnt vmcnt(5)
	v_cmp_le_i64_e32 vcc, s[8:9], v[21:22]
	s_andn2_b64 s[16:17], s[16:17], exec
	s_and_b64 s[18:19], vcc, exec
	s_or_b64 s[16:17], s[16:17], s[18:19]
	s_cmp_lt_i32 s48, 1
	s_mov_b64 s[20:21], 0
	s_cbranch_scc0 .LBB51_67
.LBB51_72:
                                        ; implicit-def: $sgpr18_sgpr19
	s_mov_b64 s[22:23], 0
	s_cbranch_execnz .LBB51_76
	s_branch .LBB51_77
.LBB51_73:
	s_mov_b64 s[22:23], 0
                                        ; implicit-def: $sgpr18_sgpr19
	s_cbranch_execz .LBB51_75
; %bb.74:
	s_waitcnt vmcnt(5)
	v_cmp_lt_i64_e32 vcc, s[8:9], v[23:24]
	s_andn2_b64 s[18:19], s[18:19], exec
	s_and_b64 s[24:25], vcc, exec
	s_or_b64 s[18:19], s[18:19], s[24:25]
.LBB51_75:
	s_branch .LBB51_77
.LBB51_76:
	s_cmp_lg_u32 s48, 0
	s_mov_b64 s[20:21], -1
	s_cselect_b64 s[22:23], -1, 0
.LBB51_77:
	s_andn2_b64 vcc, exec, s[22:23]
	s_cbranch_vccz .LBB51_83
; %bb.78:
	s_andn2_b64 vcc, exec, s[20:21]
	s_cbranch_vccz .LBB51_84
.LBB51_79:
	s_cmp_lt_i32 s48, 1
	s_mov_b64 s[22:23], 0
	s_cbranch_scc1 .LBB51_85
.LBB51_80:
	s_cmp_gt_i32 s48, 1
	s_cbranch_scc0 .LBB51_86
; %bb.81:
	s_cmp_eq_u32 s48, 2
	s_cbranch_scc0 .LBB51_256
; %bb.82:
	s_waitcnt vmcnt(4)
	v_cmp_ge_i64_e64 s[20:21], s[8:9], v[17:18]
	s_mov_b64 s[24:25], 0
	s_branch .LBB51_88
.LBB51_83:
	s_waitcnt vmcnt(5)
	v_cmp_gt_i64_e32 vcc, s[8:9], v[23:24]
	s_andn2_b64 s[18:19], s[18:19], exec
	s_and_b64 s[22:23], vcc, exec
	s_or_b64 s[18:19], s[18:19], s[22:23]
	s_cbranch_execnz .LBB51_79
.LBB51_84:
	s_waitcnt vmcnt(5)
	v_cmp_le_i64_e32 vcc, s[8:9], v[23:24]
	s_andn2_b64 s[18:19], s[18:19], exec
	s_and_b64 s[20:21], vcc, exec
	s_or_b64 s[18:19], s[18:19], s[20:21]
	s_cmp_lt_i32 s48, 1
	s_mov_b64 s[22:23], 0
	s_cbranch_scc0 .LBB51_80
.LBB51_85:
                                        ; implicit-def: $sgpr20_sgpr21
	s_mov_b64 s[24:25], 0
	s_cbranch_execnz .LBB51_89
	s_branch .LBB51_90
.LBB51_86:
	s_mov_b64 s[24:25], 0
                                        ; implicit-def: $sgpr20_sgpr21
	s_cbranch_execz .LBB51_88
; %bb.87:
	s_waitcnt vmcnt(4)
	v_cmp_lt_i64_e32 vcc, s[8:9], v[17:18]
	s_andn2_b64 s[20:21], s[20:21], exec
	s_and_b64 s[26:27], vcc, exec
	s_or_b64 s[20:21], s[20:21], s[26:27]
.LBB51_88:
	s_branch .LBB51_90
.LBB51_89:
	s_cmp_lg_u32 s48, 0
	s_mov_b64 s[22:23], -1
	s_cselect_b64 s[24:25], -1, 0
.LBB51_90:
	s_andn2_b64 vcc, exec, s[24:25]
	s_cbranch_vccz .LBB51_96
; %bb.91:
	s_andn2_b64 vcc, exec, s[22:23]
	s_cbranch_vccz .LBB51_97
.LBB51_92:
	s_cmp_lt_i32 s48, 1
	s_mov_b64 s[24:25], 0
	s_cbranch_scc1 .LBB51_98
.LBB51_93:
	s_cmp_gt_i32 s48, 1
	s_cbranch_scc0 .LBB51_99
; %bb.94:
	s_cmp_eq_u32 s48, 2
	s_cbranch_scc0 .LBB51_257
; %bb.95:
	s_waitcnt vmcnt(4)
	v_cmp_ge_i64_e64 s[22:23], s[8:9], v[19:20]
	s_mov_b64 s[26:27], 0
	s_branch .LBB51_101
.LBB51_96:
	s_waitcnt vmcnt(4)
	v_cmp_gt_i64_e32 vcc, s[8:9], v[17:18]
	s_andn2_b64 s[20:21], s[20:21], exec
	s_and_b64 s[24:25], vcc, exec
	s_or_b64 s[20:21], s[20:21], s[24:25]
	s_cbranch_execnz .LBB51_92
.LBB51_97:
	s_waitcnt vmcnt(4)
	v_cmp_le_i64_e32 vcc, s[8:9], v[17:18]
	s_andn2_b64 s[20:21], s[20:21], exec
	s_and_b64 s[22:23], vcc, exec
	s_or_b64 s[20:21], s[20:21], s[22:23]
	s_cmp_lt_i32 s48, 1
	s_mov_b64 s[24:25], 0
	s_cbranch_scc0 .LBB51_93
.LBB51_98:
                                        ; implicit-def: $sgpr22_sgpr23
	s_mov_b64 s[26:27], 0
	s_cbranch_execnz .LBB51_102
	s_branch .LBB51_103
.LBB51_99:
	s_mov_b64 s[26:27], 0
                                        ; implicit-def: $sgpr22_sgpr23
	s_cbranch_execz .LBB51_101
; %bb.100:
	s_waitcnt vmcnt(4)
	v_cmp_lt_i64_e32 vcc, s[8:9], v[19:20]
	s_andn2_b64 s[22:23], s[22:23], exec
	s_and_b64 s[28:29], vcc, exec
	s_or_b64 s[22:23], s[22:23], s[28:29]
.LBB51_101:
	s_branch .LBB51_103
.LBB51_102:
	s_cmp_lg_u32 s48, 0
	s_mov_b64 s[24:25], -1
	s_cselect_b64 s[26:27], -1, 0
.LBB51_103:
	s_andn2_b64 vcc, exec, s[26:27]
	s_cbranch_vccz .LBB51_109
; %bb.104:
	s_andn2_b64 vcc, exec, s[24:25]
	s_cbranch_vccz .LBB51_110
.LBB51_105:
	s_cmp_lt_i32 s48, 1
	s_mov_b64 s[26:27], 0
	s_cbranch_scc1 .LBB51_111
.LBB51_106:
	s_cmp_gt_i32 s48, 1
	s_cbranch_scc0 .LBB51_112
; %bb.107:
	s_cmp_eq_u32 s48, 2
	s_cbranch_scc0 .LBB51_258
; %bb.108:
	s_waitcnt vmcnt(3)
	v_cmp_ge_i64_e64 s[24:25], s[8:9], v[13:14]
	s_mov_b64 s[28:29], 0
	s_branch .LBB51_114
.LBB51_109:
	s_waitcnt vmcnt(4)
	v_cmp_gt_i64_e32 vcc, s[8:9], v[19:20]
	s_andn2_b64 s[22:23], s[22:23], exec
	s_and_b64 s[26:27], vcc, exec
	s_or_b64 s[22:23], s[22:23], s[26:27]
	s_cbranch_execnz .LBB51_105
.LBB51_110:
	s_waitcnt vmcnt(4)
	v_cmp_le_i64_e32 vcc, s[8:9], v[19:20]
	s_andn2_b64 s[22:23], s[22:23], exec
	s_and_b64 s[24:25], vcc, exec
	s_or_b64 s[22:23], s[22:23], s[24:25]
	s_cmp_lt_i32 s48, 1
	s_mov_b64 s[26:27], 0
	s_cbranch_scc0 .LBB51_106
.LBB51_111:
                                        ; implicit-def: $sgpr24_sgpr25
	s_mov_b64 s[28:29], 0
	s_cbranch_execnz .LBB51_115
	s_branch .LBB51_116
.LBB51_112:
	s_mov_b64 s[28:29], 0
                                        ; implicit-def: $sgpr24_sgpr25
	s_cbranch_execz .LBB51_114
; %bb.113:
	s_waitcnt vmcnt(3)
	v_cmp_lt_i64_e32 vcc, s[8:9], v[13:14]
	s_andn2_b64 s[24:25], s[24:25], exec
	s_and_b64 s[30:31], vcc, exec
	s_or_b64 s[24:25], s[24:25], s[30:31]
.LBB51_114:
	s_branch .LBB51_116
.LBB51_115:
	s_cmp_lg_u32 s48, 0
	s_mov_b64 s[26:27], -1
	s_cselect_b64 s[28:29], -1, 0
.LBB51_116:
	s_andn2_b64 vcc, exec, s[28:29]
	s_cbranch_vccz .LBB51_122
; %bb.117:
	s_andn2_b64 vcc, exec, s[26:27]
	s_cbranch_vccz .LBB51_123
.LBB51_118:
	s_cmp_lt_i32 s48, 1
	s_mov_b64 s[28:29], 0
	s_cbranch_scc1 .LBB51_124
.LBB51_119:
	s_cmp_gt_i32 s48, 1
	s_cbranch_scc0 .LBB51_125
; %bb.120:
	s_cmp_eq_u32 s48, 2
	s_cbranch_scc0 .LBB51_259
; %bb.121:
	s_waitcnt vmcnt(3)
	v_cmp_ge_i64_e64 s[26:27], s[8:9], v[15:16]
	s_mov_b64 s[30:31], 0
	s_branch .LBB51_127
.LBB51_122:
	s_waitcnt vmcnt(3)
	v_cmp_gt_i64_e32 vcc, s[8:9], v[13:14]
	s_andn2_b64 s[24:25], s[24:25], exec
	s_and_b64 s[28:29], vcc, exec
	s_or_b64 s[24:25], s[24:25], s[28:29]
	s_cbranch_execnz .LBB51_118
.LBB51_123:
	s_waitcnt vmcnt(3)
	v_cmp_le_i64_e32 vcc, s[8:9], v[13:14]
	s_andn2_b64 s[24:25], s[24:25], exec
	s_and_b64 s[26:27], vcc, exec
	s_or_b64 s[24:25], s[24:25], s[26:27]
	s_cmp_lt_i32 s48, 1
	s_mov_b64 s[28:29], 0
	s_cbranch_scc0 .LBB51_119
.LBB51_124:
                                        ; implicit-def: $sgpr26_sgpr27
	s_mov_b64 s[30:31], 0
	s_cbranch_execnz .LBB51_128
	s_branch .LBB51_129
.LBB51_125:
	s_mov_b64 s[30:31], 0
                                        ; implicit-def: $sgpr26_sgpr27
	s_cbranch_execz .LBB51_127
; %bb.126:
	s_waitcnt vmcnt(3)
	v_cmp_lt_i64_e32 vcc, s[8:9], v[15:16]
	s_andn2_b64 s[26:27], s[26:27], exec
	s_and_b64 s[34:35], vcc, exec
	s_or_b64 s[26:27], s[26:27], s[34:35]
.LBB51_127:
	s_branch .LBB51_129
.LBB51_128:
	s_cmp_lg_u32 s48, 0
	s_mov_b64 s[28:29], -1
	s_cselect_b64 s[30:31], -1, 0
.LBB51_129:
	s_andn2_b64 vcc, exec, s[30:31]
	s_cbranch_vccz .LBB51_135
; %bb.130:
	s_andn2_b64 vcc, exec, s[28:29]
	s_cbranch_vccz .LBB51_136
.LBB51_131:
	s_cmp_lt_i32 s48, 1
	s_mov_b64 s[30:31], 0
	s_cbranch_scc1 .LBB51_137
.LBB51_132:
	s_cmp_gt_i32 s48, 1
	s_cbranch_scc0 .LBB51_138
; %bb.133:
	s_cmp_eq_u32 s48, 2
	s_cbranch_scc0 .LBB51_260
; %bb.134:
	s_waitcnt vmcnt(2)
	v_cmp_ge_i64_e64 s[28:29], s[8:9], v[9:10]
	s_mov_b64 s[34:35], 0
	s_branch .LBB51_140
.LBB51_135:
	s_waitcnt vmcnt(3)
	v_cmp_gt_i64_e32 vcc, s[8:9], v[15:16]
	s_andn2_b64 s[26:27], s[26:27], exec
	s_and_b64 s[30:31], vcc, exec
	s_or_b64 s[26:27], s[26:27], s[30:31]
	s_cbranch_execnz .LBB51_131
.LBB51_136:
	s_waitcnt vmcnt(3)
	v_cmp_le_i64_e32 vcc, s[8:9], v[15:16]
	s_andn2_b64 s[26:27], s[26:27], exec
	s_and_b64 s[28:29], vcc, exec
	s_or_b64 s[26:27], s[26:27], s[28:29]
	s_cmp_lt_i32 s48, 1
	s_mov_b64 s[30:31], 0
	s_cbranch_scc0 .LBB51_132
.LBB51_137:
                                        ; implicit-def: $sgpr28_sgpr29
	s_mov_b64 s[34:35], 0
	s_cbranch_execnz .LBB51_141
	s_branch .LBB51_142
.LBB51_138:
	s_mov_b64 s[34:35], 0
                                        ; implicit-def: $sgpr28_sgpr29
	s_cbranch_execz .LBB51_140
; %bb.139:
	s_waitcnt vmcnt(2)
	v_cmp_lt_i64_e32 vcc, s[8:9], v[9:10]
	s_andn2_b64 s[28:29], s[28:29], exec
	s_and_b64 s[36:37], vcc, exec
	s_or_b64 s[28:29], s[28:29], s[36:37]
.LBB51_140:
	s_branch .LBB51_142
.LBB51_141:
	s_cmp_lg_u32 s48, 0
	s_mov_b64 s[30:31], -1
	s_cselect_b64 s[34:35], -1, 0
.LBB51_142:
	s_andn2_b64 vcc, exec, s[34:35]
	s_cbranch_vccz .LBB51_148
; %bb.143:
	s_andn2_b64 vcc, exec, s[30:31]
	s_cbranch_vccz .LBB51_149
.LBB51_144:
	s_cmp_lt_i32 s48, 1
	s_mov_b64 s[34:35], 0
	s_cbranch_scc1 .LBB51_150
.LBB51_145:
	s_cmp_gt_i32 s48, 1
	s_cbranch_scc0 .LBB51_151
; %bb.146:
	s_cmp_eq_u32 s48, 2
	s_cbranch_scc0 .LBB51_261
; %bb.147:
	s_waitcnt vmcnt(2)
	v_cmp_ge_i64_e64 s[30:31], s[8:9], v[11:12]
	s_mov_b64 s[36:37], 0
	s_branch .LBB51_153
.LBB51_148:
	s_waitcnt vmcnt(2)
	v_cmp_gt_i64_e32 vcc, s[8:9], v[9:10]
	s_andn2_b64 s[28:29], s[28:29], exec
	s_and_b64 s[34:35], vcc, exec
	s_or_b64 s[28:29], s[28:29], s[34:35]
	s_cbranch_execnz .LBB51_144
.LBB51_149:
	s_waitcnt vmcnt(2)
	v_cmp_le_i64_e32 vcc, s[8:9], v[9:10]
	s_andn2_b64 s[28:29], s[28:29], exec
	s_and_b64 s[30:31], vcc, exec
	s_or_b64 s[28:29], s[28:29], s[30:31]
	s_cmp_lt_i32 s48, 1
	s_mov_b64 s[34:35], 0
	s_cbranch_scc0 .LBB51_145
.LBB51_150:
                                        ; implicit-def: $sgpr30_sgpr31
	s_mov_b64 s[36:37], 0
	s_cbranch_execnz .LBB51_154
	s_branch .LBB51_155
.LBB51_151:
	s_mov_b64 s[36:37], 0
                                        ; implicit-def: $sgpr30_sgpr31
	s_cbranch_execz .LBB51_153
; %bb.152:
	s_waitcnt vmcnt(2)
	v_cmp_lt_i64_e32 vcc, s[8:9], v[11:12]
	s_andn2_b64 s[30:31], s[30:31], exec
	s_and_b64 s[38:39], vcc, exec
	s_or_b64 s[30:31], s[30:31], s[38:39]
.LBB51_153:
	s_branch .LBB51_155
.LBB51_154:
	s_cmp_lg_u32 s48, 0
	s_mov_b64 s[34:35], -1
	s_cselect_b64 s[36:37], -1, 0
.LBB51_155:
	s_andn2_b64 vcc, exec, s[36:37]
	s_cbranch_vccz .LBB51_161
; %bb.156:
	s_andn2_b64 vcc, exec, s[34:35]
	s_cbranch_vccz .LBB51_162
.LBB51_157:
	s_cmp_lt_i32 s48, 1
	s_mov_b64 s[36:37], 0
	s_cbranch_scc1 .LBB51_163
.LBB51_158:
	s_cmp_gt_i32 s48, 1
	s_cbranch_scc0 .LBB51_164
; %bb.159:
	s_cmp_eq_u32 s48, 2
	s_cbranch_scc0 .LBB51_262
; %bb.160:
	s_waitcnt vmcnt(1)
	v_cmp_ge_i64_e64 s[34:35], s[8:9], v[5:6]
	s_mov_b64 s[38:39], 0
	s_branch .LBB51_166
.LBB51_161:
	s_waitcnt vmcnt(2)
	v_cmp_gt_i64_e32 vcc, s[8:9], v[11:12]
	s_andn2_b64 s[30:31], s[30:31], exec
	s_and_b64 s[36:37], vcc, exec
	s_or_b64 s[30:31], s[30:31], s[36:37]
	s_cbranch_execnz .LBB51_157
.LBB51_162:
	s_waitcnt vmcnt(2)
	v_cmp_le_i64_e32 vcc, s[8:9], v[11:12]
	s_andn2_b64 s[30:31], s[30:31], exec
	s_and_b64 s[34:35], vcc, exec
	s_or_b64 s[30:31], s[30:31], s[34:35]
	s_cmp_lt_i32 s48, 1
	s_mov_b64 s[36:37], 0
	s_cbranch_scc0 .LBB51_158
.LBB51_163:
                                        ; implicit-def: $sgpr34_sgpr35
	s_mov_b64 s[38:39], 0
	s_cbranch_execnz .LBB51_167
	s_branch .LBB51_168
.LBB51_164:
	s_mov_b64 s[38:39], 0
                                        ; implicit-def: $sgpr34_sgpr35
	s_cbranch_execz .LBB51_166
; %bb.165:
	s_waitcnt vmcnt(1)
	v_cmp_lt_i64_e32 vcc, s[8:9], v[5:6]
	s_andn2_b64 s[34:35], s[34:35], exec
	s_and_b64 s[40:41], vcc, exec
	s_or_b64 s[34:35], s[34:35], s[40:41]
.LBB51_166:
	s_branch .LBB51_168
.LBB51_167:
	s_cmp_lg_u32 s48, 0
	s_mov_b64 s[36:37], -1
	s_cselect_b64 s[38:39], -1, 0
.LBB51_168:
	s_andn2_b64 vcc, exec, s[38:39]
	s_cbranch_vccz .LBB51_174
; %bb.169:
	s_andn2_b64 vcc, exec, s[36:37]
	s_cbranch_vccz .LBB51_175
.LBB51_170:
	s_cmp_lt_i32 s48, 1
	s_mov_b64 s[38:39], 0
	s_cbranch_scc1 .LBB51_176
.LBB51_171:
	s_cmp_gt_i32 s48, 1
	s_cbranch_scc0 .LBB51_177
; %bb.172:
	s_cmp_eq_u32 s48, 2
	s_cbranch_scc0 .LBB51_263
; %bb.173:
	s_waitcnt vmcnt(1)
	v_cmp_ge_i64_e64 s[36:37], s[8:9], v[7:8]
	s_mov_b64 s[40:41], 0
	s_branch .LBB51_179
.LBB51_174:
	s_waitcnt vmcnt(1)
	v_cmp_gt_i64_e32 vcc, s[8:9], v[5:6]
	s_andn2_b64 s[34:35], s[34:35], exec
	s_and_b64 s[38:39], vcc, exec
	s_or_b64 s[34:35], s[34:35], s[38:39]
	s_cbranch_execnz .LBB51_170
.LBB51_175:
	s_waitcnt vmcnt(1)
	v_cmp_le_i64_e32 vcc, s[8:9], v[5:6]
	s_andn2_b64 s[34:35], s[34:35], exec
	s_and_b64 s[36:37], vcc, exec
	s_or_b64 s[34:35], s[34:35], s[36:37]
	s_cmp_lt_i32 s48, 1
	s_mov_b64 s[38:39], 0
	s_cbranch_scc0 .LBB51_171
.LBB51_176:
                                        ; implicit-def: $sgpr36_sgpr37
	s_mov_b64 s[40:41], 0
	s_cbranch_execnz .LBB51_180
	s_branch .LBB51_181
.LBB51_177:
	s_mov_b64 s[40:41], 0
                                        ; implicit-def: $sgpr36_sgpr37
	s_cbranch_execz .LBB51_179
; %bb.178:
	s_waitcnt vmcnt(1)
	v_cmp_lt_i64_e32 vcc, s[8:9], v[7:8]
	s_andn2_b64 s[36:37], s[36:37], exec
	s_and_b64 s[42:43], vcc, exec
	s_or_b64 s[36:37], s[36:37], s[42:43]
.LBB51_179:
	s_branch .LBB51_181
.LBB51_180:
	s_cmp_lg_u32 s48, 0
	s_mov_b64 s[38:39], -1
	s_cselect_b64 s[40:41], -1, 0
.LBB51_181:
	s_andn2_b64 vcc, exec, s[40:41]
	s_cbranch_vccz .LBB51_187
; %bb.182:
	s_andn2_b64 vcc, exec, s[38:39]
	s_cbranch_vccz .LBB51_188
.LBB51_183:
	s_cmp_lt_i32 s48, 1
	s_mov_b64 s[40:41], 0
	s_cbranch_scc1 .LBB51_189
.LBB51_184:
	s_cmp_gt_i32 s48, 1
	s_cbranch_scc0 .LBB51_190
; %bb.185:
	s_cmp_eq_u32 s48, 2
	s_cbranch_scc0 .LBB51_264
; %bb.186:
	s_waitcnt vmcnt(0)
	v_cmp_ge_i64_e64 s[38:39], s[8:9], v[1:2]
	s_mov_b64 s[42:43], 0
	s_branch .LBB51_192
.LBB51_187:
	s_waitcnt vmcnt(1)
	v_cmp_gt_i64_e32 vcc, s[8:9], v[7:8]
	s_andn2_b64 s[36:37], s[36:37], exec
	s_and_b64 s[40:41], vcc, exec
	s_or_b64 s[36:37], s[36:37], s[40:41]
	s_cbranch_execnz .LBB51_183
.LBB51_188:
	s_waitcnt vmcnt(1)
	v_cmp_le_i64_e32 vcc, s[8:9], v[7:8]
	s_andn2_b64 s[36:37], s[36:37], exec
	s_and_b64 s[38:39], vcc, exec
	s_or_b64 s[36:37], s[36:37], s[38:39]
	s_cmp_lt_i32 s48, 1
	s_mov_b64 s[40:41], 0
	s_cbranch_scc0 .LBB51_184
.LBB51_189:
                                        ; implicit-def: $sgpr38_sgpr39
	s_mov_b64 s[42:43], 0
	s_cbranch_execnz .LBB51_193
	s_branch .LBB51_194
.LBB51_190:
	s_mov_b64 s[42:43], 0
                                        ; implicit-def: $sgpr38_sgpr39
	s_cbranch_execz .LBB51_192
; %bb.191:
	s_waitcnt vmcnt(0)
	v_cmp_lt_i64_e32 vcc, s[8:9], v[1:2]
	s_andn2_b64 s[38:39], s[38:39], exec
	s_and_b64 s[44:45], vcc, exec
	s_or_b64 s[38:39], s[38:39], s[44:45]
.LBB51_192:
	s_branch .LBB51_194
.LBB51_193:
	s_cmp_lg_u32 s48, 0
	s_mov_b64 s[40:41], -1
	s_cselect_b64 s[42:43], -1, 0
.LBB51_194:
	s_andn2_b64 vcc, exec, s[42:43]
	s_cbranch_vccz .LBB51_200
; %bb.195:
	s_andn2_b64 vcc, exec, s[40:41]
	s_cbranch_vccz .LBB51_201
.LBB51_196:
	s_cmp_lt_i32 s48, 1
	s_mov_b64 s[42:43], 0
	s_cbranch_scc1 .LBB51_202
.LBB51_197:
	s_cmp_gt_i32 s48, 1
	s_cbranch_scc0 .LBB51_203
; %bb.198:
	s_cmp_eq_u32 s48, 2
	s_cbranch_scc0 .LBB51_265
; %bb.199:
	s_waitcnt vmcnt(0)
	v_cmp_ge_i64_e64 s[40:41], s[8:9], v[3:4]
	s_mov_b64 s[44:45], 0
	s_branch .LBB51_205
.LBB51_200:
	s_waitcnt vmcnt(0)
	v_cmp_gt_i64_e32 vcc, s[8:9], v[1:2]
	s_andn2_b64 s[38:39], s[38:39], exec
	s_and_b64 s[42:43], vcc, exec
	s_or_b64 s[38:39], s[38:39], s[42:43]
	s_cbranch_execnz .LBB51_196
.LBB51_201:
	s_waitcnt vmcnt(0)
	v_cmp_le_i64_e32 vcc, s[8:9], v[1:2]
	s_andn2_b64 s[38:39], s[38:39], exec
	s_and_b64 s[40:41], vcc, exec
	s_or_b64 s[38:39], s[38:39], s[40:41]
	s_cmp_lt_i32 s48, 1
	s_mov_b64 s[42:43], 0
	s_cbranch_scc0 .LBB51_197
.LBB51_202:
                                        ; implicit-def: $sgpr40_sgpr41
	s_mov_b64 s[44:45], 0
	s_cbranch_execnz .LBB51_206
	s_branch .LBB51_207
.LBB51_203:
	s_mov_b64 s[44:45], 0
                                        ; implicit-def: $sgpr40_sgpr41
	s_cbranch_execz .LBB51_205
; %bb.204:
	s_waitcnt vmcnt(0)
	v_cmp_lt_i64_e32 vcc, s[8:9], v[3:4]
	s_andn2_b64 s[40:41], s[40:41], exec
	s_and_b64 s[46:47], vcc, exec
	s_or_b64 s[40:41], s[40:41], s[46:47]
.LBB51_205:
	s_branch .LBB51_207
.LBB51_206:
	s_cmp_lg_u32 s48, 0
	s_mov_b64 s[42:43], -1
	s_cselect_b64 s[44:45], -1, 0
.LBB51_207:
	s_andn2_b64 vcc, exec, s[44:45]
	s_cbranch_vccz .LBB51_243
; %bb.208:
	s_andn2_b64 vcc, exec, s[42:43]
	s_cbranch_vccnz .LBB51_210
.LBB51_209:
	s_waitcnt vmcnt(0)
	v_cmp_le_i64_e32 vcc, s[8:9], v[3:4]
	s_andn2_b64 s[40:41], s[40:41], exec
	s_and_b64 s[42:43], vcc, exec
	s_or_b64 s[40:41], s[40:41], s[42:43]
.LBB51_210:
	s_waitcnt vmcnt(0)
	v_mov_b32_e32 v3, 0x100
	v_cndmask_b32_e64 v2, 0, 1, s[34:35]
	v_cndmask_b32_e64 v4, 0, v3, s[36:37]
	v_or_b32_e32 v2, v4, v2
	v_cndmask_b32_e64 v4, 0, 1, s[28:29]
	v_cndmask_b32_e64 v5, 0, v3, s[30:31]
	v_or_b32_e32 v4, v5, v4
	;; [unrolled: 3-line block ×5, first 2 shown]
	v_cndmask_b32_e64 v8, 0, 1, s[6:7]
	v_cndmask_b32_e64 v9, 0, v3, s[14:15]
	;; [unrolled: 1-line block ×3, first 2 shown]
	v_or_b32_e32 v8, v9, v8
	v_cndmask_b32_e64 v9, 0, 1, s[0:1]
	v_cndmask_b32_e64 v10, 0, v3, s[4:5]
	;; [unrolled: 1-line block ×3, first 2 shown]
	s_add_u32 s0, s10, s2
	v_or_b32_e32 v9, v10, v9
	v_or_b32_e32 v1, v3, v1
	s_addc_u32 s1, s11, s3
	v_lshlrev_b32_e32 v3, 1, v0
	global_store_short v3, v9, s[0:1]
	global_store_short v3, v8, s[0:1] offset:512
	global_store_short v3, v7, s[0:1] offset:1024
	;; [unrolled: 1-line block ×7, first 2 shown]
	s_mov_b64 s[0:1], 0
.LBB51_211:
	s_and_b64 vcc, exec, s[0:1]
	s_cbranch_vccz .LBB51_519
; %bb.212:
	v_mov_b32_e32 v30, 0
	v_mov_b32_e32 v32, 0
	v_cmp_gt_i32_e64 s[0:1], s33, v0
	v_mov_b32_e32 v31, 0
	v_or_b32_e32 v1, s2, v0
	v_mov_b32_e32 v33, 0
	v_mov_b32_e32 v34, v0
	s_and_saveexec_b64 s[4:5], s[0:1]
	s_cbranch_execz .LBB51_214
; %bb.213:
	v_mov_b32_e32 v2, 0
	v_lshlrev_b64 v[2:3], 3, v[1:2]
	v_mov_b32_e32 v4, s13
	v_add_co_u32_e32 v2, vcc, s12, v2
	v_addc_co_u32_e32 v3, vcc, v4, v3, vcc
	global_load_dwordx2 v[32:33], v[2:3], off
	v_or_b32_e32 v34, 0x100, v0
.LBB51_214:
	s_or_b64 exec, exec, s[4:5]
	v_cmp_gt_i32_e32 vcc, s33, v34
	s_and_saveexec_b64 s[4:5], vcc
	s_cbranch_execz .LBB51_216
; %bb.215:
	v_add_u32_e32 v2, s2, v34
	v_mov_b32_e32 v3, 0
	v_lshlrev_b64 v[2:3], 3, v[2:3]
	v_mov_b32_e32 v4, s13
	v_add_co_u32_e32 v2, vcc, s12, v2
	v_addc_co_u32_e32 v3, vcc, v4, v3, vcc
	global_load_dwordx2 v[30:31], v[2:3], off
	v_add_u32_e32 v34, 0x100, v34
.LBB51_216:
	s_or_b64 exec, exec, s[4:5]
	v_mov_b32_e32 v26, 0
	v_mov_b32_e32 v28, 0
	v_mov_b32_e32 v27, 0
	v_mov_b32_e32 v29, 0
	v_cmp_gt_i32_e32 vcc, s33, v34
	s_and_saveexec_b64 s[4:5], vcc
	s_cbranch_execz .LBB51_218
; %bb.217:
	v_add_u32_e32 v2, s2, v34
	v_mov_b32_e32 v3, 0
	v_lshlrev_b64 v[2:3], 3, v[2:3]
	v_mov_b32_e32 v4, s13
	v_add_co_u32_e32 v2, vcc, s12, v2
	v_addc_co_u32_e32 v3, vcc, v4, v3, vcc
	global_load_dwordx2 v[28:29], v[2:3], off
	v_add_u32_e32 v34, 0x100, v34
.LBB51_218:
	s_or_b64 exec, exec, s[4:5]
	v_cmp_gt_i32_e32 vcc, s33, v34
	s_and_saveexec_b64 s[4:5], vcc
	s_cbranch_execz .LBB51_220
; %bb.219:
	v_add_u32_e32 v2, s2, v34
	v_mov_b32_e32 v3, 0
	v_lshlrev_b64 v[2:3], 3, v[2:3]
	v_mov_b32_e32 v4, s13
	v_add_co_u32_e32 v2, vcc, s12, v2
	v_addc_co_u32_e32 v3, vcc, v4, v3, vcc
	global_load_dwordx2 v[26:27], v[2:3], off
	v_add_u32_e32 v34, 0x100, v34
.LBB51_220:
	s_or_b64 exec, exec, s[4:5]
	v_mov_b32_e32 v22, 0
	v_mov_b32_e32 v24, 0
	v_mov_b32_e32 v23, 0
	v_mov_b32_e32 v25, 0
	v_cmp_gt_i32_e32 vcc, s33, v34
	s_and_saveexec_b64 s[4:5], vcc
	s_cbranch_execz .LBB51_222
; %bb.221:
	v_add_u32_e32 v2, s2, v34
	v_mov_b32_e32 v3, 0
	v_lshlrev_b64 v[2:3], 3, v[2:3]
	v_mov_b32_e32 v4, s13
	v_add_co_u32_e32 v2, vcc, s12, v2
	v_addc_co_u32_e32 v3, vcc, v4, v3, vcc
	global_load_dwordx2 v[24:25], v[2:3], off
	v_add_u32_e32 v34, 0x100, v34
.LBB51_222:
	;; [unrolled: 32-line block ×6, first 2 shown]
	s_or_b64 exec, exec, s[4:5]
	v_cmp_gt_i32_e32 vcc, s33, v34
	s_and_saveexec_b64 s[4:5], vcc
	s_cbranch_execz .LBB51_240
; %bb.239:
	v_add_u32_e32 v2, s2, v34
	v_mov_b32_e32 v3, 0
	v_lshlrev_b64 v[2:3], 3, v[2:3]
	v_mov_b32_e32 v4, s13
	v_add_co_u32_e32 v2, vcc, s12, v2
	v_addc_co_u32_e32 v3, vcc, v4, v3, vcc
	global_load_dwordx2 v[6:7], v[2:3], off
	v_add_u32_e32 v34, 0x100, v34
.LBB51_240:
	s_or_b64 exec, exec, s[4:5]
	v_mov_b32_e32 v2, 0
	v_mov_b32_e32 v4, 0
	;; [unrolled: 1-line block ×4, first 2 shown]
	v_cmp_gt_i32_e32 vcc, s33, v34
	s_and_saveexec_b64 s[4:5], vcc
	s_cbranch_execnz .LBB51_244
; %bb.241:
	s_or_b64 exec, exec, s[4:5]
	v_cmp_gt_i32_e32 vcc, s33, v34
	s_and_saveexec_b64 s[4:5], vcc
	s_cbranch_execnz .LBB51_245
.LBB51_242:
	s_or_b64 exec, exec, s[4:5]
                                        ; implicit-def: $vgpr34
	s_and_saveexec_b64 s[4:5], s[0:1]
	s_cbranch_execnz .LBB51_246
	s_branch .LBB51_276
.LBB51_243:
	s_waitcnt vmcnt(0)
	v_cmp_gt_i64_e32 vcc, s[8:9], v[3:4]
	s_andn2_b64 s[40:41], s[40:41], exec
	s_and_b64 s[44:45], vcc, exec
	s_or_b64 s[40:41], s[40:41], s[44:45]
	s_cbranch_execz .LBB51_209
	s_branch .LBB51_210
.LBB51_244:
	v_add_u32_e32 v4, s2, v34
	v_mov_b32_e32 v5, 0
	v_lshlrev_b64 v[4:5], 3, v[4:5]
	v_mov_b32_e32 v35, s13
	v_add_co_u32_e32 v4, vcc, s12, v4
	v_addc_co_u32_e32 v5, vcc, v35, v5, vcc
	global_load_dwordx2 v[4:5], v[4:5], off
	v_add_u32_e32 v34, 0x100, v34
	s_or_b64 exec, exec, s[4:5]
	v_cmp_gt_i32_e32 vcc, s33, v34
	s_and_saveexec_b64 s[4:5], vcc
	s_cbranch_execz .LBB51_242
.LBB51_245:
	v_add_u32_e32 v2, s2, v34
	v_mov_b32_e32 v3, 0
	v_lshlrev_b64 v[2:3], 3, v[2:3]
	v_mov_b32_e32 v34, s13
	v_add_co_u32_e32 v2, vcc, s12, v2
	v_addc_co_u32_e32 v3, vcc, v34, v3, vcc
	global_load_dwordx2 v[2:3], v[2:3], off
	s_or_b64 exec, exec, s[4:5]
                                        ; implicit-def: $vgpr34
	s_and_saveexec_b64 s[4:5], s[0:1]
	s_cbranch_execz .LBB51_276
.LBB51_246:
	s_cmp_lt_i32 s48, 1
	s_mov_b64 s[6:7], 0
	s_cbranch_scc1 .LBB51_250
; %bb.247:
	s_cmp_gt_i32 s48, 1
	s_cbranch_scc0 .LBB51_266
; %bb.248:
	s_cmp_eq_u32 s48, 2
	s_cbranch_scc0 .LBB51_267
; %bb.249:
	s_waitcnt vmcnt(0)
	v_cmp_ge_i64_e64 s[12:13], s[8:9], v[32:33]
	s_mov_b64 s[14:15], 0
	s_branch .LBB51_268
.LBB51_250:
                                        ; implicit-def: $sgpr12_sgpr13
	s_mov_b64 s[14:15], 0
	s_cbranch_execnz .LBB51_271
	s_branch .LBB51_272
.LBB51_251:
	s_mov_b64 s[14:15], -1
                                        ; implicit-def: $sgpr4_sgpr5
	s_branch .LBB51_23
.LBB51_252:
	s_mov_b64 s[16:17], -1
                                        ; implicit-def: $sgpr6_sgpr7
	s_branch .LBB51_36
.LBB51_253:
	s_mov_b64 s[18:19], -1
                                        ; implicit-def: $sgpr14_sgpr15
	s_branch .LBB51_49
.LBB51_254:
	s_mov_b64 s[20:21], -1
                                        ; implicit-def: $sgpr16_sgpr17
	s_branch .LBB51_62
.LBB51_255:
	s_mov_b64 s[22:23], -1
                                        ; implicit-def: $sgpr18_sgpr19
	s_branch .LBB51_75
.LBB51_256:
	s_mov_b64 s[24:25], -1
                                        ; implicit-def: $sgpr20_sgpr21
	s_branch .LBB51_88
.LBB51_257:
	s_mov_b64 s[26:27], -1
                                        ; implicit-def: $sgpr22_sgpr23
	s_branch .LBB51_101
.LBB51_258:
	s_mov_b64 s[28:29], -1
                                        ; implicit-def: $sgpr24_sgpr25
	s_branch .LBB51_114
.LBB51_259:
	s_mov_b64 s[30:31], -1
                                        ; implicit-def: $sgpr26_sgpr27
	s_branch .LBB51_127
.LBB51_260:
	s_mov_b64 s[34:35], -1
                                        ; implicit-def: $sgpr28_sgpr29
	s_branch .LBB51_140
.LBB51_261:
	s_mov_b64 s[36:37], -1
                                        ; implicit-def: $sgpr30_sgpr31
	s_branch .LBB51_153
.LBB51_262:
	s_mov_b64 s[38:39], -1
                                        ; implicit-def: $sgpr34_sgpr35
	s_branch .LBB51_166
.LBB51_263:
	s_mov_b64 s[40:41], -1
                                        ; implicit-def: $sgpr36_sgpr37
	s_branch .LBB51_179
.LBB51_264:
	s_mov_b64 s[42:43], -1
                                        ; implicit-def: $sgpr38_sgpr39
	s_branch .LBB51_192
.LBB51_265:
	s_mov_b64 s[44:45], -1
                                        ; implicit-def: $sgpr40_sgpr41
	s_branch .LBB51_205
.LBB51_266:
	s_mov_b64 s[14:15], 0
                                        ; implicit-def: $sgpr12_sgpr13
	s_cbranch_execnz .LBB51_269
	s_branch .LBB51_270
.LBB51_267:
	s_mov_b64 s[14:15], -1
                                        ; implicit-def: $sgpr12_sgpr13
.LBB51_268:
	s_branch .LBB51_270
.LBB51_269:
	s_waitcnt vmcnt(0)
	v_cmp_lt_i64_e32 vcc, s[8:9], v[32:33]
	s_andn2_b64 s[12:13], s[12:13], exec
	s_and_b64 s[16:17], vcc, exec
	s_or_b64 s[12:13], s[12:13], s[16:17]
.LBB51_270:
	s_branch .LBB51_272
.LBB51_271:
	s_cmp_lg_u32 s48, 0
	s_mov_b64 s[6:7], -1
	s_cselect_b64 s[14:15], -1, 0
.LBB51_272:
	s_andn2_b64 vcc, exec, s[14:15]
	s_cbranch_vccz .LBB51_281
; %bb.273:
	s_andn2_b64 vcc, exec, s[6:7]
	s_cbranch_vccnz .LBB51_275
.LBB51_274:
	s_waitcnt vmcnt(0)
	v_cmp_le_i64_e32 vcc, s[8:9], v[32:33]
	s_andn2_b64 s[6:7], s[12:13], exec
	s_and_b64 s[12:13], vcc, exec
	s_or_b64 s[12:13], s[6:7], s[12:13]
.LBB51_275:
	v_cndmask_b32_e64 v34, 0, 1, s[12:13]
.LBB51_276:
	s_or_b64 exec, exec, s[4:5]
	s_waitcnt vmcnt(0)
	v_or_b32_e32 v32, 0x100, v0
	v_cmp_gt_i32_e32 vcc, s33, v32
                                        ; implicit-def: $vgpr33
	s_and_saveexec_b64 s[4:5], vcc
	s_cbranch_execz .LBB51_291
; %bb.277:
	s_cmp_lt_i32 s48, 1
	s_mov_b64 s[6:7], 0
	s_cbranch_scc1 .LBB51_282
; %bb.278:
	s_cmp_gt_i32 s48, 1
	s_cbranch_scc0 .LBB51_283
; %bb.279:
	s_cmp_eq_u32 s48, 2
	s_cbranch_scc0 .LBB51_535
; %bb.280:
	v_cmp_ge_i64_e64 s[12:13], s[8:9], v[30:31]
	s_mov_b64 s[14:15], 0
	s_branch .LBB51_285
.LBB51_281:
	s_waitcnt vmcnt(0)
	v_cmp_gt_i64_e32 vcc, s[8:9], v[32:33]
	s_andn2_b64 s[12:13], s[12:13], exec
	s_and_b64 s[14:15], vcc, exec
	s_or_b64 s[12:13], s[12:13], s[14:15]
	s_cbranch_execz .LBB51_274
	s_branch .LBB51_275
.LBB51_282:
                                        ; implicit-def: $sgpr12_sgpr13
	s_mov_b64 s[14:15], 0
	s_cbranch_execnz .LBB51_286
	s_branch .LBB51_287
.LBB51_283:
	s_mov_b64 s[14:15], 0
                                        ; implicit-def: $sgpr12_sgpr13
	s_cbranch_execz .LBB51_285
; %bb.284:
	v_cmp_lt_i64_e32 vcc, s[8:9], v[30:31]
	s_andn2_b64 s[12:13], s[12:13], exec
	s_and_b64 s[16:17], vcc, exec
	s_or_b64 s[12:13], s[12:13], s[16:17]
.LBB51_285:
	s_branch .LBB51_287
.LBB51_286:
	s_cmp_lg_u32 s48, 0
	s_mov_b64 s[6:7], -1
	s_cselect_b64 s[14:15], -1, 0
.LBB51_287:
	s_andn2_b64 vcc, exec, s[14:15]
	s_cbranch_vccz .LBB51_296
; %bb.288:
	s_andn2_b64 vcc, exec, s[6:7]
	s_cbranch_vccnz .LBB51_290
.LBB51_289:
	v_cmp_le_i64_e32 vcc, s[8:9], v[30:31]
	s_andn2_b64 s[6:7], s[12:13], exec
	s_and_b64 s[12:13], vcc, exec
	s_or_b64 s[12:13], s[6:7], s[12:13]
.LBB51_290:
	v_cndmask_b32_e64 v33, 0, 1, s[12:13]
.LBB51_291:
	s_or_b64 exec, exec, s[4:5]
	v_or_b32_e32 v30, 0x200, v0
	v_cmp_gt_i32_e32 vcc, s33, v30
                                        ; implicit-def: $vgpr30
	s_and_saveexec_b64 s[4:5], vcc
	s_cbranch_execz .LBB51_306
; %bb.292:
	s_cmp_lt_i32 s48, 1
	s_mov_b64 s[6:7], 0
	s_cbranch_scc1 .LBB51_297
; %bb.293:
	s_cmp_gt_i32 s48, 1
	s_cbranch_scc0 .LBB51_298
; %bb.294:
	s_cmp_eq_u32 s48, 2
	s_cbranch_scc0 .LBB51_536
; %bb.295:
	v_cmp_ge_i64_e64 s[12:13], s[8:9], v[28:29]
	s_mov_b64 s[14:15], 0
	s_branch .LBB51_300
.LBB51_296:
	v_cmp_gt_i64_e32 vcc, s[8:9], v[30:31]
	s_andn2_b64 s[12:13], s[12:13], exec
	s_and_b64 s[14:15], vcc, exec
	s_or_b64 s[12:13], s[12:13], s[14:15]
	s_cbranch_execz .LBB51_289
	s_branch .LBB51_290
.LBB51_297:
                                        ; implicit-def: $sgpr12_sgpr13
	s_mov_b64 s[14:15], 0
	s_cbranch_execnz .LBB51_301
	s_branch .LBB51_302
.LBB51_298:
	s_mov_b64 s[14:15], 0
                                        ; implicit-def: $sgpr12_sgpr13
	s_cbranch_execz .LBB51_300
; %bb.299:
	v_cmp_lt_i64_e32 vcc, s[8:9], v[28:29]
	s_andn2_b64 s[12:13], s[12:13], exec
	s_and_b64 s[16:17], vcc, exec
	s_or_b64 s[12:13], s[12:13], s[16:17]
.LBB51_300:
	s_branch .LBB51_302
.LBB51_301:
	s_cmp_lg_u32 s48, 0
	s_mov_b64 s[6:7], -1
	s_cselect_b64 s[14:15], -1, 0
.LBB51_302:
	s_andn2_b64 vcc, exec, s[14:15]
	s_cbranch_vccz .LBB51_311
; %bb.303:
	s_andn2_b64 vcc, exec, s[6:7]
	s_cbranch_vccnz .LBB51_305
.LBB51_304:
	v_cmp_le_i64_e32 vcc, s[8:9], v[28:29]
	s_andn2_b64 s[6:7], s[12:13], exec
	s_and_b64 s[12:13], vcc, exec
	s_or_b64 s[12:13], s[6:7], s[12:13]
.LBB51_305:
	v_cndmask_b32_e64 v30, 0, 1, s[12:13]
.LBB51_306:
	s_or_b64 exec, exec, s[4:5]
	v_or_b32_e32 v28, 0x300, v0
	v_cmp_gt_i32_e32 vcc, s33, v28
                                        ; implicit-def: $vgpr28
	s_and_saveexec_b64 s[4:5], vcc
	s_cbranch_execz .LBB51_321
; %bb.307:
	s_cmp_lt_i32 s48, 1
	s_mov_b64 s[6:7], 0
	s_cbranch_scc1 .LBB51_312
; %bb.308:
	s_cmp_gt_i32 s48, 1
	s_cbranch_scc0 .LBB51_313
; %bb.309:
	s_cmp_eq_u32 s48, 2
	s_cbranch_scc0 .LBB51_537
; %bb.310:
	v_cmp_ge_i64_e64 s[12:13], s[8:9], v[26:27]
	s_mov_b64 s[14:15], 0
	s_branch .LBB51_315
.LBB51_311:
	v_cmp_gt_i64_e32 vcc, s[8:9], v[28:29]
	s_andn2_b64 s[12:13], s[12:13], exec
	s_and_b64 s[14:15], vcc, exec
	s_or_b64 s[12:13], s[12:13], s[14:15]
	s_cbranch_execz .LBB51_304
	s_branch .LBB51_305
.LBB51_312:
                                        ; implicit-def: $sgpr12_sgpr13
	s_mov_b64 s[14:15], 0
	s_cbranch_execnz .LBB51_316
	s_branch .LBB51_317
.LBB51_313:
	s_mov_b64 s[14:15], 0
                                        ; implicit-def: $sgpr12_sgpr13
	s_cbranch_execz .LBB51_315
; %bb.314:
	v_cmp_lt_i64_e32 vcc, s[8:9], v[26:27]
	s_andn2_b64 s[12:13], s[12:13], exec
	s_and_b64 s[16:17], vcc, exec
	s_or_b64 s[12:13], s[12:13], s[16:17]
.LBB51_315:
	s_branch .LBB51_317
.LBB51_316:
	s_cmp_lg_u32 s48, 0
	s_mov_b64 s[6:7], -1
	s_cselect_b64 s[14:15], -1, 0
.LBB51_317:
	s_andn2_b64 vcc, exec, s[14:15]
	s_cbranch_vccz .LBB51_326
; %bb.318:
	s_andn2_b64 vcc, exec, s[6:7]
	s_cbranch_vccnz .LBB51_320
.LBB51_319:
	v_cmp_le_i64_e32 vcc, s[8:9], v[26:27]
	s_andn2_b64 s[6:7], s[12:13], exec
	s_and_b64 s[12:13], vcc, exec
	s_or_b64 s[12:13], s[6:7], s[12:13]
.LBB51_320:
	v_cndmask_b32_e64 v28, 0, 1, s[12:13]
.LBB51_321:
	s_or_b64 exec, exec, s[4:5]
	v_or_b32_e32 v26, 0x400, v0
	v_cmp_gt_i32_e32 vcc, s33, v26
                                        ; implicit-def: $vgpr26
	s_and_saveexec_b64 s[4:5], vcc
	s_cbranch_execz .LBB51_336
; %bb.322:
	s_cmp_lt_i32 s48, 1
	s_mov_b64 s[6:7], 0
	s_cbranch_scc1 .LBB51_327
; %bb.323:
	s_cmp_gt_i32 s48, 1
	s_cbranch_scc0 .LBB51_328
; %bb.324:
	s_cmp_eq_u32 s48, 2
	s_cbranch_scc0 .LBB51_538
; %bb.325:
	v_cmp_ge_i64_e64 s[12:13], s[8:9], v[24:25]
	s_mov_b64 s[14:15], 0
	s_branch .LBB51_330
.LBB51_326:
	v_cmp_gt_i64_e32 vcc, s[8:9], v[26:27]
	s_andn2_b64 s[12:13], s[12:13], exec
	s_and_b64 s[14:15], vcc, exec
	s_or_b64 s[12:13], s[12:13], s[14:15]
	s_cbranch_execz .LBB51_319
	s_branch .LBB51_320
.LBB51_327:
                                        ; implicit-def: $sgpr12_sgpr13
	s_mov_b64 s[14:15], 0
	s_cbranch_execnz .LBB51_331
	s_branch .LBB51_332
.LBB51_328:
	s_mov_b64 s[14:15], 0
                                        ; implicit-def: $sgpr12_sgpr13
	s_cbranch_execz .LBB51_330
; %bb.329:
	v_cmp_lt_i64_e32 vcc, s[8:9], v[24:25]
	s_andn2_b64 s[12:13], s[12:13], exec
	s_and_b64 s[16:17], vcc, exec
	s_or_b64 s[12:13], s[12:13], s[16:17]
.LBB51_330:
	s_branch .LBB51_332
.LBB51_331:
	s_cmp_lg_u32 s48, 0
	s_mov_b64 s[6:7], -1
	s_cselect_b64 s[14:15], -1, 0
.LBB51_332:
	s_andn2_b64 vcc, exec, s[14:15]
	s_cbranch_vccz .LBB51_341
; %bb.333:
	s_andn2_b64 vcc, exec, s[6:7]
	s_cbranch_vccnz .LBB51_335
.LBB51_334:
	v_cmp_le_i64_e32 vcc, s[8:9], v[24:25]
	s_andn2_b64 s[6:7], s[12:13], exec
	s_and_b64 s[12:13], vcc, exec
	s_or_b64 s[12:13], s[6:7], s[12:13]
.LBB51_335:
	v_cndmask_b32_e64 v26, 0, 1, s[12:13]
.LBB51_336:
	s_or_b64 exec, exec, s[4:5]
	v_or_b32_e32 v24, 0x500, v0
	v_cmp_gt_i32_e32 vcc, s33, v24
                                        ; implicit-def: $vgpr24
	s_and_saveexec_b64 s[4:5], vcc
	s_cbranch_execz .LBB51_351
; %bb.337:
	s_cmp_lt_i32 s48, 1
	s_mov_b64 s[6:7], 0
	s_cbranch_scc1 .LBB51_342
; %bb.338:
	s_cmp_gt_i32 s48, 1
	s_cbranch_scc0 .LBB51_343
; %bb.339:
	s_cmp_eq_u32 s48, 2
	s_cbranch_scc0 .LBB51_539
; %bb.340:
	v_cmp_ge_i64_e64 s[12:13], s[8:9], v[22:23]
	s_mov_b64 s[14:15], 0
	s_branch .LBB51_345
.LBB51_341:
	v_cmp_gt_i64_e32 vcc, s[8:9], v[24:25]
	s_andn2_b64 s[12:13], s[12:13], exec
	s_and_b64 s[14:15], vcc, exec
	s_or_b64 s[12:13], s[12:13], s[14:15]
	s_cbranch_execz .LBB51_334
	s_branch .LBB51_335
.LBB51_342:
                                        ; implicit-def: $sgpr12_sgpr13
	s_mov_b64 s[14:15], 0
	s_cbranch_execnz .LBB51_346
	s_branch .LBB51_347
.LBB51_343:
	s_mov_b64 s[14:15], 0
                                        ; implicit-def: $sgpr12_sgpr13
	s_cbranch_execz .LBB51_345
; %bb.344:
	v_cmp_lt_i64_e32 vcc, s[8:9], v[22:23]
	s_andn2_b64 s[12:13], s[12:13], exec
	s_and_b64 s[16:17], vcc, exec
	s_or_b64 s[12:13], s[12:13], s[16:17]
.LBB51_345:
	s_branch .LBB51_347
.LBB51_346:
	s_cmp_lg_u32 s48, 0
	s_mov_b64 s[6:7], -1
	s_cselect_b64 s[14:15], -1, 0
.LBB51_347:
	s_andn2_b64 vcc, exec, s[14:15]
	s_cbranch_vccz .LBB51_356
; %bb.348:
	s_andn2_b64 vcc, exec, s[6:7]
	s_cbranch_vccnz .LBB51_350
.LBB51_349:
	v_cmp_le_i64_e32 vcc, s[8:9], v[22:23]
	s_andn2_b64 s[6:7], s[12:13], exec
	s_and_b64 s[12:13], vcc, exec
	s_or_b64 s[12:13], s[6:7], s[12:13]
.LBB51_350:
	v_cndmask_b32_e64 v24, 0, 1, s[12:13]
.LBB51_351:
	s_or_b64 exec, exec, s[4:5]
	v_or_b32_e32 v22, 0x600, v0
	v_cmp_gt_i32_e32 vcc, s33, v22
                                        ; implicit-def: $vgpr22
	s_and_saveexec_b64 s[4:5], vcc
	s_cbranch_execz .LBB51_366
; %bb.352:
	s_cmp_lt_i32 s48, 1
	s_mov_b64 s[6:7], 0
	s_cbranch_scc1 .LBB51_357
; %bb.353:
	s_cmp_gt_i32 s48, 1
	s_cbranch_scc0 .LBB51_358
; %bb.354:
	s_cmp_eq_u32 s48, 2
	s_cbranch_scc0 .LBB51_540
; %bb.355:
	v_cmp_ge_i64_e64 s[12:13], s[8:9], v[20:21]
	s_mov_b64 s[14:15], 0
	s_branch .LBB51_360
.LBB51_356:
	v_cmp_gt_i64_e32 vcc, s[8:9], v[22:23]
	s_andn2_b64 s[12:13], s[12:13], exec
	s_and_b64 s[14:15], vcc, exec
	s_or_b64 s[12:13], s[12:13], s[14:15]
	s_cbranch_execz .LBB51_349
	s_branch .LBB51_350
.LBB51_357:
                                        ; implicit-def: $sgpr12_sgpr13
	s_mov_b64 s[14:15], 0
	s_cbranch_execnz .LBB51_361
	s_branch .LBB51_362
.LBB51_358:
	s_mov_b64 s[14:15], 0
                                        ; implicit-def: $sgpr12_sgpr13
	s_cbranch_execz .LBB51_360
; %bb.359:
	v_cmp_lt_i64_e32 vcc, s[8:9], v[20:21]
	s_andn2_b64 s[12:13], s[12:13], exec
	s_and_b64 s[16:17], vcc, exec
	s_or_b64 s[12:13], s[12:13], s[16:17]
.LBB51_360:
	s_branch .LBB51_362
.LBB51_361:
	s_cmp_lg_u32 s48, 0
	s_mov_b64 s[6:7], -1
	s_cselect_b64 s[14:15], -1, 0
.LBB51_362:
	s_andn2_b64 vcc, exec, s[14:15]
	s_cbranch_vccz .LBB51_371
; %bb.363:
	s_andn2_b64 vcc, exec, s[6:7]
	s_cbranch_vccnz .LBB51_365
.LBB51_364:
	v_cmp_le_i64_e32 vcc, s[8:9], v[20:21]
	s_andn2_b64 s[6:7], s[12:13], exec
	s_and_b64 s[12:13], vcc, exec
	s_or_b64 s[12:13], s[6:7], s[12:13]
.LBB51_365:
	v_cndmask_b32_e64 v22, 0, 1, s[12:13]
.LBB51_366:
	s_or_b64 exec, exec, s[4:5]
	v_or_b32_e32 v20, 0x700, v0
	v_cmp_gt_i32_e32 vcc, s33, v20
                                        ; implicit-def: $vgpr20
	s_and_saveexec_b64 s[4:5], vcc
	s_cbranch_execz .LBB51_381
; %bb.367:
	s_cmp_lt_i32 s48, 1
	s_mov_b64 s[6:7], 0
	s_cbranch_scc1 .LBB51_372
; %bb.368:
	s_cmp_gt_i32 s48, 1
	s_cbranch_scc0 .LBB51_373
; %bb.369:
	s_cmp_eq_u32 s48, 2
	s_cbranch_scc0 .LBB51_541
; %bb.370:
	v_cmp_ge_i64_e64 s[12:13], s[8:9], v[18:19]
	s_mov_b64 s[14:15], 0
	s_branch .LBB51_375
.LBB51_371:
	v_cmp_gt_i64_e32 vcc, s[8:9], v[20:21]
	s_andn2_b64 s[12:13], s[12:13], exec
	s_and_b64 s[14:15], vcc, exec
	s_or_b64 s[12:13], s[12:13], s[14:15]
	s_cbranch_execz .LBB51_364
	s_branch .LBB51_365
.LBB51_372:
                                        ; implicit-def: $sgpr12_sgpr13
	s_mov_b64 s[14:15], 0
	s_cbranch_execnz .LBB51_376
	s_branch .LBB51_377
.LBB51_373:
	s_mov_b64 s[14:15], 0
                                        ; implicit-def: $sgpr12_sgpr13
	s_cbranch_execz .LBB51_375
; %bb.374:
	v_cmp_lt_i64_e32 vcc, s[8:9], v[18:19]
	s_andn2_b64 s[12:13], s[12:13], exec
	s_and_b64 s[16:17], vcc, exec
	s_or_b64 s[12:13], s[12:13], s[16:17]
.LBB51_375:
	s_branch .LBB51_377
.LBB51_376:
	s_cmp_lg_u32 s48, 0
	s_mov_b64 s[6:7], -1
	s_cselect_b64 s[14:15], -1, 0
.LBB51_377:
	s_andn2_b64 vcc, exec, s[14:15]
	s_cbranch_vccz .LBB51_386
; %bb.378:
	s_andn2_b64 vcc, exec, s[6:7]
	s_cbranch_vccnz .LBB51_380
.LBB51_379:
	v_cmp_le_i64_e32 vcc, s[8:9], v[18:19]
	s_andn2_b64 s[6:7], s[12:13], exec
	s_and_b64 s[12:13], vcc, exec
	s_or_b64 s[12:13], s[6:7], s[12:13]
.LBB51_380:
	v_cndmask_b32_e64 v20, 0, 1, s[12:13]
.LBB51_381:
	s_or_b64 exec, exec, s[4:5]
	v_or_b32_e32 v18, 0x800, v0
	v_cmp_gt_i32_e32 vcc, s33, v18
                                        ; implicit-def: $vgpr18
	s_and_saveexec_b64 s[4:5], vcc
	s_cbranch_execz .LBB51_396
; %bb.382:
	s_cmp_lt_i32 s48, 1
	s_mov_b64 s[6:7], 0
	s_cbranch_scc1 .LBB51_387
; %bb.383:
	s_cmp_gt_i32 s48, 1
	s_cbranch_scc0 .LBB51_388
; %bb.384:
	s_cmp_eq_u32 s48, 2
	s_cbranch_scc0 .LBB51_542
; %bb.385:
	v_cmp_ge_i64_e64 s[12:13], s[8:9], v[16:17]
	s_mov_b64 s[14:15], 0
	s_branch .LBB51_390
.LBB51_386:
	v_cmp_gt_i64_e32 vcc, s[8:9], v[18:19]
	s_andn2_b64 s[12:13], s[12:13], exec
	s_and_b64 s[14:15], vcc, exec
	s_or_b64 s[12:13], s[12:13], s[14:15]
	s_cbranch_execz .LBB51_379
	s_branch .LBB51_380
.LBB51_387:
                                        ; implicit-def: $sgpr12_sgpr13
	s_mov_b64 s[14:15], 0
	s_cbranch_execnz .LBB51_391
	s_branch .LBB51_392
.LBB51_388:
	s_mov_b64 s[14:15], 0
                                        ; implicit-def: $sgpr12_sgpr13
	s_cbranch_execz .LBB51_390
; %bb.389:
	v_cmp_lt_i64_e32 vcc, s[8:9], v[16:17]
	s_andn2_b64 s[12:13], s[12:13], exec
	s_and_b64 s[16:17], vcc, exec
	s_or_b64 s[12:13], s[12:13], s[16:17]
.LBB51_390:
	s_branch .LBB51_392
.LBB51_391:
	s_cmp_lg_u32 s48, 0
	s_mov_b64 s[6:7], -1
	s_cselect_b64 s[14:15], -1, 0
.LBB51_392:
	s_andn2_b64 vcc, exec, s[14:15]
	s_cbranch_vccz .LBB51_401
; %bb.393:
	s_andn2_b64 vcc, exec, s[6:7]
	s_cbranch_vccnz .LBB51_395
.LBB51_394:
	v_cmp_le_i64_e32 vcc, s[8:9], v[16:17]
	s_andn2_b64 s[6:7], s[12:13], exec
	s_and_b64 s[12:13], vcc, exec
	s_or_b64 s[12:13], s[6:7], s[12:13]
.LBB51_395:
	v_cndmask_b32_e64 v18, 0, 1, s[12:13]
.LBB51_396:
	s_or_b64 exec, exec, s[4:5]
	v_or_b32_e32 v16, 0x900, v0
	v_cmp_gt_i32_e32 vcc, s33, v16
                                        ; implicit-def: $vgpr16
	s_and_saveexec_b64 s[4:5], vcc
	s_cbranch_execz .LBB51_411
; %bb.397:
	s_cmp_lt_i32 s48, 1
	s_mov_b64 s[6:7], 0
	s_cbranch_scc1 .LBB51_402
; %bb.398:
	s_cmp_gt_i32 s48, 1
	s_cbranch_scc0 .LBB51_403
; %bb.399:
	s_cmp_eq_u32 s48, 2
	s_cbranch_scc0 .LBB51_543
; %bb.400:
	v_cmp_ge_i64_e64 s[12:13], s[8:9], v[14:15]
	s_mov_b64 s[14:15], 0
	s_branch .LBB51_405
.LBB51_401:
	v_cmp_gt_i64_e32 vcc, s[8:9], v[16:17]
	s_andn2_b64 s[12:13], s[12:13], exec
	s_and_b64 s[14:15], vcc, exec
	s_or_b64 s[12:13], s[12:13], s[14:15]
	s_cbranch_execz .LBB51_394
	s_branch .LBB51_395
.LBB51_402:
                                        ; implicit-def: $sgpr12_sgpr13
	s_mov_b64 s[14:15], 0
	s_cbranch_execnz .LBB51_406
	s_branch .LBB51_407
.LBB51_403:
	s_mov_b64 s[14:15], 0
                                        ; implicit-def: $sgpr12_sgpr13
	s_cbranch_execz .LBB51_405
; %bb.404:
	v_cmp_lt_i64_e32 vcc, s[8:9], v[14:15]
	s_andn2_b64 s[12:13], s[12:13], exec
	s_and_b64 s[16:17], vcc, exec
	s_or_b64 s[12:13], s[12:13], s[16:17]
.LBB51_405:
	s_branch .LBB51_407
.LBB51_406:
	s_cmp_lg_u32 s48, 0
	s_mov_b64 s[6:7], -1
	s_cselect_b64 s[14:15], -1, 0
.LBB51_407:
	s_andn2_b64 vcc, exec, s[14:15]
	s_cbranch_vccz .LBB51_416
; %bb.408:
	s_andn2_b64 vcc, exec, s[6:7]
	s_cbranch_vccnz .LBB51_410
.LBB51_409:
	v_cmp_le_i64_e32 vcc, s[8:9], v[14:15]
	s_andn2_b64 s[6:7], s[12:13], exec
	s_and_b64 s[12:13], vcc, exec
	s_or_b64 s[12:13], s[6:7], s[12:13]
.LBB51_410:
	v_cndmask_b32_e64 v16, 0, 1, s[12:13]
.LBB51_411:
	s_or_b64 exec, exec, s[4:5]
	v_or_b32_e32 v14, 0xa00, v0
	v_cmp_gt_i32_e32 vcc, s33, v14
                                        ; implicit-def: $vgpr14
	s_and_saveexec_b64 s[4:5], vcc
	s_cbranch_execz .LBB51_426
; %bb.412:
	s_cmp_lt_i32 s48, 1
	s_mov_b64 s[6:7], 0
	s_cbranch_scc1 .LBB51_417
; %bb.413:
	s_cmp_gt_i32 s48, 1
	s_cbranch_scc0 .LBB51_418
; %bb.414:
	s_cmp_eq_u32 s48, 2
	s_cbranch_scc0 .LBB51_544
; %bb.415:
	v_cmp_ge_i64_e64 s[12:13], s[8:9], v[12:13]
	s_mov_b64 s[14:15], 0
	s_branch .LBB51_420
.LBB51_416:
	v_cmp_gt_i64_e32 vcc, s[8:9], v[14:15]
	s_andn2_b64 s[12:13], s[12:13], exec
	s_and_b64 s[14:15], vcc, exec
	s_or_b64 s[12:13], s[12:13], s[14:15]
	s_cbranch_execz .LBB51_409
	s_branch .LBB51_410
.LBB51_417:
                                        ; implicit-def: $sgpr12_sgpr13
	s_mov_b64 s[14:15], 0
	s_cbranch_execnz .LBB51_421
	s_branch .LBB51_422
.LBB51_418:
	s_mov_b64 s[14:15], 0
                                        ; implicit-def: $sgpr12_sgpr13
	s_cbranch_execz .LBB51_420
; %bb.419:
	v_cmp_lt_i64_e32 vcc, s[8:9], v[12:13]
	s_andn2_b64 s[12:13], s[12:13], exec
	s_and_b64 s[16:17], vcc, exec
	s_or_b64 s[12:13], s[12:13], s[16:17]
.LBB51_420:
	s_branch .LBB51_422
.LBB51_421:
	s_cmp_lg_u32 s48, 0
	s_mov_b64 s[6:7], -1
	s_cselect_b64 s[14:15], -1, 0
.LBB51_422:
	s_andn2_b64 vcc, exec, s[14:15]
	s_cbranch_vccz .LBB51_431
; %bb.423:
	s_andn2_b64 vcc, exec, s[6:7]
	s_cbranch_vccnz .LBB51_425
.LBB51_424:
	v_cmp_le_i64_e32 vcc, s[8:9], v[12:13]
	s_andn2_b64 s[6:7], s[12:13], exec
	s_and_b64 s[12:13], vcc, exec
	s_or_b64 s[12:13], s[6:7], s[12:13]
.LBB51_425:
	v_cndmask_b32_e64 v14, 0, 1, s[12:13]
.LBB51_426:
	s_or_b64 exec, exec, s[4:5]
	v_or_b32_e32 v12, 0xb00, v0
	v_cmp_gt_i32_e32 vcc, s33, v12
                                        ; implicit-def: $vgpr12
	s_and_saveexec_b64 s[4:5], vcc
	s_cbranch_execz .LBB51_441
; %bb.427:
	s_cmp_lt_i32 s48, 1
	s_mov_b64 s[6:7], 0
	s_cbranch_scc1 .LBB51_432
; %bb.428:
	s_cmp_gt_i32 s48, 1
	s_cbranch_scc0 .LBB51_433
; %bb.429:
	s_cmp_eq_u32 s48, 2
	s_cbranch_scc0 .LBB51_545
; %bb.430:
	v_cmp_ge_i64_e64 s[12:13], s[8:9], v[10:11]
	s_mov_b64 s[14:15], 0
	s_branch .LBB51_435
.LBB51_431:
	v_cmp_gt_i64_e32 vcc, s[8:9], v[12:13]
	s_andn2_b64 s[12:13], s[12:13], exec
	s_and_b64 s[14:15], vcc, exec
	s_or_b64 s[12:13], s[12:13], s[14:15]
	s_cbranch_execz .LBB51_424
	s_branch .LBB51_425
.LBB51_432:
                                        ; implicit-def: $sgpr12_sgpr13
	s_mov_b64 s[14:15], 0
	s_cbranch_execnz .LBB51_436
	s_branch .LBB51_437
.LBB51_433:
	s_mov_b64 s[14:15], 0
                                        ; implicit-def: $sgpr12_sgpr13
	s_cbranch_execz .LBB51_435
; %bb.434:
	v_cmp_lt_i64_e32 vcc, s[8:9], v[10:11]
	s_andn2_b64 s[12:13], s[12:13], exec
	s_and_b64 s[16:17], vcc, exec
	s_or_b64 s[12:13], s[12:13], s[16:17]
.LBB51_435:
	s_branch .LBB51_437
.LBB51_436:
	s_cmp_lg_u32 s48, 0
	s_mov_b64 s[6:7], -1
	s_cselect_b64 s[14:15], -1, 0
.LBB51_437:
	s_andn2_b64 vcc, exec, s[14:15]
	s_cbranch_vccz .LBB51_446
; %bb.438:
	s_andn2_b64 vcc, exec, s[6:7]
	s_cbranch_vccnz .LBB51_440
.LBB51_439:
	v_cmp_le_i64_e32 vcc, s[8:9], v[10:11]
	s_andn2_b64 s[6:7], s[12:13], exec
	s_and_b64 s[12:13], vcc, exec
	s_or_b64 s[12:13], s[6:7], s[12:13]
.LBB51_440:
	v_cndmask_b32_e64 v12, 0, 1, s[12:13]
.LBB51_441:
	s_or_b64 exec, exec, s[4:5]
	v_or_b32_e32 v10, 0xc00, v0
	v_cmp_gt_i32_e32 vcc, s33, v10
                                        ; implicit-def: $vgpr10
	s_and_saveexec_b64 s[4:5], vcc
	s_cbranch_execz .LBB51_456
; %bb.442:
	s_cmp_lt_i32 s48, 1
	s_mov_b64 s[6:7], 0
	s_cbranch_scc1 .LBB51_447
; %bb.443:
	s_cmp_gt_i32 s48, 1
	s_cbranch_scc0 .LBB51_448
; %bb.444:
	s_cmp_eq_u32 s48, 2
	s_cbranch_scc0 .LBB51_546
; %bb.445:
	v_cmp_ge_i64_e64 s[12:13], s[8:9], v[8:9]
	s_mov_b64 s[14:15], 0
	s_branch .LBB51_450
.LBB51_446:
	v_cmp_gt_i64_e32 vcc, s[8:9], v[10:11]
	s_andn2_b64 s[12:13], s[12:13], exec
	s_and_b64 s[14:15], vcc, exec
	s_or_b64 s[12:13], s[12:13], s[14:15]
	s_cbranch_execz .LBB51_439
	s_branch .LBB51_440
.LBB51_447:
                                        ; implicit-def: $sgpr12_sgpr13
	s_mov_b64 s[14:15], 0
	s_cbranch_execnz .LBB51_451
	s_branch .LBB51_452
.LBB51_448:
	s_mov_b64 s[14:15], 0
                                        ; implicit-def: $sgpr12_sgpr13
	s_cbranch_execz .LBB51_450
; %bb.449:
	v_cmp_lt_i64_e32 vcc, s[8:9], v[8:9]
	s_andn2_b64 s[12:13], s[12:13], exec
	s_and_b64 s[16:17], vcc, exec
	s_or_b64 s[12:13], s[12:13], s[16:17]
.LBB51_450:
	s_branch .LBB51_452
.LBB51_451:
	s_cmp_lg_u32 s48, 0
	s_mov_b64 s[6:7], -1
	s_cselect_b64 s[14:15], -1, 0
.LBB51_452:
	s_andn2_b64 vcc, exec, s[14:15]
	s_cbranch_vccz .LBB51_461
; %bb.453:
	s_andn2_b64 vcc, exec, s[6:7]
	s_cbranch_vccnz .LBB51_455
.LBB51_454:
	v_cmp_le_i64_e32 vcc, s[8:9], v[8:9]
	s_andn2_b64 s[6:7], s[12:13], exec
	s_and_b64 s[12:13], vcc, exec
	s_or_b64 s[12:13], s[6:7], s[12:13]
.LBB51_455:
	v_cndmask_b32_e64 v10, 0, 1, s[12:13]
.LBB51_456:
	s_or_b64 exec, exec, s[4:5]
	v_or_b32_e32 v8, 0xd00, v0
	v_cmp_gt_i32_e32 vcc, s33, v8
                                        ; implicit-def: $vgpr8
	s_and_saveexec_b64 s[4:5], vcc
	s_cbranch_execz .LBB51_471
; %bb.457:
	s_cmp_lt_i32 s48, 1
	s_mov_b64 s[6:7], 0
	s_cbranch_scc1 .LBB51_462
; %bb.458:
	s_cmp_gt_i32 s48, 1
	s_cbranch_scc0 .LBB51_463
; %bb.459:
	s_cmp_eq_u32 s48, 2
	s_cbranch_scc0 .LBB51_547
; %bb.460:
	v_cmp_ge_i64_e64 s[12:13], s[8:9], v[6:7]
	s_mov_b64 s[14:15], 0
	s_branch .LBB51_465
.LBB51_461:
	v_cmp_gt_i64_e32 vcc, s[8:9], v[8:9]
	s_andn2_b64 s[12:13], s[12:13], exec
	s_and_b64 s[14:15], vcc, exec
	s_or_b64 s[12:13], s[12:13], s[14:15]
	s_cbranch_execz .LBB51_454
	s_branch .LBB51_455
.LBB51_462:
                                        ; implicit-def: $sgpr12_sgpr13
	s_mov_b64 s[14:15], 0
	s_cbranch_execnz .LBB51_466
	s_branch .LBB51_467
.LBB51_463:
	s_mov_b64 s[14:15], 0
                                        ; implicit-def: $sgpr12_sgpr13
	s_cbranch_execz .LBB51_465
; %bb.464:
	v_cmp_lt_i64_e32 vcc, s[8:9], v[6:7]
	s_andn2_b64 s[12:13], s[12:13], exec
	s_and_b64 s[16:17], vcc, exec
	s_or_b64 s[12:13], s[12:13], s[16:17]
.LBB51_465:
	s_branch .LBB51_467
.LBB51_466:
	s_cmp_lg_u32 s48, 0
	s_mov_b64 s[6:7], -1
	s_cselect_b64 s[14:15], -1, 0
.LBB51_467:
	s_andn2_b64 vcc, exec, s[14:15]
	s_cbranch_vccz .LBB51_476
; %bb.468:
	s_andn2_b64 vcc, exec, s[6:7]
	s_cbranch_vccnz .LBB51_470
.LBB51_469:
	v_cmp_le_i64_e32 vcc, s[8:9], v[6:7]
	s_andn2_b64 s[6:7], s[12:13], exec
	s_and_b64 s[12:13], vcc, exec
	s_or_b64 s[12:13], s[6:7], s[12:13]
.LBB51_470:
	v_cndmask_b32_e64 v8, 0, 1, s[12:13]
.LBB51_471:
	s_or_b64 exec, exec, s[4:5]
	v_or_b32_e32 v6, 0xe00, v0
	v_cmp_gt_i32_e32 vcc, s33, v6
                                        ; implicit-def: $vgpr6
	s_and_saveexec_b64 s[4:5], vcc
	s_cbranch_execz .LBB51_486
; %bb.472:
	s_cmp_lt_i32 s48, 1
	s_mov_b64 s[6:7], 0
	s_cbranch_scc1 .LBB51_477
; %bb.473:
	s_cmp_gt_i32 s48, 1
	s_cbranch_scc0 .LBB51_478
; %bb.474:
	s_cmp_eq_u32 s48, 2
	s_cbranch_scc0 .LBB51_548
; %bb.475:
	v_cmp_ge_i64_e64 s[12:13], s[8:9], v[4:5]
	s_mov_b64 s[14:15], 0
	s_branch .LBB51_480
.LBB51_476:
	v_cmp_gt_i64_e32 vcc, s[8:9], v[6:7]
	s_andn2_b64 s[12:13], s[12:13], exec
	s_and_b64 s[14:15], vcc, exec
	s_or_b64 s[12:13], s[12:13], s[14:15]
	s_cbranch_execz .LBB51_469
	s_branch .LBB51_470
.LBB51_477:
                                        ; implicit-def: $sgpr12_sgpr13
	s_mov_b64 s[14:15], 0
	s_cbranch_execnz .LBB51_481
	s_branch .LBB51_482
.LBB51_478:
	s_mov_b64 s[14:15], 0
                                        ; implicit-def: $sgpr12_sgpr13
	s_cbranch_execz .LBB51_480
; %bb.479:
	v_cmp_lt_i64_e32 vcc, s[8:9], v[4:5]
	s_andn2_b64 s[12:13], s[12:13], exec
	s_and_b64 s[16:17], vcc, exec
	s_or_b64 s[12:13], s[12:13], s[16:17]
.LBB51_480:
	s_branch .LBB51_482
.LBB51_481:
	s_cmp_lg_u32 s48, 0
	s_mov_b64 s[6:7], -1
	s_cselect_b64 s[14:15], -1, 0
.LBB51_482:
	s_andn2_b64 vcc, exec, s[14:15]
	s_cbranch_vccz .LBB51_491
; %bb.483:
	s_andn2_b64 vcc, exec, s[6:7]
	s_cbranch_vccnz .LBB51_485
.LBB51_484:
	v_cmp_le_i64_e32 vcc, s[8:9], v[4:5]
	s_andn2_b64 s[6:7], s[12:13], exec
	s_and_b64 s[12:13], vcc, exec
	s_or_b64 s[12:13], s[6:7], s[12:13]
.LBB51_485:
	v_cndmask_b32_e64 v6, 0, 1, s[12:13]
.LBB51_486:
	s_or_b64 exec, exec, s[4:5]
	v_or_b32_e32 v4, 0xf00, v0
	v_cmp_gt_i32_e32 vcc, s33, v4
                                        ; implicit-def: $vgpr4
	s_and_saveexec_b64 s[4:5], vcc
	s_cbranch_execz .LBB51_501
; %bb.487:
	s_cmp_lt_i32 s48, 1
	s_mov_b64 s[6:7], 0
	s_cbranch_scc1 .LBB51_492
; %bb.488:
	s_cmp_gt_i32 s48, 1
	s_cbranch_scc0 .LBB51_493
; %bb.489:
	s_cmp_eq_u32 s48, 2
	s_cbranch_scc0 .LBB51_549
; %bb.490:
	v_cmp_ge_i64_e64 s[12:13], s[8:9], v[2:3]
	s_mov_b64 s[14:15], 0
	s_branch .LBB51_495
.LBB51_491:
	v_cmp_gt_i64_e32 vcc, s[8:9], v[4:5]
	s_andn2_b64 s[12:13], s[12:13], exec
	s_and_b64 s[14:15], vcc, exec
	s_or_b64 s[12:13], s[12:13], s[14:15]
	s_cbranch_execz .LBB51_484
	s_branch .LBB51_485
.LBB51_492:
                                        ; implicit-def: $sgpr12_sgpr13
	s_mov_b64 s[14:15], 0
	s_cbranch_execnz .LBB51_496
	s_branch .LBB51_497
.LBB51_493:
	s_mov_b64 s[14:15], 0
                                        ; implicit-def: $sgpr12_sgpr13
	s_cbranch_execz .LBB51_495
; %bb.494:
	v_cmp_lt_i64_e32 vcc, s[8:9], v[2:3]
	s_andn2_b64 s[12:13], s[12:13], exec
	s_and_b64 s[16:17], vcc, exec
	s_or_b64 s[12:13], s[12:13], s[16:17]
.LBB51_495:
	s_branch .LBB51_497
.LBB51_496:
	s_cmp_lg_u32 s48, 0
	s_mov_b64 s[6:7], -1
	s_cselect_b64 s[14:15], -1, 0
.LBB51_497:
	s_andn2_b64 vcc, exec, s[14:15]
	s_cbranch_vccz .LBB51_534
; %bb.498:
	s_andn2_b64 vcc, exec, s[6:7]
	s_cbranch_vccnz .LBB51_500
.LBB51_499:
	v_cmp_le_i64_e32 vcc, s[8:9], v[2:3]
	s_andn2_b64 s[6:7], s[12:13], exec
	s_and_b64 s[8:9], vcc, exec
	s_or_b64 s[12:13], s[6:7], s[8:9]
.LBB51_500:
	v_cndmask_b32_e64 v4, 0, 1, s[12:13]
.LBB51_501:
	s_or_b64 exec, exec, s[4:5]
	s_and_saveexec_b64 s[4:5], s[0:1]
	s_xor_b64 s[0:1], exec, s[4:5]
	s_cbranch_execz .LBB51_503
; %bb.502:
	v_mov_b32_e32 v0, v32
	global_store_byte v1, v34, s[10:11]
.LBB51_503:
	s_or_b64 exec, exec, s[0:1]
	v_cmp_gt_i32_e32 vcc, s33, v0
	s_and_saveexec_b64 s[0:1], vcc
	s_cbranch_execnz .LBB51_520
; %bb.504:
	s_or_b64 exec, exec, s[0:1]
	v_cmp_gt_i32_e32 vcc, s33, v0
	s_and_saveexec_b64 s[0:1], vcc
	s_cbranch_execnz .LBB51_521
.LBB51_505:
	s_or_b64 exec, exec, s[0:1]
	v_cmp_gt_i32_e32 vcc, s33, v0
	s_and_saveexec_b64 s[0:1], vcc
	s_cbranch_execnz .LBB51_522
.LBB51_506:
	s_or_b64 exec, exec, s[0:1]
	v_cmp_gt_i32_e32 vcc, s33, v0
	s_and_saveexec_b64 s[0:1], vcc
	s_cbranch_execnz .LBB51_523
.LBB51_507:
	s_or_b64 exec, exec, s[0:1]
	v_cmp_gt_i32_e32 vcc, s33, v0
	s_and_saveexec_b64 s[0:1], vcc
	s_cbranch_execnz .LBB51_524
.LBB51_508:
	s_or_b64 exec, exec, s[0:1]
	v_cmp_gt_i32_e32 vcc, s33, v0
	s_and_saveexec_b64 s[0:1], vcc
	s_cbranch_execnz .LBB51_525
.LBB51_509:
	s_or_b64 exec, exec, s[0:1]
	v_cmp_gt_i32_e32 vcc, s33, v0
	s_and_saveexec_b64 s[0:1], vcc
	s_cbranch_execnz .LBB51_526
.LBB51_510:
	s_or_b64 exec, exec, s[0:1]
	v_cmp_gt_i32_e32 vcc, s33, v0
	s_and_saveexec_b64 s[0:1], vcc
	s_cbranch_execnz .LBB51_527
.LBB51_511:
	s_or_b64 exec, exec, s[0:1]
	v_cmp_gt_i32_e32 vcc, s33, v0
	s_and_saveexec_b64 s[0:1], vcc
	s_cbranch_execnz .LBB51_528
.LBB51_512:
	s_or_b64 exec, exec, s[0:1]
	v_cmp_gt_i32_e32 vcc, s33, v0
	s_and_saveexec_b64 s[0:1], vcc
	s_cbranch_execnz .LBB51_529
.LBB51_513:
	s_or_b64 exec, exec, s[0:1]
	v_cmp_gt_i32_e32 vcc, s33, v0
	s_and_saveexec_b64 s[0:1], vcc
	s_cbranch_execnz .LBB51_530
.LBB51_514:
	s_or_b64 exec, exec, s[0:1]
	v_cmp_gt_i32_e32 vcc, s33, v0
	s_and_saveexec_b64 s[0:1], vcc
	s_cbranch_execnz .LBB51_531
.LBB51_515:
	s_or_b64 exec, exec, s[0:1]
	v_cmp_gt_i32_e32 vcc, s33, v0
	s_and_saveexec_b64 s[0:1], vcc
	s_cbranch_execnz .LBB51_532
.LBB51_516:
	s_or_b64 exec, exec, s[0:1]
	v_cmp_gt_i32_e32 vcc, s33, v0
	s_and_saveexec_b64 s[0:1], vcc
	s_cbranch_execnz .LBB51_533
.LBB51_517:
	s_or_b64 exec, exec, s[0:1]
	v_cmp_gt_i32_e32 vcc, s33, v0
	s_and_saveexec_b64 s[0:1], vcc
	s_cbranch_execz .LBB51_519
.LBB51_518:
	v_add_u32_e32 v0, s2, v0
	global_store_byte v0, v4, s[10:11]
.LBB51_519:
	s_endpgm
.LBB51_520:
	v_add_u32_e32 v1, s2, v0
	v_add_u32_e32 v0, 0x100, v0
	global_store_byte v1, v33, s[10:11]
	s_or_b64 exec, exec, s[0:1]
	v_cmp_gt_i32_e32 vcc, s33, v0
	s_and_saveexec_b64 s[0:1], vcc
	s_cbranch_execz .LBB51_505
.LBB51_521:
	v_add_u32_e32 v1, s2, v0
	v_add_u32_e32 v0, 0x100, v0
	global_store_byte v1, v30, s[10:11]
	s_or_b64 exec, exec, s[0:1]
	v_cmp_gt_i32_e32 vcc, s33, v0
	s_and_saveexec_b64 s[0:1], vcc
	s_cbranch_execz .LBB51_506
.LBB51_522:
	v_add_u32_e32 v1, s2, v0
	v_add_u32_e32 v0, 0x100, v0
	global_store_byte v1, v28, s[10:11]
	s_or_b64 exec, exec, s[0:1]
	v_cmp_gt_i32_e32 vcc, s33, v0
	s_and_saveexec_b64 s[0:1], vcc
	s_cbranch_execz .LBB51_507
.LBB51_523:
	v_add_u32_e32 v1, s2, v0
	v_add_u32_e32 v0, 0x100, v0
	global_store_byte v1, v26, s[10:11]
	s_or_b64 exec, exec, s[0:1]
	v_cmp_gt_i32_e32 vcc, s33, v0
	s_and_saveexec_b64 s[0:1], vcc
	s_cbranch_execz .LBB51_508
.LBB51_524:
	v_add_u32_e32 v1, s2, v0
	v_add_u32_e32 v0, 0x100, v0
	global_store_byte v1, v24, s[10:11]
	s_or_b64 exec, exec, s[0:1]
	v_cmp_gt_i32_e32 vcc, s33, v0
	s_and_saveexec_b64 s[0:1], vcc
	s_cbranch_execz .LBB51_509
.LBB51_525:
	v_add_u32_e32 v1, s2, v0
	v_add_u32_e32 v0, 0x100, v0
	global_store_byte v1, v22, s[10:11]
	s_or_b64 exec, exec, s[0:1]
	v_cmp_gt_i32_e32 vcc, s33, v0
	s_and_saveexec_b64 s[0:1], vcc
	s_cbranch_execz .LBB51_510
.LBB51_526:
	v_add_u32_e32 v1, s2, v0
	v_add_u32_e32 v0, 0x100, v0
	global_store_byte v1, v20, s[10:11]
	s_or_b64 exec, exec, s[0:1]
	v_cmp_gt_i32_e32 vcc, s33, v0
	s_and_saveexec_b64 s[0:1], vcc
	s_cbranch_execz .LBB51_511
.LBB51_527:
	v_add_u32_e32 v1, s2, v0
	v_add_u32_e32 v0, 0x100, v0
	global_store_byte v1, v18, s[10:11]
	s_or_b64 exec, exec, s[0:1]
	v_cmp_gt_i32_e32 vcc, s33, v0
	s_and_saveexec_b64 s[0:1], vcc
	s_cbranch_execz .LBB51_512
.LBB51_528:
	v_add_u32_e32 v1, s2, v0
	v_add_u32_e32 v0, 0x100, v0
	global_store_byte v1, v16, s[10:11]
	s_or_b64 exec, exec, s[0:1]
	v_cmp_gt_i32_e32 vcc, s33, v0
	s_and_saveexec_b64 s[0:1], vcc
	s_cbranch_execz .LBB51_513
.LBB51_529:
	v_add_u32_e32 v1, s2, v0
	v_add_u32_e32 v0, 0x100, v0
	global_store_byte v1, v14, s[10:11]
	s_or_b64 exec, exec, s[0:1]
	v_cmp_gt_i32_e32 vcc, s33, v0
	s_and_saveexec_b64 s[0:1], vcc
	s_cbranch_execz .LBB51_514
.LBB51_530:
	v_add_u32_e32 v1, s2, v0
	v_add_u32_e32 v0, 0x100, v0
	global_store_byte v1, v12, s[10:11]
	s_or_b64 exec, exec, s[0:1]
	v_cmp_gt_i32_e32 vcc, s33, v0
	s_and_saveexec_b64 s[0:1], vcc
	s_cbranch_execz .LBB51_515
.LBB51_531:
	v_add_u32_e32 v1, s2, v0
	v_add_u32_e32 v0, 0x100, v0
	global_store_byte v1, v10, s[10:11]
	s_or_b64 exec, exec, s[0:1]
	v_cmp_gt_i32_e32 vcc, s33, v0
	s_and_saveexec_b64 s[0:1], vcc
	s_cbranch_execz .LBB51_516
.LBB51_532:
	v_add_u32_e32 v1, s2, v0
	v_add_u32_e32 v0, 0x100, v0
	global_store_byte v1, v8, s[10:11]
	s_or_b64 exec, exec, s[0:1]
	v_cmp_gt_i32_e32 vcc, s33, v0
	s_and_saveexec_b64 s[0:1], vcc
	s_cbranch_execz .LBB51_517
.LBB51_533:
	v_add_u32_e32 v1, s2, v0
	v_add_u32_e32 v0, 0x100, v0
	global_store_byte v1, v6, s[10:11]
	s_or_b64 exec, exec, s[0:1]
	v_cmp_gt_i32_e32 vcc, s33, v0
	s_and_saveexec_b64 s[0:1], vcc
	s_cbranch_execnz .LBB51_518
	s_branch .LBB51_519
.LBB51_534:
	v_cmp_gt_i64_e32 vcc, s[8:9], v[2:3]
	s_andn2_b64 s[12:13], s[12:13], exec
	s_and_b64 s[14:15], vcc, exec
	s_or_b64 s[12:13], s[12:13], s[14:15]
	s_cbranch_execz .LBB51_499
	s_branch .LBB51_500
.LBB51_535:
	s_mov_b64 s[14:15], -1
                                        ; implicit-def: $sgpr12_sgpr13
	s_branch .LBB51_285
.LBB51_536:
	s_mov_b64 s[14:15], -1
                                        ; implicit-def: $sgpr12_sgpr13
	s_branch .LBB51_300
.LBB51_537:
	s_mov_b64 s[14:15], -1
                                        ; implicit-def: $sgpr12_sgpr13
	s_branch .LBB51_315
.LBB51_538:
	s_mov_b64 s[14:15], -1
                                        ; implicit-def: $sgpr12_sgpr13
	s_branch .LBB51_330
.LBB51_539:
	s_mov_b64 s[14:15], -1
                                        ; implicit-def: $sgpr12_sgpr13
	s_branch .LBB51_345
.LBB51_540:
	s_mov_b64 s[14:15], -1
                                        ; implicit-def: $sgpr12_sgpr13
	s_branch .LBB51_360
.LBB51_541:
	s_mov_b64 s[14:15], -1
                                        ; implicit-def: $sgpr12_sgpr13
	s_branch .LBB51_375
.LBB51_542:
	s_mov_b64 s[14:15], -1
                                        ; implicit-def: $sgpr12_sgpr13
	s_branch .LBB51_390
.LBB51_543:
	s_mov_b64 s[14:15], -1
                                        ; implicit-def: $sgpr12_sgpr13
	s_branch .LBB51_405
.LBB51_544:
	s_mov_b64 s[14:15], -1
                                        ; implicit-def: $sgpr12_sgpr13
	s_branch .LBB51_420
.LBB51_545:
	s_mov_b64 s[14:15], -1
                                        ; implicit-def: $sgpr12_sgpr13
	s_branch .LBB51_435
.LBB51_546:
	s_mov_b64 s[14:15], -1
                                        ; implicit-def: $sgpr12_sgpr13
	s_branch .LBB51_450
.LBB51_547:
	s_mov_b64 s[14:15], -1
                                        ; implicit-def: $sgpr12_sgpr13
	s_branch .LBB51_465
.LBB51_548:
	s_mov_b64 s[14:15], -1
                                        ; implicit-def: $sgpr12_sgpr13
	s_branch .LBB51_480
.LBB51_549:
	s_mov_b64 s[14:15], -1
                                        ; implicit-def: $sgpr12_sgpr13
	s_branch .LBB51_495
	.section	.rodata,"a",@progbits
	.p2align	6, 0x0
	.amdhsa_kernel _ZN2at6native29vectorized_elementwise_kernelILi2EZNS0_21compare_scalar_kernelIlEEvRNS_18TensorIteratorBaseENS0_12_GLOBAL__N_16OpTypeET_EUllE_St5arrayIPcLm2EEEEviT0_T1_
		.amdhsa_group_segment_fixed_size 0
		.amdhsa_private_segment_fixed_size 0
		.amdhsa_kernarg_size 40
		.amdhsa_user_sgpr_count 6
		.amdhsa_user_sgpr_private_segment_buffer 1
		.amdhsa_user_sgpr_dispatch_ptr 0
		.amdhsa_user_sgpr_queue_ptr 0
		.amdhsa_user_sgpr_kernarg_segment_ptr 1
		.amdhsa_user_sgpr_dispatch_id 0
		.amdhsa_user_sgpr_flat_scratch_init 0
		.amdhsa_user_sgpr_private_segment_size 0
		.amdhsa_uses_dynamic_stack 0
		.amdhsa_system_sgpr_private_segment_wavefront_offset 0
		.amdhsa_system_sgpr_workgroup_id_x 1
		.amdhsa_system_sgpr_workgroup_id_y 0
		.amdhsa_system_sgpr_workgroup_id_z 0
		.amdhsa_system_sgpr_workgroup_info 0
		.amdhsa_system_vgpr_workitem_id 0
		.amdhsa_next_free_vgpr 37
		.amdhsa_next_free_sgpr 49
		.amdhsa_reserve_vcc 1
		.amdhsa_reserve_flat_scratch 0
		.amdhsa_float_round_mode_32 0
		.amdhsa_float_round_mode_16_64 0
		.amdhsa_float_denorm_mode_32 3
		.amdhsa_float_denorm_mode_16_64 3
		.amdhsa_dx10_clamp 1
		.amdhsa_ieee_mode 1
		.amdhsa_fp16_overflow 0
		.amdhsa_exception_fp_ieee_invalid_op 0
		.amdhsa_exception_fp_denorm_src 0
		.amdhsa_exception_fp_ieee_div_zero 0
		.amdhsa_exception_fp_ieee_overflow 0
		.amdhsa_exception_fp_ieee_underflow 0
		.amdhsa_exception_fp_ieee_inexact 0
		.amdhsa_exception_int_div_zero 0
	.end_amdhsa_kernel
	.section	.text._ZN2at6native29vectorized_elementwise_kernelILi2EZNS0_21compare_scalar_kernelIlEEvRNS_18TensorIteratorBaseENS0_12_GLOBAL__N_16OpTypeET_EUllE_St5arrayIPcLm2EEEEviT0_T1_,"axG",@progbits,_ZN2at6native29vectorized_elementwise_kernelILi2EZNS0_21compare_scalar_kernelIlEEvRNS_18TensorIteratorBaseENS0_12_GLOBAL__N_16OpTypeET_EUllE_St5arrayIPcLm2EEEEviT0_T1_,comdat
.Lfunc_end51:
	.size	_ZN2at6native29vectorized_elementwise_kernelILi2EZNS0_21compare_scalar_kernelIlEEvRNS_18TensorIteratorBaseENS0_12_GLOBAL__N_16OpTypeET_EUllE_St5arrayIPcLm2EEEEviT0_T1_, .Lfunc_end51-_ZN2at6native29vectorized_elementwise_kernelILi2EZNS0_21compare_scalar_kernelIlEEvRNS_18TensorIteratorBaseENS0_12_GLOBAL__N_16OpTypeET_EUllE_St5arrayIPcLm2EEEEviT0_T1_
                                        ; -- End function
	.set _ZN2at6native29vectorized_elementwise_kernelILi2EZNS0_21compare_scalar_kernelIlEEvRNS_18TensorIteratorBaseENS0_12_GLOBAL__N_16OpTypeET_EUllE_St5arrayIPcLm2EEEEviT0_T1_.num_vgpr, 37
	.set _ZN2at6native29vectorized_elementwise_kernelILi2EZNS0_21compare_scalar_kernelIlEEvRNS_18TensorIteratorBaseENS0_12_GLOBAL__N_16OpTypeET_EUllE_St5arrayIPcLm2EEEEviT0_T1_.num_agpr, 0
	.set _ZN2at6native29vectorized_elementwise_kernelILi2EZNS0_21compare_scalar_kernelIlEEvRNS_18TensorIteratorBaseENS0_12_GLOBAL__N_16OpTypeET_EUllE_St5arrayIPcLm2EEEEviT0_T1_.numbered_sgpr, 49
	.set _ZN2at6native29vectorized_elementwise_kernelILi2EZNS0_21compare_scalar_kernelIlEEvRNS_18TensorIteratorBaseENS0_12_GLOBAL__N_16OpTypeET_EUllE_St5arrayIPcLm2EEEEviT0_T1_.num_named_barrier, 0
	.set _ZN2at6native29vectorized_elementwise_kernelILi2EZNS0_21compare_scalar_kernelIlEEvRNS_18TensorIteratorBaseENS0_12_GLOBAL__N_16OpTypeET_EUllE_St5arrayIPcLm2EEEEviT0_T1_.private_seg_size, 0
	.set _ZN2at6native29vectorized_elementwise_kernelILi2EZNS0_21compare_scalar_kernelIlEEvRNS_18TensorIteratorBaseENS0_12_GLOBAL__N_16OpTypeET_EUllE_St5arrayIPcLm2EEEEviT0_T1_.uses_vcc, 1
	.set _ZN2at6native29vectorized_elementwise_kernelILi2EZNS0_21compare_scalar_kernelIlEEvRNS_18TensorIteratorBaseENS0_12_GLOBAL__N_16OpTypeET_EUllE_St5arrayIPcLm2EEEEviT0_T1_.uses_flat_scratch, 0
	.set _ZN2at6native29vectorized_elementwise_kernelILi2EZNS0_21compare_scalar_kernelIlEEvRNS_18TensorIteratorBaseENS0_12_GLOBAL__N_16OpTypeET_EUllE_St5arrayIPcLm2EEEEviT0_T1_.has_dyn_sized_stack, 0
	.set _ZN2at6native29vectorized_elementwise_kernelILi2EZNS0_21compare_scalar_kernelIlEEvRNS_18TensorIteratorBaseENS0_12_GLOBAL__N_16OpTypeET_EUllE_St5arrayIPcLm2EEEEviT0_T1_.has_recursion, 0
	.set _ZN2at6native29vectorized_elementwise_kernelILi2EZNS0_21compare_scalar_kernelIlEEvRNS_18TensorIteratorBaseENS0_12_GLOBAL__N_16OpTypeET_EUllE_St5arrayIPcLm2EEEEviT0_T1_.has_indirect_call, 0
	.section	.AMDGPU.csdata,"",@progbits
; Kernel info:
; codeLenInByte = 8428
; TotalNumSgprs: 53
; NumVgprs: 37
; ScratchSize: 0
; MemoryBound: 0
; FloatMode: 240
; IeeeMode: 1
; LDSByteSize: 0 bytes/workgroup (compile time only)
; SGPRBlocks: 6
; VGPRBlocks: 9
; NumSGPRsForWavesPerEU: 53
; NumVGPRsForWavesPerEU: 37
; Occupancy: 6
; WaveLimiterHint : 1
; COMPUTE_PGM_RSRC2:SCRATCH_EN: 0
; COMPUTE_PGM_RSRC2:USER_SGPR: 6
; COMPUTE_PGM_RSRC2:TRAP_HANDLER: 0
; COMPUTE_PGM_RSRC2:TGID_X_EN: 1
; COMPUTE_PGM_RSRC2:TGID_Y_EN: 0
; COMPUTE_PGM_RSRC2:TGID_Z_EN: 0
; COMPUTE_PGM_RSRC2:TIDIG_COMP_CNT: 0
	.section	.text._ZN2at6native27unrolled_elementwise_kernelIZNS0_21compare_scalar_kernelIlEEvRNS_18TensorIteratorBaseENS0_12_GLOBAL__N_16OpTypeET_EUllE_St5arrayIPcLm2EELi4E23TrivialOffsetCalculatorILi1EjESD_NS0_6memory15LoadWithoutCastENSE_16StoreWithoutCastEEEviS7_T0_T2_T3_T4_T5_,"axG",@progbits,_ZN2at6native27unrolled_elementwise_kernelIZNS0_21compare_scalar_kernelIlEEvRNS_18TensorIteratorBaseENS0_12_GLOBAL__N_16OpTypeET_EUllE_St5arrayIPcLm2EELi4E23TrivialOffsetCalculatorILi1EjESD_NS0_6memory15LoadWithoutCastENSE_16StoreWithoutCastEEEviS7_T0_T2_T3_T4_T5_,comdat
	.globl	_ZN2at6native27unrolled_elementwise_kernelIZNS0_21compare_scalar_kernelIlEEvRNS_18TensorIteratorBaseENS0_12_GLOBAL__N_16OpTypeET_EUllE_St5arrayIPcLm2EELi4E23TrivialOffsetCalculatorILi1EjESD_NS0_6memory15LoadWithoutCastENSE_16StoreWithoutCastEEEviS7_T0_T2_T3_T4_T5_ ; -- Begin function _ZN2at6native27unrolled_elementwise_kernelIZNS0_21compare_scalar_kernelIlEEvRNS_18TensorIteratorBaseENS0_12_GLOBAL__N_16OpTypeET_EUllE_St5arrayIPcLm2EELi4E23TrivialOffsetCalculatorILi1EjESD_NS0_6memory15LoadWithoutCastENSE_16StoreWithoutCastEEEviS7_T0_T2_T3_T4_T5_
	.p2align	8
	.type	_ZN2at6native27unrolled_elementwise_kernelIZNS0_21compare_scalar_kernelIlEEvRNS_18TensorIteratorBaseENS0_12_GLOBAL__N_16OpTypeET_EUllE_St5arrayIPcLm2EELi4E23TrivialOffsetCalculatorILi1EjESD_NS0_6memory15LoadWithoutCastENSE_16StoreWithoutCastEEEviS7_T0_T2_T3_T4_T5_,@function
_ZN2at6native27unrolled_elementwise_kernelIZNS0_21compare_scalar_kernelIlEEvRNS_18TensorIteratorBaseENS0_12_GLOBAL__N_16OpTypeET_EUllE_St5arrayIPcLm2EELi4E23TrivialOffsetCalculatorILi1EjESD_NS0_6memory15LoadWithoutCastENSE_16StoreWithoutCastEEEviS7_T0_T2_T3_T4_T5_: ; @_ZN2at6native27unrolled_elementwise_kernelIZNS0_21compare_scalar_kernelIlEEvRNS_18TensorIteratorBaseENS0_12_GLOBAL__N_16OpTypeET_EUllE_St5arrayIPcLm2EELi4E23TrivialOffsetCalculatorILi1EjESD_NS0_6memory15LoadWithoutCastENSE_16StoreWithoutCastEEEviS7_T0_T2_T3_T4_T5_
; %bb.0:
	s_load_dword s0, s[4:5], 0x0
	s_load_dwordx2 s[2:3], s[4:5], 0x20
	s_lshl_b32 s16, s6, 10
	v_mov_b32_e32 v6, 0
	v_mov_b32_e32 v8, 0
	s_waitcnt lgkmcnt(0)
	s_sub_i32 s17, s0, s16
	v_cmp_gt_i32_e64 s[0:1], s17, v0
	v_mov_b32_e32 v7, 0
	v_or_b32_e32 v1, s16, v0
	v_mov_b32_e32 v9, 0
	v_mov_b32_e32 v10, v0
	s_and_saveexec_b64 s[6:7], s[0:1]
	s_cbranch_execz .LBB52_2
; %bb.1:
	v_mov_b32_e32 v2, 0
	v_lshlrev_b64 v[2:3], 3, v[1:2]
	v_mov_b32_e32 v4, s3
	v_add_co_u32_e32 v2, vcc, s2, v2
	v_addc_co_u32_e32 v3, vcc, v4, v3, vcc
	global_load_dwordx2 v[8:9], v[2:3], off
	v_or_b32_e32 v10, 0x100, v0
.LBB52_2:
	s_or_b64 exec, exec, s[6:7]
	s_load_dwordx4 s[8:11], s[4:5], 0x10
	v_cmp_gt_i32_e32 vcc, s17, v10
	s_and_saveexec_b64 s[6:7], vcc
	s_cbranch_execz .LBB52_4
; %bb.3:
	v_add_u32_e32 v2, s16, v10
	v_mov_b32_e32 v3, 0
	v_lshlrev_b64 v[2:3], 3, v[2:3]
	v_mov_b32_e32 v4, s3
	v_add_co_u32_e32 v2, vcc, s2, v2
	v_addc_co_u32_e32 v3, vcc, v4, v3, vcc
	global_load_dwordx2 v[6:7], v[2:3], off
	v_add_u32_e32 v10, 0x100, v10
.LBB52_4:
	s_or_b64 exec, exec, s[6:7]
	v_mov_b32_e32 v2, 0
	v_mov_b32_e32 v4, 0
	v_mov_b32_e32 v3, 0
	v_mov_b32_e32 v5, 0
	v_cmp_gt_i32_e32 vcc, s17, v10
	s_and_saveexec_b64 s[6:7], vcc
	s_cbranch_execz .LBB52_6
; %bb.5:
	v_add_u32_e32 v4, s16, v10
	v_mov_b32_e32 v5, 0
	v_lshlrev_b64 v[4:5], 3, v[4:5]
	v_mov_b32_e32 v11, s3
	v_add_co_u32_e32 v4, vcc, s2, v4
	v_addc_co_u32_e32 v5, vcc, v11, v5, vcc
	global_load_dwordx2 v[4:5], v[4:5], off
	v_add_u32_e32 v10, 0x100, v10
.LBB52_6:
	s_or_b64 exec, exec, s[6:7]
	v_cmp_gt_i32_e32 vcc, s17, v10
	s_and_saveexec_b64 s[6:7], vcc
	s_cbranch_execz .LBB52_8
; %bb.7:
	v_add_u32_e32 v2, s16, v10
	v_mov_b32_e32 v3, 0
	v_lshlrev_b64 v[2:3], 3, v[2:3]
	v_mov_b32_e32 v10, s3
	v_add_co_u32_e32 v2, vcc, s2, v2
	v_addc_co_u32_e32 v3, vcc, v10, v3, vcc
	global_load_dwordx2 v[2:3], v[2:3], off
.LBB52_8:
	s_or_b64 exec, exec, s[6:7]
	s_load_dword s18, s[4:5], 0x8
	v_mov_b32_e32 v10, 0
	s_and_saveexec_b64 s[2:3], s[0:1]
	s_cbranch_execz .LBB52_24
; %bb.9:
	s_waitcnt lgkmcnt(0)
	s_cmp_lt_i32 s18, 1
	s_mov_b64 s[4:5], 0
	s_cbranch_scc1 .LBB52_13
; %bb.10:
	s_cmp_gt_i32 s18, 1
	s_cbranch_scc0 .LBB52_14
; %bb.11:
	s_cmp_eq_u32 s18, 2
	s_cbranch_scc0 .LBB52_15
; %bb.12:
	s_waitcnt vmcnt(0)
	v_cmp_ge_i64_e64 s[6:7], s[8:9], v[8:9]
	s_mov_b64 s[12:13], 0
	s_branch .LBB52_16
.LBB52_13:
                                        ; implicit-def: $sgpr6_sgpr7
	s_mov_b64 s[12:13], 0
	s_cbranch_execnz .LBB52_19
	s_branch .LBB52_20
.LBB52_14:
	s_mov_b64 s[12:13], 0
                                        ; implicit-def: $sgpr6_sgpr7
	s_cbranch_execnz .LBB52_17
	s_branch .LBB52_18
.LBB52_15:
	s_mov_b64 s[12:13], -1
                                        ; implicit-def: $sgpr6_sgpr7
.LBB52_16:
	s_branch .LBB52_18
.LBB52_17:
	s_waitcnt vmcnt(0)
	v_cmp_lt_i64_e32 vcc, s[8:9], v[8:9]
	s_andn2_b64 s[6:7], s[6:7], exec
	s_and_b64 s[14:15], vcc, exec
	s_or_b64 s[6:7], s[6:7], s[14:15]
.LBB52_18:
	s_branch .LBB52_20
.LBB52_19:
	s_cmp_lg_u32 s18, 0
	s_mov_b64 s[4:5], -1
	s_cselect_b64 s[12:13], -1, 0
.LBB52_20:
	s_andn2_b64 vcc, exec, s[12:13]
	s_cbranch_vccz .LBB52_29
; %bb.21:
	s_andn2_b64 vcc, exec, s[4:5]
	s_cbranch_vccnz .LBB52_23
.LBB52_22:
	s_waitcnt vmcnt(0)
	v_cmp_le_i64_e32 vcc, s[8:9], v[8:9]
	s_andn2_b64 s[4:5], s[6:7], exec
	s_and_b64 s[6:7], vcc, exec
	s_or_b64 s[6:7], s[4:5], s[6:7]
.LBB52_23:
	v_cndmask_b32_e64 v10, 0, 1, s[6:7]
.LBB52_24:
	s_or_b64 exec, exec, s[2:3]
	s_waitcnt vmcnt(0)
	v_or_b32_e32 v8, 0x100, v0
	v_cmp_gt_i32_e32 vcc, s17, v8
	s_and_saveexec_b64 s[2:3], vcc
	s_cbranch_execz .LBB52_39
; %bb.25:
	s_waitcnt lgkmcnt(0)
	s_cmp_lt_i32 s18, 1
	s_mov_b64 s[4:5], 0
	s_cbranch_scc1 .LBB52_30
; %bb.26:
	s_cmp_gt_i32 s18, 1
	s_cbranch_scc0 .LBB52_31
; %bb.27:
	s_cmp_eq_u32 s18, 2
	s_cbranch_scc0 .LBB52_79
; %bb.28:
	v_cmp_ge_i64_e64 s[6:7], s[8:9], v[6:7]
	s_mov_b64 s[12:13], 0
	s_branch .LBB52_33
.LBB52_29:
	s_waitcnt vmcnt(0)
	v_cmp_gt_i64_e32 vcc, s[8:9], v[8:9]
	s_andn2_b64 s[6:7], s[6:7], exec
	s_and_b64 s[12:13], vcc, exec
	s_or_b64 s[6:7], s[6:7], s[12:13]
	s_cbranch_execz .LBB52_22
	s_branch .LBB52_23
.LBB52_30:
                                        ; implicit-def: $sgpr6_sgpr7
	s_mov_b64 s[12:13], 0
	s_cbranch_execnz .LBB52_34
	s_branch .LBB52_35
.LBB52_31:
	s_mov_b64 s[12:13], 0
                                        ; implicit-def: $sgpr6_sgpr7
	s_cbranch_execz .LBB52_33
; %bb.32:
	v_cmp_lt_i64_e32 vcc, s[8:9], v[6:7]
	s_andn2_b64 s[6:7], s[6:7], exec
	s_and_b64 s[14:15], vcc, exec
	s_or_b64 s[6:7], s[6:7], s[14:15]
.LBB52_33:
	s_branch .LBB52_35
.LBB52_34:
	s_cmp_lg_u32 s18, 0
	s_mov_b64 s[4:5], -1
	s_cselect_b64 s[12:13], -1, 0
.LBB52_35:
	s_andn2_b64 vcc, exec, s[12:13]
	s_cbranch_vccz .LBB52_44
; %bb.36:
	s_andn2_b64 vcc, exec, s[4:5]
	s_cbranch_vccnz .LBB52_38
.LBB52_37:
	v_cmp_le_i64_e32 vcc, s[8:9], v[6:7]
	s_andn2_b64 s[4:5], s[6:7], exec
	s_and_b64 s[6:7], vcc, exec
	s_or_b64 s[6:7], s[4:5], s[6:7]
.LBB52_38:
	v_cndmask_b32_e64 v6, 0, 1, s[6:7]
	v_lshlrev_b16_e32 v6, 8, v6
	v_or_b32_e32 v6, v10, v6
	v_and_b32_e32 v10, 0xffff, v6
.LBB52_39:
	s_or_b64 exec, exec, s[2:3]
	v_or_b32_e32 v6, 0x200, v0
	v_cmp_gt_i32_e32 vcc, s17, v6
	s_and_saveexec_b64 s[2:3], vcc
	s_cbranch_execz .LBB52_54
; %bb.40:
	s_waitcnt lgkmcnt(0)
	s_cmp_lt_i32 s18, 1
	s_mov_b64 s[4:5], 0
	s_cbranch_scc1 .LBB52_45
; %bb.41:
	s_cmp_gt_i32 s18, 1
	s_cbranch_scc0 .LBB52_46
; %bb.42:
	s_cmp_eq_u32 s18, 2
	s_cbranch_scc0 .LBB52_80
; %bb.43:
	v_cmp_ge_i64_e64 s[6:7], s[8:9], v[4:5]
	s_mov_b64 s[12:13], 0
	s_branch .LBB52_48
.LBB52_44:
	v_cmp_gt_i64_e32 vcc, s[8:9], v[6:7]
	s_andn2_b64 s[6:7], s[6:7], exec
	s_and_b64 s[12:13], vcc, exec
	s_or_b64 s[6:7], s[6:7], s[12:13]
	s_cbranch_execz .LBB52_37
	s_branch .LBB52_38
.LBB52_45:
                                        ; implicit-def: $sgpr6_sgpr7
	s_mov_b64 s[12:13], 0
	s_cbranch_execnz .LBB52_49
	s_branch .LBB52_50
.LBB52_46:
	s_mov_b64 s[12:13], 0
                                        ; implicit-def: $sgpr6_sgpr7
	s_cbranch_execz .LBB52_48
; %bb.47:
	v_cmp_lt_i64_e32 vcc, s[8:9], v[4:5]
	s_andn2_b64 s[6:7], s[6:7], exec
	s_and_b64 s[14:15], vcc, exec
	s_or_b64 s[6:7], s[6:7], s[14:15]
.LBB52_48:
	s_branch .LBB52_50
.LBB52_49:
	s_cmp_lg_u32 s18, 0
	s_mov_b64 s[4:5], -1
	s_cselect_b64 s[12:13], -1, 0
.LBB52_50:
	s_andn2_b64 vcc, exec, s[12:13]
	s_cbranch_vccz .LBB52_59
; %bb.51:
	s_andn2_b64 vcc, exec, s[4:5]
	s_cbranch_vccnz .LBB52_53
.LBB52_52:
	v_cmp_le_i64_e32 vcc, s[8:9], v[4:5]
	s_andn2_b64 s[4:5], s[6:7], exec
	s_and_b64 s[6:7], vcc, exec
	s_or_b64 s[6:7], s[4:5], s[6:7]
.LBB52_53:
	v_cndmask_b32_e64 v4, 0, 1, s[6:7]
	v_lshl_or_b32 v10, v4, 16, v10
.LBB52_54:
	s_or_b64 exec, exec, s[2:3]
	v_or_b32_e32 v4, 0x300, v0
	v_cmp_gt_i32_e32 vcc, s17, v4
	s_and_saveexec_b64 s[2:3], vcc
	s_cbranch_execz .LBB52_69
; %bb.55:
	s_waitcnt lgkmcnt(0)
	s_cmp_lt_i32 s18, 1
	s_mov_b64 s[4:5], 0
	s_cbranch_scc1 .LBB52_60
; %bb.56:
	s_cmp_gt_i32 s18, 1
	s_cbranch_scc0 .LBB52_61
; %bb.57:
	s_cmp_eq_u32 s18, 2
	s_cbranch_scc0 .LBB52_81
; %bb.58:
	v_cmp_ge_i64_e64 s[6:7], s[8:9], v[2:3]
	s_mov_b64 s[12:13], 0
	s_branch .LBB52_63
.LBB52_59:
	v_cmp_gt_i64_e32 vcc, s[8:9], v[4:5]
	s_andn2_b64 s[6:7], s[6:7], exec
	s_and_b64 s[12:13], vcc, exec
	s_or_b64 s[6:7], s[6:7], s[12:13]
	s_cbranch_execz .LBB52_52
	s_branch .LBB52_53
.LBB52_60:
                                        ; implicit-def: $sgpr6_sgpr7
	s_mov_b64 s[12:13], 0
	s_cbranch_execnz .LBB52_64
	s_branch .LBB52_65
.LBB52_61:
	s_mov_b64 s[12:13], 0
                                        ; implicit-def: $sgpr6_sgpr7
	s_cbranch_execz .LBB52_63
; %bb.62:
	v_cmp_lt_i64_e32 vcc, s[8:9], v[2:3]
	s_andn2_b64 s[6:7], s[6:7], exec
	s_and_b64 s[14:15], vcc, exec
	s_or_b64 s[6:7], s[6:7], s[14:15]
.LBB52_63:
	s_branch .LBB52_65
.LBB52_64:
	s_cmp_lg_u32 s18, 0
	s_mov_b64 s[4:5], -1
	s_cselect_b64 s[12:13], -1, 0
.LBB52_65:
	s_andn2_b64 vcc, exec, s[12:13]
	s_cbranch_vccz .LBB52_78
; %bb.66:
	s_andn2_b64 vcc, exec, s[4:5]
	s_cbranch_vccnz .LBB52_68
.LBB52_67:
	v_cmp_le_i64_e32 vcc, s[8:9], v[2:3]
	s_andn2_b64 s[4:5], s[6:7], exec
	s_and_b64 s[6:7], vcc, exec
	s_or_b64 s[6:7], s[4:5], s[6:7]
.LBB52_68:
	v_cndmask_b32_e64 v2, 0, 1, s[6:7]
	v_lshlrev_b16_e32 v2, 8, v2
	v_or_b32_sdwa v2, v10, v2 dst_sel:WORD_1 dst_unused:UNUSED_PAD src0_sel:WORD_1 src1_sel:DWORD
	s_mov_b32 s4, 0xffff
	v_and_or_b32 v10, v10, s4, v2
.LBB52_69:
	s_or_b64 exec, exec, s[2:3]
	s_and_saveexec_b64 s[2:3], s[0:1]
	s_xor_b64 s[0:1], exec, s[2:3]
	s_cbranch_execz .LBB52_71
; %bb.70:
	v_mov_b32_e32 v0, v8
	s_waitcnt lgkmcnt(0)
	global_store_byte v1, v10, s[10:11]
.LBB52_71:
	s_or_b64 exec, exec, s[0:1]
	v_cmp_gt_i32_e32 vcc, s17, v0
	s_and_saveexec_b64 s[0:1], vcc
	s_cbranch_execnz .LBB52_75
; %bb.72:
	s_or_b64 exec, exec, s[0:1]
	v_cmp_gt_i32_e32 vcc, s17, v0
	s_and_saveexec_b64 s[0:1], vcc
	s_cbranch_execnz .LBB52_76
.LBB52_73:
	s_or_b64 exec, exec, s[0:1]
	v_cmp_gt_i32_e32 vcc, s17, v0
	s_and_saveexec_b64 s[0:1], vcc
	s_cbranch_execnz .LBB52_77
.LBB52_74:
	s_endpgm
.LBB52_75:
	v_add_u32_e32 v1, 0x100, v0
	v_add_u32_e32 v0, s16, v0
	v_lshrrev_b32_e32 v2, 8, v10
	s_waitcnt lgkmcnt(0)
	global_store_byte v0, v2, s[10:11]
	v_mov_b32_e32 v0, v1
	s_or_b64 exec, exec, s[0:1]
	v_cmp_gt_i32_e32 vcc, s17, v0
	s_and_saveexec_b64 s[0:1], vcc
	s_cbranch_execz .LBB52_73
.LBB52_76:
	v_add_u32_e32 v1, 0x100, v0
	v_add_u32_e32 v0, s16, v0
	s_waitcnt lgkmcnt(0)
	global_store_byte_d16_hi v0, v10, s[10:11]
	v_mov_b32_e32 v0, v1
	s_or_b64 exec, exec, s[0:1]
	v_cmp_gt_i32_e32 vcc, s17, v0
	s_and_saveexec_b64 s[0:1], vcc
	s_cbranch_execz .LBB52_74
.LBB52_77:
	v_add_u32_e32 v0, s16, v0
	v_lshrrev_b32_e32 v1, 24, v10
	s_waitcnt lgkmcnt(0)
	global_store_byte v0, v1, s[10:11]
	s_endpgm
.LBB52_78:
	v_cmp_gt_i64_e32 vcc, s[8:9], v[2:3]
	s_andn2_b64 s[6:7], s[6:7], exec
	s_and_b64 s[12:13], vcc, exec
	s_or_b64 s[6:7], s[6:7], s[12:13]
	s_cbranch_execz .LBB52_67
	s_branch .LBB52_68
.LBB52_79:
	s_mov_b64 s[12:13], -1
                                        ; implicit-def: $sgpr6_sgpr7
	s_branch .LBB52_33
.LBB52_80:
	s_mov_b64 s[12:13], -1
                                        ; implicit-def: $sgpr6_sgpr7
	s_branch .LBB52_48
.LBB52_81:
	s_mov_b64 s[12:13], -1
                                        ; implicit-def: $sgpr6_sgpr7
	s_branch .LBB52_63
	.section	.rodata,"a",@progbits
	.p2align	6, 0x0
	.amdhsa_kernel _ZN2at6native27unrolled_elementwise_kernelIZNS0_21compare_scalar_kernelIlEEvRNS_18TensorIteratorBaseENS0_12_GLOBAL__N_16OpTypeET_EUllE_St5arrayIPcLm2EELi4E23TrivialOffsetCalculatorILi1EjESD_NS0_6memory15LoadWithoutCastENSE_16StoreWithoutCastEEEviS7_T0_T2_T3_T4_T5_
		.amdhsa_group_segment_fixed_size 0
		.amdhsa_private_segment_fixed_size 0
		.amdhsa_kernarg_size 44
		.amdhsa_user_sgpr_count 6
		.amdhsa_user_sgpr_private_segment_buffer 1
		.amdhsa_user_sgpr_dispatch_ptr 0
		.amdhsa_user_sgpr_queue_ptr 0
		.amdhsa_user_sgpr_kernarg_segment_ptr 1
		.amdhsa_user_sgpr_dispatch_id 0
		.amdhsa_user_sgpr_flat_scratch_init 0
		.amdhsa_user_sgpr_private_segment_size 0
		.amdhsa_uses_dynamic_stack 0
		.amdhsa_system_sgpr_private_segment_wavefront_offset 0
		.amdhsa_system_sgpr_workgroup_id_x 1
		.amdhsa_system_sgpr_workgroup_id_y 0
		.amdhsa_system_sgpr_workgroup_id_z 0
		.amdhsa_system_sgpr_workgroup_info 0
		.amdhsa_system_vgpr_workitem_id 0
		.amdhsa_next_free_vgpr 12
		.amdhsa_next_free_sgpr 19
		.amdhsa_reserve_vcc 1
		.amdhsa_reserve_flat_scratch 0
		.amdhsa_float_round_mode_32 0
		.amdhsa_float_round_mode_16_64 0
		.amdhsa_float_denorm_mode_32 3
		.amdhsa_float_denorm_mode_16_64 3
		.amdhsa_dx10_clamp 1
		.amdhsa_ieee_mode 1
		.amdhsa_fp16_overflow 0
		.amdhsa_exception_fp_ieee_invalid_op 0
		.amdhsa_exception_fp_denorm_src 0
		.amdhsa_exception_fp_ieee_div_zero 0
		.amdhsa_exception_fp_ieee_overflow 0
		.amdhsa_exception_fp_ieee_underflow 0
		.amdhsa_exception_fp_ieee_inexact 0
		.amdhsa_exception_int_div_zero 0
	.end_amdhsa_kernel
	.section	.text._ZN2at6native27unrolled_elementwise_kernelIZNS0_21compare_scalar_kernelIlEEvRNS_18TensorIteratorBaseENS0_12_GLOBAL__N_16OpTypeET_EUllE_St5arrayIPcLm2EELi4E23TrivialOffsetCalculatorILi1EjESD_NS0_6memory15LoadWithoutCastENSE_16StoreWithoutCastEEEviS7_T0_T2_T3_T4_T5_,"axG",@progbits,_ZN2at6native27unrolled_elementwise_kernelIZNS0_21compare_scalar_kernelIlEEvRNS_18TensorIteratorBaseENS0_12_GLOBAL__N_16OpTypeET_EUllE_St5arrayIPcLm2EELi4E23TrivialOffsetCalculatorILi1EjESD_NS0_6memory15LoadWithoutCastENSE_16StoreWithoutCastEEEviS7_T0_T2_T3_T4_T5_,comdat
.Lfunc_end52:
	.size	_ZN2at6native27unrolled_elementwise_kernelIZNS0_21compare_scalar_kernelIlEEvRNS_18TensorIteratorBaseENS0_12_GLOBAL__N_16OpTypeET_EUllE_St5arrayIPcLm2EELi4E23TrivialOffsetCalculatorILi1EjESD_NS0_6memory15LoadWithoutCastENSE_16StoreWithoutCastEEEviS7_T0_T2_T3_T4_T5_, .Lfunc_end52-_ZN2at6native27unrolled_elementwise_kernelIZNS0_21compare_scalar_kernelIlEEvRNS_18TensorIteratorBaseENS0_12_GLOBAL__N_16OpTypeET_EUllE_St5arrayIPcLm2EELi4E23TrivialOffsetCalculatorILi1EjESD_NS0_6memory15LoadWithoutCastENSE_16StoreWithoutCastEEEviS7_T0_T2_T3_T4_T5_
                                        ; -- End function
	.set _ZN2at6native27unrolled_elementwise_kernelIZNS0_21compare_scalar_kernelIlEEvRNS_18TensorIteratorBaseENS0_12_GLOBAL__N_16OpTypeET_EUllE_St5arrayIPcLm2EELi4E23TrivialOffsetCalculatorILi1EjESD_NS0_6memory15LoadWithoutCastENSE_16StoreWithoutCastEEEviS7_T0_T2_T3_T4_T5_.num_vgpr, 12
	.set _ZN2at6native27unrolled_elementwise_kernelIZNS0_21compare_scalar_kernelIlEEvRNS_18TensorIteratorBaseENS0_12_GLOBAL__N_16OpTypeET_EUllE_St5arrayIPcLm2EELi4E23TrivialOffsetCalculatorILi1EjESD_NS0_6memory15LoadWithoutCastENSE_16StoreWithoutCastEEEviS7_T0_T2_T3_T4_T5_.num_agpr, 0
	.set _ZN2at6native27unrolled_elementwise_kernelIZNS0_21compare_scalar_kernelIlEEvRNS_18TensorIteratorBaseENS0_12_GLOBAL__N_16OpTypeET_EUllE_St5arrayIPcLm2EELi4E23TrivialOffsetCalculatorILi1EjESD_NS0_6memory15LoadWithoutCastENSE_16StoreWithoutCastEEEviS7_T0_T2_T3_T4_T5_.numbered_sgpr, 19
	.set _ZN2at6native27unrolled_elementwise_kernelIZNS0_21compare_scalar_kernelIlEEvRNS_18TensorIteratorBaseENS0_12_GLOBAL__N_16OpTypeET_EUllE_St5arrayIPcLm2EELi4E23TrivialOffsetCalculatorILi1EjESD_NS0_6memory15LoadWithoutCastENSE_16StoreWithoutCastEEEviS7_T0_T2_T3_T4_T5_.num_named_barrier, 0
	.set _ZN2at6native27unrolled_elementwise_kernelIZNS0_21compare_scalar_kernelIlEEvRNS_18TensorIteratorBaseENS0_12_GLOBAL__N_16OpTypeET_EUllE_St5arrayIPcLm2EELi4E23TrivialOffsetCalculatorILi1EjESD_NS0_6memory15LoadWithoutCastENSE_16StoreWithoutCastEEEviS7_T0_T2_T3_T4_T5_.private_seg_size, 0
	.set _ZN2at6native27unrolled_elementwise_kernelIZNS0_21compare_scalar_kernelIlEEvRNS_18TensorIteratorBaseENS0_12_GLOBAL__N_16OpTypeET_EUllE_St5arrayIPcLm2EELi4E23TrivialOffsetCalculatorILi1EjESD_NS0_6memory15LoadWithoutCastENSE_16StoreWithoutCastEEEviS7_T0_T2_T3_T4_T5_.uses_vcc, 1
	.set _ZN2at6native27unrolled_elementwise_kernelIZNS0_21compare_scalar_kernelIlEEvRNS_18TensorIteratorBaseENS0_12_GLOBAL__N_16OpTypeET_EUllE_St5arrayIPcLm2EELi4E23TrivialOffsetCalculatorILi1EjESD_NS0_6memory15LoadWithoutCastENSE_16StoreWithoutCastEEEviS7_T0_T2_T3_T4_T5_.uses_flat_scratch, 0
	.set _ZN2at6native27unrolled_elementwise_kernelIZNS0_21compare_scalar_kernelIlEEvRNS_18TensorIteratorBaseENS0_12_GLOBAL__N_16OpTypeET_EUllE_St5arrayIPcLm2EELi4E23TrivialOffsetCalculatorILi1EjESD_NS0_6memory15LoadWithoutCastENSE_16StoreWithoutCastEEEviS7_T0_T2_T3_T4_T5_.has_dyn_sized_stack, 0
	.set _ZN2at6native27unrolled_elementwise_kernelIZNS0_21compare_scalar_kernelIlEEvRNS_18TensorIteratorBaseENS0_12_GLOBAL__N_16OpTypeET_EUllE_St5arrayIPcLm2EELi4E23TrivialOffsetCalculatorILi1EjESD_NS0_6memory15LoadWithoutCastENSE_16StoreWithoutCastEEEviS7_T0_T2_T3_T4_T5_.has_recursion, 0
	.set _ZN2at6native27unrolled_elementwise_kernelIZNS0_21compare_scalar_kernelIlEEvRNS_18TensorIteratorBaseENS0_12_GLOBAL__N_16OpTypeET_EUllE_St5arrayIPcLm2EELi4E23TrivialOffsetCalculatorILi1EjESD_NS0_6memory15LoadWithoutCastENSE_16StoreWithoutCastEEEviS7_T0_T2_T3_T4_T5_.has_indirect_call, 0
	.section	.AMDGPU.csdata,"",@progbits
; Kernel info:
; codeLenInByte = 1364
; TotalNumSgprs: 23
; NumVgprs: 12
; ScratchSize: 0
; MemoryBound: 0
; FloatMode: 240
; IeeeMode: 1
; LDSByteSize: 0 bytes/workgroup (compile time only)
; SGPRBlocks: 2
; VGPRBlocks: 2
; NumSGPRsForWavesPerEU: 23
; NumVGPRsForWavesPerEU: 12
; Occupancy: 10
; WaveLimiterHint : 0
; COMPUTE_PGM_RSRC2:SCRATCH_EN: 0
; COMPUTE_PGM_RSRC2:USER_SGPR: 6
; COMPUTE_PGM_RSRC2:TRAP_HANDLER: 0
; COMPUTE_PGM_RSRC2:TGID_X_EN: 1
; COMPUTE_PGM_RSRC2:TGID_Y_EN: 0
; COMPUTE_PGM_RSRC2:TGID_Z_EN: 0
; COMPUTE_PGM_RSRC2:TIDIG_COMP_CNT: 0
	.section	.text._ZN2at6native32elementwise_kernel_manual_unrollILi128ELi8EZNS0_22gpu_kernel_impl_nocastIZNS0_21compare_scalar_kernelIlEEvRNS_18TensorIteratorBaseENS0_12_GLOBAL__N_16OpTypeET_EUllE_EEvS5_RKS8_EUlibE_EEviT1_,"axG",@progbits,_ZN2at6native32elementwise_kernel_manual_unrollILi128ELi8EZNS0_22gpu_kernel_impl_nocastIZNS0_21compare_scalar_kernelIlEEvRNS_18TensorIteratorBaseENS0_12_GLOBAL__N_16OpTypeET_EUllE_EEvS5_RKS8_EUlibE_EEviT1_,comdat
	.globl	_ZN2at6native32elementwise_kernel_manual_unrollILi128ELi8EZNS0_22gpu_kernel_impl_nocastIZNS0_21compare_scalar_kernelIlEEvRNS_18TensorIteratorBaseENS0_12_GLOBAL__N_16OpTypeET_EUllE_EEvS5_RKS8_EUlibE_EEviT1_ ; -- Begin function _ZN2at6native32elementwise_kernel_manual_unrollILi128ELi8EZNS0_22gpu_kernel_impl_nocastIZNS0_21compare_scalar_kernelIlEEvRNS_18TensorIteratorBaseENS0_12_GLOBAL__N_16OpTypeET_EUllE_EEvS5_RKS8_EUlibE_EEviT1_
	.p2align	8
	.type	_ZN2at6native32elementwise_kernel_manual_unrollILi128ELi8EZNS0_22gpu_kernel_impl_nocastIZNS0_21compare_scalar_kernelIlEEvRNS_18TensorIteratorBaseENS0_12_GLOBAL__N_16OpTypeET_EUllE_EEvS5_RKS8_EUlibE_EEviT1_,@function
_ZN2at6native32elementwise_kernel_manual_unrollILi128ELi8EZNS0_22gpu_kernel_impl_nocastIZNS0_21compare_scalar_kernelIlEEvRNS_18TensorIteratorBaseENS0_12_GLOBAL__N_16OpTypeET_EUllE_EEvS5_RKS8_EUlibE_EEviT1_: ; @_ZN2at6native32elementwise_kernel_manual_unrollILi128ELi8EZNS0_22gpu_kernel_impl_nocastIZNS0_21compare_scalar_kernelIlEEvRNS_18TensorIteratorBaseENS0_12_GLOBAL__N_16OpTypeET_EUllE_EEvS5_RKS8_EUlibE_EEviT1_
; %bb.0:
	s_load_dword s58, s[4:5], 0x0
	s_load_dword s33, s[4:5], 0x8
	s_add_u32 s34, s4, 8
	s_addc_u32 s35, s5, 0
	v_lshl_or_b32 v15, s6, 10, v0
	v_or_b32_e32 v22, 0x380, v15
	s_waitcnt lgkmcnt(0)
	s_add_i32 s56, s33, -1
	s_cmp_gt_u32 s56, 1
	v_cmp_le_i32_e32 vcc, s58, v22
	s_cselect_b64 s[36:37], -1, 0
	s_and_saveexec_b64 s[0:1], vcc
	s_xor_b64 s[38:39], exec, s[0:1]
	s_cbranch_execz .LBB53_235
; %bb.1:
	s_load_dwordx4 s[24:27], s[34:35], 0x4
	s_load_dwordx2 s[42:43], s[34:35], 0x14
	s_load_dwordx4 s[20:23], s[34:35], 0xc4
	s_load_dwordx4 s[16:19], s[34:35], 0x148
	s_load_dword s57, s[34:35], 0x158
	s_load_dwordx2 s[40:41], s[34:35], 0x160
	s_cmp_lg_u32 s33, 0
	s_cselect_b64 s[48:49], -1, 0
	s_add_u32 s46, s34, 0xc4
	s_addc_u32 s47, s35, 0
	s_min_u32 s59, s56, 15
	s_cmp_gt_u32 s33, 1
	s_cselect_b64 s[44:45], -1, 0
	v_cmp_gt_i32_e32 vcc, s58, v15
	s_and_saveexec_b64 s[50:51], vcc
	s_cbranch_execnz .LBB53_9
; %bb.2:
	s_or_b64 exec, exec, s[50:51]
	v_cmp_gt_i32_e32 vcc, s58, v15
	s_and_saveexec_b64 s[50:51], vcc
	s_cbranch_execnz .LBB53_38
.LBB53_3:
	s_or_b64 exec, exec, s[50:51]
	v_cmp_gt_i32_e32 vcc, s58, v15
	s_and_saveexec_b64 s[50:51], vcc
	s_cbranch_execnz .LBB53_66
.LBB53_4:
	s_or_b64 exec, exec, s[50:51]
	v_cmp_gt_i32_e32 vcc, s58, v15
	s_and_saveexec_b64 s[50:51], vcc
	s_cbranch_execnz .LBB53_94
.LBB53_5:
	s_or_b64 exec, exec, s[50:51]
	v_cmp_gt_i32_e32 vcc, s58, v15
	s_and_saveexec_b64 s[50:51], vcc
	s_cbranch_execnz .LBB53_122
.LBB53_6:
	s_or_b64 exec, exec, s[50:51]
	v_cmp_gt_i32_e32 vcc, s58, v15
	s_and_saveexec_b64 s[50:51], vcc
	s_cbranch_execnz .LBB53_150
.LBB53_7:
	s_or_b64 exec, exec, s[50:51]
	v_cmp_gt_i32_e32 vcc, s58, v15
	s_and_saveexec_b64 s[50:51], vcc
	s_cbranch_execnz .LBB53_178
.LBB53_8:
	s_or_b64 exec, exec, s[50:51]
	v_cmp_gt_i32_e32 vcc, s58, v15
	s_and_saveexec_b64 s[50:51], vcc
	s_cbranch_execnz .LBB53_206
	s_branch .LBB53_234
.LBB53_9:
	s_andn2_b64 vcc, exec, s[36:37]
	s_cbranch_vccnz .LBB53_14
; %bb.10:
	s_andn2_b64 vcc, exec, s[48:49]
	s_cbranch_vccnz .LBB53_15
; %bb.11:
	s_add_i32 s61, s59, 1
	s_cmp_eq_u32 s56, 2
	s_cbranch_scc1 .LBB53_16
; %bb.12:
	s_and_b32 s60, s61, 28
	v_mov_b32_e32 v2, 0
	s_mov_b32 s62, 0
	s_mov_b64 s[52:53], s[34:35]
	s_mov_b64 s[54:55], s[46:47]
	v_mov_b32_e32 v0, 0
	v_mov_b32_e32 v1, v15
.LBB53_13:                              ; =>This Inner Loop Header: Depth=1
	s_load_dwordx8 s[8:15], s[52:53], 0x4
	s_load_dwordx4 s[28:31], s[52:53], 0x24
	s_load_dwordx8 s[0:7], s[54:55], 0x0
	s_add_u32 s52, s52, 48
	s_addc_u32 s53, s53, 0
	s_waitcnt lgkmcnt(0)
	v_mul_hi_u32 v3, s9, v1
	s_add_i32 s62, s62, 4
	s_add_u32 s54, s54, 32
	s_addc_u32 s55, s55, 0
	v_add_u32_e32 v3, v1, v3
	v_lshrrev_b32_e32 v3, s10, v3
	v_mul_lo_u32 v4, v3, s8
	v_mul_hi_u32 v5, s12, v3
	s_cmp_lg_u32 s60, s62
	v_sub_u32_e32 v1, v1, v4
	v_add_u32_e32 v4, v3, v5
	v_mul_lo_u32 v5, v1, s0
	v_mul_lo_u32 v6, v1, s1
	v_lshrrev_b32_e32 v1, s13, v4
	v_mul_lo_u32 v4, v1, s11
	v_mul_hi_u32 v7, s15, v1
	v_sub_u32_e32 v3, v3, v4
	v_add_u32_e32 v4, v1, v7
	v_lshrrev_b32_e32 v4, s28, v4
	v_mul_hi_u32 v8, s30, v4
	v_mul_lo_u32 v9, v4, s14
	v_mul_lo_u32 v7, v3, s2
	;; [unrolled: 1-line block ×3, first 2 shown]
	v_sub_u32_e32 v9, v1, v9
	v_add_u32_e32 v1, v4, v8
	v_lshrrev_b32_e32 v1, s31, v1
	v_mul_lo_u32 v8, v1, s29
	v_mul_lo_u32 v10, v9, s4
	;; [unrolled: 1-line block ×3, first 2 shown]
	v_add3_u32 v0, v5, v0, v7
	v_sub_u32_e32 v4, v4, v8
	v_mul_lo_u32 v8, v4, s6
	v_mul_lo_u32 v4, v4, s7
	v_add3_u32 v2, v6, v2, v3
	v_add3_u32 v0, v10, v0, v8
	;; [unrolled: 1-line block ×3, first 2 shown]
	s_cbranch_scc1 .LBB53_13
	s_branch .LBB53_17
.LBB53_14:
                                        ; implicit-def: $vgpr0
                                        ; implicit-def: $vgpr2
	s_branch .LBB53_21
.LBB53_15:
	v_mov_b32_e32 v0, 0
	v_mov_b32_e32 v2, 0
	s_branch .LBB53_20
.LBB53_16:
	s_mov_b32 s60, 0
	v_mov_b32_e32 v0, 0
	v_mov_b32_e32 v2, 0
	;; [unrolled: 1-line block ×3, first 2 shown]
.LBB53_17:
	s_and_b32 s4, s61, 3
	s_cmp_eq_u32 s4, 0
	s_cbranch_scc1 .LBB53_20
; %bb.18:
	s_lshl_b32 s0, s60, 3
	s_add_u32 s0, s34, s0
	s_addc_u32 s1, s35, 0
	s_add_u32 s0, s0, 0xc4
	s_addc_u32 s1, s1, 0
	s_mul_i32 s2, s60, 12
	s_add_u32 s2, s34, s2
	s_addc_u32 s3, s35, 0
.LBB53_19:                              ; =>This Inner Loop Header: Depth=1
	s_load_dwordx2 s[6:7], s[2:3], 0x4
	s_load_dword s5, s[2:3], 0xc
	s_load_dwordx2 s[8:9], s[0:1], 0x0
	s_add_u32 s2, s2, 12
	s_addc_u32 s3, s3, 0
	s_waitcnt lgkmcnt(0)
	v_mul_hi_u32 v3, s7, v1
	s_add_u32 s0, s0, 8
	s_addc_u32 s1, s1, 0
	s_add_i32 s4, s4, -1
	v_add_u32_e32 v3, v1, v3
	v_lshrrev_b32_e32 v4, s5, v3
	v_mul_lo_u32 v3, v4, s6
	s_cmp_lg_u32 s4, 0
	v_sub_u32_e32 v3, v1, v3
	v_mad_u64_u32 v[0:1], s[6:7], v3, s8, v[0:1]
	v_mad_u64_u32 v[2:3], s[6:7], v3, s9, v[2:3]
	v_mov_b32_e32 v1, v4
	s_cbranch_scc1 .LBB53_19
.LBB53_20:
	s_cbranch_execnz .LBB53_23
.LBB53_21:
	s_waitcnt lgkmcnt(0)
	v_mul_hi_u32 v0, s25, v15
	s_andn2_b64 vcc, exec, s[44:45]
	v_add_u32_e32 v0, v15, v0
	v_lshrrev_b32_e32 v1, s26, v0
	v_mul_lo_u32 v0, v1, s24
	v_sub_u32_e32 v2, v15, v0
	v_mul_lo_u32 v0, v2, s20
	v_mul_lo_u32 v2, v2, s21
	s_cbranch_vccnz .LBB53_23
; %bb.22:
	v_mul_hi_u32 v3, s42, v1
	v_add_u32_e32 v3, v1, v3
	v_lshrrev_b32_e32 v3, s43, v3
	v_mul_lo_u32 v3, v3, s27
	v_sub_u32_e32 v3, v1, v3
	v_mad_u64_u32 v[0:1], s[0:1], v3, s22, v[0:1]
	v_mad_u64_u32 v[2:3], s[0:1], v3, s23, v[2:3]
.LBB53_23:
	s_waitcnt lgkmcnt(0)
	global_load_dwordx2 v[1:2], v2, s[18:19]
	s_cmp_lt_i32 s57, 1
	s_mov_b64 s[0:1], 0
	s_cbranch_scc1 .LBB53_27
; %bb.24:
	s_cmp_gt_i32 s57, 1
	s_cbranch_scc0 .LBB53_28
; %bb.25:
	s_cmp_eq_u32 s57, 2
	s_cbranch_scc0 .LBB53_29
; %bb.26:
	s_waitcnt vmcnt(0)
	v_cmp_ge_i64_e64 s[2:3], s[40:41], v[1:2]
	s_mov_b64 s[4:5], 0
	s_branch .LBB53_30
.LBB53_27:
                                        ; implicit-def: $sgpr2_sgpr3
	s_mov_b64 s[4:5], 0
	s_cbranch_execnz .LBB53_33
	s_branch .LBB53_34
.LBB53_28:
	s_mov_b64 s[4:5], 0
                                        ; implicit-def: $sgpr2_sgpr3
	s_cbranch_execnz .LBB53_31
	s_branch .LBB53_32
.LBB53_29:
	s_mov_b64 s[4:5], -1
                                        ; implicit-def: $sgpr2_sgpr3
.LBB53_30:
	s_branch .LBB53_32
.LBB53_31:
	s_waitcnt vmcnt(0)
	v_cmp_lt_i64_e32 vcc, s[40:41], v[1:2]
	s_andn2_b64 s[2:3], s[2:3], exec
	s_and_b64 s[6:7], vcc, exec
	s_or_b64 s[2:3], s[2:3], s[6:7]
.LBB53_32:
	s_branch .LBB53_34
.LBB53_33:
	s_cmp_lg_u32 s57, 0
	s_mov_b64 s[0:1], -1
	s_cselect_b64 s[4:5], -1, 0
.LBB53_34:
	s_andn2_b64 vcc, exec, s[4:5]
	s_cbranch_vccz .LBB53_43
; %bb.35:
	s_andn2_b64 vcc, exec, s[0:1]
	s_cbranch_vccnz .LBB53_37
.LBB53_36:
	s_waitcnt vmcnt(0)
	v_cmp_le_i64_e32 vcc, s[40:41], v[1:2]
	s_andn2_b64 s[0:1], s[2:3], exec
	s_and_b64 s[2:3], vcc, exec
	s_or_b64 s[2:3], s[0:1], s[2:3]
.LBB53_37:
	s_waitcnt vmcnt(0)
	v_cndmask_b32_e64 v1, 0, 1, s[2:3]
	v_add_u32_e32 v15, 0x80, v15
	global_store_byte v0, v1, s[16:17]
	s_or_b64 exec, exec, s[50:51]
	v_cmp_gt_i32_e32 vcc, s58, v15
	s_and_saveexec_b64 s[50:51], vcc
	s_cbranch_execz .LBB53_3
.LBB53_38:
	s_andn2_b64 vcc, exec, s[36:37]
	s_cbranch_vccnz .LBB53_44
; %bb.39:
	s_andn2_b64 vcc, exec, s[48:49]
	s_cbranch_vccnz .LBB53_45
; %bb.40:
	s_add_i32 s61, s59, 1
	s_cmp_eq_u32 s56, 2
	s_cbranch_scc1 .LBB53_46
; %bb.41:
	s_and_b32 s60, s61, 28
	v_mov_b32_e32 v2, 0
	s_mov_b32 s62, 0
	s_mov_b64 s[52:53], s[34:35]
	s_mov_b64 s[54:55], s[46:47]
	v_mov_b32_e32 v0, 0
	v_mov_b32_e32 v1, v15
.LBB53_42:                              ; =>This Inner Loop Header: Depth=1
	s_load_dwordx8 s[8:15], s[52:53], 0x4
	s_load_dwordx4 s[28:31], s[52:53], 0x24
	s_load_dwordx8 s[0:7], s[54:55], 0x0
	s_add_u32 s52, s52, 48
	s_addc_u32 s53, s53, 0
	s_waitcnt lgkmcnt(0)
	v_mul_hi_u32 v3, s9, v1
	s_add_i32 s62, s62, 4
	s_add_u32 s54, s54, 32
	s_addc_u32 s55, s55, 0
	v_add_u32_e32 v3, v1, v3
	v_lshrrev_b32_e32 v3, s10, v3
	v_mul_lo_u32 v4, v3, s8
	v_mul_hi_u32 v5, s12, v3
	s_cmp_eq_u32 s60, s62
	v_sub_u32_e32 v1, v1, v4
	v_add_u32_e32 v4, v3, v5
	v_mul_lo_u32 v5, v1, s0
	v_mul_lo_u32 v6, v1, s1
	v_lshrrev_b32_e32 v1, s13, v4
	v_mul_lo_u32 v4, v1, s11
	v_mul_hi_u32 v7, s15, v1
	v_sub_u32_e32 v3, v3, v4
	v_add_u32_e32 v4, v1, v7
	v_lshrrev_b32_e32 v4, s28, v4
	v_mul_hi_u32 v8, s30, v4
	v_mul_lo_u32 v9, v4, s14
	v_mul_lo_u32 v7, v3, s2
	;; [unrolled: 1-line block ×3, first 2 shown]
	v_sub_u32_e32 v9, v1, v9
	v_add_u32_e32 v1, v4, v8
	v_lshrrev_b32_e32 v1, s31, v1
	v_mul_lo_u32 v8, v1, s29
	v_mul_lo_u32 v10, v9, s4
	;; [unrolled: 1-line block ×3, first 2 shown]
	v_add3_u32 v0, v5, v0, v7
	v_sub_u32_e32 v4, v4, v8
	v_mul_lo_u32 v8, v4, s6
	v_mul_lo_u32 v4, v4, s7
	v_add3_u32 v2, v6, v2, v3
	v_add3_u32 v0, v10, v0, v8
	;; [unrolled: 1-line block ×3, first 2 shown]
	s_cbranch_scc0 .LBB53_42
	s_branch .LBB53_47
.LBB53_43:
	s_waitcnt vmcnt(0)
	v_cmp_gt_i64_e32 vcc, s[40:41], v[1:2]
	s_andn2_b64 s[2:3], s[2:3], exec
	s_and_b64 s[4:5], vcc, exec
	s_or_b64 s[2:3], s[2:3], s[4:5]
	s_cbranch_execz .LBB53_36
	s_branch .LBB53_37
.LBB53_44:
                                        ; implicit-def: $vgpr0
                                        ; implicit-def: $vgpr2
	s_branch .LBB53_51
.LBB53_45:
	v_mov_b32_e32 v0, 0
	v_mov_b32_e32 v2, 0
	s_branch .LBB53_50
.LBB53_46:
	s_mov_b32 s60, 0
	v_mov_b32_e32 v0, 0
	v_mov_b32_e32 v2, 0
	;; [unrolled: 1-line block ×3, first 2 shown]
.LBB53_47:
	s_and_b32 s4, s61, 3
	s_cmp_eq_u32 s4, 0
	s_cbranch_scc1 .LBB53_50
; %bb.48:
	s_lshl_b32 s0, s60, 3
	s_add_u32 s0, s34, s0
	s_addc_u32 s1, s35, 0
	s_add_u32 s0, s0, 0xc4
	s_addc_u32 s1, s1, 0
	s_mul_i32 s2, s60, 12
	s_add_u32 s2, s34, s2
	s_addc_u32 s3, s35, 0
.LBB53_49:                              ; =>This Inner Loop Header: Depth=1
	s_load_dwordx2 s[6:7], s[2:3], 0x4
	s_load_dword s5, s[2:3], 0xc
	s_load_dwordx2 s[8:9], s[0:1], 0x0
	s_add_u32 s2, s2, 12
	s_addc_u32 s3, s3, 0
	s_waitcnt lgkmcnt(0)
	v_mul_hi_u32 v3, s7, v1
	s_add_u32 s0, s0, 8
	s_addc_u32 s1, s1, 0
	s_add_i32 s4, s4, -1
	v_add_u32_e32 v3, v1, v3
	v_lshrrev_b32_e32 v4, s5, v3
	v_mul_lo_u32 v3, v4, s6
	s_cmp_lg_u32 s4, 0
	v_sub_u32_e32 v3, v1, v3
	v_mad_u64_u32 v[0:1], s[6:7], v3, s8, v[0:1]
	v_mad_u64_u32 v[2:3], s[6:7], v3, s9, v[2:3]
	v_mov_b32_e32 v1, v4
	s_cbranch_scc1 .LBB53_49
.LBB53_50:
	s_cbranch_execnz .LBB53_53
.LBB53_51:
	s_waitcnt lgkmcnt(0)
	v_mul_hi_u32 v0, s25, v15
	s_andn2_b64 vcc, exec, s[44:45]
	v_add_u32_e32 v0, v15, v0
	v_lshrrev_b32_e32 v1, s26, v0
	v_mul_lo_u32 v0, v1, s24
	v_sub_u32_e32 v2, v15, v0
	v_mul_lo_u32 v0, v2, s20
	v_mul_lo_u32 v2, v2, s21
	s_cbranch_vccnz .LBB53_53
; %bb.52:
	v_mul_hi_u32 v3, s42, v1
	v_add_u32_e32 v3, v1, v3
	v_lshrrev_b32_e32 v3, s43, v3
	v_mul_lo_u32 v3, v3, s27
	v_sub_u32_e32 v3, v1, v3
	v_mad_u64_u32 v[0:1], s[0:1], v3, s22, v[0:1]
	v_mad_u64_u32 v[2:3], s[0:1], v3, s23, v[2:3]
.LBB53_53:
	s_waitcnt lgkmcnt(0)
	global_load_dwordx2 v[1:2], v2, s[18:19]
	s_cmp_lt_i32 s57, 1
	s_mov_b64 s[0:1], 0
	s_cbranch_scc1 .LBB53_57
; %bb.54:
	s_cmp_gt_i32 s57, 1
	s_cbranch_scc0 .LBB53_58
; %bb.55:
	s_cmp_eq_u32 s57, 2
	s_cbranch_scc0 .LBB53_471
; %bb.56:
	s_waitcnt vmcnt(0)
	v_cmp_ge_i64_e64 s[2:3], s[40:41], v[1:2]
	s_mov_b64 s[4:5], 0
	s_branch .LBB53_60
.LBB53_57:
                                        ; implicit-def: $sgpr2_sgpr3
	s_mov_b64 s[4:5], 0
	s_cbranch_execnz .LBB53_61
	s_branch .LBB53_62
.LBB53_58:
	s_mov_b64 s[4:5], 0
                                        ; implicit-def: $sgpr2_sgpr3
	s_cbranch_execz .LBB53_60
; %bb.59:
	s_waitcnt vmcnt(0)
	v_cmp_lt_i64_e32 vcc, s[40:41], v[1:2]
	s_andn2_b64 s[2:3], s[2:3], exec
	s_and_b64 s[6:7], vcc, exec
	s_or_b64 s[2:3], s[2:3], s[6:7]
.LBB53_60:
	s_branch .LBB53_62
.LBB53_61:
	s_cmp_lg_u32 s57, 0
	s_mov_b64 s[0:1], -1
	s_cselect_b64 s[4:5], -1, 0
.LBB53_62:
	s_andn2_b64 vcc, exec, s[4:5]
	s_cbranch_vccz .LBB53_71
; %bb.63:
	s_andn2_b64 vcc, exec, s[0:1]
	s_cbranch_vccnz .LBB53_65
.LBB53_64:
	s_waitcnt vmcnt(0)
	v_cmp_le_i64_e32 vcc, s[40:41], v[1:2]
	s_andn2_b64 s[0:1], s[2:3], exec
	s_and_b64 s[2:3], vcc, exec
	s_or_b64 s[2:3], s[0:1], s[2:3]
.LBB53_65:
	s_waitcnt vmcnt(0)
	v_cndmask_b32_e64 v1, 0, 1, s[2:3]
	v_add_u32_e32 v15, 0x80, v15
	global_store_byte v0, v1, s[16:17]
	s_or_b64 exec, exec, s[50:51]
	v_cmp_gt_i32_e32 vcc, s58, v15
	s_and_saveexec_b64 s[50:51], vcc
	s_cbranch_execz .LBB53_4
.LBB53_66:
	s_andn2_b64 vcc, exec, s[36:37]
	s_cbranch_vccnz .LBB53_72
; %bb.67:
	s_andn2_b64 vcc, exec, s[48:49]
	s_cbranch_vccnz .LBB53_73
; %bb.68:
	s_add_i32 s61, s59, 1
	s_cmp_eq_u32 s56, 2
	s_cbranch_scc1 .LBB53_74
; %bb.69:
	s_and_b32 s60, s61, 28
	v_mov_b32_e32 v2, 0
	s_mov_b32 s62, 0
	s_mov_b64 s[52:53], s[34:35]
	s_mov_b64 s[54:55], s[46:47]
	v_mov_b32_e32 v0, 0
	v_mov_b32_e32 v1, v15
.LBB53_70:                              ; =>This Inner Loop Header: Depth=1
	s_load_dwordx8 s[8:15], s[52:53], 0x4
	s_load_dwordx4 s[28:31], s[52:53], 0x24
	s_load_dwordx8 s[0:7], s[54:55], 0x0
	s_add_u32 s52, s52, 48
	s_addc_u32 s53, s53, 0
	s_waitcnt lgkmcnt(0)
	v_mul_hi_u32 v3, s9, v1
	s_add_i32 s62, s62, 4
	s_add_u32 s54, s54, 32
	s_addc_u32 s55, s55, 0
	v_add_u32_e32 v3, v1, v3
	v_lshrrev_b32_e32 v3, s10, v3
	v_mul_lo_u32 v4, v3, s8
	v_mul_hi_u32 v5, s12, v3
	s_cmp_eq_u32 s60, s62
	v_sub_u32_e32 v1, v1, v4
	v_add_u32_e32 v4, v3, v5
	v_mul_lo_u32 v5, v1, s0
	v_mul_lo_u32 v6, v1, s1
	v_lshrrev_b32_e32 v1, s13, v4
	v_mul_lo_u32 v4, v1, s11
	v_mul_hi_u32 v7, s15, v1
	v_sub_u32_e32 v3, v3, v4
	v_add_u32_e32 v4, v1, v7
	v_lshrrev_b32_e32 v4, s28, v4
	v_mul_hi_u32 v8, s30, v4
	v_mul_lo_u32 v9, v4, s14
	v_mul_lo_u32 v7, v3, s2
	;; [unrolled: 1-line block ×3, first 2 shown]
	v_sub_u32_e32 v9, v1, v9
	v_add_u32_e32 v1, v4, v8
	v_lshrrev_b32_e32 v1, s31, v1
	v_mul_lo_u32 v8, v1, s29
	v_mul_lo_u32 v10, v9, s4
	;; [unrolled: 1-line block ×3, first 2 shown]
	v_add3_u32 v0, v5, v0, v7
	v_sub_u32_e32 v4, v4, v8
	v_mul_lo_u32 v8, v4, s6
	v_mul_lo_u32 v4, v4, s7
	v_add3_u32 v2, v6, v2, v3
	v_add3_u32 v0, v10, v0, v8
	;; [unrolled: 1-line block ×3, first 2 shown]
	s_cbranch_scc0 .LBB53_70
	s_branch .LBB53_75
.LBB53_71:
	s_waitcnt vmcnt(0)
	v_cmp_gt_i64_e32 vcc, s[40:41], v[1:2]
	s_andn2_b64 s[2:3], s[2:3], exec
	s_and_b64 s[4:5], vcc, exec
	s_or_b64 s[2:3], s[2:3], s[4:5]
	s_cbranch_execz .LBB53_64
	s_branch .LBB53_65
.LBB53_72:
                                        ; implicit-def: $vgpr0
                                        ; implicit-def: $vgpr2
	s_branch .LBB53_79
.LBB53_73:
	v_mov_b32_e32 v0, 0
	v_mov_b32_e32 v2, 0
	s_branch .LBB53_78
.LBB53_74:
	s_mov_b32 s60, 0
	v_mov_b32_e32 v0, 0
	v_mov_b32_e32 v2, 0
	;; [unrolled: 1-line block ×3, first 2 shown]
.LBB53_75:
	s_and_b32 s4, s61, 3
	s_cmp_eq_u32 s4, 0
	s_cbranch_scc1 .LBB53_78
; %bb.76:
	s_lshl_b32 s0, s60, 3
	s_add_u32 s0, s34, s0
	s_addc_u32 s1, s35, 0
	s_add_u32 s0, s0, 0xc4
	s_addc_u32 s1, s1, 0
	s_mul_i32 s2, s60, 12
	s_add_u32 s2, s34, s2
	s_addc_u32 s3, s35, 0
.LBB53_77:                              ; =>This Inner Loop Header: Depth=1
	s_load_dwordx2 s[6:7], s[2:3], 0x4
	s_load_dword s5, s[2:3], 0xc
	s_load_dwordx2 s[8:9], s[0:1], 0x0
	s_add_u32 s2, s2, 12
	s_addc_u32 s3, s3, 0
	s_waitcnt lgkmcnt(0)
	v_mul_hi_u32 v3, s7, v1
	s_add_u32 s0, s0, 8
	s_addc_u32 s1, s1, 0
	s_add_i32 s4, s4, -1
	v_add_u32_e32 v3, v1, v3
	v_lshrrev_b32_e32 v4, s5, v3
	v_mul_lo_u32 v3, v4, s6
	s_cmp_lg_u32 s4, 0
	v_sub_u32_e32 v3, v1, v3
	v_mad_u64_u32 v[0:1], s[6:7], v3, s8, v[0:1]
	v_mad_u64_u32 v[2:3], s[6:7], v3, s9, v[2:3]
	v_mov_b32_e32 v1, v4
	s_cbranch_scc1 .LBB53_77
.LBB53_78:
	s_cbranch_execnz .LBB53_81
.LBB53_79:
	s_waitcnt lgkmcnt(0)
	v_mul_hi_u32 v0, s25, v15
	s_andn2_b64 vcc, exec, s[44:45]
	v_add_u32_e32 v0, v15, v0
	v_lshrrev_b32_e32 v1, s26, v0
	v_mul_lo_u32 v0, v1, s24
	v_sub_u32_e32 v2, v15, v0
	v_mul_lo_u32 v0, v2, s20
	v_mul_lo_u32 v2, v2, s21
	s_cbranch_vccnz .LBB53_81
; %bb.80:
	v_mul_hi_u32 v3, s42, v1
	v_add_u32_e32 v3, v1, v3
	v_lshrrev_b32_e32 v3, s43, v3
	v_mul_lo_u32 v3, v3, s27
	v_sub_u32_e32 v3, v1, v3
	v_mad_u64_u32 v[0:1], s[0:1], v3, s22, v[0:1]
	v_mad_u64_u32 v[2:3], s[0:1], v3, s23, v[2:3]
.LBB53_81:
	s_waitcnt lgkmcnt(0)
	global_load_dwordx2 v[1:2], v2, s[18:19]
	s_cmp_lt_i32 s57, 1
	s_mov_b64 s[0:1], 0
	s_cbranch_scc1 .LBB53_85
; %bb.82:
	s_cmp_gt_i32 s57, 1
	s_cbranch_scc0 .LBB53_86
; %bb.83:
	s_cmp_eq_u32 s57, 2
	s_cbranch_scc0 .LBB53_472
; %bb.84:
	s_waitcnt vmcnt(0)
	v_cmp_ge_i64_e64 s[2:3], s[40:41], v[1:2]
	s_mov_b64 s[4:5], 0
	s_branch .LBB53_88
.LBB53_85:
                                        ; implicit-def: $sgpr2_sgpr3
	s_mov_b64 s[4:5], 0
	s_cbranch_execnz .LBB53_89
	s_branch .LBB53_90
.LBB53_86:
	s_mov_b64 s[4:5], 0
                                        ; implicit-def: $sgpr2_sgpr3
	s_cbranch_execz .LBB53_88
; %bb.87:
	s_waitcnt vmcnt(0)
	v_cmp_lt_i64_e32 vcc, s[40:41], v[1:2]
	s_andn2_b64 s[2:3], s[2:3], exec
	s_and_b64 s[6:7], vcc, exec
	s_or_b64 s[2:3], s[2:3], s[6:7]
.LBB53_88:
	s_branch .LBB53_90
.LBB53_89:
	s_cmp_lg_u32 s57, 0
	s_mov_b64 s[0:1], -1
	s_cselect_b64 s[4:5], -1, 0
.LBB53_90:
	s_andn2_b64 vcc, exec, s[4:5]
	s_cbranch_vccz .LBB53_99
; %bb.91:
	s_andn2_b64 vcc, exec, s[0:1]
	s_cbranch_vccnz .LBB53_93
.LBB53_92:
	s_waitcnt vmcnt(0)
	v_cmp_le_i64_e32 vcc, s[40:41], v[1:2]
	s_andn2_b64 s[0:1], s[2:3], exec
	s_and_b64 s[2:3], vcc, exec
	s_or_b64 s[2:3], s[0:1], s[2:3]
.LBB53_93:
	s_waitcnt vmcnt(0)
	v_cndmask_b32_e64 v1, 0, 1, s[2:3]
	v_add_u32_e32 v15, 0x80, v15
	global_store_byte v0, v1, s[16:17]
	s_or_b64 exec, exec, s[50:51]
	v_cmp_gt_i32_e32 vcc, s58, v15
	s_and_saveexec_b64 s[50:51], vcc
	s_cbranch_execz .LBB53_5
.LBB53_94:
	s_andn2_b64 vcc, exec, s[36:37]
	s_cbranch_vccnz .LBB53_100
; %bb.95:
	s_andn2_b64 vcc, exec, s[48:49]
	s_cbranch_vccnz .LBB53_101
; %bb.96:
	s_add_i32 s61, s59, 1
	s_cmp_eq_u32 s56, 2
	s_cbranch_scc1 .LBB53_102
; %bb.97:
	s_and_b32 s60, s61, 28
	v_mov_b32_e32 v2, 0
	s_mov_b32 s62, 0
	s_mov_b64 s[52:53], s[34:35]
	s_mov_b64 s[54:55], s[46:47]
	v_mov_b32_e32 v0, 0
	v_mov_b32_e32 v1, v15
.LBB53_98:                              ; =>This Inner Loop Header: Depth=1
	s_load_dwordx8 s[8:15], s[52:53], 0x4
	s_load_dwordx4 s[28:31], s[52:53], 0x24
	s_load_dwordx8 s[0:7], s[54:55], 0x0
	s_add_u32 s52, s52, 48
	s_addc_u32 s53, s53, 0
	s_waitcnt lgkmcnt(0)
	v_mul_hi_u32 v3, s9, v1
	s_add_i32 s62, s62, 4
	s_add_u32 s54, s54, 32
	s_addc_u32 s55, s55, 0
	v_add_u32_e32 v3, v1, v3
	v_lshrrev_b32_e32 v3, s10, v3
	v_mul_lo_u32 v4, v3, s8
	v_mul_hi_u32 v5, s12, v3
	s_cmp_eq_u32 s60, s62
	v_sub_u32_e32 v1, v1, v4
	v_add_u32_e32 v4, v3, v5
	v_mul_lo_u32 v5, v1, s0
	v_mul_lo_u32 v6, v1, s1
	v_lshrrev_b32_e32 v1, s13, v4
	v_mul_lo_u32 v4, v1, s11
	v_mul_hi_u32 v7, s15, v1
	v_sub_u32_e32 v3, v3, v4
	v_add_u32_e32 v4, v1, v7
	v_lshrrev_b32_e32 v4, s28, v4
	v_mul_hi_u32 v8, s30, v4
	v_mul_lo_u32 v9, v4, s14
	v_mul_lo_u32 v7, v3, s2
	;; [unrolled: 1-line block ×3, first 2 shown]
	v_sub_u32_e32 v9, v1, v9
	v_add_u32_e32 v1, v4, v8
	v_lshrrev_b32_e32 v1, s31, v1
	v_mul_lo_u32 v8, v1, s29
	v_mul_lo_u32 v10, v9, s4
	;; [unrolled: 1-line block ×3, first 2 shown]
	v_add3_u32 v0, v5, v0, v7
	v_sub_u32_e32 v4, v4, v8
	v_mul_lo_u32 v8, v4, s6
	v_mul_lo_u32 v4, v4, s7
	v_add3_u32 v2, v6, v2, v3
	v_add3_u32 v0, v10, v0, v8
	;; [unrolled: 1-line block ×3, first 2 shown]
	s_cbranch_scc0 .LBB53_98
	s_branch .LBB53_103
.LBB53_99:
	s_waitcnt vmcnt(0)
	v_cmp_gt_i64_e32 vcc, s[40:41], v[1:2]
	s_andn2_b64 s[2:3], s[2:3], exec
	s_and_b64 s[4:5], vcc, exec
	s_or_b64 s[2:3], s[2:3], s[4:5]
	s_cbranch_execz .LBB53_92
	s_branch .LBB53_93
.LBB53_100:
                                        ; implicit-def: $vgpr0
                                        ; implicit-def: $vgpr2
	s_branch .LBB53_107
.LBB53_101:
	v_mov_b32_e32 v0, 0
	v_mov_b32_e32 v2, 0
	s_branch .LBB53_106
.LBB53_102:
	s_mov_b32 s60, 0
	v_mov_b32_e32 v0, 0
	v_mov_b32_e32 v2, 0
	;; [unrolled: 1-line block ×3, first 2 shown]
.LBB53_103:
	s_and_b32 s4, s61, 3
	s_cmp_eq_u32 s4, 0
	s_cbranch_scc1 .LBB53_106
; %bb.104:
	s_lshl_b32 s0, s60, 3
	s_add_u32 s0, s34, s0
	s_addc_u32 s1, s35, 0
	s_add_u32 s0, s0, 0xc4
	s_addc_u32 s1, s1, 0
	s_mul_i32 s2, s60, 12
	s_add_u32 s2, s34, s2
	s_addc_u32 s3, s35, 0
.LBB53_105:                             ; =>This Inner Loop Header: Depth=1
	s_load_dwordx2 s[6:7], s[2:3], 0x4
	s_load_dword s5, s[2:3], 0xc
	s_load_dwordx2 s[8:9], s[0:1], 0x0
	s_add_u32 s2, s2, 12
	s_addc_u32 s3, s3, 0
	s_waitcnt lgkmcnt(0)
	v_mul_hi_u32 v3, s7, v1
	s_add_u32 s0, s0, 8
	s_addc_u32 s1, s1, 0
	s_add_i32 s4, s4, -1
	v_add_u32_e32 v3, v1, v3
	v_lshrrev_b32_e32 v4, s5, v3
	v_mul_lo_u32 v3, v4, s6
	s_cmp_lg_u32 s4, 0
	v_sub_u32_e32 v3, v1, v3
	v_mad_u64_u32 v[0:1], s[6:7], v3, s8, v[0:1]
	v_mad_u64_u32 v[2:3], s[6:7], v3, s9, v[2:3]
	v_mov_b32_e32 v1, v4
	s_cbranch_scc1 .LBB53_105
.LBB53_106:
	s_cbranch_execnz .LBB53_109
.LBB53_107:
	s_waitcnt lgkmcnt(0)
	v_mul_hi_u32 v0, s25, v15
	s_andn2_b64 vcc, exec, s[44:45]
	v_add_u32_e32 v0, v15, v0
	v_lshrrev_b32_e32 v1, s26, v0
	v_mul_lo_u32 v0, v1, s24
	v_sub_u32_e32 v2, v15, v0
	v_mul_lo_u32 v0, v2, s20
	v_mul_lo_u32 v2, v2, s21
	s_cbranch_vccnz .LBB53_109
; %bb.108:
	v_mul_hi_u32 v3, s42, v1
	v_add_u32_e32 v3, v1, v3
	v_lshrrev_b32_e32 v3, s43, v3
	v_mul_lo_u32 v3, v3, s27
	v_sub_u32_e32 v3, v1, v3
	v_mad_u64_u32 v[0:1], s[0:1], v3, s22, v[0:1]
	v_mad_u64_u32 v[2:3], s[0:1], v3, s23, v[2:3]
.LBB53_109:
	s_waitcnt lgkmcnt(0)
	global_load_dwordx2 v[1:2], v2, s[18:19]
	s_cmp_lt_i32 s57, 1
	s_mov_b64 s[0:1], 0
	s_cbranch_scc1 .LBB53_113
; %bb.110:
	s_cmp_gt_i32 s57, 1
	s_cbranch_scc0 .LBB53_114
; %bb.111:
	s_cmp_eq_u32 s57, 2
	s_cbranch_scc0 .LBB53_473
; %bb.112:
	s_waitcnt vmcnt(0)
	v_cmp_ge_i64_e64 s[2:3], s[40:41], v[1:2]
	s_mov_b64 s[4:5], 0
	s_branch .LBB53_116
.LBB53_113:
                                        ; implicit-def: $sgpr2_sgpr3
	s_mov_b64 s[4:5], 0
	s_cbranch_execnz .LBB53_117
	s_branch .LBB53_118
.LBB53_114:
	s_mov_b64 s[4:5], 0
                                        ; implicit-def: $sgpr2_sgpr3
	s_cbranch_execz .LBB53_116
; %bb.115:
	s_waitcnt vmcnt(0)
	v_cmp_lt_i64_e32 vcc, s[40:41], v[1:2]
	s_andn2_b64 s[2:3], s[2:3], exec
	s_and_b64 s[6:7], vcc, exec
	s_or_b64 s[2:3], s[2:3], s[6:7]
.LBB53_116:
	s_branch .LBB53_118
.LBB53_117:
	s_cmp_lg_u32 s57, 0
	s_mov_b64 s[0:1], -1
	s_cselect_b64 s[4:5], -1, 0
.LBB53_118:
	s_andn2_b64 vcc, exec, s[4:5]
	s_cbranch_vccz .LBB53_127
; %bb.119:
	s_andn2_b64 vcc, exec, s[0:1]
	s_cbranch_vccnz .LBB53_121
.LBB53_120:
	s_waitcnt vmcnt(0)
	v_cmp_le_i64_e32 vcc, s[40:41], v[1:2]
	s_andn2_b64 s[0:1], s[2:3], exec
	s_and_b64 s[2:3], vcc, exec
	s_or_b64 s[2:3], s[0:1], s[2:3]
.LBB53_121:
	s_waitcnt vmcnt(0)
	v_cndmask_b32_e64 v1, 0, 1, s[2:3]
	v_add_u32_e32 v15, 0x80, v15
	global_store_byte v0, v1, s[16:17]
	s_or_b64 exec, exec, s[50:51]
	v_cmp_gt_i32_e32 vcc, s58, v15
	s_and_saveexec_b64 s[50:51], vcc
	s_cbranch_execz .LBB53_6
.LBB53_122:
	s_andn2_b64 vcc, exec, s[36:37]
	s_cbranch_vccnz .LBB53_128
; %bb.123:
	s_andn2_b64 vcc, exec, s[48:49]
	s_cbranch_vccnz .LBB53_129
; %bb.124:
	s_add_i32 s61, s59, 1
	s_cmp_eq_u32 s56, 2
	s_cbranch_scc1 .LBB53_130
; %bb.125:
	s_and_b32 s60, s61, 28
	v_mov_b32_e32 v2, 0
	s_mov_b32 s62, 0
	s_mov_b64 s[52:53], s[34:35]
	s_mov_b64 s[54:55], s[46:47]
	v_mov_b32_e32 v0, 0
	v_mov_b32_e32 v1, v15
.LBB53_126:                             ; =>This Inner Loop Header: Depth=1
	s_load_dwordx8 s[8:15], s[52:53], 0x4
	s_load_dwordx4 s[28:31], s[52:53], 0x24
	s_load_dwordx8 s[0:7], s[54:55], 0x0
	s_add_u32 s52, s52, 48
	s_addc_u32 s53, s53, 0
	s_waitcnt lgkmcnt(0)
	v_mul_hi_u32 v3, s9, v1
	s_add_i32 s62, s62, 4
	s_add_u32 s54, s54, 32
	s_addc_u32 s55, s55, 0
	v_add_u32_e32 v3, v1, v3
	v_lshrrev_b32_e32 v3, s10, v3
	v_mul_lo_u32 v4, v3, s8
	v_mul_hi_u32 v5, s12, v3
	s_cmp_eq_u32 s60, s62
	v_sub_u32_e32 v1, v1, v4
	v_add_u32_e32 v4, v3, v5
	v_mul_lo_u32 v5, v1, s0
	v_mul_lo_u32 v6, v1, s1
	v_lshrrev_b32_e32 v1, s13, v4
	v_mul_lo_u32 v4, v1, s11
	v_mul_hi_u32 v7, s15, v1
	v_sub_u32_e32 v3, v3, v4
	v_add_u32_e32 v4, v1, v7
	v_lshrrev_b32_e32 v4, s28, v4
	v_mul_hi_u32 v8, s30, v4
	v_mul_lo_u32 v9, v4, s14
	v_mul_lo_u32 v7, v3, s2
	v_mul_lo_u32 v3, v3, s3
	v_sub_u32_e32 v9, v1, v9
	v_add_u32_e32 v1, v4, v8
	v_lshrrev_b32_e32 v1, s31, v1
	v_mul_lo_u32 v8, v1, s29
	v_mul_lo_u32 v10, v9, s4
	;; [unrolled: 1-line block ×3, first 2 shown]
	v_add3_u32 v0, v5, v0, v7
	v_sub_u32_e32 v4, v4, v8
	v_mul_lo_u32 v8, v4, s6
	v_mul_lo_u32 v4, v4, s7
	v_add3_u32 v2, v6, v2, v3
	v_add3_u32 v0, v10, v0, v8
	;; [unrolled: 1-line block ×3, first 2 shown]
	s_cbranch_scc0 .LBB53_126
	s_branch .LBB53_131
.LBB53_127:
	s_waitcnt vmcnt(0)
	v_cmp_gt_i64_e32 vcc, s[40:41], v[1:2]
	s_andn2_b64 s[2:3], s[2:3], exec
	s_and_b64 s[4:5], vcc, exec
	s_or_b64 s[2:3], s[2:3], s[4:5]
	s_cbranch_execz .LBB53_120
	s_branch .LBB53_121
.LBB53_128:
                                        ; implicit-def: $vgpr0
                                        ; implicit-def: $vgpr2
	s_branch .LBB53_135
.LBB53_129:
	v_mov_b32_e32 v0, 0
	v_mov_b32_e32 v2, 0
	s_branch .LBB53_134
.LBB53_130:
	s_mov_b32 s60, 0
	v_mov_b32_e32 v0, 0
	v_mov_b32_e32 v2, 0
	;; [unrolled: 1-line block ×3, first 2 shown]
.LBB53_131:
	s_and_b32 s4, s61, 3
	s_cmp_eq_u32 s4, 0
	s_cbranch_scc1 .LBB53_134
; %bb.132:
	s_lshl_b32 s0, s60, 3
	s_add_u32 s0, s34, s0
	s_addc_u32 s1, s35, 0
	s_add_u32 s0, s0, 0xc4
	s_addc_u32 s1, s1, 0
	s_mul_i32 s2, s60, 12
	s_add_u32 s2, s34, s2
	s_addc_u32 s3, s35, 0
.LBB53_133:                             ; =>This Inner Loop Header: Depth=1
	s_load_dwordx2 s[6:7], s[2:3], 0x4
	s_load_dword s5, s[2:3], 0xc
	s_load_dwordx2 s[8:9], s[0:1], 0x0
	s_add_u32 s2, s2, 12
	s_addc_u32 s3, s3, 0
	s_waitcnt lgkmcnt(0)
	v_mul_hi_u32 v3, s7, v1
	s_add_u32 s0, s0, 8
	s_addc_u32 s1, s1, 0
	s_add_i32 s4, s4, -1
	v_add_u32_e32 v3, v1, v3
	v_lshrrev_b32_e32 v4, s5, v3
	v_mul_lo_u32 v3, v4, s6
	s_cmp_lg_u32 s4, 0
	v_sub_u32_e32 v3, v1, v3
	v_mad_u64_u32 v[0:1], s[6:7], v3, s8, v[0:1]
	v_mad_u64_u32 v[2:3], s[6:7], v3, s9, v[2:3]
	v_mov_b32_e32 v1, v4
	s_cbranch_scc1 .LBB53_133
.LBB53_134:
	s_cbranch_execnz .LBB53_137
.LBB53_135:
	s_waitcnt lgkmcnt(0)
	v_mul_hi_u32 v0, s25, v15
	s_andn2_b64 vcc, exec, s[44:45]
	v_add_u32_e32 v0, v15, v0
	v_lshrrev_b32_e32 v1, s26, v0
	v_mul_lo_u32 v0, v1, s24
	v_sub_u32_e32 v2, v15, v0
	v_mul_lo_u32 v0, v2, s20
	v_mul_lo_u32 v2, v2, s21
	s_cbranch_vccnz .LBB53_137
; %bb.136:
	v_mul_hi_u32 v3, s42, v1
	v_add_u32_e32 v3, v1, v3
	v_lshrrev_b32_e32 v3, s43, v3
	v_mul_lo_u32 v3, v3, s27
	v_sub_u32_e32 v3, v1, v3
	v_mad_u64_u32 v[0:1], s[0:1], v3, s22, v[0:1]
	v_mad_u64_u32 v[2:3], s[0:1], v3, s23, v[2:3]
.LBB53_137:
	s_waitcnt lgkmcnt(0)
	global_load_dwordx2 v[1:2], v2, s[18:19]
	s_cmp_lt_i32 s57, 1
	s_mov_b64 s[0:1], 0
	s_cbranch_scc1 .LBB53_141
; %bb.138:
	s_cmp_gt_i32 s57, 1
	s_cbranch_scc0 .LBB53_142
; %bb.139:
	s_cmp_eq_u32 s57, 2
	s_cbranch_scc0 .LBB53_474
; %bb.140:
	s_waitcnt vmcnt(0)
	v_cmp_ge_i64_e64 s[2:3], s[40:41], v[1:2]
	s_mov_b64 s[4:5], 0
	s_branch .LBB53_144
.LBB53_141:
                                        ; implicit-def: $sgpr2_sgpr3
	s_mov_b64 s[4:5], 0
	s_cbranch_execnz .LBB53_145
	s_branch .LBB53_146
.LBB53_142:
	s_mov_b64 s[4:5], 0
                                        ; implicit-def: $sgpr2_sgpr3
	s_cbranch_execz .LBB53_144
; %bb.143:
	s_waitcnt vmcnt(0)
	v_cmp_lt_i64_e32 vcc, s[40:41], v[1:2]
	s_andn2_b64 s[2:3], s[2:3], exec
	s_and_b64 s[6:7], vcc, exec
	s_or_b64 s[2:3], s[2:3], s[6:7]
.LBB53_144:
	s_branch .LBB53_146
.LBB53_145:
	s_cmp_lg_u32 s57, 0
	s_mov_b64 s[0:1], -1
	s_cselect_b64 s[4:5], -1, 0
.LBB53_146:
	s_andn2_b64 vcc, exec, s[4:5]
	s_cbranch_vccz .LBB53_155
; %bb.147:
	s_andn2_b64 vcc, exec, s[0:1]
	s_cbranch_vccnz .LBB53_149
.LBB53_148:
	s_waitcnt vmcnt(0)
	v_cmp_le_i64_e32 vcc, s[40:41], v[1:2]
	s_andn2_b64 s[0:1], s[2:3], exec
	s_and_b64 s[2:3], vcc, exec
	s_or_b64 s[2:3], s[0:1], s[2:3]
.LBB53_149:
	s_waitcnt vmcnt(0)
	v_cndmask_b32_e64 v1, 0, 1, s[2:3]
	v_add_u32_e32 v15, 0x80, v15
	global_store_byte v0, v1, s[16:17]
	s_or_b64 exec, exec, s[50:51]
	v_cmp_gt_i32_e32 vcc, s58, v15
	s_and_saveexec_b64 s[50:51], vcc
	s_cbranch_execz .LBB53_7
.LBB53_150:
	s_andn2_b64 vcc, exec, s[36:37]
	s_cbranch_vccnz .LBB53_156
; %bb.151:
	s_andn2_b64 vcc, exec, s[48:49]
	s_cbranch_vccnz .LBB53_157
; %bb.152:
	s_add_i32 s61, s59, 1
	s_cmp_eq_u32 s56, 2
	s_cbranch_scc1 .LBB53_158
; %bb.153:
	s_and_b32 s60, s61, 28
	v_mov_b32_e32 v2, 0
	s_mov_b32 s62, 0
	s_mov_b64 s[52:53], s[34:35]
	s_mov_b64 s[54:55], s[46:47]
	v_mov_b32_e32 v0, 0
	v_mov_b32_e32 v1, v15
.LBB53_154:                             ; =>This Inner Loop Header: Depth=1
	s_load_dwordx8 s[8:15], s[52:53], 0x4
	s_load_dwordx4 s[28:31], s[52:53], 0x24
	s_load_dwordx8 s[0:7], s[54:55], 0x0
	s_add_u32 s52, s52, 48
	s_addc_u32 s53, s53, 0
	s_waitcnt lgkmcnt(0)
	v_mul_hi_u32 v3, s9, v1
	s_add_i32 s62, s62, 4
	s_add_u32 s54, s54, 32
	s_addc_u32 s55, s55, 0
	v_add_u32_e32 v3, v1, v3
	v_lshrrev_b32_e32 v3, s10, v3
	v_mul_lo_u32 v4, v3, s8
	v_mul_hi_u32 v5, s12, v3
	s_cmp_eq_u32 s60, s62
	v_sub_u32_e32 v1, v1, v4
	v_add_u32_e32 v4, v3, v5
	v_mul_lo_u32 v5, v1, s0
	v_mul_lo_u32 v6, v1, s1
	v_lshrrev_b32_e32 v1, s13, v4
	v_mul_lo_u32 v4, v1, s11
	v_mul_hi_u32 v7, s15, v1
	v_sub_u32_e32 v3, v3, v4
	v_add_u32_e32 v4, v1, v7
	v_lshrrev_b32_e32 v4, s28, v4
	v_mul_hi_u32 v8, s30, v4
	v_mul_lo_u32 v9, v4, s14
	v_mul_lo_u32 v7, v3, s2
	;; [unrolled: 1-line block ×3, first 2 shown]
	v_sub_u32_e32 v9, v1, v9
	v_add_u32_e32 v1, v4, v8
	v_lshrrev_b32_e32 v1, s31, v1
	v_mul_lo_u32 v8, v1, s29
	v_mul_lo_u32 v10, v9, s4
	;; [unrolled: 1-line block ×3, first 2 shown]
	v_add3_u32 v0, v5, v0, v7
	v_sub_u32_e32 v4, v4, v8
	v_mul_lo_u32 v8, v4, s6
	v_mul_lo_u32 v4, v4, s7
	v_add3_u32 v2, v6, v2, v3
	v_add3_u32 v0, v10, v0, v8
	;; [unrolled: 1-line block ×3, first 2 shown]
	s_cbranch_scc0 .LBB53_154
	s_branch .LBB53_159
.LBB53_155:
	s_waitcnt vmcnt(0)
	v_cmp_gt_i64_e32 vcc, s[40:41], v[1:2]
	s_andn2_b64 s[2:3], s[2:3], exec
	s_and_b64 s[4:5], vcc, exec
	s_or_b64 s[2:3], s[2:3], s[4:5]
	s_cbranch_execz .LBB53_148
	s_branch .LBB53_149
.LBB53_156:
                                        ; implicit-def: $vgpr0
                                        ; implicit-def: $vgpr2
	s_branch .LBB53_163
.LBB53_157:
	v_mov_b32_e32 v0, 0
	v_mov_b32_e32 v2, 0
	s_branch .LBB53_162
.LBB53_158:
	s_mov_b32 s60, 0
	v_mov_b32_e32 v0, 0
	v_mov_b32_e32 v2, 0
	;; [unrolled: 1-line block ×3, first 2 shown]
.LBB53_159:
	s_and_b32 s4, s61, 3
	s_cmp_eq_u32 s4, 0
	s_cbranch_scc1 .LBB53_162
; %bb.160:
	s_lshl_b32 s0, s60, 3
	s_add_u32 s0, s34, s0
	s_addc_u32 s1, s35, 0
	s_add_u32 s0, s0, 0xc4
	s_addc_u32 s1, s1, 0
	s_mul_i32 s2, s60, 12
	s_add_u32 s2, s34, s2
	s_addc_u32 s3, s35, 0
.LBB53_161:                             ; =>This Inner Loop Header: Depth=1
	s_load_dwordx2 s[6:7], s[2:3], 0x4
	s_load_dword s5, s[2:3], 0xc
	s_load_dwordx2 s[8:9], s[0:1], 0x0
	s_add_u32 s2, s2, 12
	s_addc_u32 s3, s3, 0
	s_waitcnt lgkmcnt(0)
	v_mul_hi_u32 v3, s7, v1
	s_add_u32 s0, s0, 8
	s_addc_u32 s1, s1, 0
	s_add_i32 s4, s4, -1
	v_add_u32_e32 v3, v1, v3
	v_lshrrev_b32_e32 v4, s5, v3
	v_mul_lo_u32 v3, v4, s6
	s_cmp_lg_u32 s4, 0
	v_sub_u32_e32 v3, v1, v3
	v_mad_u64_u32 v[0:1], s[6:7], v3, s8, v[0:1]
	v_mad_u64_u32 v[2:3], s[6:7], v3, s9, v[2:3]
	v_mov_b32_e32 v1, v4
	s_cbranch_scc1 .LBB53_161
.LBB53_162:
	s_cbranch_execnz .LBB53_165
.LBB53_163:
	s_waitcnt lgkmcnt(0)
	v_mul_hi_u32 v0, s25, v15
	s_andn2_b64 vcc, exec, s[44:45]
	v_add_u32_e32 v0, v15, v0
	v_lshrrev_b32_e32 v1, s26, v0
	v_mul_lo_u32 v0, v1, s24
	v_sub_u32_e32 v2, v15, v0
	v_mul_lo_u32 v0, v2, s20
	v_mul_lo_u32 v2, v2, s21
	s_cbranch_vccnz .LBB53_165
; %bb.164:
	v_mul_hi_u32 v3, s42, v1
	v_add_u32_e32 v3, v1, v3
	v_lshrrev_b32_e32 v3, s43, v3
	v_mul_lo_u32 v3, v3, s27
	v_sub_u32_e32 v3, v1, v3
	v_mad_u64_u32 v[0:1], s[0:1], v3, s22, v[0:1]
	v_mad_u64_u32 v[2:3], s[0:1], v3, s23, v[2:3]
.LBB53_165:
	s_waitcnt lgkmcnt(0)
	global_load_dwordx2 v[1:2], v2, s[18:19]
	s_cmp_lt_i32 s57, 1
	s_mov_b64 s[0:1], 0
	s_cbranch_scc1 .LBB53_169
; %bb.166:
	s_cmp_gt_i32 s57, 1
	s_cbranch_scc0 .LBB53_170
; %bb.167:
	s_cmp_eq_u32 s57, 2
	s_cbranch_scc0 .LBB53_475
; %bb.168:
	s_waitcnt vmcnt(0)
	v_cmp_ge_i64_e64 s[2:3], s[40:41], v[1:2]
	s_mov_b64 s[4:5], 0
	s_branch .LBB53_172
.LBB53_169:
                                        ; implicit-def: $sgpr2_sgpr3
	s_mov_b64 s[4:5], 0
	s_cbranch_execnz .LBB53_173
	s_branch .LBB53_174
.LBB53_170:
	s_mov_b64 s[4:5], 0
                                        ; implicit-def: $sgpr2_sgpr3
	s_cbranch_execz .LBB53_172
; %bb.171:
	s_waitcnt vmcnt(0)
	v_cmp_lt_i64_e32 vcc, s[40:41], v[1:2]
	s_andn2_b64 s[2:3], s[2:3], exec
	s_and_b64 s[6:7], vcc, exec
	s_or_b64 s[2:3], s[2:3], s[6:7]
.LBB53_172:
	s_branch .LBB53_174
.LBB53_173:
	s_cmp_lg_u32 s57, 0
	s_mov_b64 s[0:1], -1
	s_cselect_b64 s[4:5], -1, 0
.LBB53_174:
	s_andn2_b64 vcc, exec, s[4:5]
	s_cbranch_vccz .LBB53_183
; %bb.175:
	s_andn2_b64 vcc, exec, s[0:1]
	s_cbranch_vccnz .LBB53_177
.LBB53_176:
	s_waitcnt vmcnt(0)
	v_cmp_le_i64_e32 vcc, s[40:41], v[1:2]
	s_andn2_b64 s[0:1], s[2:3], exec
	s_and_b64 s[2:3], vcc, exec
	s_or_b64 s[2:3], s[0:1], s[2:3]
.LBB53_177:
	s_waitcnt vmcnt(0)
	v_cndmask_b32_e64 v1, 0, 1, s[2:3]
	v_add_u32_e32 v15, 0x80, v15
	global_store_byte v0, v1, s[16:17]
	s_or_b64 exec, exec, s[50:51]
	v_cmp_gt_i32_e32 vcc, s58, v15
	s_and_saveexec_b64 s[50:51], vcc
	s_cbranch_execz .LBB53_8
.LBB53_178:
	s_andn2_b64 vcc, exec, s[36:37]
	s_cbranch_vccnz .LBB53_184
; %bb.179:
	s_andn2_b64 vcc, exec, s[48:49]
	s_cbranch_vccnz .LBB53_185
; %bb.180:
	s_add_i32 s61, s59, 1
	s_cmp_eq_u32 s56, 2
	s_cbranch_scc1 .LBB53_186
; %bb.181:
	s_and_b32 s60, s61, 28
	v_mov_b32_e32 v2, 0
	s_mov_b32 s62, 0
	s_mov_b64 s[52:53], s[34:35]
	s_mov_b64 s[54:55], s[46:47]
	v_mov_b32_e32 v0, 0
	v_mov_b32_e32 v1, v15
.LBB53_182:                             ; =>This Inner Loop Header: Depth=1
	s_load_dwordx8 s[8:15], s[52:53], 0x4
	s_load_dwordx4 s[28:31], s[52:53], 0x24
	s_load_dwordx8 s[0:7], s[54:55], 0x0
	s_add_u32 s52, s52, 48
	s_addc_u32 s53, s53, 0
	s_waitcnt lgkmcnt(0)
	v_mul_hi_u32 v3, s9, v1
	s_add_i32 s62, s62, 4
	s_add_u32 s54, s54, 32
	s_addc_u32 s55, s55, 0
	v_add_u32_e32 v3, v1, v3
	v_lshrrev_b32_e32 v3, s10, v3
	v_mul_lo_u32 v4, v3, s8
	v_mul_hi_u32 v5, s12, v3
	s_cmp_eq_u32 s60, s62
	v_sub_u32_e32 v1, v1, v4
	v_add_u32_e32 v4, v3, v5
	v_mul_lo_u32 v5, v1, s0
	v_mul_lo_u32 v6, v1, s1
	v_lshrrev_b32_e32 v1, s13, v4
	v_mul_lo_u32 v4, v1, s11
	v_mul_hi_u32 v7, s15, v1
	v_sub_u32_e32 v3, v3, v4
	v_add_u32_e32 v4, v1, v7
	v_lshrrev_b32_e32 v4, s28, v4
	v_mul_hi_u32 v8, s30, v4
	v_mul_lo_u32 v9, v4, s14
	v_mul_lo_u32 v7, v3, s2
	v_mul_lo_u32 v3, v3, s3
	v_sub_u32_e32 v9, v1, v9
	v_add_u32_e32 v1, v4, v8
	v_lshrrev_b32_e32 v1, s31, v1
	v_mul_lo_u32 v8, v1, s29
	v_mul_lo_u32 v10, v9, s4
	;; [unrolled: 1-line block ×3, first 2 shown]
	v_add3_u32 v0, v5, v0, v7
	v_sub_u32_e32 v4, v4, v8
	v_mul_lo_u32 v8, v4, s6
	v_mul_lo_u32 v4, v4, s7
	v_add3_u32 v2, v6, v2, v3
	v_add3_u32 v0, v10, v0, v8
	;; [unrolled: 1-line block ×3, first 2 shown]
	s_cbranch_scc0 .LBB53_182
	s_branch .LBB53_187
.LBB53_183:
	s_waitcnt vmcnt(0)
	v_cmp_gt_i64_e32 vcc, s[40:41], v[1:2]
	s_andn2_b64 s[2:3], s[2:3], exec
	s_and_b64 s[4:5], vcc, exec
	s_or_b64 s[2:3], s[2:3], s[4:5]
	s_cbranch_execz .LBB53_176
	s_branch .LBB53_177
.LBB53_184:
                                        ; implicit-def: $vgpr0
                                        ; implicit-def: $vgpr2
	s_branch .LBB53_191
.LBB53_185:
	v_mov_b32_e32 v0, 0
	v_mov_b32_e32 v2, 0
	s_branch .LBB53_190
.LBB53_186:
	s_mov_b32 s60, 0
	v_mov_b32_e32 v0, 0
	v_mov_b32_e32 v2, 0
	;; [unrolled: 1-line block ×3, first 2 shown]
.LBB53_187:
	s_and_b32 s4, s61, 3
	s_cmp_eq_u32 s4, 0
	s_cbranch_scc1 .LBB53_190
; %bb.188:
	s_lshl_b32 s0, s60, 3
	s_add_u32 s0, s34, s0
	s_addc_u32 s1, s35, 0
	s_add_u32 s0, s0, 0xc4
	s_addc_u32 s1, s1, 0
	s_mul_i32 s2, s60, 12
	s_add_u32 s2, s34, s2
	s_addc_u32 s3, s35, 0
.LBB53_189:                             ; =>This Inner Loop Header: Depth=1
	s_load_dwordx2 s[6:7], s[2:3], 0x4
	s_load_dword s5, s[2:3], 0xc
	s_load_dwordx2 s[8:9], s[0:1], 0x0
	s_add_u32 s2, s2, 12
	s_addc_u32 s3, s3, 0
	s_waitcnt lgkmcnt(0)
	v_mul_hi_u32 v3, s7, v1
	s_add_u32 s0, s0, 8
	s_addc_u32 s1, s1, 0
	s_add_i32 s4, s4, -1
	v_add_u32_e32 v3, v1, v3
	v_lshrrev_b32_e32 v4, s5, v3
	v_mul_lo_u32 v3, v4, s6
	s_cmp_lg_u32 s4, 0
	v_sub_u32_e32 v3, v1, v3
	v_mad_u64_u32 v[0:1], s[6:7], v3, s8, v[0:1]
	v_mad_u64_u32 v[2:3], s[6:7], v3, s9, v[2:3]
	v_mov_b32_e32 v1, v4
	s_cbranch_scc1 .LBB53_189
.LBB53_190:
	s_cbranch_execnz .LBB53_193
.LBB53_191:
	s_waitcnt lgkmcnt(0)
	v_mul_hi_u32 v0, s25, v15
	s_andn2_b64 vcc, exec, s[44:45]
	v_add_u32_e32 v0, v15, v0
	v_lshrrev_b32_e32 v1, s26, v0
	v_mul_lo_u32 v0, v1, s24
	v_sub_u32_e32 v2, v15, v0
	v_mul_lo_u32 v0, v2, s20
	v_mul_lo_u32 v2, v2, s21
	s_cbranch_vccnz .LBB53_193
; %bb.192:
	v_mul_hi_u32 v3, s42, v1
	v_add_u32_e32 v3, v1, v3
	v_lshrrev_b32_e32 v3, s43, v3
	v_mul_lo_u32 v3, v3, s27
	v_sub_u32_e32 v3, v1, v3
	v_mad_u64_u32 v[0:1], s[0:1], v3, s22, v[0:1]
	v_mad_u64_u32 v[2:3], s[0:1], v3, s23, v[2:3]
.LBB53_193:
	s_waitcnt lgkmcnt(0)
	global_load_dwordx2 v[1:2], v2, s[18:19]
	s_cmp_lt_i32 s57, 1
	s_mov_b64 s[0:1], 0
	s_cbranch_scc1 .LBB53_197
; %bb.194:
	s_cmp_gt_i32 s57, 1
	s_cbranch_scc0 .LBB53_198
; %bb.195:
	s_cmp_eq_u32 s57, 2
	s_cbranch_scc0 .LBB53_476
; %bb.196:
	s_waitcnt vmcnt(0)
	v_cmp_ge_i64_e64 s[2:3], s[40:41], v[1:2]
	s_mov_b64 s[4:5], 0
	s_branch .LBB53_200
.LBB53_197:
                                        ; implicit-def: $sgpr2_sgpr3
	s_mov_b64 s[4:5], 0
	s_cbranch_execnz .LBB53_201
	s_branch .LBB53_202
.LBB53_198:
	s_mov_b64 s[4:5], 0
                                        ; implicit-def: $sgpr2_sgpr3
	s_cbranch_execz .LBB53_200
; %bb.199:
	s_waitcnt vmcnt(0)
	v_cmp_lt_i64_e32 vcc, s[40:41], v[1:2]
	s_andn2_b64 s[2:3], s[2:3], exec
	s_and_b64 s[6:7], vcc, exec
	s_or_b64 s[2:3], s[2:3], s[6:7]
.LBB53_200:
	s_branch .LBB53_202
.LBB53_201:
	s_cmp_lg_u32 s57, 0
	s_mov_b64 s[0:1], -1
	s_cselect_b64 s[4:5], -1, 0
.LBB53_202:
	s_andn2_b64 vcc, exec, s[4:5]
	s_cbranch_vccz .LBB53_211
; %bb.203:
	s_andn2_b64 vcc, exec, s[0:1]
	s_cbranch_vccnz .LBB53_205
.LBB53_204:
	s_waitcnt vmcnt(0)
	v_cmp_le_i64_e32 vcc, s[40:41], v[1:2]
	s_andn2_b64 s[0:1], s[2:3], exec
	s_and_b64 s[2:3], vcc, exec
	s_or_b64 s[2:3], s[0:1], s[2:3]
.LBB53_205:
	s_waitcnt vmcnt(0)
	v_cndmask_b32_e64 v1, 0, 1, s[2:3]
	v_add_u32_e32 v15, 0x80, v15
	global_store_byte v0, v1, s[16:17]
	s_or_b64 exec, exec, s[50:51]
	v_cmp_gt_i32_e32 vcc, s58, v15
	s_and_saveexec_b64 s[50:51], vcc
	s_cbranch_execz .LBB53_234
.LBB53_206:
	s_andn2_b64 vcc, exec, s[36:37]
	s_cbranch_vccnz .LBB53_212
; %bb.207:
	s_andn2_b64 vcc, exec, s[48:49]
	s_cbranch_vccnz .LBB53_213
; %bb.208:
	s_add_i32 s59, s59, 1
	s_cmp_eq_u32 s56, 2
	s_cbranch_scc1 .LBB53_214
; %bb.209:
	s_and_b32 s52, s59, 28
	v_mov_b32_e32 v2, 0
	s_mov_b32 s53, 0
	s_mov_b64 s[48:49], s[34:35]
	v_mov_b32_e32 v0, 0
	v_mov_b32_e32 v1, v15
.LBB53_210:                             ; =>This Inner Loop Header: Depth=1
	s_load_dwordx8 s[8:15], s[48:49], 0x4
	s_load_dwordx4 s[28:31], s[48:49], 0x24
	s_load_dwordx8 s[0:7], s[46:47], 0x0
	s_add_u32 s48, s48, 48
	s_addc_u32 s49, s49, 0
	s_waitcnt lgkmcnt(0)
	v_mul_hi_u32 v3, s9, v1
	s_add_i32 s53, s53, 4
	s_add_u32 s46, s46, 32
	s_addc_u32 s47, s47, 0
	v_add_u32_e32 v3, v1, v3
	v_lshrrev_b32_e32 v3, s10, v3
	v_mul_lo_u32 v4, v3, s8
	v_mul_hi_u32 v5, s12, v3
	s_cmp_eq_u32 s52, s53
	v_sub_u32_e32 v1, v1, v4
	v_add_u32_e32 v4, v3, v5
	v_mul_lo_u32 v5, v1, s0
	v_mul_lo_u32 v6, v1, s1
	v_lshrrev_b32_e32 v1, s13, v4
	v_mul_lo_u32 v4, v1, s11
	v_mul_hi_u32 v7, s15, v1
	v_sub_u32_e32 v3, v3, v4
	v_add_u32_e32 v4, v1, v7
	v_lshrrev_b32_e32 v4, s28, v4
	v_mul_hi_u32 v8, s30, v4
	v_mul_lo_u32 v9, v4, s14
	v_mul_lo_u32 v7, v3, s2
	;; [unrolled: 1-line block ×3, first 2 shown]
	v_sub_u32_e32 v9, v1, v9
	v_add_u32_e32 v1, v4, v8
	v_lshrrev_b32_e32 v1, s31, v1
	v_mul_lo_u32 v8, v1, s29
	v_mul_lo_u32 v10, v9, s4
	;; [unrolled: 1-line block ×3, first 2 shown]
	v_add3_u32 v0, v5, v0, v7
	v_sub_u32_e32 v4, v4, v8
	v_mul_lo_u32 v8, v4, s6
	v_mul_lo_u32 v4, v4, s7
	v_add3_u32 v2, v6, v2, v3
	v_add3_u32 v0, v10, v0, v8
	;; [unrolled: 1-line block ×3, first 2 shown]
	s_cbranch_scc0 .LBB53_210
	s_branch .LBB53_215
.LBB53_211:
	s_waitcnt vmcnt(0)
	v_cmp_gt_i64_e32 vcc, s[40:41], v[1:2]
	s_andn2_b64 s[2:3], s[2:3], exec
	s_and_b64 s[4:5], vcc, exec
	s_or_b64 s[2:3], s[2:3], s[4:5]
	s_cbranch_execz .LBB53_204
	s_branch .LBB53_205
.LBB53_212:
                                        ; implicit-def: $vgpr0
                                        ; implicit-def: $vgpr2
	s_branch .LBB53_219
.LBB53_213:
	v_mov_b32_e32 v0, 0
	v_mov_b32_e32 v2, 0
	s_branch .LBB53_218
.LBB53_214:
	s_mov_b32 s52, 0
	v_mov_b32_e32 v0, 0
	v_mov_b32_e32 v2, 0
	;; [unrolled: 1-line block ×3, first 2 shown]
.LBB53_215:
	s_and_b32 s4, s59, 3
	s_cmp_eq_u32 s4, 0
	s_cbranch_scc1 .LBB53_218
; %bb.216:
	s_lshl_b32 s0, s52, 3
	s_add_u32 s0, s34, s0
	s_addc_u32 s1, s35, 0
	s_add_u32 s0, s0, 0xc4
	s_addc_u32 s1, s1, 0
	s_mul_i32 s2, s52, 12
	s_add_u32 s2, s34, s2
	s_addc_u32 s3, s35, 0
.LBB53_217:                             ; =>This Inner Loop Header: Depth=1
	s_load_dwordx2 s[6:7], s[2:3], 0x4
	s_load_dword s5, s[2:3], 0xc
	s_load_dwordx2 s[8:9], s[0:1], 0x0
	s_add_u32 s2, s2, 12
	s_addc_u32 s3, s3, 0
	s_waitcnt lgkmcnt(0)
	v_mul_hi_u32 v3, s7, v1
	s_add_u32 s0, s0, 8
	s_addc_u32 s1, s1, 0
	s_add_i32 s4, s4, -1
	v_add_u32_e32 v3, v1, v3
	v_lshrrev_b32_e32 v4, s5, v3
	v_mul_lo_u32 v3, v4, s6
	s_cmp_lg_u32 s4, 0
	v_sub_u32_e32 v3, v1, v3
	v_mad_u64_u32 v[0:1], s[6:7], v3, s8, v[0:1]
	v_mad_u64_u32 v[2:3], s[6:7], v3, s9, v[2:3]
	v_mov_b32_e32 v1, v4
	s_cbranch_scc1 .LBB53_217
.LBB53_218:
	s_cbranch_execnz .LBB53_221
.LBB53_219:
	s_waitcnt lgkmcnt(0)
	v_mul_hi_u32 v0, s25, v15
	s_andn2_b64 vcc, exec, s[44:45]
	v_add_u32_e32 v0, v15, v0
	v_lshrrev_b32_e32 v1, s26, v0
	v_mul_lo_u32 v0, v1, s24
	v_sub_u32_e32 v2, v15, v0
	v_mul_lo_u32 v0, v2, s20
	v_mul_lo_u32 v2, v2, s21
	s_cbranch_vccnz .LBB53_221
; %bb.220:
	v_mul_hi_u32 v3, s42, v1
	v_add_u32_e32 v3, v1, v3
	v_lshrrev_b32_e32 v3, s43, v3
	v_mul_lo_u32 v3, v3, s27
	v_sub_u32_e32 v3, v1, v3
	v_mad_u64_u32 v[0:1], s[0:1], v3, s22, v[0:1]
	v_mad_u64_u32 v[2:3], s[0:1], v3, s23, v[2:3]
.LBB53_221:
	s_waitcnt lgkmcnt(0)
	global_load_dwordx2 v[1:2], v2, s[18:19]
	s_cmp_lt_i32 s57, 1
	s_mov_b64 s[0:1], 0
	s_cbranch_scc1 .LBB53_225
; %bb.222:
	s_cmp_gt_i32 s57, 1
	s_cbranch_scc0 .LBB53_226
; %bb.223:
	s_cmp_eq_u32 s57, 2
	s_cbranch_scc0 .LBB53_477
; %bb.224:
	s_waitcnt vmcnt(0)
	v_cmp_ge_i64_e64 s[2:3], s[40:41], v[1:2]
	s_mov_b64 s[4:5], 0
	s_branch .LBB53_228
.LBB53_225:
                                        ; implicit-def: $sgpr2_sgpr3
	s_mov_b64 s[4:5], 0
	s_cbranch_execnz .LBB53_229
	s_branch .LBB53_230
.LBB53_226:
	s_mov_b64 s[4:5], 0
                                        ; implicit-def: $sgpr2_sgpr3
	s_cbranch_execz .LBB53_228
; %bb.227:
	s_waitcnt vmcnt(0)
	v_cmp_lt_i64_e32 vcc, s[40:41], v[1:2]
	s_andn2_b64 s[2:3], s[2:3], exec
	s_and_b64 s[6:7], vcc, exec
	s_or_b64 s[2:3], s[2:3], s[6:7]
.LBB53_228:
	s_branch .LBB53_230
.LBB53_229:
	s_cmp_lg_u32 s57, 0
	s_mov_b64 s[0:1], -1
	s_cselect_b64 s[4:5], -1, 0
.LBB53_230:
	s_andn2_b64 vcc, exec, s[4:5]
	s_cbranch_vccz .LBB53_244
; %bb.231:
	s_andn2_b64 vcc, exec, s[0:1]
	s_cbranch_vccnz .LBB53_233
.LBB53_232:
	s_waitcnt vmcnt(0)
	v_cmp_le_i64_e32 vcc, s[40:41], v[1:2]
	s_andn2_b64 s[0:1], s[2:3], exec
	s_and_b64 s[2:3], vcc, exec
	s_or_b64 s[2:3], s[0:1], s[2:3]
.LBB53_233:
	s_waitcnt vmcnt(0)
	v_cndmask_b32_e64 v1, 0, 1, s[2:3]
	global_store_byte v0, v1, s[16:17]
.LBB53_234:
	s_or_b64 exec, exec, s[50:51]
                                        ; implicit-def: $vgpr22
                                        ; implicit-def: $vgpr15
.LBB53_235:
	s_andn2_saveexec_b64 s[0:1], s[38:39]
	s_cbranch_execz .LBB53_242
; %bb.236:
	v_cndmask_b32_e64 v0, 0, 1, s[36:37]
	v_cmp_ne_u32_e64 s[0:1], 1, v0
	s_andn2_b64 vcc, exec, s[36:37]
	s_cbranch_vccnz .LBB53_243
; %bb.237:
	s_cmp_lg_u32 s33, 0
	s_waitcnt lgkmcnt(0)
	s_mov_b32 s26, 0
	s_cbranch_scc0 .LBB53_245
; %bb.238:
	s_min_u32 s27, s56, 15
	s_add_i32 s27, s27, 1
	s_cmp_eq_u32 s56, 2
	s_cbranch_scc1 .LBB53_246
; %bb.239:
	s_and_b32 s26, s27, 28
	s_add_u32 s2, s34, 0xc4
	s_addc_u32 s3, s35, 0
	v_mov_b32_e32 v5, 0
	s_mov_b32 s28, 0
	s_mov_b64 s[24:25], s[34:35]
	v_mov_b32_e32 v0, 0
	v_mov_b32_e32 v1, v15
.LBB53_240:                             ; =>This Inner Loop Header: Depth=1
	s_load_dwordx8 s[12:19], s[24:25], 0x4
	s_load_dwordx4 s[20:23], s[24:25], 0x24
	s_load_dwordx8 s[4:11], s[2:3], 0x0
	s_add_u32 s24, s24, 48
	s_addc_u32 s25, s25, 0
	s_waitcnt lgkmcnt(0)
	v_mul_hi_u32 v2, s13, v1
	s_add_i32 s28, s28, 4
	s_add_u32 s2, s2, 32
	s_addc_u32 s3, s3, 0
	v_add_u32_e32 v2, v1, v2
	v_lshrrev_b32_e32 v2, s14, v2
	v_mul_lo_u32 v3, v2, s12
	v_mul_hi_u32 v4, s16, v2
	s_cmp_lg_u32 s26, s28
	v_sub_u32_e32 v1, v1, v3
	v_add_u32_e32 v3, v2, v4
	v_mul_lo_u32 v4, v1, s4
	v_mul_lo_u32 v6, v1, s5
	v_lshrrev_b32_e32 v1, s17, v3
	v_mul_lo_u32 v3, v1, s15
	v_mul_hi_u32 v7, s19, v1
	v_sub_u32_e32 v2, v2, v3
	v_add_u32_e32 v3, v1, v7
	v_lshrrev_b32_e32 v3, s20, v3
	v_mul_hi_u32 v8, s22, v3
	v_mul_lo_u32 v9, v3, s18
	v_mul_lo_u32 v7, v2, s6
	v_mul_lo_u32 v2, v2, s7
	v_sub_u32_e32 v9, v1, v9
	v_add_u32_e32 v1, v3, v8
	v_lshrrev_b32_e32 v1, s23, v1
	v_mul_lo_u32 v8, v1, s21
	v_mul_lo_u32 v10, v9, s8
	;; [unrolled: 1-line block ×3, first 2 shown]
	v_add3_u32 v0, v4, v0, v7
	v_sub_u32_e32 v3, v3, v8
	v_mul_lo_u32 v8, v3, s10
	v_mul_lo_u32 v3, v3, s11
	v_add3_u32 v2, v6, v5, v2
	v_add3_u32 v0, v10, v0, v8
	;; [unrolled: 1-line block ×3, first 2 shown]
	s_cbranch_scc1 .LBB53_240
; %bb.241:
	s_and_b32 s6, s27, 3
	s_cmp_eq_u32 s6, 0
	s_cbranch_scc0 .LBB53_247
	s_branch .LBB53_249
.LBB53_242:
	s_endpgm
.LBB53_243:
                                        ; implicit-def: $vgpr0
                                        ; implicit-def: $vgpr5
	s_branch .LBB53_250
.LBB53_244:
	s_waitcnt vmcnt(0)
	v_cmp_gt_i64_e32 vcc, s[40:41], v[1:2]
	s_andn2_b64 s[2:3], s[2:3], exec
	s_and_b64 s[4:5], vcc, exec
	s_or_b64 s[2:3], s[2:3], s[4:5]
	s_cbranch_execz .LBB53_232
	s_branch .LBB53_233
.LBB53_245:
	v_mov_b32_e32 v0, 0
	v_mov_b32_e32 v5, 0
	s_branch .LBB53_249
.LBB53_246:
	v_mov_b32_e32 v0, 0
	v_mov_b32_e32 v5, 0
	v_mov_b32_e32 v1, v15
	s_and_b32 s6, s27, 3
	s_cmp_eq_u32 s6, 0
	s_cbranch_scc1 .LBB53_249
.LBB53_247:
	s_lshl_b32 s2, s26, 3
	s_add_u32 s2, s34, s2
	s_addc_u32 s3, s35, 0
	s_add_u32 s2, s2, 0xc4
	s_addc_u32 s3, s3, 0
	s_mul_i32 s4, s26, 12
	s_add_u32 s4, s34, s4
	s_addc_u32 s5, s35, 0
.LBB53_248:                             ; =>This Inner Loop Header: Depth=1
	s_load_dwordx2 s[8:9], s[4:5], 0x4
	s_load_dword s7, s[4:5], 0xc
	s_load_dwordx2 s[10:11], s[2:3], 0x0
	s_add_u32 s4, s4, 12
	s_addc_u32 s5, s5, 0
	s_waitcnt lgkmcnt(0)
	v_mul_hi_u32 v2, s9, v1
	s_add_u32 s2, s2, 8
	s_addc_u32 s3, s3, 0
	s_add_i32 s6, s6, -1
	v_add_u32_e32 v2, v1, v2
	v_lshrrev_b32_e32 v2, s7, v2
	v_mul_lo_u32 v3, v2, s8
	s_cmp_lg_u32 s6, 0
	v_sub_u32_e32 v3, v1, v3
	v_mad_u64_u32 v[0:1], s[8:9], v3, s10, v[0:1]
	v_mad_u64_u32 v[5:6], s[8:9], v3, s11, v[5:6]
	v_mov_b32_e32 v1, v2
	s_cbranch_scc1 .LBB53_248
.LBB53_249:
	s_cbranch_execnz .LBB53_252
.LBB53_250:
	s_load_dwordx4 s[4:7], s[34:35], 0x4
	s_load_dwordx2 s[2:3], s[34:35], 0xc4
	s_cmp_lt_u32 s33, 2
	s_waitcnt lgkmcnt(0)
	v_mul_hi_u32 v0, s5, v15
	v_add_u32_e32 v0, v15, v0
	v_lshrrev_b32_e32 v1, s6, v0
	v_mul_lo_u32 v0, v1, s4
	v_sub_u32_e32 v2, v15, v0
	v_mul_lo_u32 v0, v2, s2
	v_mul_lo_u32 v5, v2, s3
	s_cbranch_scc1 .LBB53_252
; %bb.251:
	s_load_dwordx4 s[4:7], s[34:35], 0x10
	s_load_dwordx2 s[2:3], s[34:35], 0xcc
	s_waitcnt lgkmcnt(0)
	v_mul_hi_u32 v2, s5, v1
	v_add_u32_e32 v2, v1, v2
	v_lshrrev_b32_e32 v2, s6, v2
	v_mul_lo_u32 v2, v2, s4
	v_sub_u32_e32 v2, v1, v2
	v_mad_u64_u32 v[0:1], s[4:5], v2, s2, v[0:1]
	v_mad_u64_u32 v[5:6], s[2:3], v2, s3, v[5:6]
.LBB53_252:
	s_and_b64 vcc, exec, s[0:1]
	v_add_u32_e32 v3, 0x80, v15
	s_cbranch_vccnz .LBB53_258
; %bb.253:
	s_cmp_lg_u32 s33, 0
	s_waitcnt lgkmcnt(0)
	s_mov_b32 s26, 0
	s_cbranch_scc0 .LBB53_259
; %bb.254:
	s_min_u32 s27, s56, 15
	s_add_i32 s27, s27, 1
	s_cmp_eq_u32 s56, 2
	s_cbranch_scc1 .LBB53_260
; %bb.255:
	s_and_b32 s26, s27, 28
	s_add_u32 s2, s34, 0xc4
	s_addc_u32 s3, s35, 0
	v_mov_b32_e32 v6, 0
	s_mov_b32 s28, 0
	s_mov_b64 s[24:25], s[34:35]
	v_mov_b32_e32 v1, 0
	v_mov_b32_e32 v2, v3
.LBB53_256:                             ; =>This Inner Loop Header: Depth=1
	s_load_dwordx8 s[12:19], s[24:25], 0x4
	s_load_dwordx4 s[20:23], s[24:25], 0x24
	s_load_dwordx8 s[4:11], s[2:3], 0x0
	s_add_u32 s24, s24, 48
	s_addc_u32 s25, s25, 0
	s_waitcnt lgkmcnt(0)
	v_mul_hi_u32 v4, s13, v2
	s_add_i32 s28, s28, 4
	s_add_u32 s2, s2, 32
	s_addc_u32 s3, s3, 0
	v_add_u32_e32 v4, v2, v4
	v_lshrrev_b32_e32 v4, s14, v4
	v_mul_lo_u32 v7, v4, s12
	v_mul_hi_u32 v8, s16, v4
	s_cmp_lg_u32 s26, s28
	v_sub_u32_e32 v2, v2, v7
	v_add_u32_e32 v7, v4, v8
	v_mul_lo_u32 v8, v2, s4
	v_mul_lo_u32 v9, v2, s5
	v_lshrrev_b32_e32 v2, s17, v7
	v_mul_lo_u32 v7, v2, s15
	v_mul_hi_u32 v10, s19, v2
	v_sub_u32_e32 v4, v4, v7
	v_add_u32_e32 v7, v2, v10
	v_lshrrev_b32_e32 v7, s20, v7
	v_mul_hi_u32 v11, s22, v7
	v_mul_lo_u32 v12, v7, s18
	v_mul_lo_u32 v10, v4, s6
	;; [unrolled: 1-line block ×3, first 2 shown]
	v_sub_u32_e32 v12, v2, v12
	v_add_u32_e32 v2, v7, v11
	v_lshrrev_b32_e32 v2, s23, v2
	v_mul_lo_u32 v11, v2, s21
	v_mul_lo_u32 v13, v12, s8
	;; [unrolled: 1-line block ×3, first 2 shown]
	v_add3_u32 v1, v8, v1, v10
	v_sub_u32_e32 v7, v7, v11
	v_mul_lo_u32 v11, v7, s10
	v_mul_lo_u32 v7, v7, s11
	v_add3_u32 v4, v9, v6, v4
	v_add3_u32 v1, v13, v1, v11
	;; [unrolled: 1-line block ×3, first 2 shown]
	s_cbranch_scc1 .LBB53_256
; %bb.257:
	s_and_b32 s6, s27, 3
	s_cmp_eq_u32 s6, 0
	s_cbranch_scc0 .LBB53_261
	s_branch .LBB53_263
.LBB53_258:
                                        ; implicit-def: $vgpr1
                                        ; implicit-def: $vgpr6
	s_branch .LBB53_264
.LBB53_259:
	v_mov_b32_e32 v1, 0
	v_mov_b32_e32 v6, 0
	s_branch .LBB53_263
.LBB53_260:
	v_mov_b32_e32 v1, 0
	v_mov_b32_e32 v6, 0
	;; [unrolled: 1-line block ×3, first 2 shown]
	s_and_b32 s6, s27, 3
	s_cmp_eq_u32 s6, 0
	s_cbranch_scc1 .LBB53_263
.LBB53_261:
	s_lshl_b32 s2, s26, 3
	s_add_u32 s2, s34, s2
	s_addc_u32 s3, s35, 0
	s_add_u32 s2, s2, 0xc4
	s_addc_u32 s3, s3, 0
	s_mul_i32 s4, s26, 12
	s_add_u32 s4, s34, s4
	s_addc_u32 s5, s35, 0
.LBB53_262:                             ; =>This Inner Loop Header: Depth=1
	s_load_dwordx2 s[8:9], s[4:5], 0x4
	s_load_dword s7, s[4:5], 0xc
	s_load_dwordx2 s[10:11], s[2:3], 0x0
	s_add_u32 s4, s4, 12
	s_addc_u32 s5, s5, 0
	s_waitcnt lgkmcnt(0)
	v_mul_hi_u32 v4, s9, v2
	s_add_u32 s2, s2, 8
	s_addc_u32 s3, s3, 0
	s_add_i32 s6, s6, -1
	v_add_u32_e32 v4, v2, v4
	v_lshrrev_b32_e32 v4, s7, v4
	v_mul_lo_u32 v7, v4, s8
	s_cmp_lg_u32 s6, 0
	v_sub_u32_e32 v7, v2, v7
	v_mad_u64_u32 v[1:2], s[8:9], v7, s10, v[1:2]
	v_mad_u64_u32 v[6:7], s[8:9], v7, s11, v[6:7]
	v_mov_b32_e32 v2, v4
	s_cbranch_scc1 .LBB53_262
.LBB53_263:
	s_cbranch_execnz .LBB53_266
.LBB53_264:
	s_load_dwordx4 s[4:7], s[34:35], 0x4
	s_load_dwordx2 s[2:3], s[34:35], 0xc4
	s_cmp_lt_u32 s33, 2
	s_waitcnt lgkmcnt(0)
	v_mul_hi_u32 v1, s5, v3
	v_add_u32_e32 v1, v3, v1
	v_lshrrev_b32_e32 v2, s6, v1
	v_mul_lo_u32 v1, v2, s4
	v_sub_u32_e32 v3, v3, v1
	v_mul_lo_u32 v1, v3, s2
	v_mul_lo_u32 v6, v3, s3
	s_cbranch_scc1 .LBB53_266
; %bb.265:
	s_load_dwordx4 s[4:7], s[34:35], 0x10
	s_load_dwordx2 s[2:3], s[34:35], 0xcc
	s_waitcnt lgkmcnt(0)
	v_mul_hi_u32 v3, s5, v2
	v_add_u32_e32 v3, v2, v3
	v_lshrrev_b32_e32 v3, s6, v3
	v_mul_lo_u32 v3, v3, s4
	v_sub_u32_e32 v3, v2, v3
	v_mad_u64_u32 v[1:2], s[4:5], v3, s2, v[1:2]
	v_mad_u64_u32 v[6:7], s[2:3], v3, s3, v[6:7]
.LBB53_266:
	s_and_b64 vcc, exec, s[0:1]
	v_add_u32_e32 v4, 0x100, v15
	s_cbranch_vccnz .LBB53_272
; %bb.267:
	s_cmp_lg_u32 s33, 0
	s_waitcnt lgkmcnt(0)
	s_mov_b32 s26, 0
	s_cbranch_scc0 .LBB53_273
; %bb.268:
	s_min_u32 s27, s56, 15
	s_add_i32 s27, s27, 1
	s_cmp_eq_u32 s56, 2
	s_cbranch_scc1 .LBB53_274
; %bb.269:
	s_and_b32 s26, s27, 28
	s_add_u32 s2, s34, 0xc4
	s_addc_u32 s3, s35, 0
	v_mov_b32_e32 v9, 0
	s_mov_b32 s28, 0
	s_mov_b64 s[24:25], s[34:35]
	v_mov_b32_e32 v2, 0
	v_mov_b32_e32 v3, v4
.LBB53_270:                             ; =>This Inner Loop Header: Depth=1
	s_load_dwordx8 s[12:19], s[24:25], 0x4
	s_load_dwordx4 s[20:23], s[24:25], 0x24
	s_load_dwordx8 s[4:11], s[2:3], 0x0
	s_add_u32 s24, s24, 48
	s_addc_u32 s25, s25, 0
	s_waitcnt lgkmcnt(0)
	v_mul_hi_u32 v7, s13, v3
	s_add_i32 s28, s28, 4
	s_add_u32 s2, s2, 32
	s_addc_u32 s3, s3, 0
	v_add_u32_e32 v7, v3, v7
	v_lshrrev_b32_e32 v7, s14, v7
	v_mul_lo_u32 v8, v7, s12
	v_mul_hi_u32 v10, s16, v7
	s_cmp_lg_u32 s26, s28
	v_sub_u32_e32 v3, v3, v8
	v_add_u32_e32 v8, v7, v10
	v_mul_lo_u32 v10, v3, s4
	v_mul_lo_u32 v11, v3, s5
	v_lshrrev_b32_e32 v3, s17, v8
	v_mul_lo_u32 v8, v3, s15
	v_mul_hi_u32 v12, s19, v3
	v_sub_u32_e32 v7, v7, v8
	v_add_u32_e32 v8, v3, v12
	v_lshrrev_b32_e32 v8, s20, v8
	v_mul_hi_u32 v13, s22, v8
	v_mul_lo_u32 v14, v8, s18
	v_mul_lo_u32 v12, v7, s6
	;; [unrolled: 1-line block ×3, first 2 shown]
	v_sub_u32_e32 v14, v3, v14
	v_add_u32_e32 v3, v8, v13
	v_lshrrev_b32_e32 v3, s23, v3
	v_mul_lo_u32 v13, v3, s21
	v_mul_lo_u32 v16, v14, s8
	;; [unrolled: 1-line block ×3, first 2 shown]
	v_add3_u32 v2, v10, v2, v12
	v_sub_u32_e32 v8, v8, v13
	v_mul_lo_u32 v13, v8, s10
	v_mul_lo_u32 v8, v8, s11
	v_add3_u32 v7, v11, v9, v7
	v_add3_u32 v2, v16, v2, v13
	;; [unrolled: 1-line block ×3, first 2 shown]
	s_cbranch_scc1 .LBB53_270
; %bb.271:
	s_and_b32 s6, s27, 3
	s_cmp_eq_u32 s6, 0
	s_cbranch_scc0 .LBB53_275
	s_branch .LBB53_277
.LBB53_272:
                                        ; implicit-def: $vgpr2
                                        ; implicit-def: $vgpr9
	s_branch .LBB53_278
.LBB53_273:
	v_mov_b32_e32 v2, 0
	v_mov_b32_e32 v9, 0
	s_branch .LBB53_277
.LBB53_274:
	v_mov_b32_e32 v2, 0
	v_mov_b32_e32 v9, 0
	;; [unrolled: 1-line block ×3, first 2 shown]
	s_and_b32 s6, s27, 3
	s_cmp_eq_u32 s6, 0
	s_cbranch_scc1 .LBB53_277
.LBB53_275:
	s_lshl_b32 s2, s26, 3
	s_add_u32 s2, s34, s2
	s_addc_u32 s3, s35, 0
	s_add_u32 s2, s2, 0xc4
	s_addc_u32 s3, s3, 0
	s_mul_i32 s4, s26, 12
	s_add_u32 s4, s34, s4
	s_addc_u32 s5, s35, 0
.LBB53_276:                             ; =>This Inner Loop Header: Depth=1
	s_load_dwordx2 s[8:9], s[4:5], 0x4
	s_load_dword s7, s[4:5], 0xc
	s_load_dwordx2 s[10:11], s[2:3], 0x0
	s_add_u32 s4, s4, 12
	s_addc_u32 s5, s5, 0
	s_waitcnt lgkmcnt(0)
	v_mul_hi_u32 v7, s9, v3
	s_add_u32 s2, s2, 8
	s_addc_u32 s3, s3, 0
	s_add_i32 s6, s6, -1
	v_add_u32_e32 v7, v3, v7
	v_lshrrev_b32_e32 v7, s7, v7
	v_mul_lo_u32 v8, v7, s8
	s_cmp_lg_u32 s6, 0
	v_sub_u32_e32 v8, v3, v8
	v_mad_u64_u32 v[2:3], s[8:9], v8, s10, v[2:3]
	v_mad_u64_u32 v[9:10], s[8:9], v8, s11, v[9:10]
	v_mov_b32_e32 v3, v7
	s_cbranch_scc1 .LBB53_276
.LBB53_277:
	s_cbranch_execnz .LBB53_280
.LBB53_278:
	s_load_dwordx4 s[4:7], s[34:35], 0x4
	s_load_dwordx2 s[2:3], s[34:35], 0xc4
	s_cmp_lt_u32 s33, 2
	s_waitcnt lgkmcnt(0)
	v_mul_hi_u32 v2, s5, v4
	v_add_u32_e32 v2, v4, v2
	v_lshrrev_b32_e32 v3, s6, v2
	v_mul_lo_u32 v2, v3, s4
	v_sub_u32_e32 v4, v4, v2
	v_mul_lo_u32 v2, v4, s2
	v_mul_lo_u32 v9, v4, s3
	s_cbranch_scc1 .LBB53_280
; %bb.279:
	s_load_dwordx4 s[4:7], s[34:35], 0x10
	s_load_dwordx2 s[2:3], s[34:35], 0xcc
	s_waitcnt lgkmcnt(0)
	v_mul_hi_u32 v4, s5, v3
	v_add_u32_e32 v4, v3, v4
	v_lshrrev_b32_e32 v4, s6, v4
	v_mul_lo_u32 v4, v4, s4
	v_sub_u32_e32 v4, v3, v4
	v_mad_u64_u32 v[2:3], s[4:5], v4, s2, v[2:3]
	v_mad_u64_u32 v[9:10], s[2:3], v4, s3, v[9:10]
.LBB53_280:
	s_and_b64 vcc, exec, s[0:1]
	v_add_u32_e32 v7, 0x180, v15
	s_cbranch_vccnz .LBB53_286
; %bb.281:
	s_cmp_lg_u32 s33, 0
	s_waitcnt lgkmcnt(0)
	s_mov_b32 s26, 0
	s_cbranch_scc0 .LBB53_287
; %bb.282:
	s_min_u32 s27, s56, 15
	s_add_i32 s27, s27, 1
	s_cmp_eq_u32 s56, 2
	s_cbranch_scc1 .LBB53_288
; %bb.283:
	s_and_b32 s26, s27, 28
	s_add_u32 s2, s34, 0xc4
	s_addc_u32 s3, s35, 0
	v_mov_b32_e32 v12, 0
	s_mov_b32 s28, 0
	s_mov_b64 s[24:25], s[34:35]
	v_mov_b32_e32 v3, 0
	v_mov_b32_e32 v4, v7
.LBB53_284:                             ; =>This Inner Loop Header: Depth=1
	s_load_dwordx8 s[12:19], s[24:25], 0x4
	s_load_dwordx4 s[20:23], s[24:25], 0x24
	s_load_dwordx8 s[4:11], s[2:3], 0x0
	s_add_u32 s24, s24, 48
	s_addc_u32 s25, s25, 0
	s_waitcnt lgkmcnt(0)
	v_mul_hi_u32 v8, s13, v4
	s_add_i32 s28, s28, 4
	s_add_u32 s2, s2, 32
	s_addc_u32 s3, s3, 0
	v_add_u32_e32 v8, v4, v8
	v_lshrrev_b32_e32 v8, s14, v8
	v_mul_lo_u32 v10, v8, s12
	v_mul_hi_u32 v11, s16, v8
	s_cmp_lg_u32 s26, s28
	v_sub_u32_e32 v4, v4, v10
	v_add_u32_e32 v10, v8, v11
	v_mul_lo_u32 v11, v4, s4
	v_mul_lo_u32 v13, v4, s5
	v_lshrrev_b32_e32 v4, s17, v10
	v_mul_lo_u32 v10, v4, s15
	v_mul_hi_u32 v14, s19, v4
	v_sub_u32_e32 v8, v8, v10
	v_add_u32_e32 v10, v4, v14
	v_lshrrev_b32_e32 v10, s20, v10
	v_mul_hi_u32 v16, s22, v10
	v_mul_lo_u32 v17, v10, s18
	v_mul_lo_u32 v14, v8, s6
	;; [unrolled: 1-line block ×3, first 2 shown]
	v_sub_u32_e32 v17, v4, v17
	v_add_u32_e32 v4, v10, v16
	v_lshrrev_b32_e32 v4, s23, v4
	v_mul_lo_u32 v16, v4, s21
	v_mul_lo_u32 v18, v17, s8
	v_mul_lo_u32 v17, v17, s9
	v_add3_u32 v3, v11, v3, v14
	v_sub_u32_e32 v10, v10, v16
	v_mul_lo_u32 v16, v10, s10
	v_mul_lo_u32 v10, v10, s11
	v_add3_u32 v8, v13, v12, v8
	v_add3_u32 v3, v18, v3, v16
	;; [unrolled: 1-line block ×3, first 2 shown]
	s_cbranch_scc1 .LBB53_284
; %bb.285:
	s_and_b32 s6, s27, 3
	s_cmp_eq_u32 s6, 0
	s_cbranch_scc0 .LBB53_289
	s_branch .LBB53_291
.LBB53_286:
                                        ; implicit-def: $vgpr3
                                        ; implicit-def: $vgpr12
	s_branch .LBB53_292
.LBB53_287:
	v_mov_b32_e32 v3, 0
	v_mov_b32_e32 v12, 0
	s_branch .LBB53_291
.LBB53_288:
	v_mov_b32_e32 v3, 0
	v_mov_b32_e32 v12, 0
	;; [unrolled: 1-line block ×3, first 2 shown]
	s_and_b32 s6, s27, 3
	s_cmp_eq_u32 s6, 0
	s_cbranch_scc1 .LBB53_291
.LBB53_289:
	s_lshl_b32 s2, s26, 3
	s_add_u32 s2, s34, s2
	s_addc_u32 s3, s35, 0
	s_add_u32 s2, s2, 0xc4
	s_addc_u32 s3, s3, 0
	s_mul_i32 s4, s26, 12
	s_add_u32 s4, s34, s4
	s_addc_u32 s5, s35, 0
.LBB53_290:                             ; =>This Inner Loop Header: Depth=1
	s_load_dwordx2 s[8:9], s[4:5], 0x4
	s_load_dword s7, s[4:5], 0xc
	s_load_dwordx2 s[10:11], s[2:3], 0x0
	s_add_u32 s4, s4, 12
	s_addc_u32 s5, s5, 0
	s_waitcnt lgkmcnt(0)
	v_mul_hi_u32 v8, s9, v4
	s_add_u32 s2, s2, 8
	s_addc_u32 s3, s3, 0
	s_add_i32 s6, s6, -1
	v_add_u32_e32 v8, v4, v8
	v_lshrrev_b32_e32 v8, s7, v8
	v_mul_lo_u32 v10, v8, s8
	s_cmp_lg_u32 s6, 0
	v_sub_u32_e32 v10, v4, v10
	v_mad_u64_u32 v[3:4], s[8:9], v10, s10, v[3:4]
	v_mad_u64_u32 v[12:13], s[8:9], v10, s11, v[12:13]
	v_mov_b32_e32 v4, v8
	s_cbranch_scc1 .LBB53_290
.LBB53_291:
	s_cbranch_execnz .LBB53_294
.LBB53_292:
	s_load_dwordx4 s[4:7], s[34:35], 0x4
	s_load_dwordx2 s[2:3], s[34:35], 0xc4
	s_cmp_lt_u32 s33, 2
	s_waitcnt lgkmcnt(0)
	v_mul_hi_u32 v3, s5, v7
	v_add_u32_e32 v3, v7, v3
	v_lshrrev_b32_e32 v4, s6, v3
	v_mul_lo_u32 v3, v4, s4
	v_sub_u32_e32 v7, v7, v3
	v_mul_lo_u32 v3, v7, s2
	v_mul_lo_u32 v12, v7, s3
	s_cbranch_scc1 .LBB53_294
; %bb.293:
	s_load_dwordx4 s[4:7], s[34:35], 0x10
	s_load_dwordx2 s[2:3], s[34:35], 0xcc
	s_waitcnt lgkmcnt(0)
	v_mul_hi_u32 v7, s5, v4
	v_add_u32_e32 v7, v4, v7
	v_lshrrev_b32_e32 v7, s6, v7
	v_mul_lo_u32 v7, v7, s4
	v_sub_u32_e32 v7, v4, v7
	v_mad_u64_u32 v[3:4], s[4:5], v7, s2, v[3:4]
	v_mad_u64_u32 v[12:13], s[2:3], v7, s3, v[12:13]
.LBB53_294:
	s_and_b64 vcc, exec, s[0:1]
	v_add_u32_e32 v4, 0x200, v15
	s_cbranch_vccnz .LBB53_300
; %bb.295:
	s_cmp_lg_u32 s33, 0
	s_waitcnt lgkmcnt(0)
	s_mov_b32 s26, 0
	s_cbranch_scc0 .LBB53_301
; %bb.296:
	s_min_u32 s27, s56, 15
	s_add_i32 s27, s27, 1
	s_cmp_eq_u32 s56, 2
	s_cbranch_scc1 .LBB53_302
; %bb.297:
	s_and_b32 s26, s27, 28
	s_add_u32 s2, s34, 0xc4
	s_addc_u32 s3, s35, 0
	v_mov_b32_e32 v13, 0
	s_mov_b32 s28, 0
	s_mov_b64 s[24:25], s[34:35]
	v_mov_b32_e32 v7, 0
	v_mov_b32_e32 v8, v4
.LBB53_298:                             ; =>This Inner Loop Header: Depth=1
	s_load_dwordx8 s[12:19], s[24:25], 0x4
	s_load_dwordx4 s[20:23], s[24:25], 0x24
	s_load_dwordx8 s[4:11], s[2:3], 0x0
	s_add_u32 s24, s24, 48
	s_addc_u32 s25, s25, 0
	s_waitcnt lgkmcnt(0)
	v_mul_hi_u32 v10, s13, v8
	s_add_i32 s28, s28, 4
	s_add_u32 s2, s2, 32
	s_addc_u32 s3, s3, 0
	v_add_u32_e32 v10, v8, v10
	v_lshrrev_b32_e32 v10, s14, v10
	v_mul_lo_u32 v11, v10, s12
	v_mul_hi_u32 v14, s16, v10
	s_cmp_lg_u32 s26, s28
	v_sub_u32_e32 v8, v8, v11
	v_add_u32_e32 v11, v10, v14
	v_mul_lo_u32 v14, v8, s4
	v_mul_lo_u32 v16, v8, s5
	v_lshrrev_b32_e32 v8, s17, v11
	v_mul_lo_u32 v11, v8, s15
	v_mul_hi_u32 v17, s19, v8
	v_sub_u32_e32 v10, v10, v11
	v_add_u32_e32 v11, v8, v17
	v_lshrrev_b32_e32 v11, s20, v11
	v_mul_hi_u32 v18, s22, v11
	v_mul_lo_u32 v19, v11, s18
	v_mul_lo_u32 v17, v10, s6
	;; [unrolled: 1-line block ×3, first 2 shown]
	v_sub_u32_e32 v19, v8, v19
	v_add_u32_e32 v8, v11, v18
	v_lshrrev_b32_e32 v8, s23, v8
	v_mul_lo_u32 v18, v8, s21
	v_mul_lo_u32 v20, v19, s8
	;; [unrolled: 1-line block ×3, first 2 shown]
	v_add3_u32 v7, v14, v7, v17
	v_sub_u32_e32 v11, v11, v18
	v_mul_lo_u32 v18, v11, s10
	v_mul_lo_u32 v11, v11, s11
	v_add3_u32 v10, v16, v13, v10
	v_add3_u32 v7, v20, v7, v18
	;; [unrolled: 1-line block ×3, first 2 shown]
	s_cbranch_scc1 .LBB53_298
; %bb.299:
	s_and_b32 s6, s27, 3
	s_cmp_eq_u32 s6, 0
	s_cbranch_scc0 .LBB53_303
	s_branch .LBB53_305
.LBB53_300:
                                        ; implicit-def: $vgpr7
                                        ; implicit-def: $vgpr13
	s_branch .LBB53_306
.LBB53_301:
	v_mov_b32_e32 v7, 0
	v_mov_b32_e32 v13, 0
	s_branch .LBB53_305
.LBB53_302:
	v_mov_b32_e32 v7, 0
	v_mov_b32_e32 v13, 0
	;; [unrolled: 1-line block ×3, first 2 shown]
	s_and_b32 s6, s27, 3
	s_cmp_eq_u32 s6, 0
	s_cbranch_scc1 .LBB53_305
.LBB53_303:
	s_lshl_b32 s2, s26, 3
	s_add_u32 s2, s34, s2
	s_addc_u32 s3, s35, 0
	s_add_u32 s2, s2, 0xc4
	s_addc_u32 s3, s3, 0
	s_mul_i32 s4, s26, 12
	s_add_u32 s4, s34, s4
	s_addc_u32 s5, s35, 0
.LBB53_304:                             ; =>This Inner Loop Header: Depth=1
	s_load_dwordx2 s[8:9], s[4:5], 0x4
	s_load_dword s7, s[4:5], 0xc
	s_load_dwordx2 s[10:11], s[2:3], 0x0
	s_add_u32 s4, s4, 12
	s_addc_u32 s5, s5, 0
	s_waitcnt lgkmcnt(0)
	v_mul_hi_u32 v10, s9, v8
	s_add_u32 s2, s2, 8
	s_addc_u32 s3, s3, 0
	s_add_i32 s6, s6, -1
	v_add_u32_e32 v10, v8, v10
	v_lshrrev_b32_e32 v10, s7, v10
	v_mul_lo_u32 v11, v10, s8
	s_cmp_lg_u32 s6, 0
	v_sub_u32_e32 v11, v8, v11
	v_mad_u64_u32 v[7:8], s[8:9], v11, s10, v[7:8]
	v_mad_u64_u32 v[13:14], s[8:9], v11, s11, v[13:14]
	v_mov_b32_e32 v8, v10
	s_cbranch_scc1 .LBB53_304
.LBB53_305:
	s_cbranch_execnz .LBB53_308
.LBB53_306:
	s_load_dwordx4 s[4:7], s[34:35], 0x4
	s_load_dwordx2 s[2:3], s[34:35], 0xc4
	s_cmp_lt_u32 s33, 2
	s_waitcnt lgkmcnt(0)
	v_mul_hi_u32 v7, s5, v4
	v_add_u32_e32 v7, v4, v7
	v_lshrrev_b32_e32 v8, s6, v7
	v_mul_lo_u32 v7, v8, s4
	v_sub_u32_e32 v4, v4, v7
	v_mul_lo_u32 v7, v4, s2
	v_mul_lo_u32 v13, v4, s3
	s_cbranch_scc1 .LBB53_308
; %bb.307:
	s_load_dwordx4 s[4:7], s[34:35], 0x10
	s_load_dwordx2 s[2:3], s[34:35], 0xcc
	s_waitcnt lgkmcnt(0)
	v_mul_hi_u32 v4, s5, v8
	v_add_u32_e32 v4, v8, v4
	v_lshrrev_b32_e32 v4, s6, v4
	v_mul_lo_u32 v4, v4, s4
	v_sub_u32_e32 v4, v8, v4
	v_mad_u64_u32 v[7:8], s[4:5], v4, s2, v[7:8]
	v_mad_u64_u32 v[13:14], s[2:3], v4, s3, v[13:14]
.LBB53_308:
	s_and_b64 vcc, exec, s[0:1]
	v_add_u32_e32 v4, 0x280, v15
	s_cbranch_vccnz .LBB53_314
; %bb.309:
	s_cmp_lg_u32 s33, 0
	s_waitcnt lgkmcnt(0)
	s_mov_b32 s26, 0
	s_cbranch_scc0 .LBB53_315
; %bb.310:
	s_min_u32 s27, s56, 15
	s_add_i32 s27, s27, 1
	s_cmp_eq_u32 s56, 2
	s_cbranch_scc1 .LBB53_316
; %bb.311:
	s_and_b32 s26, s27, 28
	s_add_u32 s2, s34, 0xc4
	s_addc_u32 s3, s35, 0
	v_mov_b32_e32 v16, 0
	s_mov_b32 s28, 0
	s_mov_b64 s[24:25], s[34:35]
	v_mov_b32_e32 v10, 0
	v_mov_b32_e32 v8, v4
.LBB53_312:                             ; =>This Inner Loop Header: Depth=1
	s_load_dwordx8 s[12:19], s[24:25], 0x4
	s_load_dwordx4 s[20:23], s[24:25], 0x24
	s_load_dwordx8 s[4:11], s[2:3], 0x0
	s_add_u32 s24, s24, 48
	s_addc_u32 s25, s25, 0
	s_waitcnt lgkmcnt(0)
	v_mul_hi_u32 v11, s13, v8
	s_add_i32 s28, s28, 4
	s_add_u32 s2, s2, 32
	s_addc_u32 s3, s3, 0
	v_add_u32_e32 v11, v8, v11
	v_lshrrev_b32_e32 v11, s14, v11
	v_mul_lo_u32 v14, v11, s12
	v_mul_hi_u32 v17, s16, v11
	s_cmp_lg_u32 s26, s28
	v_sub_u32_e32 v8, v8, v14
	v_add_u32_e32 v14, v11, v17
	v_mul_lo_u32 v17, v8, s4
	v_mul_lo_u32 v18, v8, s5
	v_lshrrev_b32_e32 v8, s17, v14
	v_mul_lo_u32 v14, v8, s15
	v_mul_hi_u32 v19, s19, v8
	v_sub_u32_e32 v11, v11, v14
	v_add_u32_e32 v14, v8, v19
	v_lshrrev_b32_e32 v14, s20, v14
	v_mul_hi_u32 v20, s22, v14
	v_mul_lo_u32 v21, v14, s18
	v_mul_lo_u32 v19, v11, s6
	;; [unrolled: 1-line block ×3, first 2 shown]
	v_sub_u32_e32 v21, v8, v21
	v_add_u32_e32 v8, v14, v20
	v_lshrrev_b32_e32 v8, s23, v8
	v_mul_lo_u32 v20, v8, s21
	v_mul_lo_u32 v23, v21, s8
	;; [unrolled: 1-line block ×3, first 2 shown]
	v_add3_u32 v10, v17, v10, v19
	v_sub_u32_e32 v14, v14, v20
	v_mul_lo_u32 v20, v14, s10
	v_mul_lo_u32 v14, v14, s11
	v_add3_u32 v11, v18, v16, v11
	v_add3_u32 v10, v23, v10, v20
	;; [unrolled: 1-line block ×3, first 2 shown]
	s_cbranch_scc1 .LBB53_312
; %bb.313:
	s_and_b32 s6, s27, 3
	s_cmp_eq_u32 s6, 0
	s_cbranch_scc0 .LBB53_317
	s_branch .LBB53_319
.LBB53_314:
                                        ; implicit-def: $vgpr10
                                        ; implicit-def: $vgpr16
	s_branch .LBB53_320
.LBB53_315:
	v_mov_b32_e32 v10, 0
	v_mov_b32_e32 v16, 0
	s_branch .LBB53_319
.LBB53_316:
	v_mov_b32_e32 v10, 0
	v_mov_b32_e32 v16, 0
	;; [unrolled: 1-line block ×3, first 2 shown]
	s_and_b32 s6, s27, 3
	s_cmp_eq_u32 s6, 0
	s_cbranch_scc1 .LBB53_319
.LBB53_317:
	s_lshl_b32 s2, s26, 3
	s_add_u32 s2, s34, s2
	s_addc_u32 s3, s35, 0
	s_add_u32 s2, s2, 0xc4
	s_addc_u32 s3, s3, 0
	s_mul_i32 s4, s26, 12
	s_add_u32 s4, s34, s4
	s_addc_u32 s5, s35, 0
.LBB53_318:                             ; =>This Inner Loop Header: Depth=1
	s_load_dwordx2 s[8:9], s[4:5], 0x4
	s_load_dword s7, s[4:5], 0xc
	s_load_dwordx2 s[10:11], s[2:3], 0x0
	s_add_u32 s4, s4, 12
	s_addc_u32 s5, s5, 0
	s_waitcnt lgkmcnt(0)
	v_mul_hi_u32 v11, s9, v8
	s_add_u32 s2, s2, 8
	s_addc_u32 s3, s3, 0
	s_add_i32 s6, s6, -1
	v_add_u32_e32 v11, v8, v11
	v_lshrrev_b32_e32 v14, s7, v11
	v_mul_lo_u32 v11, v14, s8
	s_cmp_lg_u32 s6, 0
	v_sub_u32_e32 v8, v8, v11
	v_mad_u64_u32 v[10:11], s[8:9], v8, s10, v[10:11]
	v_mad_u64_u32 v[16:17], s[8:9], v8, s11, v[16:17]
	v_mov_b32_e32 v8, v14
	s_cbranch_scc1 .LBB53_318
.LBB53_319:
	s_cbranch_execnz .LBB53_322
.LBB53_320:
	s_load_dwordx4 s[4:7], s[34:35], 0x4
	s_load_dwordx2 s[2:3], s[34:35], 0xc4
	s_cmp_lt_u32 s33, 2
	s_waitcnt lgkmcnt(0)
	v_mul_hi_u32 v8, s5, v4
	v_add_u32_e32 v8, v4, v8
	v_lshrrev_b32_e32 v8, s6, v8
	v_mul_lo_u32 v10, v8, s4
	v_sub_u32_e32 v4, v4, v10
	v_mul_lo_u32 v10, v4, s2
	v_mul_lo_u32 v16, v4, s3
	s_cbranch_scc1 .LBB53_322
; %bb.321:
	s_load_dwordx4 s[4:7], s[34:35], 0x10
	s_load_dwordx2 s[2:3], s[34:35], 0xcc
	s_waitcnt lgkmcnt(0)
	v_mul_hi_u32 v4, s5, v8
	v_add_u32_e32 v4, v8, v4
	v_lshrrev_b32_e32 v4, s6, v4
	v_mul_lo_u32 v4, v4, s4
	v_sub_u32_e32 v4, v8, v4
	v_mad_u64_u32 v[10:11], s[4:5], v4, s2, v[10:11]
	v_mad_u64_u32 v[16:17], s[2:3], v4, s3, v[16:17]
.LBB53_322:
	s_and_b64 vcc, exec, s[0:1]
	v_add_u32_e32 v4, 0x300, v15
	s_cbranch_vccnz .LBB53_328
; %bb.323:
	s_cmp_lg_u32 s33, 0
	s_waitcnt lgkmcnt(0)
	s_mov_b32 s26, 0
	s_cbranch_scc0 .LBB53_329
; %bb.324:
	s_min_u32 s27, s56, 15
	s_add_i32 s27, s27, 1
	s_cmp_eq_u32 s56, 2
	s_cbranch_scc1 .LBB53_330
; %bb.325:
	s_and_b32 s26, s27, 28
	s_add_u32 s2, s34, 0xc4
	s_addc_u32 s3, s35, 0
	v_mov_b32_e32 v17, 0
	s_mov_b32 s28, 0
	s_mov_b64 s[24:25], s[34:35]
	v_mov_b32_e32 v14, 0
	v_mov_b32_e32 v8, v4
.LBB53_326:                             ; =>This Inner Loop Header: Depth=1
	s_load_dwordx8 s[12:19], s[24:25], 0x4
	s_load_dwordx4 s[20:23], s[24:25], 0x24
	s_load_dwordx8 s[4:11], s[2:3], 0x0
	s_add_u32 s24, s24, 48
	s_addc_u32 s25, s25, 0
	s_waitcnt lgkmcnt(0)
	v_mul_hi_u32 v11, s13, v8
	s_add_i32 s28, s28, 4
	s_add_u32 s2, s2, 32
	s_addc_u32 s3, s3, 0
	v_add_u32_e32 v11, v8, v11
	v_lshrrev_b32_e32 v11, s14, v11
	v_mul_lo_u32 v15, v11, s12
	v_mul_hi_u32 v18, s16, v11
	s_cmp_lg_u32 s26, s28
	v_sub_u32_e32 v8, v8, v15
	v_add_u32_e32 v15, v11, v18
	v_mul_lo_u32 v18, v8, s4
	v_mul_lo_u32 v19, v8, s5
	v_lshrrev_b32_e32 v8, s17, v15
	v_mul_lo_u32 v15, v8, s15
	v_mul_hi_u32 v20, s19, v8
	v_sub_u32_e32 v11, v11, v15
	v_add_u32_e32 v15, v8, v20
	v_lshrrev_b32_e32 v15, s20, v15
	v_mul_hi_u32 v21, s22, v15
	v_mul_lo_u32 v23, v15, s18
	v_mul_lo_u32 v20, v11, s6
	;; [unrolled: 1-line block ×3, first 2 shown]
	v_sub_u32_e32 v23, v8, v23
	v_add_u32_e32 v8, v15, v21
	v_lshrrev_b32_e32 v8, s23, v8
	v_mul_lo_u32 v21, v8, s21
	v_mul_lo_u32 v24, v23, s8
	;; [unrolled: 1-line block ×3, first 2 shown]
	v_add3_u32 v14, v18, v14, v20
	v_sub_u32_e32 v15, v15, v21
	v_mul_lo_u32 v21, v15, s10
	v_mul_lo_u32 v15, v15, s11
	v_add3_u32 v11, v19, v17, v11
	v_add3_u32 v14, v24, v14, v21
	;; [unrolled: 1-line block ×3, first 2 shown]
	s_cbranch_scc1 .LBB53_326
; %bb.327:
	s_and_b32 s6, s27, 3
	s_cmp_eq_u32 s6, 0
	s_cbranch_scc0 .LBB53_331
	s_branch .LBB53_333
.LBB53_328:
                                        ; implicit-def: $vgpr14
                                        ; implicit-def: $vgpr17
	s_branch .LBB53_334
.LBB53_329:
	v_mov_b32_e32 v14, 0
	v_mov_b32_e32 v17, 0
	s_branch .LBB53_333
.LBB53_330:
	v_mov_b32_e32 v14, 0
	v_mov_b32_e32 v17, 0
	;; [unrolled: 1-line block ×3, first 2 shown]
	s_and_b32 s6, s27, 3
	s_cmp_eq_u32 s6, 0
	s_cbranch_scc1 .LBB53_333
.LBB53_331:
	s_lshl_b32 s2, s26, 3
	s_add_u32 s2, s34, s2
	s_addc_u32 s3, s35, 0
	s_add_u32 s2, s2, 0xc4
	s_addc_u32 s3, s3, 0
	s_mul_i32 s4, s26, 12
	s_add_u32 s4, s34, s4
	s_addc_u32 s5, s35, 0
.LBB53_332:                             ; =>This Inner Loop Header: Depth=1
	s_load_dwordx2 s[8:9], s[4:5], 0x4
	s_load_dword s7, s[4:5], 0xc
	s_load_dwordx2 s[10:11], s[2:3], 0x0
	s_add_u32 s4, s4, 12
	s_addc_u32 s5, s5, 0
	s_waitcnt lgkmcnt(0)
	v_mul_hi_u32 v11, s9, v8
	s_add_u32 s2, s2, 8
	s_addc_u32 s3, s3, 0
	s_add_i32 s6, s6, -1
	v_add_u32_e32 v11, v8, v11
	v_lshrrev_b32_e32 v11, s7, v11
	v_mul_lo_u32 v15, v11, s8
	s_cmp_lg_u32 s6, 0
	v_sub_u32_e32 v8, v8, v15
	v_mad_u64_u32 v[14:15], s[8:9], v8, s10, v[14:15]
	v_mad_u64_u32 v[17:18], s[8:9], v8, s11, v[17:18]
	v_mov_b32_e32 v8, v11
	s_cbranch_scc1 .LBB53_332
.LBB53_333:
	s_cbranch_execnz .LBB53_336
.LBB53_334:
	s_load_dwordx4 s[4:7], s[34:35], 0x4
	s_load_dwordx2 s[2:3], s[34:35], 0xc4
	s_cmp_lt_u32 s33, 2
	s_waitcnt lgkmcnt(0)
	v_mul_hi_u32 v8, s5, v4
	v_add_u32_e32 v8, v4, v8
	v_lshrrev_b32_e32 v8, s6, v8
	v_mul_lo_u32 v11, v8, s4
	v_sub_u32_e32 v4, v4, v11
	v_mul_lo_u32 v14, v4, s2
	v_mul_lo_u32 v17, v4, s3
	s_cbranch_scc1 .LBB53_336
; %bb.335:
	s_load_dwordx4 s[4:7], s[34:35], 0x10
	s_load_dwordx2 s[2:3], s[34:35], 0xcc
	s_waitcnt lgkmcnt(0)
	v_mul_hi_u32 v4, s5, v8
	v_add_u32_e32 v4, v8, v4
	v_lshrrev_b32_e32 v4, s6, v4
	v_mul_lo_u32 v4, v4, s4
	v_sub_u32_e32 v4, v8, v4
	v_mad_u64_u32 v[14:15], s[4:5], v4, s2, v[14:15]
	v_mad_u64_u32 v[17:18], s[2:3], v4, s3, v[17:18]
.LBB53_336:
	s_and_b64 vcc, exec, s[0:1]
	s_cbranch_vccnz .LBB53_342
; %bb.337:
	s_cmp_lg_u32 s33, 0
	s_waitcnt lgkmcnt(0)
	s_mov_b32 s24, 0
	s_cbranch_scc0 .LBB53_343
; %bb.338:
	s_min_u32 s25, s56, 15
	s_add_i32 s25, s25, 1
	s_cmp_eq_u32 s56, 2
	s_cbranch_scc1 .LBB53_344
; %bb.339:
	s_and_b32 s24, s25, 28
	s_add_u32 s20, s34, 0xc4
	s_addc_u32 s21, s35, 0
	v_mov_b32_e32 v20, 0
	s_mov_b32 s26, 0
	s_mov_b64 s[22:23], s[34:35]
	v_mov_b32_e32 v18, 0
	v_mov_b32_e32 v4, v22
.LBB53_340:                             ; =>This Inner Loop Header: Depth=1
	s_load_dwordx8 s[8:15], s[22:23], 0x4
	s_load_dwordx4 s[16:19], s[22:23], 0x24
	s_load_dwordx8 s[0:7], s[20:21], 0x0
	s_add_u32 s22, s22, 48
	s_addc_u32 s23, s23, 0
	s_waitcnt lgkmcnt(0)
	v_mul_hi_u32 v8, s9, v4
	s_add_i32 s26, s26, 4
	s_add_u32 s20, s20, 32
	s_addc_u32 s21, s21, 0
	v_add_u32_e32 v8, v4, v8
	v_lshrrev_b32_e32 v8, s10, v8
	v_mul_lo_u32 v11, v8, s8
	v_mul_hi_u32 v15, s12, v8
	s_cmp_lg_u32 s24, s26
	v_sub_u32_e32 v4, v4, v11
	v_add_u32_e32 v11, v8, v15
	v_mul_lo_u32 v15, v4, s0
	v_mul_lo_u32 v19, v4, s1
	v_lshrrev_b32_e32 v4, s13, v11
	v_mul_lo_u32 v11, v4, s11
	v_mul_hi_u32 v21, s15, v4
	v_sub_u32_e32 v8, v8, v11
	v_add_u32_e32 v11, v4, v21
	v_lshrrev_b32_e32 v11, s16, v11
	v_mul_hi_u32 v23, s18, v11
	v_mul_lo_u32 v24, v11, s14
	v_mul_lo_u32 v21, v8, s2
	;; [unrolled: 1-line block ×3, first 2 shown]
	v_sub_u32_e32 v24, v4, v24
	v_add_u32_e32 v4, v11, v23
	v_lshrrev_b32_e32 v4, s19, v4
	v_mul_lo_u32 v23, v4, s17
	v_mul_lo_u32 v25, v24, s4
	;; [unrolled: 1-line block ×3, first 2 shown]
	v_add3_u32 v15, v15, v18, v21
	v_sub_u32_e32 v11, v11, v23
	v_mul_lo_u32 v23, v11, s6
	v_mul_lo_u32 v11, v11, s7
	v_add3_u32 v8, v19, v20, v8
	v_add3_u32 v18, v25, v15, v23
	;; [unrolled: 1-line block ×3, first 2 shown]
	s_cbranch_scc1 .LBB53_340
; %bb.341:
	s_and_b32 s4, s25, 3
	s_cmp_eq_u32 s4, 0
	s_cbranch_scc0 .LBB53_345
	s_branch .LBB53_347
.LBB53_342:
                                        ; implicit-def: $vgpr18
                                        ; implicit-def: $vgpr20
	s_branch .LBB53_348
.LBB53_343:
	v_mov_b32_e32 v18, 0
	v_mov_b32_e32 v20, 0
	s_branch .LBB53_347
.LBB53_344:
	v_mov_b32_e32 v18, 0
	v_mov_b32_e32 v20, 0
	;; [unrolled: 1-line block ×3, first 2 shown]
	s_and_b32 s4, s25, 3
	s_cmp_eq_u32 s4, 0
	s_cbranch_scc1 .LBB53_347
.LBB53_345:
	s_lshl_b32 s0, s24, 3
	s_add_u32 s0, s34, s0
	s_addc_u32 s1, s35, 0
	s_add_u32 s0, s0, 0xc4
	s_addc_u32 s1, s1, 0
	s_mul_i32 s2, s24, 12
	s_add_u32 s2, s34, s2
	s_addc_u32 s3, s35, 0
.LBB53_346:                             ; =>This Inner Loop Header: Depth=1
	s_load_dwordx2 s[6:7], s[2:3], 0x4
	s_load_dword s5, s[2:3], 0xc
	s_load_dwordx2 s[8:9], s[0:1], 0x0
	s_add_u32 s2, s2, 12
	s_addc_u32 s3, s3, 0
	s_waitcnt lgkmcnt(0)
	v_mul_hi_u32 v8, s7, v4
	s_add_u32 s0, s0, 8
	s_addc_u32 s1, s1, 0
	s_add_i32 s4, s4, -1
	v_add_u32_e32 v8, v4, v8
	v_lshrrev_b32_e32 v8, s5, v8
	v_mul_lo_u32 v11, v8, s6
	s_cmp_lg_u32 s4, 0
	v_sub_u32_e32 v4, v4, v11
	v_mad_u64_u32 v[18:19], s[6:7], v4, s8, v[18:19]
	v_mad_u64_u32 v[20:21], s[6:7], v4, s9, v[20:21]
	v_mov_b32_e32 v4, v8
	s_cbranch_scc1 .LBB53_346
.LBB53_347:
	s_cbranch_execnz .LBB53_350
.LBB53_348:
	s_load_dwordx4 s[0:3], s[34:35], 0x4
	s_load_dwordx2 s[4:5], s[34:35], 0xc4
	s_cmp_lt_u32 s33, 2
	s_waitcnt lgkmcnt(0)
	v_mul_hi_u32 v4, s1, v22
	v_add_u32_e32 v4, v22, v4
	v_lshrrev_b32_e32 v4, s2, v4
	v_mul_lo_u32 v8, v4, s0
	v_sub_u32_e32 v8, v22, v8
	v_mul_lo_u32 v18, v8, s4
	v_mul_lo_u32 v20, v8, s5
	s_cbranch_scc1 .LBB53_350
; %bb.349:
	s_load_dwordx4 s[0:3], s[34:35], 0x10
	s_load_dwordx2 s[4:5], s[34:35], 0xcc
	s_waitcnt lgkmcnt(0)
	v_mul_hi_u32 v8, s1, v4
	v_add_u32_e32 v8, v4, v8
	v_lshrrev_b32_e32 v8, s2, v8
	v_mul_lo_u32 v8, v8, s0
	v_sub_u32_e32 v4, v4, v8
	v_mad_u64_u32 v[18:19], s[0:1], v4, s4, v[18:19]
	v_mad_u64_u32 v[20:21], s[0:1], v4, s5, v[20:21]
.LBB53_350:
	s_load_dwordx4 s[0:3], s[34:35], 0x148
	s_waitcnt lgkmcnt(0)
	s_load_dword s26, s[34:35], 0x158
	s_load_dwordx2 s[4:5], s[34:35], 0x160
	s_mov_b64 s[8:9], 0
	global_load_dwordx2 v[4:5], v5, s[2:3]
	s_waitcnt lgkmcnt(0)
	s_cmp_lt_i32 s26, 1
	s_cbranch_scc1 .LBB53_354
; %bb.351:
	s_cmp_gt_i32 s26, 1
	s_cbranch_scc0 .LBB53_355
; %bb.352:
	s_cmp_eq_u32 s26, 2
	s_cbranch_scc0 .LBB53_356
; %bb.353:
	s_waitcnt vmcnt(0)
	v_cmp_ge_i64_e64 s[6:7], s[4:5], v[4:5]
	s_mov_b64 s[10:11], 0
	s_branch .LBB53_357
.LBB53_354:
                                        ; implicit-def: $sgpr6_sgpr7
	s_mov_b64 s[10:11], 0
	s_cbranch_execnz .LBB53_360
	s_branch .LBB53_361
.LBB53_355:
	s_mov_b64 s[10:11], 0
                                        ; implicit-def: $sgpr6_sgpr7
	s_cbranch_execnz .LBB53_358
	s_branch .LBB53_359
.LBB53_356:
	s_mov_b64 s[10:11], -1
                                        ; implicit-def: $sgpr6_sgpr7
.LBB53_357:
	s_branch .LBB53_359
.LBB53_358:
	s_waitcnt vmcnt(0)
	v_cmp_lt_i64_e32 vcc, s[4:5], v[4:5]
	s_andn2_b64 s[6:7], s[6:7], exec
	s_and_b64 s[12:13], vcc, exec
	s_or_b64 s[6:7], s[6:7], s[12:13]
.LBB53_359:
	s_branch .LBB53_361
.LBB53_360:
	s_cmp_lg_u32 s26, 0
	s_mov_b64 s[8:9], -1
	s_cselect_b64 s[10:11], -1, 0
.LBB53_361:
	s_andn2_b64 vcc, exec, s[10:11]
	s_cbranch_vccz .LBB53_367
; %bb.362:
	s_andn2_b64 vcc, exec, s[8:9]
	s_cbranch_vccz .LBB53_368
.LBB53_363:
	global_load_dwordx2 v[4:5], v6, s[2:3]
	s_cmp_lt_i32 s26, 1
	s_mov_b64 s[10:11], 0
	s_cbranch_scc1 .LBB53_369
.LBB53_364:
	s_cmp_gt_i32 s26, 1
	s_cbranch_scc0 .LBB53_370
; %bb.365:
	s_cmp_eq_u32 s26, 2
	s_cbranch_scc0 .LBB53_371
; %bb.366:
	s_waitcnt vmcnt(0)
	v_cmp_ge_i64_e64 s[8:9], s[4:5], v[4:5]
	s_mov_b64 s[12:13], 0
	s_branch .LBB53_372
.LBB53_367:
	s_waitcnt vmcnt(0)
	v_cmp_gt_i64_e32 vcc, s[4:5], v[4:5]
	s_andn2_b64 s[6:7], s[6:7], exec
	s_and_b64 s[10:11], vcc, exec
	s_or_b64 s[6:7], s[6:7], s[10:11]
	s_cbranch_execnz .LBB53_363
.LBB53_368:
	s_waitcnt vmcnt(0)
	v_cmp_le_i64_e32 vcc, s[4:5], v[4:5]
	s_andn2_b64 s[6:7], s[6:7], exec
	s_and_b64 s[8:9], vcc, exec
	s_or_b64 s[6:7], s[6:7], s[8:9]
	global_load_dwordx2 v[4:5], v6, s[2:3]
	s_cmp_lt_i32 s26, 1
	s_mov_b64 s[10:11], 0
	s_cbranch_scc0 .LBB53_364
.LBB53_369:
                                        ; implicit-def: $sgpr8_sgpr9
	s_mov_b64 s[12:13], 0
	s_cbranch_execnz .LBB53_375
	s_branch .LBB53_376
.LBB53_370:
	s_mov_b64 s[12:13], 0
                                        ; implicit-def: $sgpr8_sgpr9
	s_cbranch_execnz .LBB53_373
	s_branch .LBB53_374
.LBB53_371:
	s_mov_b64 s[12:13], -1
                                        ; implicit-def: $sgpr8_sgpr9
.LBB53_372:
	s_branch .LBB53_374
.LBB53_373:
	s_waitcnt vmcnt(0)
	v_cmp_lt_i64_e32 vcc, s[4:5], v[4:5]
	s_andn2_b64 s[8:9], s[8:9], exec
	s_and_b64 s[14:15], vcc, exec
	s_or_b64 s[8:9], s[8:9], s[14:15]
.LBB53_374:
	s_branch .LBB53_376
.LBB53_375:
	s_cmp_lg_u32 s26, 0
	s_mov_b64 s[10:11], -1
	s_cselect_b64 s[12:13], -1, 0
.LBB53_376:
	s_andn2_b64 vcc, exec, s[12:13]
	s_cbranch_vccz .LBB53_382
; %bb.377:
	s_andn2_b64 vcc, exec, s[10:11]
	s_cbranch_vccz .LBB53_383
.LBB53_378:
	global_load_dwordx2 v[4:5], v9, s[2:3]
	s_cmp_lt_i32 s26, 1
	s_mov_b64 s[12:13], 0
	s_cbranch_scc1 .LBB53_384
.LBB53_379:
	s_cmp_gt_i32 s26, 1
	s_cbranch_scc0 .LBB53_385
; %bb.380:
	s_cmp_eq_u32 s26, 2
	s_cbranch_scc0 .LBB53_386
; %bb.381:
	s_waitcnt vmcnt(0)
	v_cmp_ge_i64_e64 s[10:11], s[4:5], v[4:5]
	s_mov_b64 s[14:15], 0
	s_branch .LBB53_387
.LBB53_382:
	s_waitcnt vmcnt(0)
	v_cmp_gt_i64_e32 vcc, s[4:5], v[4:5]
	s_andn2_b64 s[8:9], s[8:9], exec
	s_and_b64 s[12:13], vcc, exec
	s_or_b64 s[8:9], s[8:9], s[12:13]
	s_cbranch_execnz .LBB53_378
.LBB53_383:
	s_waitcnt vmcnt(0)
	v_cmp_le_i64_e32 vcc, s[4:5], v[4:5]
	s_andn2_b64 s[8:9], s[8:9], exec
	s_and_b64 s[10:11], vcc, exec
	s_or_b64 s[8:9], s[8:9], s[10:11]
	global_load_dwordx2 v[4:5], v9, s[2:3]
	s_cmp_lt_i32 s26, 1
	s_mov_b64 s[12:13], 0
	s_cbranch_scc0 .LBB53_379
.LBB53_384:
                                        ; implicit-def: $sgpr10_sgpr11
	s_mov_b64 s[14:15], 0
	s_cbranch_execnz .LBB53_390
	s_branch .LBB53_391
.LBB53_385:
	s_mov_b64 s[14:15], 0
                                        ; implicit-def: $sgpr10_sgpr11
	s_cbranch_execnz .LBB53_388
	s_branch .LBB53_389
.LBB53_386:
	s_mov_b64 s[14:15], -1
                                        ; implicit-def: $sgpr10_sgpr11
.LBB53_387:
	s_branch .LBB53_389
.LBB53_388:
	s_waitcnt vmcnt(0)
	v_cmp_lt_i64_e32 vcc, s[4:5], v[4:5]
	s_andn2_b64 s[10:11], s[10:11], exec
	s_and_b64 s[16:17], vcc, exec
	s_or_b64 s[10:11], s[10:11], s[16:17]
.LBB53_389:
	s_branch .LBB53_391
.LBB53_390:
	s_cmp_lg_u32 s26, 0
	s_mov_b64 s[12:13], -1
	s_cselect_b64 s[14:15], -1, 0
.LBB53_391:
	s_andn2_b64 vcc, exec, s[14:15]
	s_cbranch_vccz .LBB53_397
; %bb.392:
	s_andn2_b64 vcc, exec, s[12:13]
	s_cbranch_vccz .LBB53_398
.LBB53_393:
	global_load_dwordx2 v[4:5], v12, s[2:3]
	s_cmp_lt_i32 s26, 1
	s_mov_b64 s[14:15], 0
	s_cbranch_scc1 .LBB53_399
.LBB53_394:
	s_cmp_gt_i32 s26, 1
	s_cbranch_scc0 .LBB53_400
; %bb.395:
	s_cmp_eq_u32 s26, 2
	s_cbranch_scc0 .LBB53_401
; %bb.396:
	s_waitcnt vmcnt(0)
	v_cmp_ge_i64_e64 s[12:13], s[4:5], v[4:5]
	s_mov_b64 s[16:17], 0
	s_branch .LBB53_402
.LBB53_397:
	s_waitcnt vmcnt(0)
	v_cmp_gt_i64_e32 vcc, s[4:5], v[4:5]
	s_andn2_b64 s[10:11], s[10:11], exec
	s_and_b64 s[14:15], vcc, exec
	s_or_b64 s[10:11], s[10:11], s[14:15]
	s_cbranch_execnz .LBB53_393
.LBB53_398:
	s_waitcnt vmcnt(0)
	v_cmp_le_i64_e32 vcc, s[4:5], v[4:5]
	s_andn2_b64 s[10:11], s[10:11], exec
	s_and_b64 s[12:13], vcc, exec
	s_or_b64 s[10:11], s[10:11], s[12:13]
	global_load_dwordx2 v[4:5], v12, s[2:3]
	s_cmp_lt_i32 s26, 1
	s_mov_b64 s[14:15], 0
	s_cbranch_scc0 .LBB53_394
.LBB53_399:
                                        ; implicit-def: $sgpr12_sgpr13
	s_mov_b64 s[16:17], 0
	s_cbranch_execnz .LBB53_405
	s_branch .LBB53_406
.LBB53_400:
	s_mov_b64 s[16:17], 0
                                        ; implicit-def: $sgpr12_sgpr13
	s_cbranch_execnz .LBB53_403
	s_branch .LBB53_404
.LBB53_401:
	s_mov_b64 s[16:17], -1
                                        ; implicit-def: $sgpr12_sgpr13
.LBB53_402:
	s_branch .LBB53_404
.LBB53_403:
	s_waitcnt vmcnt(0)
	v_cmp_lt_i64_e32 vcc, s[4:5], v[4:5]
	s_andn2_b64 s[12:13], s[12:13], exec
	s_and_b64 s[18:19], vcc, exec
	s_or_b64 s[12:13], s[12:13], s[18:19]
.LBB53_404:
	s_branch .LBB53_406
.LBB53_405:
	s_cmp_lg_u32 s26, 0
	s_mov_b64 s[14:15], -1
	s_cselect_b64 s[16:17], -1, 0
.LBB53_406:
	s_andn2_b64 vcc, exec, s[16:17]
	s_cbranch_vccz .LBB53_412
; %bb.407:
	s_andn2_b64 vcc, exec, s[14:15]
	s_cbranch_vccz .LBB53_413
.LBB53_408:
	global_load_dwordx2 v[4:5], v13, s[2:3]
	s_cmp_lt_i32 s26, 1
	s_mov_b64 s[16:17], 0
	s_cbranch_scc1 .LBB53_414
.LBB53_409:
	s_cmp_gt_i32 s26, 1
	s_cbranch_scc0 .LBB53_415
; %bb.410:
	s_cmp_eq_u32 s26, 2
	s_cbranch_scc0 .LBB53_416
; %bb.411:
	s_waitcnt vmcnt(0)
	v_cmp_ge_i64_e64 s[14:15], s[4:5], v[4:5]
	s_mov_b64 s[18:19], 0
	s_branch .LBB53_417
.LBB53_412:
	s_waitcnt vmcnt(0)
	v_cmp_gt_i64_e32 vcc, s[4:5], v[4:5]
	s_andn2_b64 s[12:13], s[12:13], exec
	s_and_b64 s[16:17], vcc, exec
	s_or_b64 s[12:13], s[12:13], s[16:17]
	s_cbranch_execnz .LBB53_408
.LBB53_413:
	s_waitcnt vmcnt(0)
	v_cmp_le_i64_e32 vcc, s[4:5], v[4:5]
	s_andn2_b64 s[12:13], s[12:13], exec
	s_and_b64 s[14:15], vcc, exec
	s_or_b64 s[12:13], s[12:13], s[14:15]
	global_load_dwordx2 v[4:5], v13, s[2:3]
	s_cmp_lt_i32 s26, 1
	s_mov_b64 s[16:17], 0
	s_cbranch_scc0 .LBB53_409
.LBB53_414:
                                        ; implicit-def: $sgpr14_sgpr15
	s_mov_b64 s[18:19], 0
	s_cbranch_execnz .LBB53_420
	s_branch .LBB53_421
.LBB53_415:
	s_mov_b64 s[18:19], 0
                                        ; implicit-def: $sgpr14_sgpr15
	s_cbranch_execnz .LBB53_418
	s_branch .LBB53_419
.LBB53_416:
	s_mov_b64 s[18:19], -1
                                        ; implicit-def: $sgpr14_sgpr15
.LBB53_417:
	s_branch .LBB53_419
.LBB53_418:
	s_waitcnt vmcnt(0)
	v_cmp_lt_i64_e32 vcc, s[4:5], v[4:5]
	s_andn2_b64 s[14:15], s[14:15], exec
	s_and_b64 s[20:21], vcc, exec
	s_or_b64 s[14:15], s[14:15], s[20:21]
.LBB53_419:
	s_branch .LBB53_421
.LBB53_420:
	s_cmp_lg_u32 s26, 0
	s_mov_b64 s[16:17], -1
	s_cselect_b64 s[18:19], -1, 0
.LBB53_421:
	s_andn2_b64 vcc, exec, s[18:19]
	s_cbranch_vccz .LBB53_427
; %bb.422:
	s_andn2_b64 vcc, exec, s[16:17]
	s_cbranch_vccz .LBB53_428
.LBB53_423:
	global_load_dwordx2 v[4:5], v16, s[2:3]
	s_cmp_lt_i32 s26, 1
	s_mov_b64 s[18:19], 0
	s_cbranch_scc1 .LBB53_429
.LBB53_424:
	s_cmp_gt_i32 s26, 1
	s_cbranch_scc0 .LBB53_430
; %bb.425:
	s_cmp_eq_u32 s26, 2
	s_cbranch_scc0 .LBB53_431
; %bb.426:
	s_waitcnt vmcnt(0)
	v_cmp_ge_i64_e64 s[16:17], s[4:5], v[4:5]
	s_mov_b64 s[20:21], 0
	s_branch .LBB53_432
.LBB53_427:
	s_waitcnt vmcnt(0)
	v_cmp_gt_i64_e32 vcc, s[4:5], v[4:5]
	s_andn2_b64 s[14:15], s[14:15], exec
	s_and_b64 s[18:19], vcc, exec
	s_or_b64 s[14:15], s[14:15], s[18:19]
	s_cbranch_execnz .LBB53_423
.LBB53_428:
	s_waitcnt vmcnt(0)
	v_cmp_le_i64_e32 vcc, s[4:5], v[4:5]
	s_andn2_b64 s[14:15], s[14:15], exec
	s_and_b64 s[16:17], vcc, exec
	s_or_b64 s[14:15], s[14:15], s[16:17]
	global_load_dwordx2 v[4:5], v16, s[2:3]
	s_cmp_lt_i32 s26, 1
	s_mov_b64 s[18:19], 0
	s_cbranch_scc0 .LBB53_424
.LBB53_429:
                                        ; implicit-def: $sgpr16_sgpr17
	s_mov_b64 s[20:21], 0
	s_cbranch_execnz .LBB53_435
	s_branch .LBB53_436
.LBB53_430:
	s_mov_b64 s[20:21], 0
                                        ; implicit-def: $sgpr16_sgpr17
	s_cbranch_execnz .LBB53_433
	s_branch .LBB53_434
.LBB53_431:
	s_mov_b64 s[20:21], -1
                                        ; implicit-def: $sgpr16_sgpr17
.LBB53_432:
	s_branch .LBB53_434
.LBB53_433:
	s_waitcnt vmcnt(0)
	v_cmp_lt_i64_e32 vcc, s[4:5], v[4:5]
	s_andn2_b64 s[16:17], s[16:17], exec
	s_and_b64 s[22:23], vcc, exec
	s_or_b64 s[16:17], s[16:17], s[22:23]
.LBB53_434:
	s_branch .LBB53_436
.LBB53_435:
	s_cmp_lg_u32 s26, 0
	s_mov_b64 s[18:19], -1
	s_cselect_b64 s[20:21], -1, 0
.LBB53_436:
	s_andn2_b64 vcc, exec, s[20:21]
	s_cbranch_vccz .LBB53_442
; %bb.437:
	s_andn2_b64 vcc, exec, s[18:19]
	s_cbranch_vccz .LBB53_443
.LBB53_438:
	global_load_dwordx2 v[4:5], v17, s[2:3]
	s_cmp_lt_i32 s26, 1
	s_mov_b64 s[20:21], 0
	s_cbranch_scc1 .LBB53_444
.LBB53_439:
	s_cmp_gt_i32 s26, 1
	s_cbranch_scc0 .LBB53_445
; %bb.440:
	s_cmp_eq_u32 s26, 2
	s_cbranch_scc0 .LBB53_446
; %bb.441:
	s_waitcnt vmcnt(0)
	v_cmp_ge_i64_e64 s[18:19], s[4:5], v[4:5]
	s_mov_b64 s[22:23], 0
	s_branch .LBB53_447
.LBB53_442:
	s_waitcnt vmcnt(0)
	v_cmp_gt_i64_e32 vcc, s[4:5], v[4:5]
	s_andn2_b64 s[16:17], s[16:17], exec
	s_and_b64 s[20:21], vcc, exec
	s_or_b64 s[16:17], s[16:17], s[20:21]
	s_cbranch_execnz .LBB53_438
.LBB53_443:
	s_waitcnt vmcnt(0)
	v_cmp_le_i64_e32 vcc, s[4:5], v[4:5]
	s_andn2_b64 s[16:17], s[16:17], exec
	s_and_b64 s[18:19], vcc, exec
	s_or_b64 s[16:17], s[16:17], s[18:19]
	global_load_dwordx2 v[4:5], v17, s[2:3]
	s_cmp_lt_i32 s26, 1
	s_mov_b64 s[20:21], 0
	s_cbranch_scc0 .LBB53_439
.LBB53_444:
                                        ; implicit-def: $sgpr18_sgpr19
	s_mov_b64 s[22:23], 0
	s_cbranch_execnz .LBB53_450
	s_branch .LBB53_451
.LBB53_445:
	s_mov_b64 s[22:23], 0
                                        ; implicit-def: $sgpr18_sgpr19
	s_cbranch_execnz .LBB53_448
	s_branch .LBB53_449
.LBB53_446:
	s_mov_b64 s[22:23], -1
                                        ; implicit-def: $sgpr18_sgpr19
.LBB53_447:
	s_branch .LBB53_449
.LBB53_448:
	s_waitcnt vmcnt(0)
	v_cmp_lt_i64_e32 vcc, s[4:5], v[4:5]
	s_andn2_b64 s[18:19], s[18:19], exec
	s_and_b64 s[24:25], vcc, exec
	s_or_b64 s[18:19], s[18:19], s[24:25]
.LBB53_449:
	s_branch .LBB53_451
.LBB53_450:
	s_cmp_lg_u32 s26, 0
	s_mov_b64 s[20:21], -1
	s_cselect_b64 s[22:23], -1, 0
.LBB53_451:
	s_andn2_b64 vcc, exec, s[22:23]
	s_cbranch_vccz .LBB53_457
; %bb.452:
	s_andn2_b64 vcc, exec, s[20:21]
	s_cbranch_vccz .LBB53_458
.LBB53_453:
	global_load_dwordx2 v[4:5], v20, s[2:3]
	s_cmp_lt_i32 s26, 1
	s_mov_b64 s[20:21], 0
	s_cbranch_scc1 .LBB53_459
.LBB53_454:
	s_cmp_gt_i32 s26, 1
	s_cbranch_scc0 .LBB53_460
; %bb.455:
	s_cmp_eq_u32 s26, 2
	s_cbranch_scc0 .LBB53_461
; %bb.456:
	s_waitcnt vmcnt(0)
	v_cmp_ge_i64_e64 s[2:3], s[4:5], v[4:5]
	s_mov_b64 s[22:23], 0
	s_branch .LBB53_462
.LBB53_457:
	s_waitcnt vmcnt(0)
	v_cmp_gt_i64_e32 vcc, s[4:5], v[4:5]
	s_andn2_b64 s[18:19], s[18:19], exec
	s_and_b64 s[22:23], vcc, exec
	s_or_b64 s[18:19], s[18:19], s[22:23]
	s_cbranch_execnz .LBB53_453
.LBB53_458:
	s_waitcnt vmcnt(0)
	v_cmp_le_i64_e32 vcc, s[4:5], v[4:5]
	s_andn2_b64 s[18:19], s[18:19], exec
	s_and_b64 s[20:21], vcc, exec
	s_or_b64 s[18:19], s[18:19], s[20:21]
	global_load_dwordx2 v[4:5], v20, s[2:3]
	s_cmp_lt_i32 s26, 1
	s_mov_b64 s[20:21], 0
	s_cbranch_scc0 .LBB53_454
.LBB53_459:
                                        ; implicit-def: $sgpr2_sgpr3
	s_mov_b64 s[22:23], 0
	s_cbranch_execnz .LBB53_465
	s_branch .LBB53_466
.LBB53_460:
	s_mov_b64 s[22:23], 0
                                        ; implicit-def: $sgpr2_sgpr3
	s_cbranch_execnz .LBB53_463
	s_branch .LBB53_464
.LBB53_461:
	s_mov_b64 s[22:23], -1
                                        ; implicit-def: $sgpr2_sgpr3
.LBB53_462:
	s_branch .LBB53_464
.LBB53_463:
	s_waitcnt vmcnt(0)
	v_cmp_lt_i64_e32 vcc, s[4:5], v[4:5]
	s_andn2_b64 s[2:3], s[2:3], exec
	s_and_b64 s[24:25], vcc, exec
	s_or_b64 s[2:3], s[2:3], s[24:25]
.LBB53_464:
	s_branch .LBB53_466
.LBB53_465:
	s_cmp_lg_u32 s26, 0
	s_mov_b64 s[20:21], -1
	s_cselect_b64 s[22:23], -1, 0
.LBB53_466:
	s_andn2_b64 vcc, exec, s[22:23]
	s_cbranch_vccz .LBB53_470
; %bb.467:
	s_andn2_b64 vcc, exec, s[20:21]
	s_cbranch_vccnz .LBB53_469
.LBB53_468:
	s_waitcnt vmcnt(0)
	v_cmp_le_i64_e32 vcc, s[4:5], v[4:5]
	s_andn2_b64 s[2:3], s[2:3], exec
	s_and_b64 s[4:5], vcc, exec
	s_or_b64 s[2:3], s[2:3], s[4:5]
.LBB53_469:
	v_cndmask_b32_e64 v12, 0, 1, s[6:7]
	s_waitcnt vmcnt(0)
	v_cndmask_b32_e64 v4, 0, 1, s[18:19]
	v_cndmask_b32_e64 v5, 0, 1, s[16:17]
	;; [unrolled: 1-line block ×7, first 2 shown]
	global_store_byte v0, v12, s[0:1]
	global_store_byte v1, v11, s[0:1]
	;; [unrolled: 1-line block ×8, first 2 shown]
	s_endpgm
.LBB53_470:
	s_waitcnt vmcnt(0)
	v_cmp_gt_i64_e32 vcc, s[4:5], v[4:5]
	s_andn2_b64 s[2:3], s[2:3], exec
	s_and_b64 s[22:23], vcc, exec
	s_or_b64 s[2:3], s[2:3], s[22:23]
	s_cbranch_execz .LBB53_468
	s_branch .LBB53_469
.LBB53_471:
	s_mov_b64 s[4:5], -1
                                        ; implicit-def: $sgpr2_sgpr3
	s_branch .LBB53_60
.LBB53_472:
	s_mov_b64 s[4:5], -1
                                        ; implicit-def: $sgpr2_sgpr3
	s_branch .LBB53_88
.LBB53_473:
	s_mov_b64 s[4:5], -1
                                        ; implicit-def: $sgpr2_sgpr3
	s_branch .LBB53_116
.LBB53_474:
	s_mov_b64 s[4:5], -1
                                        ; implicit-def: $sgpr2_sgpr3
	s_branch .LBB53_144
.LBB53_475:
	s_mov_b64 s[4:5], -1
                                        ; implicit-def: $sgpr2_sgpr3
	s_branch .LBB53_172
.LBB53_476:
	s_mov_b64 s[4:5], -1
                                        ; implicit-def: $sgpr2_sgpr3
	s_branch .LBB53_200
.LBB53_477:
	s_mov_b64 s[4:5], -1
                                        ; implicit-def: $sgpr2_sgpr3
	s_branch .LBB53_228
	.section	.rodata,"a",@progbits
	.p2align	6, 0x0
	.amdhsa_kernel _ZN2at6native32elementwise_kernel_manual_unrollILi128ELi8EZNS0_22gpu_kernel_impl_nocastIZNS0_21compare_scalar_kernelIlEEvRNS_18TensorIteratorBaseENS0_12_GLOBAL__N_16OpTypeET_EUllE_EEvS5_RKS8_EUlibE_EEviT1_
		.amdhsa_group_segment_fixed_size 0
		.amdhsa_private_segment_fixed_size 0
		.amdhsa_kernarg_size 368
		.amdhsa_user_sgpr_count 6
		.amdhsa_user_sgpr_private_segment_buffer 1
		.amdhsa_user_sgpr_dispatch_ptr 0
		.amdhsa_user_sgpr_queue_ptr 0
		.amdhsa_user_sgpr_kernarg_segment_ptr 1
		.amdhsa_user_sgpr_dispatch_id 0
		.amdhsa_user_sgpr_flat_scratch_init 0
		.amdhsa_user_sgpr_private_segment_size 0
		.amdhsa_uses_dynamic_stack 0
		.amdhsa_system_sgpr_private_segment_wavefront_offset 0
		.amdhsa_system_sgpr_workgroup_id_x 1
		.amdhsa_system_sgpr_workgroup_id_y 0
		.amdhsa_system_sgpr_workgroup_id_z 0
		.amdhsa_system_sgpr_workgroup_info 0
		.amdhsa_system_vgpr_workitem_id 0
		.amdhsa_next_free_vgpr 26
		.amdhsa_next_free_sgpr 63
		.amdhsa_reserve_vcc 1
		.amdhsa_reserve_flat_scratch 0
		.amdhsa_float_round_mode_32 0
		.amdhsa_float_round_mode_16_64 0
		.amdhsa_float_denorm_mode_32 3
		.amdhsa_float_denorm_mode_16_64 3
		.amdhsa_dx10_clamp 1
		.amdhsa_ieee_mode 1
		.amdhsa_fp16_overflow 0
		.amdhsa_exception_fp_ieee_invalid_op 0
		.amdhsa_exception_fp_denorm_src 0
		.amdhsa_exception_fp_ieee_div_zero 0
		.amdhsa_exception_fp_ieee_overflow 0
		.amdhsa_exception_fp_ieee_underflow 0
		.amdhsa_exception_fp_ieee_inexact 0
		.amdhsa_exception_int_div_zero 0
	.end_amdhsa_kernel
	.section	.text._ZN2at6native32elementwise_kernel_manual_unrollILi128ELi8EZNS0_22gpu_kernel_impl_nocastIZNS0_21compare_scalar_kernelIlEEvRNS_18TensorIteratorBaseENS0_12_GLOBAL__N_16OpTypeET_EUllE_EEvS5_RKS8_EUlibE_EEviT1_,"axG",@progbits,_ZN2at6native32elementwise_kernel_manual_unrollILi128ELi8EZNS0_22gpu_kernel_impl_nocastIZNS0_21compare_scalar_kernelIlEEvRNS_18TensorIteratorBaseENS0_12_GLOBAL__N_16OpTypeET_EUllE_EEvS5_RKS8_EUlibE_EEviT1_,comdat
.Lfunc_end53:
	.size	_ZN2at6native32elementwise_kernel_manual_unrollILi128ELi8EZNS0_22gpu_kernel_impl_nocastIZNS0_21compare_scalar_kernelIlEEvRNS_18TensorIteratorBaseENS0_12_GLOBAL__N_16OpTypeET_EUllE_EEvS5_RKS8_EUlibE_EEviT1_, .Lfunc_end53-_ZN2at6native32elementwise_kernel_manual_unrollILi128ELi8EZNS0_22gpu_kernel_impl_nocastIZNS0_21compare_scalar_kernelIlEEvRNS_18TensorIteratorBaseENS0_12_GLOBAL__N_16OpTypeET_EUllE_EEvS5_RKS8_EUlibE_EEviT1_
                                        ; -- End function
	.set _ZN2at6native32elementwise_kernel_manual_unrollILi128ELi8EZNS0_22gpu_kernel_impl_nocastIZNS0_21compare_scalar_kernelIlEEvRNS_18TensorIteratorBaseENS0_12_GLOBAL__N_16OpTypeET_EUllE_EEvS5_RKS8_EUlibE_EEviT1_.num_vgpr, 26
	.set _ZN2at6native32elementwise_kernel_manual_unrollILi128ELi8EZNS0_22gpu_kernel_impl_nocastIZNS0_21compare_scalar_kernelIlEEvRNS_18TensorIteratorBaseENS0_12_GLOBAL__N_16OpTypeET_EUllE_EEvS5_RKS8_EUlibE_EEviT1_.num_agpr, 0
	.set _ZN2at6native32elementwise_kernel_manual_unrollILi128ELi8EZNS0_22gpu_kernel_impl_nocastIZNS0_21compare_scalar_kernelIlEEvRNS_18TensorIteratorBaseENS0_12_GLOBAL__N_16OpTypeET_EUllE_EEvS5_RKS8_EUlibE_EEviT1_.numbered_sgpr, 63
	.set _ZN2at6native32elementwise_kernel_manual_unrollILi128ELi8EZNS0_22gpu_kernel_impl_nocastIZNS0_21compare_scalar_kernelIlEEvRNS_18TensorIteratorBaseENS0_12_GLOBAL__N_16OpTypeET_EUllE_EEvS5_RKS8_EUlibE_EEviT1_.num_named_barrier, 0
	.set _ZN2at6native32elementwise_kernel_manual_unrollILi128ELi8EZNS0_22gpu_kernel_impl_nocastIZNS0_21compare_scalar_kernelIlEEvRNS_18TensorIteratorBaseENS0_12_GLOBAL__N_16OpTypeET_EUllE_EEvS5_RKS8_EUlibE_EEviT1_.private_seg_size, 0
	.set _ZN2at6native32elementwise_kernel_manual_unrollILi128ELi8EZNS0_22gpu_kernel_impl_nocastIZNS0_21compare_scalar_kernelIlEEvRNS_18TensorIteratorBaseENS0_12_GLOBAL__N_16OpTypeET_EUllE_EEvS5_RKS8_EUlibE_EEviT1_.uses_vcc, 1
	.set _ZN2at6native32elementwise_kernel_manual_unrollILi128ELi8EZNS0_22gpu_kernel_impl_nocastIZNS0_21compare_scalar_kernelIlEEvRNS_18TensorIteratorBaseENS0_12_GLOBAL__N_16OpTypeET_EUllE_EEvS5_RKS8_EUlibE_EEviT1_.uses_flat_scratch, 0
	.set _ZN2at6native32elementwise_kernel_manual_unrollILi128ELi8EZNS0_22gpu_kernel_impl_nocastIZNS0_21compare_scalar_kernelIlEEvRNS_18TensorIteratorBaseENS0_12_GLOBAL__N_16OpTypeET_EUllE_EEvS5_RKS8_EUlibE_EEviT1_.has_dyn_sized_stack, 0
	.set _ZN2at6native32elementwise_kernel_manual_unrollILi128ELi8EZNS0_22gpu_kernel_impl_nocastIZNS0_21compare_scalar_kernelIlEEvRNS_18TensorIteratorBaseENS0_12_GLOBAL__N_16OpTypeET_EUllE_EEvS5_RKS8_EUlibE_EEviT1_.has_recursion, 0
	.set _ZN2at6native32elementwise_kernel_manual_unrollILi128ELi8EZNS0_22gpu_kernel_impl_nocastIZNS0_21compare_scalar_kernelIlEEvRNS_18TensorIteratorBaseENS0_12_GLOBAL__N_16OpTypeET_EUllE_EEvS5_RKS8_EUlibE_EEviT1_.has_indirect_call, 0
	.section	.AMDGPU.csdata,"",@progbits
; Kernel info:
; codeLenInByte = 14280
; TotalNumSgprs: 67
; NumVgprs: 26
; ScratchSize: 0
; MemoryBound: 0
; FloatMode: 240
; IeeeMode: 1
; LDSByteSize: 0 bytes/workgroup (compile time only)
; SGPRBlocks: 8
; VGPRBlocks: 6
; NumSGPRsForWavesPerEU: 67
; NumVGPRsForWavesPerEU: 26
; Occupancy: 9
; WaveLimiterHint : 1
; COMPUTE_PGM_RSRC2:SCRATCH_EN: 0
; COMPUTE_PGM_RSRC2:USER_SGPR: 6
; COMPUTE_PGM_RSRC2:TRAP_HANDLER: 0
; COMPUTE_PGM_RSRC2:TGID_X_EN: 1
; COMPUTE_PGM_RSRC2:TGID_Y_EN: 0
; COMPUTE_PGM_RSRC2:TGID_Z_EN: 0
; COMPUTE_PGM_RSRC2:TIDIG_COMP_CNT: 0
	.section	.text._ZN2at6native32elementwise_kernel_manual_unrollILi128ELi4EZNS0_15gpu_kernel_implIZNS0_21compare_scalar_kernelIlEEvRNS_18TensorIteratorBaseENS0_12_GLOBAL__N_16OpTypeET_EUllE_EEvS5_RKS8_EUlibE_EEviT1_,"axG",@progbits,_ZN2at6native32elementwise_kernel_manual_unrollILi128ELi4EZNS0_15gpu_kernel_implIZNS0_21compare_scalar_kernelIlEEvRNS_18TensorIteratorBaseENS0_12_GLOBAL__N_16OpTypeET_EUllE_EEvS5_RKS8_EUlibE_EEviT1_,comdat
	.globl	_ZN2at6native32elementwise_kernel_manual_unrollILi128ELi4EZNS0_15gpu_kernel_implIZNS0_21compare_scalar_kernelIlEEvRNS_18TensorIteratorBaseENS0_12_GLOBAL__N_16OpTypeET_EUllE_EEvS5_RKS8_EUlibE_EEviT1_ ; -- Begin function _ZN2at6native32elementwise_kernel_manual_unrollILi128ELi4EZNS0_15gpu_kernel_implIZNS0_21compare_scalar_kernelIlEEvRNS_18TensorIteratorBaseENS0_12_GLOBAL__N_16OpTypeET_EUllE_EEvS5_RKS8_EUlibE_EEviT1_
	.p2align	8
	.type	_ZN2at6native32elementwise_kernel_manual_unrollILi128ELi4EZNS0_15gpu_kernel_implIZNS0_21compare_scalar_kernelIlEEvRNS_18TensorIteratorBaseENS0_12_GLOBAL__N_16OpTypeET_EUllE_EEvS5_RKS8_EUlibE_EEviT1_,@function
_ZN2at6native32elementwise_kernel_manual_unrollILi128ELi4EZNS0_15gpu_kernel_implIZNS0_21compare_scalar_kernelIlEEvRNS_18TensorIteratorBaseENS0_12_GLOBAL__N_16OpTypeET_EUllE_EEvS5_RKS8_EUlibE_EEviT1_: ; @_ZN2at6native32elementwise_kernel_manual_unrollILi128ELi4EZNS0_15gpu_kernel_implIZNS0_21compare_scalar_kernelIlEEvRNS_18TensorIteratorBaseENS0_12_GLOBAL__N_16OpTypeET_EUllE_EEvS5_RKS8_EUlibE_EEviT1_
; %bb.0:
	s_load_dword s33, s[4:5], 0x30
	s_load_dwordx2 s[2:3], s[4:5], 0x28
	s_load_dword s42, s[4:5], 0x0
	s_load_dwordx8 s[8:15], s[4:5], 0x8
	v_lshl_or_b32 v4, s6, 9, v0
	v_or_b32_e32 v0, 0x180, v4
	s_waitcnt lgkmcnt(0)
	s_bfe_u32 s15, s33, 0x80008
	v_cmp_le_i32_e32 vcc, s42, v0
	s_mov_b64 s[4:5], 0
	s_mov_b64 s[16:17], 0
	s_and_saveexec_b64 s[0:1], vcc
	s_xor_b64 s[6:7], exec, s[0:1]
	s_cbranch_execz .LBB54_1076
; %bb.1:
	v_cmp_gt_i32_e32 vcc, s42, v4
	s_mov_b64 s[22:23], -1
	s_mov_b64 s[24:25], 0
	s_mov_b64 s[18:19], 0
	s_and_saveexec_b64 s[20:21], vcc
	s_cbranch_execz .LBB54_264
; %bb.2:
	v_mul_lo_u32 v0, v4, s13
	v_mov_b32_e32 v1, s11
	s_and_b32 s22, 0xffff, s15
	s_cmp_lt_i32 s22, 11
	v_ashrrev_i32_e32 v2, 31, v0
	v_add_co_u32_e32 v0, vcc, s10, v0
	v_addc_co_u32_e32 v1, vcc, v1, v2, vcc
	s_cbranch_scc1 .LBB54_9
; %bb.3:
	s_cmp_gt_i32 s22, 25
	s_cbranch_scc0 .LBB54_15
; %bb.4:
	s_cmp_gt_i32 s22, 28
	s_cbranch_scc0 .LBB54_17
	;; [unrolled: 3-line block ×4, first 2 shown]
; %bb.7:
	s_cmp_eq_u32 s22, 46
	s_cbranch_scc0 .LBB54_44
; %bb.8:
	global_load_dword v2, v[0:1], off
	s_mov_b32 s0, 0x2f800000
	s_mov_b32 s1, 0xcf800000
	s_waitcnt vmcnt(0)
	v_lshlrev_b32_e32 v2, 16, v2
	v_trunc_f32_e32 v2, v2
	v_mul_f32_e64 v3, |v2|, s0
	v_floor_f32_e32 v3, v3
	v_fma_f32 v5, v3, s1, |v2|
	v_cvt_u32_f32_e32 v5, v5
	v_cvt_u32_f32_e32 v3, v3
	v_ashrrev_i32_e32 v6, 31, v2
	s_mov_b64 s[0:1], -1
	v_xor_b32_e32 v2, v5, v6
	v_xor_b32_e32 v3, v3, v6
	v_sub_co_u32_e32 v2, vcc, v2, v6
	v_subb_co_u32_e32 v3, vcc, v3, v6, vcc
	s_branch .LBB54_46
.LBB54_9:
                                        ; implicit-def: $vgpr2_vgpr3
	s_mov_b64 s[0:1], 0
	s_cbranch_execnz .LBB54_215
.LBB54_10:
	s_andn2_b64 vcc, exec, s[0:1]
	s_cbranch_vccnz .LBB54_262
.LBB54_11:
	s_cmp_lt_i32 s14, 1
	s_mov_b64 s[0:1], 0
	s_cbranch_scc1 .LBB54_16
; %bb.12:
	s_cmp_gt_i32 s14, 1
	s_cbranch_scc0 .LBB54_18
; %bb.13:
	s_cmp_eq_u32 s14, 2
	s_cbranch_scc0 .LBB54_20
; %bb.14:
	s_waitcnt vmcnt(0)
	v_cmp_ge_i64_e64 s[16:17], s[2:3], v[2:3]
	s_mov_b64 s[22:23], 0
	s_branch .LBB54_21
.LBB54_15:
	s_mov_b64 s[0:1], 0
                                        ; implicit-def: $vgpr2_vgpr3
	s_cbranch_execnz .LBB54_184
	s_branch .LBB54_214
.LBB54_16:
                                        ; implicit-def: $sgpr16_sgpr17
	s_mov_b64 s[22:23], 0
	s_cbranch_execnz .LBB54_25
	s_branch .LBB54_26
.LBB54_17:
	s_mov_b64 s[16:17], -1
	s_mov_b64 s[0:1], 0
                                        ; implicit-def: $vgpr2_vgpr3
	s_branch .LBB54_165
.LBB54_18:
	s_mov_b64 s[26:27], -1
	s_mov_b64 s[22:23], 0
                                        ; implicit-def: $sgpr16_sgpr17
	s_branch .LBB54_22
.LBB54_19:
	s_mov_b64 s[16:17], -1
	s_mov_b64 s[0:1], 0
                                        ; implicit-def: $vgpr2_vgpr3
	s_branch .LBB54_160
.LBB54_20:
	s_mov_b64 s[22:23], -1
                                        ; implicit-def: $sgpr16_sgpr17
.LBB54_21:
	s_mov_b64 s[26:27], 0
.LBB54_22:
	s_and_b64 vcc, exec, s[26:27]
	s_cbranch_vccz .LBB54_24
; %bb.23:
	s_waitcnt vmcnt(0)
	v_cmp_lt_i64_e32 vcc, s[2:3], v[2:3]
	s_andn2_b64 s[16:17], s[16:17], exec
	s_and_b64 s[26:27], vcc, exec
	s_or_b64 s[16:17], s[16:17], s[26:27]
.LBB54_24:
	s_branch .LBB54_26
.LBB54_25:
	s_cmp_lg_u32 s14, 0
	s_mov_b64 s[0:1], -1
	s_cselect_b64 s[22:23], -1, 0
.LBB54_26:
	s_andn2_b64 vcc, exec, s[22:23]
	s_cbranch_vccnz .LBB54_28
; %bb.27:
	s_waitcnt vmcnt(0)
	v_cmp_gt_i64_e32 vcc, s[2:3], v[2:3]
	s_andn2_b64 s[16:17], s[16:17], exec
	s_and_b64 s[22:23], vcc, exec
	s_or_b64 s[16:17], s[16:17], s[22:23]
	s_cbranch_execz .LBB54_29
	s_branch .LBB54_30
.LBB54_28:
	s_andn2_b64 vcc, exec, s[0:1]
	s_cbranch_vccnz .LBB54_30
.LBB54_29:
	s_waitcnt vmcnt(0)
	v_cmp_le_i64_e32 vcc, s[2:3], v[2:3]
	s_andn2_b64 s[0:1], s[16:17], exec
	s_and_b64 s[16:17], vcc, exec
	s_or_b64 s[16:17], s[0:1], s[16:17]
.LBB54_30:
	v_mul_lo_u32 v0, v4, s12
	v_mov_b32_e32 v1, s9
	s_and_b32 s30, s33, 0xff
	s_cmp_lt_i32 s30, 11
	s_waitcnt vmcnt(0)
	v_ashrrev_i32_e32 v2, 31, v0
	v_add_co_u32_e32 v0, vcc, s8, v0
	v_addc_co_u32_e32 v1, vcc, v1, v2, vcc
	s_cbranch_scc1 .LBB54_37
; %bb.31:
	s_and_b32 s31, 0xffff, s30
	s_cmp_gt_i32 s31, 25
	s_cbranch_scc0 .LBB54_40
; %bb.32:
	s_cmp_gt_i32 s31, 28
	s_cbranch_scc0 .LBB54_41
; %bb.33:
	;; [unrolled: 3-line block ×4, first 2 shown]
	s_mov_b64 s[26:27], 0
	s_mov_b64 s[0:1], -1
	s_cmp_eq_u32 s31, 46
	s_mov_b64 s[22:23], 0
	s_cbranch_scc0 .LBB54_50
; %bb.36:
	v_cndmask_b32_e64 v2, 0, 1.0, s[16:17]
	v_bfe_u32 v3, v2, 16, 1
	s_movk_i32 s0, 0x7fff
	v_add3_u32 v2, v2, v3, s0
	v_lshrrev_b32_e32 v2, 16, v2
	global_store_dword v[0:1], v2, off
	s_mov_b64 s[22:23], -1
	s_mov_b64 s[0:1], 0
	s_branch .LBB54_50
.LBB54_37:
	s_mov_b64 s[0:1], 0
	s_mov_b64 s[22:23], 0
	s_cbranch_execnz .LBB54_119
.LBB54_38:
	s_andn2_b64 vcc, exec, s[22:23]
	s_cbranch_vccnz .LBB54_157
.LBB54_39:
	v_add_u32_e32 v4, 0x80, v4
	s_mov_b64 s[22:23], -1
	s_branch .LBB54_263
.LBB54_40:
	s_mov_b64 s[26:27], -1
	s_mov_b64 s[0:1], 0
	s_mov_b64 s[22:23], 0
	s_branch .LBB54_77
.LBB54_41:
	s_mov_b64 s[26:27], -1
	s_mov_b64 s[0:1], 0
	s_mov_b64 s[22:23], 0
	s_branch .LBB54_60
.LBB54_42:
	s_mov_b64 s[16:17], -1
	s_branch .LBB54_45
.LBB54_43:
	s_mov_b64 s[26:27], -1
	s_mov_b64 s[0:1], 0
	s_mov_b64 s[22:23], 0
	s_branch .LBB54_56
.LBB54_44:
	s_mov_b64 s[18:19], -1
.LBB54_45:
	s_mov_b64 s[0:1], 0
                                        ; implicit-def: $vgpr2_vgpr3
.LBB54_46:
	s_and_b64 vcc, exec, s[16:17]
	s_cbranch_vccz .LBB54_159
; %bb.47:
	s_cmp_eq_u32 s22, 44
	s_cbranch_scc0 .LBB54_158
; %bb.48:
	global_load_ubyte v2, v[0:1], off
	s_mov_b32 s0, 0x2f800000
	s_mov_b32 s1, 0xcf800000
	s_mov_b64 s[18:19], 0
	s_waitcnt vmcnt(0)
	v_lshlrev_b32_e32 v3, 23, v2
	v_trunc_f32_e32 v3, v3
	v_mul_f32_e64 v5, |v3|, s0
	v_floor_f32_e32 v5, v5
	v_fma_f32 v6, v5, s1, |v3|
	v_cvt_u32_f32_e32 v6, v6
	v_cvt_u32_f32_e32 v5, v5
	v_ashrrev_i32_e32 v3, 31, v3
	s_mov_b64 s[0:1], -1
	v_xor_b32_e32 v6, v6, v3
	v_xor_b32_e32 v5, v5, v3
	v_sub_co_u32_e32 v6, vcc, v6, v3
	v_subb_co_u32_e32 v3, vcc, v5, v3, vcc
	v_cmp_ne_u32_e32 vcc, 0, v2
	v_cndmask_b32_e32 v3, 0, v3, vcc
	v_cndmask_b32_e32 v2, 0, v6, vcc
	s_branch .LBB54_159
.LBB54_49:
	s_mov_b64 s[26:27], -1
	s_mov_b64 s[0:1], 0
	s_mov_b64 s[22:23], 0
.LBB54_50:
	s_and_b64 vcc, exec, s[26:27]
	s_cbranch_vccz .LBB54_55
; %bb.51:
	s_cmp_eq_u32 s31, 44
	s_mov_b64 s[0:1], -1
	s_cbranch_scc0 .LBB54_55
; %bb.52:
	v_cndmask_b32_e64 v3, 0, 1.0, s[16:17]
	v_lshrrev_b32_e32 v2, 23, v3
	s_movk_i32 s0, 0xff
	v_cmp_ne_u32_e32 vcc, s0, v2
	v_mov_b32_e32 v5, 0xff
	s_and_saveexec_b64 s[22:23], vcc
; %bb.53:
	s_mov_b32 s0, 0x3fffff
	v_and_b32_e32 v5, 0x400000, v3
	v_and_or_b32 v3, v3, s0, v2
	v_cmp_ne_u32_e32 vcc, 0, v5
	v_cmp_ne_u32_e64 s[0:1], 0, v3
	s_and_b64 s[0:1], vcc, s[0:1]
	v_cndmask_b32_e64 v3, 0, 1, s[0:1]
	v_add_u32_e32 v5, v2, v3
; %bb.54:
	s_or_b64 exec, exec, s[22:23]
	s_mov_b64 s[22:23], -1
	s_mov_b64 s[0:1], 0
	global_store_byte v[0:1], v5, off
.LBB54_55:
	s_mov_b64 s[26:27], 0
.LBB54_56:
	s_and_b64 vcc, exec, s[26:27]
	s_cbranch_vccz .LBB54_59
; %bb.57:
	s_cmp_eq_u32 s31, 29
	s_mov_b64 s[0:1], -1
	s_cbranch_scc0 .LBB54_59
; %bb.58:
	s_mov_b32 s0, 0
	v_cndmask_b32_e64 v2, 0, 1, s[16:17]
	v_mov_b32_e32 v3, s0
	global_store_dwordx2 v[0:1], v[2:3], off
	s_mov_b64 s[22:23], -1
	s_mov_b64 s[0:1], 0
.LBB54_59:
	s_mov_b64 s[26:27], 0
.LBB54_60:
	s_and_b64 vcc, exec, s[26:27]
	s_cbranch_vccz .LBB54_76
; %bb.61:
	s_cmp_lt_i32 s31, 27
	s_mov_b64 s[22:23], -1
	s_cbranch_scc1 .LBB54_67
; %bb.62:
	s_cmp_gt_i32 s31, 27
	s_cbranch_scc0 .LBB54_64
; %bb.63:
	v_cndmask_b32_e64 v2, 0, 1, s[16:17]
	s_mov_b64 s[22:23], 0
	global_store_dword v[0:1], v2, off
.LBB54_64:
	s_andn2_b64 vcc, exec, s[22:23]
	s_cbranch_vccnz .LBB54_66
; %bb.65:
	v_cndmask_b32_e64 v2, 0, 1, s[16:17]
	global_store_short v[0:1], v2, off
.LBB54_66:
	s_mov_b64 s[22:23], 0
.LBB54_67:
	s_andn2_b64 vcc, exec, s[22:23]
	s_cbranch_vccnz .LBB54_75
; %bb.68:
	v_cndmask_b32_e64 v3, 0, 1.0, s[16:17]
	s_mov_b32 s22, 0x43800000
	v_cmp_gt_u32_e32 vcc, s22, v3
	v_mov_b32_e32 v5, 0x80
	s_and_saveexec_b64 s[22:23], vcc
	s_cbranch_execz .LBB54_74
; %bb.69:
	s_mov_b32 s26, 0x3bffffff
	v_cmp_lt_u32_e32 vcc, s26, v3
	s_mov_b64 s[26:27], 0
                                        ; implicit-def: $vgpr2
	s_and_saveexec_b64 s[28:29], vcc
	s_xor_b64 s[28:29], exec, s[28:29]
	s_cbranch_execz .LBB54_307
; %bb.70:
	v_bfe_u32 v2, v3, 20, 1
	s_mov_b32 s34, 0x487ffff
	v_add3_u32 v2, v3, v2, s34
	s_mov_b64 s[26:27], exec
	v_lshrrev_b32_e32 v2, 20, v2
                                        ; implicit-def: $vgpr3
	s_andn2_saveexec_b64 s[28:29], s[28:29]
	s_cbranch_execnz .LBB54_308
.LBB54_71:
	s_or_b64 exec, exec, s[28:29]
	v_mov_b32_e32 v5, 0
	s_and_saveexec_b64 s[28:29], s[26:27]
.LBB54_72:
	v_mov_b32_e32 v5, v2
.LBB54_73:
	s_or_b64 exec, exec, s[28:29]
.LBB54_74:
	s_or_b64 exec, exec, s[22:23]
	global_store_byte v[0:1], v5, off
.LBB54_75:
	s_mov_b64 s[22:23], -1
.LBB54_76:
	s_mov_b64 s[26:27], 0
.LBB54_77:
	s_and_b64 vcc, exec, s[26:27]
	s_cbranch_vccz .LBB54_118
; %bb.78:
	s_cmp_gt_i32 s31, 22
	s_mov_b64 s[26:27], -1
	s_cbranch_scc0 .LBB54_110
; %bb.79:
	s_cmp_lt_i32 s31, 24
	s_mov_b64 s[22:23], -1
	s_cbranch_scc1 .LBB54_99
; %bb.80:
	s_cmp_gt_i32 s31, 24
	s_cbranch_scc0 .LBB54_88
; %bb.81:
	v_cndmask_b32_e64 v3, 0, 1.0, s[16:17]
	s_mov_b32 s22, 0x47800000
	v_cmp_gt_u32_e32 vcc, s22, v3
	v_mov_b32_e32 v5, 0x80
	s_and_saveexec_b64 s[22:23], vcc
	s_cbranch_execz .LBB54_87
; %bb.82:
	s_mov_b32 s26, 0x37ffffff
	v_cmp_lt_u32_e32 vcc, s26, v3
	s_mov_b64 s[26:27], 0
                                        ; implicit-def: $vgpr2
	s_and_saveexec_b64 s[28:29], vcc
	s_xor_b64 s[28:29], exec, s[28:29]
	s_cbranch_execz .LBB54_311
; %bb.83:
	v_bfe_u32 v2, v3, 21, 1
	s_mov_b32 s34, 0x88fffff
	v_add3_u32 v2, v3, v2, s34
	s_mov_b64 s[26:27], exec
	v_lshrrev_b32_e32 v2, 21, v2
                                        ; implicit-def: $vgpr3
	s_andn2_saveexec_b64 s[28:29], s[28:29]
	s_cbranch_execnz .LBB54_312
.LBB54_84:
	s_or_b64 exec, exec, s[28:29]
	v_mov_b32_e32 v5, 0
	s_and_saveexec_b64 s[28:29], s[26:27]
.LBB54_85:
	v_mov_b32_e32 v5, v2
.LBB54_86:
	s_or_b64 exec, exec, s[28:29]
.LBB54_87:
	s_or_b64 exec, exec, s[22:23]
	s_mov_b64 s[22:23], 0
	global_store_byte v[0:1], v5, off
.LBB54_88:
	s_and_b64 vcc, exec, s[22:23]
	s_cbranch_vccz .LBB54_98
; %bb.89:
	v_cndmask_b32_e64 v2, 0, 1.0, s[16:17]
	s_mov_b32 s22, 0x43f00000
	v_cmp_gt_u32_e32 vcc, s22, v2
                                        ; implicit-def: $vgpr3
	s_and_saveexec_b64 s[22:23], vcc
	s_xor_b64 s[22:23], exec, s[22:23]
	s_cbranch_execz .LBB54_95
; %bb.90:
	s_mov_b32 s26, 0x3c7fffff
	v_cmp_lt_u32_e32 vcc, s26, v2
                                        ; implicit-def: $vgpr3
	s_and_saveexec_b64 s[26:27], vcc
	s_xor_b64 s[26:27], exec, s[26:27]
; %bb.91:
	v_bfe_u32 v3, v2, 20, 1
	s_mov_b32 s28, 0x407ffff
	v_add3_u32 v2, v2, v3, s28
	v_lshrrev_b32_e32 v3, 20, v2
	v_and_b32_e32 v2, 0xff00000, v2
	s_mov_b32 s28, 0x7f00000
	v_mov_b32_e32 v5, 0x7e
	v_cmp_ne_u32_e32 vcc, s28, v2
	v_cndmask_b32_e32 v3, v5, v3, vcc
                                        ; implicit-def: $vgpr2
; %bb.92:
	s_andn2_saveexec_b64 s[26:27], s[26:27]
; %bb.93:
	v_add_f32_e32 v3, 0x46800000, v2
; %bb.94:
	s_or_b64 exec, exec, s[26:27]
                                        ; implicit-def: $vgpr2
.LBB54_95:
	s_andn2_saveexec_b64 s[22:23], s[22:23]
; %bb.96:
	s_mov_b32 s26, 0x7f800000
	v_mov_b32_e32 v3, 0x7e
	v_mov_b32_e32 v5, 0x7f
	v_cmp_lt_u32_e32 vcc, s26, v2
	v_cndmask_b32_e32 v3, v3, v5, vcc
; %bb.97:
	s_or_b64 exec, exec, s[22:23]
	global_store_byte v[0:1], v3, off
.LBB54_98:
	s_mov_b64 s[22:23], 0
.LBB54_99:
	s_andn2_b64 vcc, exec, s[22:23]
	s_cbranch_vccnz .LBB54_109
; %bb.100:
	v_cndmask_b32_e64 v2, 0, 1.0, s[16:17]
	s_mov_b32 s22, 0x47800000
	v_cmp_gt_u32_e32 vcc, s22, v2
                                        ; implicit-def: $vgpr3
	s_and_saveexec_b64 s[22:23], vcc
	s_xor_b64 s[22:23], exec, s[22:23]
	s_cbranch_execz .LBB54_106
; %bb.101:
	s_mov_b32 s26, 0x387fffff
	v_cmp_lt_u32_e32 vcc, s26, v2
                                        ; implicit-def: $vgpr3
	s_and_saveexec_b64 s[26:27], vcc
	s_xor_b64 s[26:27], exec, s[26:27]
; %bb.102:
	v_bfe_u32 v3, v2, 21, 1
	s_mov_b32 s28, 0x80fffff
	v_add3_u32 v2, v2, v3, s28
	v_lshrrev_b32_e32 v3, 21, v2
                                        ; implicit-def: $vgpr2
; %bb.103:
	s_andn2_saveexec_b64 s[26:27], s[26:27]
; %bb.104:
	v_add_f32_e32 v3, 0x43000000, v2
; %bb.105:
	s_or_b64 exec, exec, s[26:27]
                                        ; implicit-def: $vgpr2
.LBB54_106:
	s_andn2_saveexec_b64 s[22:23], s[22:23]
; %bb.107:
	s_mov_b32 s26, 0x7f800000
	v_mov_b32_e32 v3, 0x7c
	v_mov_b32_e32 v5, 0x7f
	v_cmp_lt_u32_e32 vcc, s26, v2
	v_cndmask_b32_e32 v3, v3, v5, vcc
; %bb.108:
	s_or_b64 exec, exec, s[22:23]
	global_store_byte v[0:1], v3, off
.LBB54_109:
	s_mov_b64 s[26:27], 0
	s_mov_b64 s[22:23], -1
.LBB54_110:
	s_andn2_b64 vcc, exec, s[26:27]
	s_cbranch_vccnz .LBB54_118
; %bb.111:
	s_cmp_gt_i32 s31, 14
	s_mov_b64 s[26:27], -1
	s_cbranch_scc0 .LBB54_115
; %bb.112:
	s_cmp_eq_u32 s31, 15
	s_mov_b64 s[0:1], -1
	s_cbranch_scc0 .LBB54_114
; %bb.113:
	v_cndmask_b32_e64 v2, 0, 1.0, s[16:17]
	v_bfe_u32 v3, v2, 16, 1
	s_movk_i32 s0, 0x7fff
	v_add3_u32 v2, v2, v3, s0
	global_store_short_d16_hi v[0:1], v2, off
	s_mov_b64 s[22:23], -1
	s_mov_b64 s[0:1], 0
.LBB54_114:
	s_mov_b64 s[26:27], 0
.LBB54_115:
	s_and_b64 vcc, exec, s[26:27]
	s_cbranch_vccz .LBB54_118
; %bb.116:
	s_cmp_eq_u32 s31, 11
	s_mov_b64 s[0:1], -1
	s_cbranch_scc0 .LBB54_118
; %bb.117:
	v_cndmask_b32_e64 v2, 0, 1, s[16:17]
	s_mov_b64 s[22:23], -1
	s_mov_b64 s[0:1], 0
	global_store_byte v[0:1], v2, off
.LBB54_118:
	s_branch .LBB54_38
.LBB54_119:
	s_and_b32 s26, 0xffff, s30
	s_cmp_lt_i32 s26, 5
	s_mov_b64 s[22:23], -1
	s_cbranch_scc1 .LBB54_140
; %bb.120:
	s_cmp_lt_i32 s26, 8
	s_cbranch_scc1 .LBB54_130
; %bb.121:
	s_cmp_lt_i32 s26, 9
	s_cbranch_scc1 .LBB54_127
; %bb.122:
	s_cmp_gt_i32 s26, 9
	s_cbranch_scc0 .LBB54_124
; %bb.123:
	v_cndmask_b32_e64 v2, 0, 1, s[16:17]
	v_cvt_f64_u32_e32 v[5:6], v2
	v_mov_b32_e32 v7, 0
	v_mov_b32_e32 v8, v7
	s_mov_b64 s[22:23], 0
	global_store_dwordx4 v[0:1], v[5:8], off
.LBB54_124:
	s_andn2_b64 vcc, exec, s[22:23]
	s_cbranch_vccnz .LBB54_126
; %bb.125:
	v_cndmask_b32_e64 v2, 0, 1.0, s[16:17]
	v_mov_b32_e32 v3, 0
	global_store_dwordx2 v[0:1], v[2:3], off
.LBB54_126:
	s_mov_b64 s[22:23], 0
.LBB54_127:
	s_andn2_b64 vcc, exec, s[22:23]
	s_cbranch_vccnz .LBB54_129
; %bb.128:
	v_cndmask_b32_e64 v2, 0, 1.0, s[16:17]
	v_cvt_f16_f32_e32 v2, v2
	global_store_dword v[0:1], v2, off
.LBB54_129:
	s_mov_b64 s[22:23], 0
.LBB54_130:
	s_andn2_b64 vcc, exec, s[22:23]
	s_cbranch_vccnz .LBB54_139
; %bb.131:
	s_cmp_lt_i32 s26, 6
	s_mov_b64 s[22:23], -1
	s_cbranch_scc1 .LBB54_137
; %bb.132:
	s_cmp_gt_i32 s26, 6
	s_cbranch_scc0 .LBB54_134
; %bb.133:
	v_cndmask_b32_e64 v2, 0, 1, s[16:17]
	v_cvt_f64_u32_e32 v[2:3], v2
	s_mov_b64 s[22:23], 0
	global_store_dwordx2 v[0:1], v[2:3], off
.LBB54_134:
	s_andn2_b64 vcc, exec, s[22:23]
	s_cbranch_vccnz .LBB54_136
; %bb.135:
	v_cndmask_b32_e64 v2, 0, 1.0, s[16:17]
	global_store_dword v[0:1], v2, off
.LBB54_136:
	s_mov_b64 s[22:23], 0
.LBB54_137:
	s_andn2_b64 vcc, exec, s[22:23]
	s_cbranch_vccnz .LBB54_139
; %bb.138:
	v_cndmask_b32_e64 v2, 0, 1.0, s[16:17]
	v_cvt_f16_f32_e32 v2, v2
	global_store_short v[0:1], v2, off
.LBB54_139:
	s_mov_b64 s[22:23], 0
.LBB54_140:
	s_andn2_b64 vcc, exec, s[22:23]
	s_cbranch_vccnz .LBB54_156
; %bb.141:
	s_cmp_lt_i32 s26, 2
	s_mov_b64 s[22:23], -1
	s_cbranch_scc1 .LBB54_151
; %bb.142:
	s_cmp_lt_i32 s26, 3
	s_cbranch_scc1 .LBB54_148
; %bb.143:
	s_cmp_gt_i32 s26, 3
	s_cbranch_scc0 .LBB54_145
; %bb.144:
	s_mov_b32 s22, 0
	v_cndmask_b32_e64 v2, 0, 1, s[16:17]
	v_mov_b32_e32 v3, s22
	global_store_dwordx2 v[0:1], v[2:3], off
	s_mov_b64 s[22:23], 0
.LBB54_145:
	s_andn2_b64 vcc, exec, s[22:23]
	s_cbranch_vccnz .LBB54_147
; %bb.146:
	v_cndmask_b32_e64 v2, 0, 1, s[16:17]
	global_store_dword v[0:1], v2, off
.LBB54_147:
	s_mov_b64 s[22:23], 0
.LBB54_148:
	s_andn2_b64 vcc, exec, s[22:23]
	s_cbranch_vccnz .LBB54_150
; %bb.149:
	v_cndmask_b32_e64 v2, 0, 1, s[16:17]
	global_store_short v[0:1], v2, off
.LBB54_150:
	s_mov_b64 s[22:23], 0
.LBB54_151:
	s_andn2_b64 vcc, exec, s[22:23]
	s_cbranch_vccnz .LBB54_156
; %bb.152:
	s_mov_b64 s[22:23], -1
	s_cmp_gt_i32 s26, 0
	v_cndmask_b32_e64 v2, 0, 1, s[16:17]
	s_cbranch_scc0 .LBB54_154
; %bb.153:
	global_store_byte v[0:1], v2, off
	s_mov_b64 s[22:23], 0
.LBB54_154:
	s_andn2_b64 vcc, exec, s[22:23]
	s_cbranch_vccnz .LBB54_156
; %bb.155:
	global_store_byte v[0:1], v2, off
.LBB54_156:
	s_branch .LBB54_39
.LBB54_157:
	s_mov_b64 s[22:23], 0
                                        ; implicit-def: $vgpr4
	s_branch .LBB54_263
.LBB54_158:
	s_mov_b64 s[18:19], -1
                                        ; implicit-def: $vgpr2_vgpr3
.LBB54_159:
	s_mov_b64 s[16:17], 0
.LBB54_160:
	s_and_b64 vcc, exec, s[16:17]
	s_cbranch_vccz .LBB54_164
; %bb.161:
	s_cmp_eq_u32 s22, 29
	s_cbranch_scc0 .LBB54_163
; %bb.162:
	global_load_dwordx2 v[2:3], v[0:1], off
	s_mov_b64 s[0:1], -1
	s_mov_b64 s[18:19], 0
	s_branch .LBB54_164
.LBB54_163:
	s_mov_b64 s[18:19], -1
                                        ; implicit-def: $vgpr2_vgpr3
.LBB54_164:
	s_mov_b64 s[16:17], 0
.LBB54_165:
	s_and_b64 vcc, exec, s[16:17]
	s_cbranch_vccz .LBB54_183
; %bb.166:
	s_cmp_lt_i32 s22, 27
	s_cbranch_scc1 .LBB54_169
; %bb.167:
	s_cmp_gt_i32 s22, 27
	s_cbranch_scc0 .LBB54_170
; %bb.168:
	global_load_dword v2, v[0:1], off
	s_waitcnt vmcnt(1)
	v_mov_b32_e32 v3, 0
	s_mov_b64 s[0:1], 0
	s_branch .LBB54_171
.LBB54_169:
	s_mov_b64 s[0:1], -1
                                        ; implicit-def: $vgpr2_vgpr3
	s_branch .LBB54_174
.LBB54_170:
	s_mov_b64 s[0:1], -1
                                        ; implicit-def: $vgpr2_vgpr3
.LBB54_171:
	s_andn2_b64 vcc, exec, s[0:1]
	s_cbranch_vccnz .LBB54_173
; %bb.172:
	global_load_ushort v2, v[0:1], off
	s_mov_b32 s0, 0
	s_waitcnt vmcnt(1)
	v_mov_b32_e32 v3, s0
	s_waitcnt vmcnt(0)
	v_and_b32_e32 v2, 0xffff, v2
.LBB54_173:
	s_mov_b64 s[0:1], 0
.LBB54_174:
	s_andn2_b64 vcc, exec, s[0:1]
	s_cbranch_vccnz .LBB54_182
; %bb.175:
	global_load_ubyte v5, v[0:1], off
	s_movk_i32 s0, 0x7f
	s_mov_b64 s[16:17], 0
	s_waitcnt vmcnt(0)
	v_cmp_lt_i16_e32 vcc, s0, v5
	s_and_saveexec_b64 s[0:1], vcc
	s_xor_b64 s[0:1], exec, s[0:1]
; %bb.176:
	s_movk_i32 s16, 0x80
	v_cmp_ne_u16_e32 vcc, s16, v5
	s_and_b64 s[16:17], vcc, exec
; %bb.177:
	s_andn2_saveexec_b64 s[0:1], s[0:1]
; %bb.178:
	v_cmp_ne_u16_e32 vcc, 0, v5
	s_andn2_b64 s[16:17], s[16:17], exec
	s_and_b64 s[26:27], vcc, exec
	s_or_b64 s[16:17], s[16:17], s[26:27]
; %bb.179:
	s_or_b64 exec, exec, s[0:1]
	v_mov_b32_e32 v2, 0
	v_mov_b32_e32 v3, 0
	s_and_saveexec_b64 s[0:1], s[16:17]
	s_cbranch_execz .LBB54_181
; %bb.180:
	v_and_b32_e32 v3, 0xffff, v5
	v_lshlrev_b32_e32 v2, 24, v5
	v_and_b32_e32 v5, 7, v3
	v_ffbh_u32_e32 v7, v5
	v_min_u32_e32 v7, 32, v7
	v_subrev_u32_e32 v8, 28, v7
	v_bfe_u32 v6, v3, 3, 4
	v_lshlrev_b32_e32 v3, v8, v3
	v_sub_u32_e32 v7, 29, v7
	v_and_b32_e32 v3, 7, v3
	v_cmp_eq_u32_e32 vcc, 0, v6
	v_cndmask_b32_e32 v6, v6, v7, vcc
	v_cndmask_b32_e32 v3, v5, v3, vcc
	v_mov_b32_e32 v5, 0x3b800000
	v_lshlrev_b32_e32 v3, 20, v3
	v_and_b32_e32 v2, 0x80000000, v2
	v_lshl_add_u32 v5, v6, 23, v5
	v_or3_b32 v2, v2, v5, v3
	v_trunc_f32_e32 v2, v2
	s_mov_b32 s16, 0x2f800000
	v_mul_f32_e64 v3, |v2|, s16
	v_floor_f32_e32 v3, v3
	s_mov_b32 s16, 0xcf800000
	v_fma_f32 v5, v3, s16, |v2|
	v_cvt_u32_f32_e32 v5, v5
	v_cvt_u32_f32_e32 v3, v3
	v_ashrrev_i32_e32 v6, 31, v2
	v_xor_b32_e32 v2, v5, v6
	v_xor_b32_e32 v3, v3, v6
	v_sub_co_u32_e32 v2, vcc, v2, v6
	v_subb_co_u32_e32 v3, vcc, v3, v6, vcc
.LBB54_181:
	s_or_b64 exec, exec, s[0:1]
.LBB54_182:
	s_mov_b64 s[0:1], -1
.LBB54_183:
	s_branch .LBB54_214
.LBB54_184:
	s_cmp_gt_i32 s22, 22
	s_cbranch_scc0 .LBB54_194
; %bb.185:
	s_cmp_lt_i32 s22, 24
	s_cbranch_scc1 .LBB54_195
; %bb.186:
	s_cmp_gt_i32 s22, 24
	s_cbranch_scc0 .LBB54_196
; %bb.187:
	global_load_ubyte v5, v[0:1], off
	s_movk_i32 s0, 0x7f
	s_mov_b64 s[16:17], 0
	s_waitcnt vmcnt(0)
	v_cmp_lt_i16_e32 vcc, s0, v5
	s_and_saveexec_b64 s[0:1], vcc
	s_xor_b64 s[0:1], exec, s[0:1]
; %bb.188:
	s_movk_i32 s16, 0x80
	v_cmp_ne_u16_e32 vcc, s16, v5
	s_and_b64 s[16:17], vcc, exec
; %bb.189:
	s_andn2_saveexec_b64 s[0:1], s[0:1]
; %bb.190:
	v_cmp_ne_u16_e32 vcc, 0, v5
	s_andn2_b64 s[16:17], s[16:17], exec
	s_and_b64 s[26:27], vcc, exec
	s_or_b64 s[16:17], s[16:17], s[26:27]
; %bb.191:
	s_or_b64 exec, exec, s[0:1]
	v_mov_b32_e32 v2, 0
	v_mov_b32_e32 v3, 0
	s_and_saveexec_b64 s[0:1], s[16:17]
	s_cbranch_execz .LBB54_193
; %bb.192:
	v_and_b32_e32 v3, 0xffff, v5
	v_lshlrev_b32_e32 v2, 24, v5
	v_and_b32_e32 v5, 3, v3
	v_ffbh_u32_e32 v7, v5
	v_min_u32_e32 v7, 32, v7
	v_subrev_u32_e32 v8, 29, v7
	v_bfe_u32 v6, v3, 2, 5
	v_lshlrev_b32_e32 v3, v8, v3
	v_sub_u32_e32 v7, 30, v7
	v_and_b32_e32 v3, 3, v3
	v_cmp_eq_u32_e32 vcc, 0, v6
	v_cndmask_b32_e32 v6, v6, v7, vcc
	v_cndmask_b32_e32 v3, v5, v3, vcc
	v_mov_b32_e32 v5, 0x37800000
	v_lshlrev_b32_e32 v3, 21, v3
	v_and_b32_e32 v2, 0x80000000, v2
	v_lshl_add_u32 v5, v6, 23, v5
	v_or3_b32 v2, v2, v5, v3
	v_trunc_f32_e32 v2, v2
	s_mov_b32 s16, 0x2f800000
	v_mul_f32_e64 v3, |v2|, s16
	v_floor_f32_e32 v3, v3
	s_mov_b32 s16, 0xcf800000
	v_fma_f32 v5, v3, s16, |v2|
	v_cvt_u32_f32_e32 v5, v5
	v_cvt_u32_f32_e32 v3, v3
	v_ashrrev_i32_e32 v6, 31, v2
	v_xor_b32_e32 v2, v5, v6
	v_xor_b32_e32 v3, v3, v6
	v_sub_co_u32_e32 v2, vcc, v2, v6
	v_subb_co_u32_e32 v3, vcc, v3, v6, vcc
.LBB54_193:
	s_or_b64 exec, exec, s[0:1]
	s_mov_b64 s[0:1], 0
	s_branch .LBB54_197
.LBB54_194:
	s_mov_b64 s[16:17], -1
                                        ; implicit-def: $vgpr2_vgpr3
	s_branch .LBB54_203
.LBB54_195:
	s_mov_b64 s[0:1], -1
                                        ; implicit-def: $vgpr2_vgpr3
	s_branch .LBB54_200
.LBB54_196:
	s_mov_b64 s[0:1], -1
                                        ; implicit-def: $vgpr2_vgpr3
.LBB54_197:
	s_and_b64 vcc, exec, s[0:1]
	s_cbranch_vccz .LBB54_199
; %bb.198:
	global_load_ubyte v2, v[0:1], off
	s_mov_b32 s0, 0x7f800000
	s_brev_b32 s1, 1
	s_mov_b32 s16, 0x2f800000
	s_mov_b32 s17, 0xcf800000
	s_waitcnt vmcnt(0)
	v_lshlrev_b32_e32 v2, 24, v2
	v_and_b32_e32 v3, 0x7f000000, v2
	v_ffbh_u32_e32 v5, v3
	v_min_u32_e32 v5, 32, v5
	v_sub_u32_e64 v5, v5, 4 clamp
	v_lshlrev_b32_e32 v7, v5, v3
	v_lshlrev_b32_e32 v5, 23, v5
	v_lshrrev_b32_e32 v7, 4, v7
	v_add_u32_e32 v6, 0x1000000, v3
	v_sub_u32_e32 v5, v7, v5
	v_ashrrev_i32_e32 v6, 8, v6
	v_add_u32_e32 v5, 0x3c000000, v5
	v_and_or_b32 v5, v6, s0, v5
	v_cmp_ne_u32_e32 vcc, 0, v3
	v_cndmask_b32_e32 v3, 0, v5, vcc
	v_and_or_b32 v2, v2, s1, v3
	v_trunc_f32_e32 v2, v2
	v_mul_f32_e64 v3, |v2|, s16
	v_floor_f32_e32 v3, v3
	v_fma_f32 v5, v3, s17, |v2|
	v_cvt_u32_f32_e32 v5, v5
	v_cvt_u32_f32_e32 v3, v3
	v_ashrrev_i32_e32 v6, 31, v2
	v_xor_b32_e32 v2, v5, v6
	v_xor_b32_e32 v3, v3, v6
	v_sub_co_u32_e32 v2, vcc, v2, v6
	v_subb_co_u32_e32 v3, vcc, v3, v6, vcc
.LBB54_199:
	s_mov_b64 s[0:1], 0
.LBB54_200:
	s_andn2_b64 vcc, exec, s[0:1]
	s_cbranch_vccnz .LBB54_202
; %bb.201:
	global_load_ubyte v2, v[0:1], off
	s_movk_i32 s0, 0x7f00
	s_brev_b32 s1, 16
	s_brev_b32 s16, 1
	s_mov_b32 s17, 0x2f800000
	s_mov_b32 s23, 0xcf800000
	s_waitcnt vmcnt(0)
	v_lshlrev_b16_e32 v3, 8, v2
	v_lshlrev_b32_e32 v2, 25, v2
	v_lshrrev_b32_e32 v5, 4, v2
	v_and_or_b32 v6, v3, s0, 0.5
	v_or_b32_e32 v5, 0x70000000, v5
	v_add_f32_e32 v6, -0.5, v6
	v_mul_f32_e32 v5, 0x7800000, v5
	v_cmp_gt_u32_e32 vcc, s1, v2
	v_bfe_i32 v3, v3, 0, 16
	v_cndmask_b32_e32 v2, v5, v6, vcc
	v_and_or_b32 v2, v3, s16, v2
	v_trunc_f32_e32 v2, v2
	v_mul_f32_e64 v3, |v2|, s17
	v_floor_f32_e32 v3, v3
	v_fma_f32 v5, v3, s23, |v2|
	v_cvt_u32_f32_e32 v5, v5
	v_cvt_u32_f32_e32 v3, v3
	v_ashrrev_i32_e32 v6, 31, v2
	v_xor_b32_e32 v2, v5, v6
	v_xor_b32_e32 v3, v3, v6
	v_sub_co_u32_e32 v2, vcc, v2, v6
	v_subb_co_u32_e32 v3, vcc, v3, v6, vcc
.LBB54_202:
	s_mov_b64 s[16:17], 0
	s_mov_b64 s[0:1], -1
.LBB54_203:
	s_andn2_b64 vcc, exec, s[16:17]
	s_cbranch_vccnz .LBB54_214
; %bb.204:
	s_cmp_gt_i32 s22, 14
	s_cbranch_scc0 .LBB54_207
; %bb.205:
	s_cmp_eq_u32 s22, 15
	s_cbranch_scc0 .LBB54_208
; %bb.206:
	global_load_ushort v2, v[0:1], off
	s_mov_b32 s0, 0x2f800000
	s_mov_b32 s1, 0xcf800000
	s_mov_b64 s[18:19], 0
	s_waitcnt vmcnt(0)
	v_lshlrev_b32_e32 v2, 16, v2
	v_trunc_f32_e32 v2, v2
	v_mul_f32_e64 v3, |v2|, s0
	v_floor_f32_e32 v3, v3
	v_fma_f32 v5, v3, s1, |v2|
	v_cvt_u32_f32_e32 v5, v5
	v_cvt_u32_f32_e32 v3, v3
	v_ashrrev_i32_e32 v6, 31, v2
	s_mov_b64 s[0:1], -1
	v_xor_b32_e32 v2, v5, v6
	v_xor_b32_e32 v3, v3, v6
	v_sub_co_u32_e32 v2, vcc, v2, v6
	v_subb_co_u32_e32 v3, vcc, v3, v6, vcc
	s_branch .LBB54_209
.LBB54_207:
	s_mov_b64 s[16:17], -1
                                        ; implicit-def: $vgpr2_vgpr3
	s_branch .LBB54_210
.LBB54_208:
	s_mov_b64 s[18:19], -1
                                        ; implicit-def: $vgpr2_vgpr3
.LBB54_209:
	s_mov_b64 s[16:17], 0
.LBB54_210:
	s_and_b64 vcc, exec, s[16:17]
	s_cbranch_vccz .LBB54_214
; %bb.211:
	s_cmp_eq_u32 s22, 11
	s_cbranch_scc0 .LBB54_213
; %bb.212:
	global_load_ubyte v2, v[0:1], off
	s_mov_b32 s16, 0
	s_mov_b64 s[0:1], -1
	s_waitcnt vmcnt(1)
	v_mov_b32_e32 v3, s16
	s_mov_b64 s[18:19], 0
	s_waitcnt vmcnt(0)
	v_cmp_ne_u16_e32 vcc, 0, v2
	v_cndmask_b32_e64 v2, 0, 1, vcc
	s_branch .LBB54_214
.LBB54_213:
	s_mov_b64 s[18:19], -1
                                        ; implicit-def: $vgpr2_vgpr3
.LBB54_214:
	s_branch .LBB54_10
.LBB54_215:
	s_cmp_lt_i32 s22, 5
	s_cbranch_scc1 .LBB54_220
; %bb.216:
	s_cmp_lt_i32 s22, 8
	s_cbranch_scc1 .LBB54_221
; %bb.217:
	;; [unrolled: 3-line block ×3, first 2 shown]
	s_cmp_gt_i32 s22, 9
	s_cbranch_scc0 .LBB54_223
; %bb.219:
	global_load_dwordx2 v[2:3], v[0:1], off
	s_movk_i32 s0, 0xffe0
	s_waitcnt vmcnt(0)
	v_trunc_f64_e32 v[2:3], v[2:3]
	v_ldexp_f64 v[5:6], v[2:3], s0
	s_mov_b32 s0, 0
	s_mov_b32 s1, 0xc1f00000
	v_floor_f64_e32 v[5:6], v[5:6]
	v_fma_f64 v[7:8], v[5:6], s[0:1], v[2:3]
	v_cvt_i32_f64_e32 v3, v[5:6]
	s_mov_b64 s[0:1], 0
	v_cvt_u32_f64_e32 v2, v[7:8]
	s_branch .LBB54_224
.LBB54_220:
                                        ; implicit-def: $vgpr2_vgpr3
	s_branch .LBB54_242
.LBB54_221:
	s_mov_b64 s[0:1], -1
                                        ; implicit-def: $vgpr2_vgpr3
	s_branch .LBB54_230
.LBB54_222:
	s_mov_b64 s[0:1], -1
                                        ; implicit-def: $vgpr2_vgpr3
	s_branch .LBB54_227
.LBB54_223:
	s_mov_b64 s[0:1], -1
                                        ; implicit-def: $vgpr2_vgpr3
.LBB54_224:
	s_andn2_b64 vcc, exec, s[0:1]
	s_cbranch_vccnz .LBB54_226
; %bb.225:
	global_load_dword v2, v[0:1], off
	s_mov_b32 s0, 0x2f800000
	s_mov_b32 s1, 0xcf800000
	s_waitcnt vmcnt(0)
	v_trunc_f32_e32 v2, v2
	v_mul_f32_e64 v3, |v2|, s0
	v_floor_f32_e32 v3, v3
	v_cvt_u32_f32_e32 v5, v3
	v_fma_f32 v3, v3, s1, |v2|
	v_cvt_u32_f32_e32 v3, v3
	v_ashrrev_i32_e32 v6, 31, v2
	v_xor_b32_e32 v5, v5, v6
	v_xor_b32_e32 v2, v3, v6
	v_sub_co_u32_e32 v2, vcc, v2, v6
	v_subb_co_u32_e32 v3, vcc, v5, v6, vcc
.LBB54_226:
	s_mov_b64 s[0:1], 0
.LBB54_227:
	s_andn2_b64 vcc, exec, s[0:1]
	s_cbranch_vccnz .LBB54_229
; %bb.228:
	global_load_dword v2, v[0:1], off
	s_waitcnt vmcnt(0)
	v_cvt_f32_f16_e32 v2, v2
	v_cvt_i32_f32_e32 v2, v2
	v_ashrrev_i32_e32 v3, 31, v2
.LBB54_229:
	s_mov_b64 s[0:1], 0
.LBB54_230:
	s_andn2_b64 vcc, exec, s[0:1]
	s_cbranch_vccnz .LBB54_241
; %bb.231:
	s_cmp_lt_i32 s22, 6
	s_cbranch_scc1 .LBB54_234
; %bb.232:
	s_cmp_gt_i32 s22, 6
	s_cbranch_scc0 .LBB54_235
; %bb.233:
	global_load_dwordx2 v[2:3], v[0:1], off
	s_movk_i32 s0, 0xffe0
	s_waitcnt vmcnt(0)
	v_trunc_f64_e32 v[2:3], v[2:3]
	v_ldexp_f64 v[5:6], v[2:3], s0
	s_mov_b32 s0, 0
	s_mov_b32 s1, 0xc1f00000
	v_floor_f64_e32 v[5:6], v[5:6]
	v_fma_f64 v[7:8], v[5:6], s[0:1], v[2:3]
	v_cvt_i32_f64_e32 v3, v[5:6]
	s_mov_b64 s[0:1], 0
	v_cvt_u32_f64_e32 v2, v[7:8]
	s_branch .LBB54_236
.LBB54_234:
	s_mov_b64 s[0:1], -1
                                        ; implicit-def: $vgpr2_vgpr3
	s_branch .LBB54_239
.LBB54_235:
	s_mov_b64 s[0:1], -1
                                        ; implicit-def: $vgpr2_vgpr3
.LBB54_236:
	s_andn2_b64 vcc, exec, s[0:1]
	s_cbranch_vccnz .LBB54_238
; %bb.237:
	global_load_dword v2, v[0:1], off
	s_mov_b32 s0, 0x2f800000
	s_mov_b32 s1, 0xcf800000
	s_waitcnt vmcnt(0)
	v_trunc_f32_e32 v2, v2
	v_mul_f32_e64 v3, |v2|, s0
	v_floor_f32_e32 v3, v3
	v_cvt_u32_f32_e32 v5, v3
	v_fma_f32 v3, v3, s1, |v2|
	v_cvt_u32_f32_e32 v3, v3
	v_ashrrev_i32_e32 v6, 31, v2
	v_xor_b32_e32 v5, v5, v6
	v_xor_b32_e32 v2, v3, v6
	v_sub_co_u32_e32 v2, vcc, v2, v6
	v_subb_co_u32_e32 v3, vcc, v5, v6, vcc
.LBB54_238:
	s_mov_b64 s[0:1], 0
.LBB54_239:
	s_andn2_b64 vcc, exec, s[0:1]
	s_cbranch_vccnz .LBB54_241
; %bb.240:
	global_load_ushort v2, v[0:1], off
	s_waitcnt vmcnt(0)
	v_cvt_f32_f16_e32 v2, v2
	v_cvt_i32_f32_e32 v2, v2
	v_ashrrev_i32_e32 v3, 31, v2
.LBB54_241:
	s_cbranch_execnz .LBB54_261
.LBB54_242:
	s_cmp_lt_i32 s22, 2
	s_cbranch_scc1 .LBB54_246
; %bb.243:
	s_cmp_lt_i32 s22, 3
	s_cbranch_scc1 .LBB54_247
; %bb.244:
	s_cmp_gt_i32 s22, 3
	s_cbranch_scc0 .LBB54_248
; %bb.245:
	global_load_dwordx2 v[2:3], v[0:1], off
	s_mov_b64 s[0:1], 0
	s_branch .LBB54_249
.LBB54_246:
	s_mov_b64 s[0:1], -1
                                        ; implicit-def: $vgpr2_vgpr3
	s_branch .LBB54_255
.LBB54_247:
	s_mov_b64 s[0:1], -1
                                        ; implicit-def: $vgpr2_vgpr3
	s_branch .LBB54_252
.LBB54_248:
	s_mov_b64 s[0:1], -1
                                        ; implicit-def: $vgpr2_vgpr3
.LBB54_249:
	s_andn2_b64 vcc, exec, s[0:1]
	s_cbranch_vccnz .LBB54_251
; %bb.250:
	global_load_dword v2, v[0:1], off
	s_waitcnt vmcnt(0)
	v_ashrrev_i32_e32 v3, 31, v2
.LBB54_251:
	s_mov_b64 s[0:1], 0
.LBB54_252:
	s_andn2_b64 vcc, exec, s[0:1]
	s_cbranch_vccnz .LBB54_254
; %bb.253:
	global_load_ushort v2, v[0:1], off
	s_waitcnt vmcnt(0)
	v_bfe_i32 v2, v2, 0, 16
	v_ashrrev_i32_e32 v3, 31, v2
.LBB54_254:
	s_mov_b64 s[0:1], 0
.LBB54_255:
	s_andn2_b64 vcc, exec, s[0:1]
	s_cbranch_vccnz .LBB54_261
; %bb.256:
	s_cmp_gt_i32 s22, 0
	s_cbranch_scc0 .LBB54_258
; %bb.257:
	global_load_sbyte v2, v[0:1], off
	s_mov_b64 s[0:1], 0
	s_waitcnt vmcnt(0)
	v_bfe_i32 v2, v2, 0, 16
	v_ashrrev_i32_e32 v3, 31, v2
	s_branch .LBB54_259
.LBB54_258:
	s_mov_b64 s[0:1], -1
                                        ; implicit-def: $vgpr2_vgpr3
.LBB54_259:
	s_andn2_b64 vcc, exec, s[0:1]
	s_cbranch_vccnz .LBB54_261
; %bb.260:
	global_load_ubyte v0, v[0:1], off
	s_mov_b32 s0, 0
	s_waitcnt vmcnt(1)
	v_mov_b32_e32 v3, s0
	s_waitcnt vmcnt(0)
	v_and_b32_e32 v2, 0xffff, v0
.LBB54_261:
	s_branch .LBB54_11
.LBB54_262:
	s_mov_b64 s[0:1], 0
                                        ; implicit-def: $vgpr4
	s_mov_b64 s[22:23], 0
.LBB54_263:
	s_and_b64 s[16:17], s[0:1], exec
	s_and_b64 s[18:19], s[18:19], exec
	s_orn2_b64 s[22:23], s[22:23], exec
.LBB54_264:
	s_or_b64 exec, exec, s[20:21]
	s_mov_b64 s[26:27], 0
	s_mov_b64 s[0:1], 0
                                        ; implicit-def: $vgpr0_vgpr1
                                        ; implicit-def: $vgpr2_vgpr3
	s_and_saveexec_b64 s[20:21], s[22:23]
	s_cbranch_execz .LBB54_273
; %bb.265:
	v_cmp_gt_i32_e32 vcc, s42, v4
	s_mov_b64 s[0:1], -1
	s_mov_b64 s[22:23], s[18:19]
	s_mov_b64 s[24:25], s[16:17]
	s_and_saveexec_b64 s[26:27], vcc
	s_cbranch_execz .LBB54_537
; %bb.266:
	v_mul_lo_u32 v0, v4, s13
	v_mov_b32_e32 v1, s11
	s_and_b32 s28, 0xffff, s15
	s_cmp_lt_i32 s28, 11
	s_waitcnt vmcnt(0)
	v_ashrrev_i32_e32 v2, 31, v0
	v_add_co_u32_e32 v0, vcc, s10, v0
	v_addc_co_u32_e32 v1, vcc, v1, v2, vcc
	s_cbranch_scc1 .LBB54_276
; %bb.267:
	s_cmp_gt_i32 s28, 25
	s_cbranch_scc0 .LBB54_282
; %bb.268:
	s_cmp_gt_i32 s28, 28
	s_cbranch_scc0 .LBB54_286
	;; [unrolled: 3-line block ×4, first 2 shown]
; %bb.271:
	s_cmp_eq_u32 s28, 46
	s_mov_b64 s[24:25], 0
	s_cbranch_scc0 .LBB54_313
; %bb.272:
	global_load_dword v2, v[0:1], off
	s_mov_b32 s0, 0x2f800000
	s_mov_b32 s1, 0xcf800000
	s_mov_b64 s[22:23], 0
	s_waitcnt vmcnt(0)
	v_lshlrev_b32_e32 v2, 16, v2
	v_trunc_f32_e32 v2, v2
	v_mul_f32_e64 v3, |v2|, s0
	v_floor_f32_e32 v3, v3
	v_fma_f32 v5, v3, s1, |v2|
	v_cvt_u32_f32_e32 v5, v5
	v_cvt_u32_f32_e32 v3, v3
	v_ashrrev_i32_e32 v6, 31, v2
	s_mov_b64 s[0:1], -1
	v_xor_b32_e32 v2, v5, v6
	v_xor_b32_e32 v3, v3, v6
	v_sub_co_u32_e32 v2, vcc, v2, v6
	v_subb_co_u32_e32 v3, vcc, v3, v6, vcc
	s_branch .LBB54_314
.LBB54_273:
	s_or_b64 exec, exec, s[20:21]
	s_mov_b64 s[20:21], 0
	s_and_saveexec_b64 s[22:23], s[18:19]
	s_cbranch_execnz .LBB54_892
.LBB54_274:
	s_or_b64 exec, exec, s[22:23]
	s_and_saveexec_b64 s[18:19], s[24:25]
	s_xor_b64 s[18:19], exec, s[18:19]
	s_cbranch_execz .LBB54_893
.LBB54_275:
	global_load_ubyte v2, v[0:1], off
	s_mov_b32 s22, 0
	s_waitcnt vmcnt(1)
	v_mov_b32_e32 v3, s22
	s_or_b64 s[0:1], s[0:1], exec
	s_waitcnt vmcnt(0)
	v_cmp_ne_u16_e32 vcc, 0, v2
	v_cndmask_b32_e64 v2, 0, 1, vcc
	s_or_b64 exec, exec, s[18:19]
	s_and_saveexec_b64 s[18:19], s[26:27]
	s_cbranch_execz .LBB54_939
	s_branch .LBB54_894
.LBB54_276:
	s_mov_b64 s[0:1], 0
                                        ; implicit-def: $vgpr2_vgpr3
	s_mov_b64 s[22:23], s[18:19]
	s_cbranch_execnz .LBB54_487
.LBB54_277:
	s_andn2_b64 vcc, exec, s[0:1]
	s_cbranch_vccnz .LBB54_535
.LBB54_278:
	s_cmp_lt_i32 s14, 1
	s_mov_b64 s[0:1], 0
	s_cbranch_scc1 .LBB54_283
; %bb.279:
	s_cmp_gt_i32 s14, 1
	s_cbranch_scc0 .LBB54_287
; %bb.280:
	s_cmp_eq_u32 s14, 2
	s_cbranch_scc0 .LBB54_289
; %bb.281:
	s_waitcnt vmcnt(0)
	v_cmp_ge_i64_e64 s[24:25], s[2:3], v[2:3]
	s_mov_b64 s[28:29], 0
	s_branch .LBB54_290
.LBB54_282:
	s_mov_b64 s[24:25], -1
	s_mov_b64 s[0:1], 0
	s_mov_b64 s[22:23], s[18:19]
                                        ; implicit-def: $vgpr2_vgpr3
	s_branch .LBB54_455
.LBB54_283:
                                        ; implicit-def: $sgpr24_sgpr25
	s_mov_b64 s[28:29], 0
	s_cbranch_execnz .LBB54_294
.LBB54_284:
	s_andn2_b64 vcc, exec, s[28:29]
	s_cbranch_vccnz .LBB54_295
.LBB54_285:
	s_waitcnt vmcnt(0)
	v_cmp_gt_i64_e32 vcc, s[2:3], v[2:3]
	s_andn2_b64 s[24:25], s[24:25], exec
	s_and_b64 s[28:29], vcc, exec
	s_or_b64 s[24:25], s[24:25], s[28:29]
	s_cbranch_execz .LBB54_296
	s_branch .LBB54_297
.LBB54_286:
	s_mov_b64 s[24:25], -1
	s_mov_b64 s[0:1], 0
	s_mov_b64 s[22:23], s[18:19]
                                        ; implicit-def: $vgpr2_vgpr3
	s_branch .LBB54_436
.LBB54_287:
	s_mov_b64 s[30:31], -1
	s_mov_b64 s[28:29], 0
                                        ; implicit-def: $sgpr24_sgpr25
	s_branch .LBB54_291
.LBB54_288:
	s_mov_b64 s[24:25], -1
	s_mov_b64 s[0:1], 0
	s_mov_b64 s[22:23], s[18:19]
                                        ; implicit-def: $vgpr2_vgpr3
	s_branch .LBB54_431
.LBB54_289:
	s_mov_b64 s[28:29], -1
                                        ; implicit-def: $sgpr24_sgpr25
.LBB54_290:
	s_mov_b64 s[30:31], 0
.LBB54_291:
	s_and_b64 vcc, exec, s[30:31]
	s_cbranch_vccz .LBB54_293
; %bb.292:
	s_waitcnt vmcnt(0)
	v_cmp_lt_i64_e32 vcc, s[2:3], v[2:3]
	s_andn2_b64 s[24:25], s[24:25], exec
	s_and_b64 s[30:31], vcc, exec
	s_or_b64 s[24:25], s[24:25], s[30:31]
.LBB54_293:
	s_branch .LBB54_284
.LBB54_294:
	s_cmp_lg_u32 s14, 0
	s_mov_b64 s[0:1], -1
	s_cselect_b64 s[28:29], -1, 0
	s_andn2_b64 vcc, exec, s[28:29]
	s_cbranch_vccz .LBB54_285
.LBB54_295:
	s_andn2_b64 vcc, exec, s[0:1]
	s_cbranch_vccnz .LBB54_297
.LBB54_296:
	s_waitcnt vmcnt(0)
	v_cmp_le_i64_e32 vcc, s[2:3], v[2:3]
	s_andn2_b64 s[0:1], s[24:25], exec
	s_and_b64 s[24:25], vcc, exec
	s_or_b64 s[24:25], s[0:1], s[24:25]
.LBB54_297:
	v_mul_lo_u32 v0, v4, s12
	v_mov_b32_e32 v1, s9
	s_and_b32 s36, s33, 0xff
	s_cmp_lt_i32 s36, 11
	s_waitcnt vmcnt(0)
	v_ashrrev_i32_e32 v2, 31, v0
	v_add_co_u32_e32 v0, vcc, s8, v0
	v_addc_co_u32_e32 v1, vcc, v1, v2, vcc
	s_cbranch_scc1 .LBB54_304
; %bb.298:
	s_and_b32 s37, 0xffff, s36
	s_cmp_gt_i32 s37, 25
	s_cbranch_scc0 .LBB54_305
; %bb.299:
	s_cmp_gt_i32 s37, 28
	s_cbranch_scc0 .LBB54_306
; %bb.300:
	;; [unrolled: 3-line block ×4, first 2 shown]
	s_mov_b64 s[30:31], 0
	s_mov_b64 s[0:1], -1
	s_cmp_eq_u32 s37, 46
	s_mov_b64 s[28:29], 0
	s_cbranch_scc0 .LBB54_318
; %bb.303:
	v_cndmask_b32_e64 v2, 0, 1.0, s[24:25]
	v_bfe_u32 v3, v2, 16, 1
	s_movk_i32 s0, 0x7fff
	v_add3_u32 v2, v2, v3, s0
	v_lshrrev_b32_e32 v2, 16, v2
	global_store_dword v[0:1], v2, off
	s_mov_b64 s[28:29], -1
	s_mov_b64 s[0:1], 0
	s_branch .LBB54_318
.LBB54_304:
	s_mov_b64 s[30:31], -1
	s_mov_b64 s[28:29], 0
	s_mov_b64 s[0:1], s[16:17]
	s_branch .LBB54_387
.LBB54_305:
	s_mov_b64 s[30:31], -1
	s_mov_b64 s[28:29], 0
	s_mov_b64 s[0:1], s[16:17]
	s_branch .LBB54_345
.LBB54_306:
	s_mov_b64 s[30:31], -1
	s_mov_b64 s[28:29], 0
	s_mov_b64 s[0:1], s[16:17]
	s_branch .LBB54_328
.LBB54_307:
	s_andn2_saveexec_b64 s[28:29], s[28:29]
	s_cbranch_execz .LBB54_71
.LBB54_308:
	v_add_f32_e32 v2, 0x46000000, v3
	v_and_b32_e32 v2, 0xff, v2
	v_cmp_ne_u32_e32 vcc, 0, v2
	s_andn2_b64 s[26:27], s[26:27], exec
	s_and_b64 s[34:35], vcc, exec
	s_or_b64 s[26:27], s[26:27], s[34:35]
	s_or_b64 exec, exec, s[28:29]
	v_mov_b32_e32 v5, 0
	s_and_saveexec_b64 s[28:29], s[26:27]
	s_cbranch_execnz .LBB54_72
	s_branch .LBB54_73
.LBB54_309:
	s_mov_b64 s[24:25], -1
	s_mov_b64 s[0:1], 0
	s_mov_b64 s[22:23], s[18:19]
                                        ; implicit-def: $vgpr2_vgpr3
	s_branch .LBB54_314
.LBB54_310:
	s_mov_b64 s[30:31], -1
	s_mov_b64 s[28:29], 0
	s_mov_b64 s[0:1], s[16:17]
	s_branch .LBB54_324
.LBB54_311:
	s_andn2_saveexec_b64 s[28:29], s[28:29]
	s_cbranch_execz .LBB54_84
.LBB54_312:
	v_add_f32_e32 v2, 0x42800000, v3
	v_and_b32_e32 v2, 0xff, v2
	v_cmp_ne_u32_e32 vcc, 0, v2
	s_andn2_b64 s[26:27], s[26:27], exec
	s_and_b64 s[34:35], vcc, exec
	s_or_b64 s[26:27], s[26:27], s[34:35]
	s_or_b64 exec, exec, s[28:29]
	v_mov_b32_e32 v5, 0
	s_and_saveexec_b64 s[28:29], s[26:27]
	s_cbranch_execnz .LBB54_85
	s_branch .LBB54_86
.LBB54_313:
	s_mov_b64 s[22:23], -1
                                        ; implicit-def: $vgpr2_vgpr3
	s_mov_b64 s[0:1], 0
.LBB54_314:
	s_and_b64 vcc, exec, s[24:25]
	s_cbranch_vccz .LBB54_430
; %bb.315:
	s_cmp_eq_u32 s28, 44
	s_cbranch_scc0 .LBB54_429
; %bb.316:
	global_load_ubyte v2, v[0:1], off
	s_mov_b32 s0, 0x2f800000
	s_mov_b32 s1, 0xcf800000
	s_mov_b64 s[22:23], 0
	s_waitcnt vmcnt(0)
	v_lshlrev_b32_e32 v3, 23, v2
	v_trunc_f32_e32 v3, v3
	v_mul_f32_e64 v5, |v3|, s0
	v_floor_f32_e32 v5, v5
	v_fma_f32 v6, v5, s1, |v3|
	v_cvt_u32_f32_e32 v6, v6
	v_cvt_u32_f32_e32 v5, v5
	v_ashrrev_i32_e32 v3, 31, v3
	s_mov_b64 s[0:1], -1
	v_xor_b32_e32 v6, v6, v3
	v_xor_b32_e32 v5, v5, v3
	v_sub_co_u32_e32 v6, vcc, v6, v3
	v_subb_co_u32_e32 v3, vcc, v5, v3, vcc
	v_cmp_ne_u32_e32 vcc, 0, v2
	v_cndmask_b32_e32 v3, 0, v3, vcc
	v_cndmask_b32_e32 v2, 0, v6, vcc
	s_branch .LBB54_430
.LBB54_317:
	s_mov_b64 s[30:31], -1
	s_mov_b64 s[28:29], 0
	s_mov_b64 s[0:1], s[16:17]
.LBB54_318:
	s_and_b64 vcc, exec, s[30:31]
	s_cbranch_vccz .LBB54_323
; %bb.319:
	s_cmp_eq_u32 s37, 44
	s_mov_b64 s[0:1], -1
	s_cbranch_scc0 .LBB54_323
; %bb.320:
	v_cndmask_b32_e64 v3, 0, 1.0, s[24:25]
	v_lshrrev_b32_e32 v2, 23, v3
	s_movk_i32 s0, 0xff
	v_cmp_ne_u32_e32 vcc, s0, v2
	v_mov_b32_e32 v5, 0xff
	s_and_saveexec_b64 s[28:29], vcc
; %bb.321:
	s_mov_b32 s0, 0x3fffff
	v_and_b32_e32 v5, 0x400000, v3
	v_and_or_b32 v3, v3, s0, v2
	v_cmp_ne_u32_e32 vcc, 0, v5
	v_cmp_ne_u32_e64 s[0:1], 0, v3
	s_and_b64 s[0:1], vcc, s[0:1]
	v_cndmask_b32_e64 v3, 0, 1, s[0:1]
	v_add_u32_e32 v5, v2, v3
; %bb.322:
	s_or_b64 exec, exec, s[28:29]
	s_mov_b64 s[28:29], -1
	s_mov_b64 s[0:1], 0
	global_store_byte v[0:1], v5, off
.LBB54_323:
	s_mov_b64 s[30:31], 0
.LBB54_324:
	s_and_b64 vcc, exec, s[30:31]
	s_cbranch_vccz .LBB54_327
; %bb.325:
	s_cmp_eq_u32 s37, 29
	s_mov_b64 s[0:1], -1
	s_cbranch_scc0 .LBB54_327
; %bb.326:
	s_mov_b32 s0, 0
	v_cndmask_b32_e64 v2, 0, 1, s[24:25]
	v_mov_b32_e32 v3, s0
	global_store_dwordx2 v[0:1], v[2:3], off
	s_mov_b64 s[28:29], -1
	s_mov_b64 s[0:1], 0
.LBB54_327:
	s_mov_b64 s[30:31], 0
.LBB54_328:
	s_and_b64 vcc, exec, s[30:31]
	s_cbranch_vccz .LBB54_344
; %bb.329:
	s_cmp_lt_i32 s37, 27
	s_mov_b64 s[28:29], -1
	s_cbranch_scc1 .LBB54_335
; %bb.330:
	s_cmp_gt_i32 s37, 27
	s_cbranch_scc0 .LBB54_332
; %bb.331:
	v_cndmask_b32_e64 v2, 0, 1, s[24:25]
	s_mov_b64 s[28:29], 0
	global_store_dword v[0:1], v2, off
.LBB54_332:
	s_andn2_b64 vcc, exec, s[28:29]
	s_cbranch_vccnz .LBB54_334
; %bb.333:
	v_cndmask_b32_e64 v2, 0, 1, s[24:25]
	global_store_short v[0:1], v2, off
.LBB54_334:
	s_mov_b64 s[28:29], 0
.LBB54_335:
	s_andn2_b64 vcc, exec, s[28:29]
	s_cbranch_vccnz .LBB54_343
; %bb.336:
	v_cndmask_b32_e64 v3, 0, 1.0, s[24:25]
	s_mov_b32 s28, 0x43800000
	v_cmp_gt_u32_e32 vcc, s28, v3
	v_mov_b32_e32 v5, 0x80
	s_and_saveexec_b64 s[28:29], vcc
	s_cbranch_execz .LBB54_342
; %bb.337:
	s_mov_b32 s30, 0x3bffffff
	v_cmp_lt_u32_e32 vcc, s30, v3
	s_mov_b64 s[30:31], 0
                                        ; implicit-def: $vgpr2
	s_and_saveexec_b64 s[34:35], vcc
	s_xor_b64 s[34:35], exec, s[34:35]
	s_cbranch_execz .LBB54_550
; %bb.338:
	v_bfe_u32 v2, v3, 20, 1
	s_mov_b32 s38, 0x487ffff
	v_add3_u32 v2, v3, v2, s38
	s_mov_b64 s[30:31], exec
	v_lshrrev_b32_e32 v2, 20, v2
                                        ; implicit-def: $vgpr3
	s_andn2_saveexec_b64 s[34:35], s[34:35]
	s_cbranch_execnz .LBB54_551
.LBB54_339:
	s_or_b64 exec, exec, s[34:35]
	v_mov_b32_e32 v5, 0
	s_and_saveexec_b64 s[34:35], s[30:31]
.LBB54_340:
	v_mov_b32_e32 v5, v2
.LBB54_341:
	s_or_b64 exec, exec, s[34:35]
.LBB54_342:
	s_or_b64 exec, exec, s[28:29]
	global_store_byte v[0:1], v5, off
.LBB54_343:
	s_mov_b64 s[28:29], -1
.LBB54_344:
	s_mov_b64 s[30:31], 0
.LBB54_345:
	s_and_b64 vcc, exec, s[30:31]
	s_cbranch_vccz .LBB54_386
; %bb.346:
	s_cmp_gt_i32 s37, 22
	s_mov_b64 s[30:31], -1
	s_cbranch_scc0 .LBB54_378
; %bb.347:
	s_cmp_lt_i32 s37, 24
	s_mov_b64 s[28:29], -1
	s_cbranch_scc1 .LBB54_367
; %bb.348:
	s_cmp_gt_i32 s37, 24
	s_cbranch_scc0 .LBB54_356
; %bb.349:
	v_cndmask_b32_e64 v3, 0, 1.0, s[24:25]
	s_mov_b32 s28, 0x47800000
	v_cmp_gt_u32_e32 vcc, s28, v3
	v_mov_b32_e32 v5, 0x80
	s_and_saveexec_b64 s[28:29], vcc
	s_cbranch_execz .LBB54_355
; %bb.350:
	s_mov_b32 s30, 0x37ffffff
	v_cmp_lt_u32_e32 vcc, s30, v3
	s_mov_b64 s[30:31], 0
                                        ; implicit-def: $vgpr2
	s_and_saveexec_b64 s[34:35], vcc
	s_xor_b64 s[34:35], exec, s[34:35]
	s_cbranch_execz .LBB54_553
; %bb.351:
	v_bfe_u32 v2, v3, 21, 1
	s_mov_b32 s38, 0x88fffff
	v_add3_u32 v2, v3, v2, s38
	s_mov_b64 s[30:31], exec
	v_lshrrev_b32_e32 v2, 21, v2
                                        ; implicit-def: $vgpr3
	s_andn2_saveexec_b64 s[34:35], s[34:35]
	s_cbranch_execnz .LBB54_554
.LBB54_352:
	s_or_b64 exec, exec, s[34:35]
	v_mov_b32_e32 v5, 0
	s_and_saveexec_b64 s[34:35], s[30:31]
.LBB54_353:
	v_mov_b32_e32 v5, v2
.LBB54_354:
	s_or_b64 exec, exec, s[34:35]
.LBB54_355:
	s_or_b64 exec, exec, s[28:29]
	s_mov_b64 s[28:29], 0
	global_store_byte v[0:1], v5, off
.LBB54_356:
	s_and_b64 vcc, exec, s[28:29]
	s_cbranch_vccz .LBB54_366
; %bb.357:
	v_cndmask_b32_e64 v2, 0, 1.0, s[24:25]
	s_mov_b32 s28, 0x43f00000
	v_cmp_gt_u32_e32 vcc, s28, v2
                                        ; implicit-def: $vgpr3
	s_and_saveexec_b64 s[28:29], vcc
	s_xor_b64 s[28:29], exec, s[28:29]
	s_cbranch_execz .LBB54_363
; %bb.358:
	s_mov_b32 s30, 0x3c7fffff
	v_cmp_lt_u32_e32 vcc, s30, v2
                                        ; implicit-def: $vgpr3
	s_and_saveexec_b64 s[30:31], vcc
	s_xor_b64 s[30:31], exec, s[30:31]
; %bb.359:
	v_bfe_u32 v3, v2, 20, 1
	s_mov_b32 s34, 0x407ffff
	v_add3_u32 v2, v2, v3, s34
	v_lshrrev_b32_e32 v3, 20, v2
	v_and_b32_e32 v2, 0xff00000, v2
	s_mov_b32 s34, 0x7f00000
	v_mov_b32_e32 v5, 0x7e
	v_cmp_ne_u32_e32 vcc, s34, v2
	v_cndmask_b32_e32 v3, v5, v3, vcc
                                        ; implicit-def: $vgpr2
; %bb.360:
	s_andn2_saveexec_b64 s[30:31], s[30:31]
; %bb.361:
	v_add_f32_e32 v3, 0x46800000, v2
; %bb.362:
	s_or_b64 exec, exec, s[30:31]
                                        ; implicit-def: $vgpr2
.LBB54_363:
	s_andn2_saveexec_b64 s[28:29], s[28:29]
; %bb.364:
	s_mov_b32 s30, 0x7f800000
	v_mov_b32_e32 v3, 0x7e
	v_mov_b32_e32 v5, 0x7f
	v_cmp_lt_u32_e32 vcc, s30, v2
	v_cndmask_b32_e32 v3, v3, v5, vcc
; %bb.365:
	s_or_b64 exec, exec, s[28:29]
	global_store_byte v[0:1], v3, off
.LBB54_366:
	s_mov_b64 s[28:29], 0
.LBB54_367:
	s_andn2_b64 vcc, exec, s[28:29]
	s_cbranch_vccnz .LBB54_377
; %bb.368:
	v_cndmask_b32_e64 v2, 0, 1.0, s[24:25]
	s_mov_b32 s28, 0x47800000
	v_cmp_gt_u32_e32 vcc, s28, v2
                                        ; implicit-def: $vgpr3
	s_and_saveexec_b64 s[28:29], vcc
	s_xor_b64 s[28:29], exec, s[28:29]
	s_cbranch_execz .LBB54_374
; %bb.369:
	s_mov_b32 s30, 0x387fffff
	v_cmp_lt_u32_e32 vcc, s30, v2
                                        ; implicit-def: $vgpr3
	s_and_saveexec_b64 s[30:31], vcc
	s_xor_b64 s[30:31], exec, s[30:31]
; %bb.370:
	v_bfe_u32 v3, v2, 21, 1
	s_mov_b32 s34, 0x80fffff
	v_add3_u32 v2, v2, v3, s34
	v_lshrrev_b32_e32 v3, 21, v2
                                        ; implicit-def: $vgpr2
; %bb.371:
	s_andn2_saveexec_b64 s[30:31], s[30:31]
; %bb.372:
	v_add_f32_e32 v3, 0x43000000, v2
; %bb.373:
	s_or_b64 exec, exec, s[30:31]
                                        ; implicit-def: $vgpr2
.LBB54_374:
	s_andn2_saveexec_b64 s[28:29], s[28:29]
; %bb.375:
	s_mov_b32 s30, 0x7f800000
	v_mov_b32_e32 v3, 0x7c
	v_mov_b32_e32 v5, 0x7f
	v_cmp_lt_u32_e32 vcc, s30, v2
	v_cndmask_b32_e32 v3, v3, v5, vcc
; %bb.376:
	s_or_b64 exec, exec, s[28:29]
	global_store_byte v[0:1], v3, off
.LBB54_377:
	s_mov_b64 s[30:31], 0
	s_mov_b64 s[28:29], -1
.LBB54_378:
	s_andn2_b64 vcc, exec, s[30:31]
	s_cbranch_vccnz .LBB54_386
; %bb.379:
	s_cmp_gt_i32 s37, 14
	s_mov_b64 s[30:31], -1
	s_cbranch_scc0 .LBB54_383
; %bb.380:
	s_cmp_eq_u32 s37, 15
	s_mov_b64 s[0:1], -1
	s_cbranch_scc0 .LBB54_382
; %bb.381:
	v_cndmask_b32_e64 v2, 0, 1.0, s[24:25]
	v_bfe_u32 v3, v2, 16, 1
	s_movk_i32 s0, 0x7fff
	v_add3_u32 v2, v2, v3, s0
	global_store_short_d16_hi v[0:1], v2, off
	s_mov_b64 s[28:29], -1
	s_mov_b64 s[0:1], 0
.LBB54_382:
	s_mov_b64 s[30:31], 0
.LBB54_383:
	s_and_b64 vcc, exec, s[30:31]
	s_cbranch_vccz .LBB54_386
; %bb.384:
	s_cmp_eq_u32 s37, 11
	s_mov_b64 s[0:1], -1
	s_cbranch_scc0 .LBB54_386
; %bb.385:
	v_cndmask_b32_e64 v2, 0, 1, s[24:25]
	s_mov_b64 s[28:29], -1
	s_mov_b64 s[0:1], 0
	global_store_byte v[0:1], v2, off
.LBB54_386:
	s_mov_b64 s[30:31], 0
.LBB54_387:
	s_and_b64 vcc, exec, s[30:31]
	s_cbranch_vccz .LBB54_426
; %bb.388:
	s_and_b32 s30, 0xffff, s36
	s_cmp_lt_i32 s30, 5
	s_mov_b64 s[28:29], -1
	s_cbranch_scc1 .LBB54_409
; %bb.389:
	s_cmp_lt_i32 s30, 8
	s_cbranch_scc1 .LBB54_399
; %bb.390:
	s_cmp_lt_i32 s30, 9
	s_cbranch_scc1 .LBB54_396
; %bb.391:
	s_cmp_gt_i32 s30, 9
	s_cbranch_scc0 .LBB54_393
; %bb.392:
	v_cndmask_b32_e64 v2, 0, 1, s[24:25]
	v_cvt_f64_u32_e32 v[5:6], v2
	v_mov_b32_e32 v7, 0
	v_mov_b32_e32 v8, v7
	s_mov_b64 s[28:29], 0
	global_store_dwordx4 v[0:1], v[5:8], off
.LBB54_393:
	s_andn2_b64 vcc, exec, s[28:29]
	s_cbranch_vccnz .LBB54_395
; %bb.394:
	v_cndmask_b32_e64 v2, 0, 1.0, s[24:25]
	v_mov_b32_e32 v3, 0
	global_store_dwordx2 v[0:1], v[2:3], off
.LBB54_395:
	s_mov_b64 s[28:29], 0
.LBB54_396:
	s_andn2_b64 vcc, exec, s[28:29]
	s_cbranch_vccnz .LBB54_398
; %bb.397:
	v_cndmask_b32_e64 v2, 0, 1.0, s[24:25]
	v_cvt_f16_f32_e32 v2, v2
	global_store_dword v[0:1], v2, off
.LBB54_398:
	s_mov_b64 s[28:29], 0
.LBB54_399:
	s_andn2_b64 vcc, exec, s[28:29]
	s_cbranch_vccnz .LBB54_408
; %bb.400:
	s_cmp_lt_i32 s30, 6
	s_mov_b64 s[28:29], -1
	s_cbranch_scc1 .LBB54_406
; %bb.401:
	s_cmp_gt_i32 s30, 6
	s_cbranch_scc0 .LBB54_403
; %bb.402:
	v_cndmask_b32_e64 v2, 0, 1, s[24:25]
	v_cvt_f64_u32_e32 v[2:3], v2
	s_mov_b64 s[28:29], 0
	global_store_dwordx2 v[0:1], v[2:3], off
.LBB54_403:
	s_andn2_b64 vcc, exec, s[28:29]
	s_cbranch_vccnz .LBB54_405
; %bb.404:
	v_cndmask_b32_e64 v2, 0, 1.0, s[24:25]
	global_store_dword v[0:1], v2, off
.LBB54_405:
	s_mov_b64 s[28:29], 0
.LBB54_406:
	s_andn2_b64 vcc, exec, s[28:29]
	s_cbranch_vccnz .LBB54_408
; %bb.407:
	v_cndmask_b32_e64 v2, 0, 1.0, s[24:25]
	v_cvt_f16_f32_e32 v2, v2
	global_store_short v[0:1], v2, off
.LBB54_408:
	s_mov_b64 s[28:29], 0
.LBB54_409:
	s_andn2_b64 vcc, exec, s[28:29]
	s_cbranch_vccnz .LBB54_425
; %bb.410:
	s_cmp_lt_i32 s30, 2
	s_mov_b64 s[28:29], -1
	s_cbranch_scc1 .LBB54_420
; %bb.411:
	s_cmp_lt_i32 s30, 3
	s_cbranch_scc1 .LBB54_417
; %bb.412:
	s_cmp_gt_i32 s30, 3
	s_cbranch_scc0 .LBB54_414
; %bb.413:
	s_mov_b32 s28, 0
	v_cndmask_b32_e64 v2, 0, 1, s[24:25]
	v_mov_b32_e32 v3, s28
	s_mov_b64 s[28:29], 0
	global_store_dwordx2 v[0:1], v[2:3], off
.LBB54_414:
	s_andn2_b64 vcc, exec, s[28:29]
	s_cbranch_vccnz .LBB54_416
; %bb.415:
	v_cndmask_b32_e64 v2, 0, 1, s[24:25]
	global_store_dword v[0:1], v2, off
.LBB54_416:
	s_mov_b64 s[28:29], 0
.LBB54_417:
	s_andn2_b64 vcc, exec, s[28:29]
	s_cbranch_vccnz .LBB54_419
; %bb.418:
	v_cndmask_b32_e64 v2, 0, 1, s[24:25]
	global_store_short v[0:1], v2, off
.LBB54_419:
	s_mov_b64 s[28:29], 0
.LBB54_420:
	s_andn2_b64 vcc, exec, s[28:29]
	s_cbranch_vccnz .LBB54_425
; %bb.421:
	s_mov_b64 s[28:29], -1
	s_cmp_gt_i32 s30, 0
	v_cndmask_b32_e64 v2, 0, 1, s[24:25]
	s_cbranch_scc0 .LBB54_423
; %bb.422:
	s_mov_b64 s[28:29], 0
	global_store_byte v[0:1], v2, off
.LBB54_423:
	s_andn2_b64 vcc, exec, s[28:29]
	s_cbranch_vccnz .LBB54_425
; %bb.424:
	global_store_byte v[0:1], v2, off
.LBB54_425:
	s_mov_b64 s[28:29], -1
.LBB54_426:
	s_andn2_b64 vcc, exec, s[28:29]
	s_cbranch_vccnz .LBB54_428
; %bb.427:
	v_add_u32_e32 v4, 0x80, v4
	s_mov_b64 s[28:29], -1
	s_branch .LBB54_536
.LBB54_428:
	s_mov_b64 s[28:29], 0
                                        ; implicit-def: $vgpr4
	s_branch .LBB54_536
.LBB54_429:
	s_mov_b64 s[22:23], -1
                                        ; implicit-def: $vgpr2_vgpr3
.LBB54_430:
	s_mov_b64 s[24:25], 0
.LBB54_431:
	s_and_b64 vcc, exec, s[24:25]
	s_cbranch_vccz .LBB54_435
; %bb.432:
	s_cmp_eq_u32 s28, 29
	s_cbranch_scc0 .LBB54_434
; %bb.433:
	global_load_dwordx2 v[2:3], v[0:1], off
	s_mov_b64 s[0:1], -1
	s_mov_b64 s[22:23], 0
	s_branch .LBB54_435
.LBB54_434:
	s_mov_b64 s[22:23], -1
                                        ; implicit-def: $vgpr2_vgpr3
.LBB54_435:
	s_mov_b64 s[24:25], 0
.LBB54_436:
	s_and_b64 vcc, exec, s[24:25]
	s_cbranch_vccz .LBB54_454
; %bb.437:
	s_cmp_lt_i32 s28, 27
	s_cbranch_scc1 .LBB54_440
; %bb.438:
	s_cmp_gt_i32 s28, 27
	s_cbranch_scc0 .LBB54_441
; %bb.439:
	global_load_dword v2, v[0:1], off
	s_waitcnt vmcnt(1)
	v_mov_b32_e32 v3, 0
	s_mov_b64 s[0:1], 0
	s_branch .LBB54_442
.LBB54_440:
	s_mov_b64 s[0:1], -1
                                        ; implicit-def: $vgpr2_vgpr3
	s_branch .LBB54_445
.LBB54_441:
	s_mov_b64 s[0:1], -1
                                        ; implicit-def: $vgpr2_vgpr3
.LBB54_442:
	s_andn2_b64 vcc, exec, s[0:1]
	s_cbranch_vccnz .LBB54_444
; %bb.443:
	global_load_ushort v2, v[0:1], off
	s_mov_b32 s0, 0
	s_waitcnt vmcnt(1)
	v_mov_b32_e32 v3, s0
	s_waitcnt vmcnt(0)
	v_and_b32_e32 v2, 0xffff, v2
.LBB54_444:
	s_mov_b64 s[0:1], 0
.LBB54_445:
	s_andn2_b64 vcc, exec, s[0:1]
	s_cbranch_vccnz .LBB54_453
; %bb.446:
	global_load_ubyte v5, v[0:1], off
	s_movk_i32 s0, 0x7f
	s_mov_b64 s[24:25], 0
	s_waitcnt vmcnt(0)
	v_cmp_lt_i16_e32 vcc, s0, v5
	s_and_saveexec_b64 s[0:1], vcc
	s_xor_b64 s[0:1], exec, s[0:1]
; %bb.447:
	s_movk_i32 s24, 0x80
	v_cmp_ne_u16_e32 vcc, s24, v5
	s_and_b64 s[24:25], vcc, exec
; %bb.448:
	s_andn2_saveexec_b64 s[0:1], s[0:1]
; %bb.449:
	v_cmp_ne_u16_e32 vcc, 0, v5
	s_andn2_b64 s[24:25], s[24:25], exec
	s_and_b64 s[30:31], vcc, exec
	s_or_b64 s[24:25], s[24:25], s[30:31]
; %bb.450:
	s_or_b64 exec, exec, s[0:1]
	v_mov_b32_e32 v2, 0
	v_mov_b32_e32 v3, 0
	s_and_saveexec_b64 s[0:1], s[24:25]
	s_cbranch_execz .LBB54_452
; %bb.451:
	v_and_b32_e32 v3, 0xffff, v5
	v_lshlrev_b32_e32 v2, 24, v5
	v_and_b32_e32 v5, 7, v3
	v_ffbh_u32_e32 v7, v5
	v_min_u32_e32 v7, 32, v7
	v_subrev_u32_e32 v8, 28, v7
	v_bfe_u32 v6, v3, 3, 4
	v_lshlrev_b32_e32 v3, v8, v3
	v_sub_u32_e32 v7, 29, v7
	v_and_b32_e32 v3, 7, v3
	v_cmp_eq_u32_e32 vcc, 0, v6
	v_cndmask_b32_e32 v6, v6, v7, vcc
	v_cndmask_b32_e32 v3, v5, v3, vcc
	v_mov_b32_e32 v5, 0x3b800000
	v_lshlrev_b32_e32 v3, 20, v3
	v_and_b32_e32 v2, 0x80000000, v2
	v_lshl_add_u32 v5, v6, 23, v5
	v_or3_b32 v2, v2, v5, v3
	v_trunc_f32_e32 v2, v2
	s_mov_b32 s24, 0x2f800000
	v_mul_f32_e64 v3, |v2|, s24
	v_floor_f32_e32 v3, v3
	s_mov_b32 s24, 0xcf800000
	v_fma_f32 v5, v3, s24, |v2|
	v_cvt_u32_f32_e32 v5, v5
	v_cvt_u32_f32_e32 v3, v3
	v_ashrrev_i32_e32 v6, 31, v2
	v_xor_b32_e32 v2, v5, v6
	v_xor_b32_e32 v3, v3, v6
	v_sub_co_u32_e32 v2, vcc, v2, v6
	v_subb_co_u32_e32 v3, vcc, v3, v6, vcc
.LBB54_452:
	s_or_b64 exec, exec, s[0:1]
.LBB54_453:
	s_mov_b64 s[0:1], -1
.LBB54_454:
	s_mov_b64 s[24:25], 0
.LBB54_455:
	s_and_b64 vcc, exec, s[24:25]
	s_cbranch_vccz .LBB54_486
; %bb.456:
	s_cmp_gt_i32 s28, 22
	s_cbranch_scc0 .LBB54_466
; %bb.457:
	s_cmp_lt_i32 s28, 24
	s_cbranch_scc1 .LBB54_467
; %bb.458:
	s_cmp_gt_i32 s28, 24
	s_cbranch_scc0 .LBB54_468
; %bb.459:
	global_load_ubyte v5, v[0:1], off
	s_movk_i32 s0, 0x7f
	s_mov_b64 s[24:25], 0
	s_waitcnt vmcnt(0)
	v_cmp_lt_i16_e32 vcc, s0, v5
	s_and_saveexec_b64 s[0:1], vcc
	s_xor_b64 s[0:1], exec, s[0:1]
; %bb.460:
	s_movk_i32 s24, 0x80
	v_cmp_ne_u16_e32 vcc, s24, v5
	s_and_b64 s[24:25], vcc, exec
; %bb.461:
	s_andn2_saveexec_b64 s[0:1], s[0:1]
; %bb.462:
	v_cmp_ne_u16_e32 vcc, 0, v5
	s_andn2_b64 s[24:25], s[24:25], exec
	s_and_b64 s[30:31], vcc, exec
	s_or_b64 s[24:25], s[24:25], s[30:31]
; %bb.463:
	s_or_b64 exec, exec, s[0:1]
	v_mov_b32_e32 v2, 0
	v_mov_b32_e32 v3, 0
	s_and_saveexec_b64 s[0:1], s[24:25]
	s_cbranch_execz .LBB54_465
; %bb.464:
	v_and_b32_e32 v3, 0xffff, v5
	v_lshlrev_b32_e32 v2, 24, v5
	v_and_b32_e32 v5, 3, v3
	v_ffbh_u32_e32 v7, v5
	v_min_u32_e32 v7, 32, v7
	v_subrev_u32_e32 v8, 29, v7
	v_bfe_u32 v6, v3, 2, 5
	v_lshlrev_b32_e32 v3, v8, v3
	v_sub_u32_e32 v7, 30, v7
	v_and_b32_e32 v3, 3, v3
	v_cmp_eq_u32_e32 vcc, 0, v6
	v_cndmask_b32_e32 v6, v6, v7, vcc
	v_cndmask_b32_e32 v3, v5, v3, vcc
	v_mov_b32_e32 v5, 0x37800000
	v_lshlrev_b32_e32 v3, 21, v3
	v_and_b32_e32 v2, 0x80000000, v2
	v_lshl_add_u32 v5, v6, 23, v5
	v_or3_b32 v2, v2, v5, v3
	v_trunc_f32_e32 v2, v2
	s_mov_b32 s24, 0x2f800000
	v_mul_f32_e64 v3, |v2|, s24
	v_floor_f32_e32 v3, v3
	s_mov_b32 s24, 0xcf800000
	v_fma_f32 v5, v3, s24, |v2|
	v_cvt_u32_f32_e32 v5, v5
	v_cvt_u32_f32_e32 v3, v3
	v_ashrrev_i32_e32 v6, 31, v2
	v_xor_b32_e32 v2, v5, v6
	v_xor_b32_e32 v3, v3, v6
	v_sub_co_u32_e32 v2, vcc, v2, v6
	v_subb_co_u32_e32 v3, vcc, v3, v6, vcc
.LBB54_465:
	s_or_b64 exec, exec, s[0:1]
	s_mov_b64 s[0:1], 0
	s_branch .LBB54_469
.LBB54_466:
	s_mov_b64 s[24:25], -1
                                        ; implicit-def: $vgpr2_vgpr3
	s_branch .LBB54_475
.LBB54_467:
	s_mov_b64 s[0:1], -1
                                        ; implicit-def: $vgpr2_vgpr3
	s_branch .LBB54_472
.LBB54_468:
	s_mov_b64 s[0:1], -1
                                        ; implicit-def: $vgpr2_vgpr3
.LBB54_469:
	s_and_b64 vcc, exec, s[0:1]
	s_cbranch_vccz .LBB54_471
; %bb.470:
	global_load_ubyte v2, v[0:1], off
	s_mov_b32 s0, 0x7f800000
	s_brev_b32 s1, 1
	s_mov_b32 s24, 0x2f800000
	s_mov_b32 s25, 0xcf800000
	s_waitcnt vmcnt(0)
	v_lshlrev_b32_e32 v2, 24, v2
	v_and_b32_e32 v3, 0x7f000000, v2
	v_ffbh_u32_e32 v5, v3
	v_min_u32_e32 v5, 32, v5
	v_sub_u32_e64 v5, v5, 4 clamp
	v_lshlrev_b32_e32 v7, v5, v3
	v_lshlrev_b32_e32 v5, 23, v5
	v_lshrrev_b32_e32 v7, 4, v7
	v_add_u32_e32 v6, 0x1000000, v3
	v_sub_u32_e32 v5, v7, v5
	v_ashrrev_i32_e32 v6, 8, v6
	v_add_u32_e32 v5, 0x3c000000, v5
	v_and_or_b32 v5, v6, s0, v5
	v_cmp_ne_u32_e32 vcc, 0, v3
	v_cndmask_b32_e32 v3, 0, v5, vcc
	v_and_or_b32 v2, v2, s1, v3
	v_trunc_f32_e32 v2, v2
	v_mul_f32_e64 v3, |v2|, s24
	v_floor_f32_e32 v3, v3
	v_fma_f32 v5, v3, s25, |v2|
	v_cvt_u32_f32_e32 v5, v5
	v_cvt_u32_f32_e32 v3, v3
	v_ashrrev_i32_e32 v6, 31, v2
	v_xor_b32_e32 v2, v5, v6
	v_xor_b32_e32 v3, v3, v6
	v_sub_co_u32_e32 v2, vcc, v2, v6
	v_subb_co_u32_e32 v3, vcc, v3, v6, vcc
.LBB54_471:
	s_mov_b64 s[0:1], 0
.LBB54_472:
	s_andn2_b64 vcc, exec, s[0:1]
	s_cbranch_vccnz .LBB54_474
; %bb.473:
	global_load_ubyte v2, v[0:1], off
	s_movk_i32 s0, 0x7f00
	s_brev_b32 s1, 16
	s_brev_b32 s24, 1
	s_mov_b32 s25, 0x2f800000
	s_mov_b32 s29, 0xcf800000
	s_waitcnt vmcnt(0)
	v_lshlrev_b16_e32 v3, 8, v2
	v_lshlrev_b32_e32 v2, 25, v2
	v_lshrrev_b32_e32 v5, 4, v2
	v_and_or_b32 v6, v3, s0, 0.5
	v_or_b32_e32 v5, 0x70000000, v5
	v_add_f32_e32 v6, -0.5, v6
	v_mul_f32_e32 v5, 0x7800000, v5
	v_cmp_gt_u32_e32 vcc, s1, v2
	v_bfe_i32 v3, v3, 0, 16
	v_cndmask_b32_e32 v2, v5, v6, vcc
	v_and_or_b32 v2, v3, s24, v2
	v_trunc_f32_e32 v2, v2
	v_mul_f32_e64 v3, |v2|, s25
	v_floor_f32_e32 v3, v3
	v_fma_f32 v5, v3, s29, |v2|
	v_cvt_u32_f32_e32 v5, v5
	v_cvt_u32_f32_e32 v3, v3
	v_ashrrev_i32_e32 v6, 31, v2
	v_xor_b32_e32 v2, v5, v6
	v_xor_b32_e32 v3, v3, v6
	v_sub_co_u32_e32 v2, vcc, v2, v6
	v_subb_co_u32_e32 v3, vcc, v3, v6, vcc
.LBB54_474:
	s_mov_b64 s[24:25], 0
	s_mov_b64 s[0:1], -1
.LBB54_475:
	s_andn2_b64 vcc, exec, s[24:25]
	s_cbranch_vccnz .LBB54_486
; %bb.476:
	s_cmp_gt_i32 s28, 14
	s_cbranch_scc0 .LBB54_479
; %bb.477:
	s_cmp_eq_u32 s28, 15
	s_cbranch_scc0 .LBB54_480
; %bb.478:
	global_load_ushort v2, v[0:1], off
	s_mov_b32 s0, 0x2f800000
	s_mov_b32 s1, 0xcf800000
	s_mov_b64 s[22:23], 0
	s_waitcnt vmcnt(0)
	v_lshlrev_b32_e32 v2, 16, v2
	v_trunc_f32_e32 v2, v2
	v_mul_f32_e64 v3, |v2|, s0
	v_floor_f32_e32 v3, v3
	v_fma_f32 v5, v3, s1, |v2|
	v_cvt_u32_f32_e32 v5, v5
	v_cvt_u32_f32_e32 v3, v3
	v_ashrrev_i32_e32 v6, 31, v2
	s_mov_b64 s[0:1], -1
	v_xor_b32_e32 v2, v5, v6
	v_xor_b32_e32 v3, v3, v6
	v_sub_co_u32_e32 v2, vcc, v2, v6
	v_subb_co_u32_e32 v3, vcc, v3, v6, vcc
	s_branch .LBB54_481
.LBB54_479:
	s_mov_b64 s[24:25], -1
                                        ; implicit-def: $vgpr2_vgpr3
	s_branch .LBB54_482
.LBB54_480:
	s_mov_b64 s[22:23], -1
                                        ; implicit-def: $vgpr2_vgpr3
.LBB54_481:
	s_mov_b64 s[24:25], 0
.LBB54_482:
	s_and_b64 vcc, exec, s[24:25]
	s_cbranch_vccz .LBB54_486
; %bb.483:
	s_cmp_eq_u32 s28, 11
	s_cbranch_scc0 .LBB54_485
; %bb.484:
	global_load_ubyte v2, v[0:1], off
	s_mov_b32 s22, 0
	s_mov_b64 s[0:1], -1
	s_waitcnt vmcnt(1)
	v_mov_b32_e32 v3, s22
	s_mov_b64 s[22:23], 0
	s_waitcnt vmcnt(0)
	v_cmp_ne_u16_e32 vcc, 0, v2
	v_cndmask_b32_e64 v2, 0, 1, vcc
	s_branch .LBB54_486
.LBB54_485:
	s_mov_b64 s[22:23], -1
                                        ; implicit-def: $vgpr2_vgpr3
.LBB54_486:
	s_branch .LBB54_277
.LBB54_487:
	s_cmp_lt_i32 s28, 5
	s_cbranch_scc1 .LBB54_492
; %bb.488:
	s_cmp_lt_i32 s28, 8
	s_cbranch_scc1 .LBB54_493
; %bb.489:
	;; [unrolled: 3-line block ×3, first 2 shown]
	s_cmp_gt_i32 s28, 9
	s_cbranch_scc0 .LBB54_495
; %bb.491:
	global_load_dwordx2 v[2:3], v[0:1], off
	s_movk_i32 s0, 0xffe0
	s_waitcnt vmcnt(0)
	v_trunc_f64_e32 v[2:3], v[2:3]
	v_ldexp_f64 v[5:6], v[2:3], s0
	s_mov_b32 s0, 0
	s_mov_b32 s1, 0xc1f00000
	v_floor_f64_e32 v[5:6], v[5:6]
	v_fma_f64 v[7:8], v[5:6], s[0:1], v[2:3]
	v_cvt_i32_f64_e32 v3, v[5:6]
	s_mov_b64 s[0:1], 0
	v_cvt_u32_f64_e32 v2, v[7:8]
	s_branch .LBB54_496
.LBB54_492:
	s_mov_b64 s[0:1], -1
                                        ; implicit-def: $vgpr2_vgpr3
	s_branch .LBB54_514
.LBB54_493:
	s_mov_b64 s[0:1], -1
                                        ; implicit-def: $vgpr2_vgpr3
	s_branch .LBB54_502
.LBB54_494:
	s_mov_b64 s[0:1], -1
                                        ; implicit-def: $vgpr2_vgpr3
	s_branch .LBB54_499
.LBB54_495:
	s_mov_b64 s[0:1], -1
                                        ; implicit-def: $vgpr2_vgpr3
.LBB54_496:
	s_andn2_b64 vcc, exec, s[0:1]
	s_cbranch_vccnz .LBB54_498
; %bb.497:
	global_load_dword v2, v[0:1], off
	s_mov_b32 s0, 0x2f800000
	s_mov_b32 s1, 0xcf800000
	s_waitcnt vmcnt(0)
	v_trunc_f32_e32 v2, v2
	v_mul_f32_e64 v3, |v2|, s0
	v_floor_f32_e32 v3, v3
	v_cvt_u32_f32_e32 v5, v3
	v_fma_f32 v3, v3, s1, |v2|
	v_cvt_u32_f32_e32 v3, v3
	v_ashrrev_i32_e32 v6, 31, v2
	v_xor_b32_e32 v5, v5, v6
	v_xor_b32_e32 v2, v3, v6
	v_sub_co_u32_e32 v2, vcc, v2, v6
	v_subb_co_u32_e32 v3, vcc, v5, v6, vcc
.LBB54_498:
	s_mov_b64 s[0:1], 0
.LBB54_499:
	s_andn2_b64 vcc, exec, s[0:1]
	s_cbranch_vccnz .LBB54_501
; %bb.500:
	global_load_dword v2, v[0:1], off
	s_waitcnt vmcnt(0)
	v_cvt_f32_f16_e32 v2, v2
	v_cvt_i32_f32_e32 v2, v2
	v_ashrrev_i32_e32 v3, 31, v2
.LBB54_501:
	s_mov_b64 s[0:1], 0
.LBB54_502:
	s_andn2_b64 vcc, exec, s[0:1]
	s_cbranch_vccnz .LBB54_513
; %bb.503:
	s_cmp_lt_i32 s28, 6
	s_cbranch_scc1 .LBB54_506
; %bb.504:
	s_cmp_gt_i32 s28, 6
	s_cbranch_scc0 .LBB54_507
; %bb.505:
	global_load_dwordx2 v[2:3], v[0:1], off
	s_movk_i32 s0, 0xffe0
	s_waitcnt vmcnt(0)
	v_trunc_f64_e32 v[2:3], v[2:3]
	v_ldexp_f64 v[5:6], v[2:3], s0
	s_mov_b32 s0, 0
	s_mov_b32 s1, 0xc1f00000
	v_floor_f64_e32 v[5:6], v[5:6]
	v_fma_f64 v[7:8], v[5:6], s[0:1], v[2:3]
	v_cvt_i32_f64_e32 v3, v[5:6]
	s_mov_b64 s[0:1], 0
	v_cvt_u32_f64_e32 v2, v[7:8]
	s_branch .LBB54_508
.LBB54_506:
	s_mov_b64 s[0:1], -1
                                        ; implicit-def: $vgpr2_vgpr3
	s_branch .LBB54_511
.LBB54_507:
	s_mov_b64 s[0:1], -1
                                        ; implicit-def: $vgpr2_vgpr3
.LBB54_508:
	s_andn2_b64 vcc, exec, s[0:1]
	s_cbranch_vccnz .LBB54_510
; %bb.509:
	global_load_dword v2, v[0:1], off
	s_mov_b32 s0, 0x2f800000
	s_mov_b32 s1, 0xcf800000
	s_waitcnt vmcnt(0)
	v_trunc_f32_e32 v2, v2
	v_mul_f32_e64 v3, |v2|, s0
	v_floor_f32_e32 v3, v3
	v_cvt_u32_f32_e32 v5, v3
	v_fma_f32 v3, v3, s1, |v2|
	v_cvt_u32_f32_e32 v3, v3
	v_ashrrev_i32_e32 v6, 31, v2
	v_xor_b32_e32 v5, v5, v6
	v_xor_b32_e32 v2, v3, v6
	v_sub_co_u32_e32 v2, vcc, v2, v6
	v_subb_co_u32_e32 v3, vcc, v5, v6, vcc
.LBB54_510:
	s_mov_b64 s[0:1], 0
.LBB54_511:
	s_andn2_b64 vcc, exec, s[0:1]
	s_cbranch_vccnz .LBB54_513
; %bb.512:
	global_load_ushort v2, v[0:1], off
	s_waitcnt vmcnt(0)
	v_cvt_f32_f16_e32 v2, v2
	v_cvt_i32_f32_e32 v2, v2
	v_ashrrev_i32_e32 v3, 31, v2
.LBB54_513:
	s_mov_b64 s[0:1], 0
.LBB54_514:
	s_andn2_b64 vcc, exec, s[0:1]
	s_cbranch_vccnz .LBB54_534
; %bb.515:
	s_cmp_lt_i32 s28, 2
	s_cbranch_scc1 .LBB54_519
; %bb.516:
	s_cmp_lt_i32 s28, 3
	s_cbranch_scc1 .LBB54_520
; %bb.517:
	s_cmp_gt_i32 s28, 3
	s_cbranch_scc0 .LBB54_521
; %bb.518:
	global_load_dwordx2 v[2:3], v[0:1], off
	s_mov_b64 s[0:1], 0
	s_branch .LBB54_522
.LBB54_519:
	s_mov_b64 s[0:1], -1
                                        ; implicit-def: $vgpr2_vgpr3
	s_branch .LBB54_528
.LBB54_520:
	s_mov_b64 s[0:1], -1
                                        ; implicit-def: $vgpr2_vgpr3
	s_branch .LBB54_525
.LBB54_521:
	s_mov_b64 s[0:1], -1
                                        ; implicit-def: $vgpr2_vgpr3
.LBB54_522:
	s_andn2_b64 vcc, exec, s[0:1]
	s_cbranch_vccnz .LBB54_524
; %bb.523:
	global_load_dword v2, v[0:1], off
	s_waitcnt vmcnt(0)
	v_ashrrev_i32_e32 v3, 31, v2
.LBB54_524:
	s_mov_b64 s[0:1], 0
.LBB54_525:
	s_andn2_b64 vcc, exec, s[0:1]
	s_cbranch_vccnz .LBB54_527
; %bb.526:
	global_load_ushort v2, v[0:1], off
	s_waitcnt vmcnt(0)
	v_bfe_i32 v2, v2, 0, 16
	v_ashrrev_i32_e32 v3, 31, v2
.LBB54_527:
	s_mov_b64 s[0:1], 0
.LBB54_528:
	s_andn2_b64 vcc, exec, s[0:1]
	s_cbranch_vccnz .LBB54_534
; %bb.529:
	s_cmp_gt_i32 s28, 0
	s_cbranch_scc0 .LBB54_531
; %bb.530:
	global_load_sbyte v2, v[0:1], off
	s_mov_b64 s[0:1], 0
	s_waitcnt vmcnt(0)
	v_bfe_i32 v2, v2, 0, 16
	v_ashrrev_i32_e32 v3, 31, v2
	s_branch .LBB54_532
.LBB54_531:
	s_mov_b64 s[0:1], -1
                                        ; implicit-def: $vgpr2_vgpr3
.LBB54_532:
	s_andn2_b64 vcc, exec, s[0:1]
	s_cbranch_vccnz .LBB54_534
; %bb.533:
	global_load_ubyte v0, v[0:1], off
	s_mov_b32 s0, 0
	s_waitcnt vmcnt(1)
	v_mov_b32_e32 v3, s0
	s_waitcnt vmcnt(0)
	v_and_b32_e32 v2, 0xffff, v0
.LBB54_534:
	s_branch .LBB54_278
.LBB54_535:
	s_mov_b64 s[28:29], 0
                                        ; implicit-def: $vgpr4
	s_mov_b64 s[0:1], s[16:17]
.LBB54_536:
	s_andn2_b64 s[24:25], s[16:17], exec
	s_and_b64 s[0:1], s[0:1], exec
	s_or_b64 s[24:25], s[24:25], s[0:1]
	s_andn2_b64 s[0:1], s[18:19], exec
	s_and_b64 s[22:23], s[22:23], exec
	s_or_b64 s[22:23], s[0:1], s[22:23]
	s_orn2_b64 s[0:1], s[28:29], exec
.LBB54_537:
	s_or_b64 exec, exec, s[26:27]
	s_mov_b64 s[28:29], 0
	s_mov_b64 s[30:31], 0
	;; [unrolled: 1-line block ×3, first 2 shown]
                                        ; implicit-def: $vgpr0_vgpr1
                                        ; implicit-def: $vgpr2_vgpr3
	s_and_saveexec_b64 s[26:27], s[0:1]
	s_cbranch_execz .LBB54_891
; %bb.538:
	v_cmp_gt_i32_e32 vcc, s42, v4
	s_mov_b64 s[38:39], -1
	s_mov_b64 s[0:1], s[22:23]
	s_mov_b64 s[34:35], s[24:25]
	s_and_saveexec_b64 s[28:29], vcc
	s_cbranch_execz .LBB54_809
; %bb.539:
	v_mul_lo_u32 v0, v4, s13
	v_mov_b32_e32 v1, s11
	s_and_b32 s36, 0xffff, s15
	s_cmp_lt_i32 s36, 11
	s_waitcnt vmcnt(0)
	v_ashrrev_i32_e32 v2, 31, v0
	v_add_co_u32_e32 v0, vcc, s10, v0
	v_addc_co_u32_e32 v1, vcc, v1, v2, vcc
	s_cbranch_scc1 .LBB54_546
; %bb.540:
	s_cmp_gt_i32 s36, 25
	s_cbranch_scc0 .LBB54_547
; %bb.541:
	s_cmp_gt_i32 s36, 28
	s_cbranch_scc0 .LBB54_548
	;; [unrolled: 3-line block ×4, first 2 shown]
; %bb.544:
	s_cmp_eq_u32 s36, 46
	s_mov_b64 s[34:35], 0
	s_cbranch_scc0 .LBB54_555
; %bb.545:
	global_load_dword v2, v[0:1], off
	s_mov_b32 s0, 0x2f800000
	s_mov_b32 s1, 0xcf800000
	s_waitcnt vmcnt(0)
	v_lshlrev_b32_e32 v2, 16, v2
	v_trunc_f32_e32 v2, v2
	v_mul_f32_e64 v3, |v2|, s0
	v_floor_f32_e32 v3, v3
	v_fma_f32 v5, v3, s1, |v2|
	v_cvt_u32_f32_e32 v5, v5
	v_cvt_u32_f32_e32 v3, v3
	v_ashrrev_i32_e32 v6, 31, v2
	s_mov_b64 s[0:1], -1
	v_xor_b32_e32 v2, v5, v6
	v_xor_b32_e32 v3, v3, v6
	v_sub_co_u32_e32 v2, vcc, v2, v6
	v_subb_co_u32_e32 v3, vcc, v3, v6, vcc
	s_branch .LBB54_556
.LBB54_546:
	s_mov_b64 s[34:35], -1
	s_mov_b64 s[0:1], 0
                                        ; implicit-def: $vgpr2_vgpr3
	s_mov_b64 s[30:31], s[22:23]
	s_branch .LBB54_617
.LBB54_547:
	s_mov_b64 s[34:35], -1
	s_mov_b64 s[0:1], 0
	s_mov_b64 s[30:31], s[22:23]
                                        ; implicit-def: $vgpr2_vgpr3
	s_branch .LBB54_585
.LBB54_548:
	s_mov_b64 s[34:35], -1
	s_mov_b64 s[0:1], 0
	s_mov_b64 s[30:31], s[22:23]
                                        ; implicit-def: $vgpr2_vgpr3
	s_branch .LBB54_566
.LBB54_549:
	s_mov_b64 s[34:35], -1
	s_mov_b64 s[0:1], 0
	s_mov_b64 s[30:31], s[22:23]
                                        ; implicit-def: $vgpr2_vgpr3
	s_branch .LBB54_561
.LBB54_550:
	s_andn2_saveexec_b64 s[34:35], s[34:35]
	s_cbranch_execz .LBB54_339
.LBB54_551:
	v_add_f32_e32 v2, 0x46000000, v3
	v_and_b32_e32 v2, 0xff, v2
	v_cmp_ne_u32_e32 vcc, 0, v2
	s_andn2_b64 s[30:31], s[30:31], exec
	s_and_b64 s[38:39], vcc, exec
	s_or_b64 s[30:31], s[30:31], s[38:39]
	s_or_b64 exec, exec, s[34:35]
	v_mov_b32_e32 v5, 0
	s_and_saveexec_b64 s[34:35], s[30:31]
	s_cbranch_execnz .LBB54_340
	s_branch .LBB54_341
.LBB54_552:
	s_mov_b64 s[34:35], -1
	s_mov_b64 s[0:1], 0
	s_mov_b64 s[30:31], s[22:23]
                                        ; implicit-def: $vgpr2_vgpr3
	s_branch .LBB54_556
.LBB54_553:
	s_andn2_saveexec_b64 s[34:35], s[34:35]
	s_cbranch_execz .LBB54_352
.LBB54_554:
	v_add_f32_e32 v2, 0x42800000, v3
	v_and_b32_e32 v2, 0xff, v2
	v_cmp_ne_u32_e32 vcc, 0, v2
	s_andn2_b64 s[30:31], s[30:31], exec
	s_and_b64 s[38:39], vcc, exec
	s_or_b64 s[30:31], s[30:31], s[38:39]
	s_or_b64 exec, exec, s[34:35]
	v_mov_b32_e32 v5, 0
	s_and_saveexec_b64 s[34:35], s[30:31]
	s_cbranch_execnz .LBB54_353
	s_branch .LBB54_354
.LBB54_555:
	s_mov_b64 s[30:31], -1
                                        ; implicit-def: $vgpr2_vgpr3
	s_mov_b64 s[0:1], 0
.LBB54_556:
	s_and_b64 vcc, exec, s[34:35]
	s_cbranch_vccz .LBB54_560
; %bb.557:
	s_cmp_eq_u32 s36, 44
	s_cbranch_scc0 .LBB54_559
; %bb.558:
	global_load_ubyte v2, v[0:1], off
	s_mov_b32 s0, 0x2f800000
	s_mov_b32 s1, 0xcf800000
	s_mov_b64 s[30:31], 0
	s_waitcnt vmcnt(0)
	v_lshlrev_b32_e32 v3, 23, v2
	v_trunc_f32_e32 v3, v3
	v_mul_f32_e64 v5, |v3|, s0
	v_floor_f32_e32 v5, v5
	v_fma_f32 v6, v5, s1, |v3|
	v_cvt_u32_f32_e32 v6, v6
	v_cvt_u32_f32_e32 v5, v5
	v_ashrrev_i32_e32 v3, 31, v3
	s_mov_b64 s[0:1], -1
	v_xor_b32_e32 v6, v6, v3
	v_xor_b32_e32 v5, v5, v3
	v_sub_co_u32_e32 v6, vcc, v6, v3
	v_subb_co_u32_e32 v3, vcc, v5, v3, vcc
	v_cmp_ne_u32_e32 vcc, 0, v2
	v_cndmask_b32_e32 v3, 0, v3, vcc
	v_cndmask_b32_e32 v2, 0, v6, vcc
	s_branch .LBB54_560
.LBB54_559:
	s_mov_b64 s[30:31], -1
                                        ; implicit-def: $vgpr2_vgpr3
.LBB54_560:
	s_mov_b64 s[34:35], 0
.LBB54_561:
	s_and_b64 vcc, exec, s[34:35]
	s_cbranch_vccz .LBB54_565
; %bb.562:
	s_cmp_eq_u32 s36, 29
	s_cbranch_scc0 .LBB54_564
; %bb.563:
	global_load_dwordx2 v[2:3], v[0:1], off
	s_mov_b64 s[0:1], -1
	s_mov_b64 s[30:31], 0
	s_branch .LBB54_565
.LBB54_564:
	s_mov_b64 s[30:31], -1
                                        ; implicit-def: $vgpr2_vgpr3
.LBB54_565:
	s_mov_b64 s[34:35], 0
.LBB54_566:
	s_and_b64 vcc, exec, s[34:35]
	s_cbranch_vccz .LBB54_584
; %bb.567:
	s_cmp_lt_i32 s36, 27
	s_cbranch_scc1 .LBB54_570
; %bb.568:
	s_cmp_gt_i32 s36, 27
	s_cbranch_scc0 .LBB54_571
; %bb.569:
	global_load_dword v2, v[0:1], off
	s_waitcnt vmcnt(1)
	v_mov_b32_e32 v3, 0
	s_mov_b64 s[0:1], 0
	s_branch .LBB54_572
.LBB54_570:
	s_mov_b64 s[0:1], -1
                                        ; implicit-def: $vgpr2_vgpr3
	s_branch .LBB54_575
.LBB54_571:
	s_mov_b64 s[0:1], -1
                                        ; implicit-def: $vgpr2_vgpr3
.LBB54_572:
	s_andn2_b64 vcc, exec, s[0:1]
	s_cbranch_vccnz .LBB54_574
; %bb.573:
	global_load_ushort v2, v[0:1], off
	s_mov_b32 s0, 0
	s_waitcnt vmcnt(1)
	v_mov_b32_e32 v3, s0
	s_waitcnt vmcnt(0)
	v_and_b32_e32 v2, 0xffff, v2
.LBB54_574:
	s_mov_b64 s[0:1], 0
.LBB54_575:
	s_andn2_b64 vcc, exec, s[0:1]
	s_cbranch_vccnz .LBB54_583
; %bb.576:
	global_load_ubyte v5, v[0:1], off
	s_movk_i32 s0, 0x7f
	s_mov_b64 s[34:35], 0
	s_waitcnt vmcnt(0)
	v_cmp_lt_i16_e32 vcc, s0, v5
	s_and_saveexec_b64 s[0:1], vcc
	s_xor_b64 s[0:1], exec, s[0:1]
; %bb.577:
	s_movk_i32 s34, 0x80
	v_cmp_ne_u16_e32 vcc, s34, v5
	s_and_b64 s[34:35], vcc, exec
; %bb.578:
	s_andn2_saveexec_b64 s[0:1], s[0:1]
; %bb.579:
	v_cmp_ne_u16_e32 vcc, 0, v5
	s_andn2_b64 s[34:35], s[34:35], exec
	s_and_b64 s[38:39], vcc, exec
	s_or_b64 s[34:35], s[34:35], s[38:39]
; %bb.580:
	s_or_b64 exec, exec, s[0:1]
	v_mov_b32_e32 v2, 0
	v_mov_b32_e32 v3, 0
	s_and_saveexec_b64 s[0:1], s[34:35]
	s_cbranch_execz .LBB54_582
; %bb.581:
	v_and_b32_e32 v3, 0xffff, v5
	v_lshlrev_b32_e32 v2, 24, v5
	v_and_b32_e32 v5, 7, v3
	v_ffbh_u32_e32 v7, v5
	v_min_u32_e32 v7, 32, v7
	v_subrev_u32_e32 v8, 28, v7
	v_bfe_u32 v6, v3, 3, 4
	v_lshlrev_b32_e32 v3, v8, v3
	v_sub_u32_e32 v7, 29, v7
	v_and_b32_e32 v3, 7, v3
	v_cmp_eq_u32_e32 vcc, 0, v6
	v_cndmask_b32_e32 v6, v6, v7, vcc
	v_cndmask_b32_e32 v3, v5, v3, vcc
	v_mov_b32_e32 v5, 0x3b800000
	v_lshlrev_b32_e32 v3, 20, v3
	v_and_b32_e32 v2, 0x80000000, v2
	v_lshl_add_u32 v5, v6, 23, v5
	v_or3_b32 v2, v2, v5, v3
	v_trunc_f32_e32 v2, v2
	s_mov_b32 s34, 0x2f800000
	v_mul_f32_e64 v3, |v2|, s34
	v_floor_f32_e32 v3, v3
	s_mov_b32 s34, 0xcf800000
	v_fma_f32 v5, v3, s34, |v2|
	v_cvt_u32_f32_e32 v5, v5
	v_cvt_u32_f32_e32 v3, v3
	v_ashrrev_i32_e32 v6, 31, v2
	v_xor_b32_e32 v2, v5, v6
	v_xor_b32_e32 v3, v3, v6
	v_sub_co_u32_e32 v2, vcc, v2, v6
	v_subb_co_u32_e32 v3, vcc, v3, v6, vcc
.LBB54_582:
	s_or_b64 exec, exec, s[0:1]
.LBB54_583:
	s_mov_b64 s[0:1], -1
.LBB54_584:
	s_mov_b64 s[34:35], 0
.LBB54_585:
	s_and_b64 vcc, exec, s[34:35]
	s_cbranch_vccz .LBB54_616
; %bb.586:
	s_cmp_gt_i32 s36, 22
	s_cbranch_scc0 .LBB54_596
; %bb.587:
	s_cmp_lt_i32 s36, 24
	s_cbranch_scc1 .LBB54_597
; %bb.588:
	s_cmp_gt_i32 s36, 24
	s_cbranch_scc0 .LBB54_598
; %bb.589:
	global_load_ubyte v5, v[0:1], off
	s_movk_i32 s0, 0x7f
	s_mov_b64 s[34:35], 0
	s_waitcnt vmcnt(0)
	v_cmp_lt_i16_e32 vcc, s0, v5
	s_and_saveexec_b64 s[0:1], vcc
	s_xor_b64 s[0:1], exec, s[0:1]
; %bb.590:
	s_movk_i32 s34, 0x80
	v_cmp_ne_u16_e32 vcc, s34, v5
	s_and_b64 s[34:35], vcc, exec
; %bb.591:
	s_andn2_saveexec_b64 s[0:1], s[0:1]
; %bb.592:
	v_cmp_ne_u16_e32 vcc, 0, v5
	s_andn2_b64 s[34:35], s[34:35], exec
	s_and_b64 s[38:39], vcc, exec
	s_or_b64 s[34:35], s[34:35], s[38:39]
; %bb.593:
	s_or_b64 exec, exec, s[0:1]
	v_mov_b32_e32 v2, 0
	v_mov_b32_e32 v3, 0
	s_and_saveexec_b64 s[0:1], s[34:35]
	s_cbranch_execz .LBB54_595
; %bb.594:
	v_and_b32_e32 v3, 0xffff, v5
	v_lshlrev_b32_e32 v2, 24, v5
	v_and_b32_e32 v5, 3, v3
	v_ffbh_u32_e32 v7, v5
	v_min_u32_e32 v7, 32, v7
	v_subrev_u32_e32 v8, 29, v7
	v_bfe_u32 v6, v3, 2, 5
	v_lshlrev_b32_e32 v3, v8, v3
	v_sub_u32_e32 v7, 30, v7
	v_and_b32_e32 v3, 3, v3
	v_cmp_eq_u32_e32 vcc, 0, v6
	v_cndmask_b32_e32 v6, v6, v7, vcc
	v_cndmask_b32_e32 v3, v5, v3, vcc
	v_mov_b32_e32 v5, 0x37800000
	v_lshlrev_b32_e32 v3, 21, v3
	v_and_b32_e32 v2, 0x80000000, v2
	v_lshl_add_u32 v5, v6, 23, v5
	v_or3_b32 v2, v2, v5, v3
	v_trunc_f32_e32 v2, v2
	s_mov_b32 s34, 0x2f800000
	v_mul_f32_e64 v3, |v2|, s34
	v_floor_f32_e32 v3, v3
	s_mov_b32 s34, 0xcf800000
	v_fma_f32 v5, v3, s34, |v2|
	v_cvt_u32_f32_e32 v5, v5
	v_cvt_u32_f32_e32 v3, v3
	v_ashrrev_i32_e32 v6, 31, v2
	v_xor_b32_e32 v2, v5, v6
	v_xor_b32_e32 v3, v3, v6
	v_sub_co_u32_e32 v2, vcc, v2, v6
	v_subb_co_u32_e32 v3, vcc, v3, v6, vcc
.LBB54_595:
	s_or_b64 exec, exec, s[0:1]
	s_mov_b64 s[0:1], 0
	s_branch .LBB54_599
.LBB54_596:
	s_mov_b64 s[34:35], -1
                                        ; implicit-def: $vgpr2_vgpr3
	s_branch .LBB54_605
.LBB54_597:
	s_mov_b64 s[0:1], -1
                                        ; implicit-def: $vgpr2_vgpr3
	s_branch .LBB54_602
.LBB54_598:
	s_mov_b64 s[0:1], -1
                                        ; implicit-def: $vgpr2_vgpr3
.LBB54_599:
	s_and_b64 vcc, exec, s[0:1]
	s_cbranch_vccz .LBB54_601
; %bb.600:
	global_load_ubyte v2, v[0:1], off
	s_mov_b32 s0, 0x7f800000
	s_brev_b32 s1, 1
	s_mov_b32 s34, 0x2f800000
	s_mov_b32 s35, 0xcf800000
	s_waitcnt vmcnt(0)
	v_lshlrev_b32_e32 v2, 24, v2
	v_and_b32_e32 v3, 0x7f000000, v2
	v_ffbh_u32_e32 v5, v3
	v_min_u32_e32 v5, 32, v5
	v_sub_u32_e64 v5, v5, 4 clamp
	v_lshlrev_b32_e32 v7, v5, v3
	v_lshlrev_b32_e32 v5, 23, v5
	v_lshrrev_b32_e32 v7, 4, v7
	v_add_u32_e32 v6, 0x1000000, v3
	v_sub_u32_e32 v5, v7, v5
	v_ashrrev_i32_e32 v6, 8, v6
	v_add_u32_e32 v5, 0x3c000000, v5
	v_and_or_b32 v5, v6, s0, v5
	v_cmp_ne_u32_e32 vcc, 0, v3
	v_cndmask_b32_e32 v3, 0, v5, vcc
	v_and_or_b32 v2, v2, s1, v3
	v_trunc_f32_e32 v2, v2
	v_mul_f32_e64 v3, |v2|, s34
	v_floor_f32_e32 v3, v3
	v_fma_f32 v5, v3, s35, |v2|
	v_cvt_u32_f32_e32 v5, v5
	v_cvt_u32_f32_e32 v3, v3
	v_ashrrev_i32_e32 v6, 31, v2
	v_xor_b32_e32 v2, v5, v6
	v_xor_b32_e32 v3, v3, v6
	v_sub_co_u32_e32 v2, vcc, v2, v6
	v_subb_co_u32_e32 v3, vcc, v3, v6, vcc
.LBB54_601:
	s_mov_b64 s[0:1], 0
.LBB54_602:
	s_andn2_b64 vcc, exec, s[0:1]
	s_cbranch_vccnz .LBB54_604
; %bb.603:
	global_load_ubyte v2, v[0:1], off
	s_movk_i32 s0, 0x7f00
	s_brev_b32 s1, 16
	s_brev_b32 s34, 1
	s_mov_b32 s35, 0x2f800000
	s_mov_b32 s37, 0xcf800000
	s_waitcnt vmcnt(0)
	v_lshlrev_b16_e32 v3, 8, v2
	v_lshlrev_b32_e32 v2, 25, v2
	v_lshrrev_b32_e32 v5, 4, v2
	v_and_or_b32 v6, v3, s0, 0.5
	v_or_b32_e32 v5, 0x70000000, v5
	v_add_f32_e32 v6, -0.5, v6
	v_mul_f32_e32 v5, 0x7800000, v5
	v_cmp_gt_u32_e32 vcc, s1, v2
	v_bfe_i32 v3, v3, 0, 16
	v_cndmask_b32_e32 v2, v5, v6, vcc
	v_and_or_b32 v2, v3, s34, v2
	v_trunc_f32_e32 v2, v2
	v_mul_f32_e64 v3, |v2|, s35
	v_floor_f32_e32 v3, v3
	v_fma_f32 v5, v3, s37, |v2|
	v_cvt_u32_f32_e32 v5, v5
	v_cvt_u32_f32_e32 v3, v3
	v_ashrrev_i32_e32 v6, 31, v2
	v_xor_b32_e32 v2, v5, v6
	v_xor_b32_e32 v3, v3, v6
	v_sub_co_u32_e32 v2, vcc, v2, v6
	v_subb_co_u32_e32 v3, vcc, v3, v6, vcc
.LBB54_604:
	s_mov_b64 s[34:35], 0
	s_mov_b64 s[0:1], -1
.LBB54_605:
	s_andn2_b64 vcc, exec, s[34:35]
	s_cbranch_vccnz .LBB54_616
; %bb.606:
	s_cmp_gt_i32 s36, 14
	s_cbranch_scc0 .LBB54_609
; %bb.607:
	s_cmp_eq_u32 s36, 15
	s_cbranch_scc0 .LBB54_610
; %bb.608:
	global_load_ushort v2, v[0:1], off
	s_mov_b32 s0, 0x2f800000
	s_mov_b32 s1, 0xcf800000
	s_mov_b64 s[30:31], 0
	s_waitcnt vmcnt(0)
	v_lshlrev_b32_e32 v2, 16, v2
	v_trunc_f32_e32 v2, v2
	v_mul_f32_e64 v3, |v2|, s0
	v_floor_f32_e32 v3, v3
	v_fma_f32 v5, v3, s1, |v2|
	v_cvt_u32_f32_e32 v5, v5
	v_cvt_u32_f32_e32 v3, v3
	v_ashrrev_i32_e32 v6, 31, v2
	s_mov_b64 s[0:1], -1
	v_xor_b32_e32 v2, v5, v6
	v_xor_b32_e32 v3, v3, v6
	v_sub_co_u32_e32 v2, vcc, v2, v6
	v_subb_co_u32_e32 v3, vcc, v3, v6, vcc
	s_branch .LBB54_611
.LBB54_609:
	s_mov_b64 s[34:35], -1
                                        ; implicit-def: $vgpr2_vgpr3
	s_branch .LBB54_612
.LBB54_610:
	s_mov_b64 s[30:31], -1
                                        ; implicit-def: $vgpr2_vgpr3
.LBB54_611:
	s_mov_b64 s[34:35], 0
.LBB54_612:
	s_and_b64 vcc, exec, s[34:35]
	s_cbranch_vccz .LBB54_616
; %bb.613:
	s_cmp_eq_u32 s36, 11
	s_cbranch_scc0 .LBB54_615
; %bb.614:
	global_load_ubyte v2, v[0:1], off
	s_mov_b32 s30, 0
	s_mov_b64 s[0:1], -1
	s_waitcnt vmcnt(1)
	v_mov_b32_e32 v3, s30
	s_mov_b64 s[30:31], 0
	s_waitcnt vmcnt(0)
	v_cmp_ne_u16_e32 vcc, 0, v2
	v_cndmask_b32_e64 v2, 0, 1, vcc
	s_branch .LBB54_616
.LBB54_615:
	s_mov_b64 s[30:31], -1
                                        ; implicit-def: $vgpr2_vgpr3
.LBB54_616:
	s_mov_b64 s[34:35], 0
.LBB54_617:
	s_and_b64 vcc, exec, s[34:35]
	s_cbranch_vccz .LBB54_666
; %bb.618:
	s_cmp_lt_i32 s36, 5
	s_cbranch_scc1 .LBB54_623
; %bb.619:
	s_cmp_lt_i32 s36, 8
	s_cbranch_scc1 .LBB54_624
	;; [unrolled: 3-line block ×3, first 2 shown]
; %bb.621:
	s_cmp_gt_i32 s36, 9
	s_cbranch_scc0 .LBB54_626
; %bb.622:
	global_load_dwordx2 v[2:3], v[0:1], off
	s_movk_i32 s0, 0xffe0
	s_waitcnt vmcnt(0)
	v_trunc_f64_e32 v[2:3], v[2:3]
	v_ldexp_f64 v[5:6], v[2:3], s0
	s_mov_b32 s0, 0
	s_mov_b32 s1, 0xc1f00000
	v_floor_f64_e32 v[5:6], v[5:6]
	v_fma_f64 v[7:8], v[5:6], s[0:1], v[2:3]
	v_cvt_i32_f64_e32 v3, v[5:6]
	s_mov_b64 s[0:1], 0
	v_cvt_u32_f64_e32 v2, v[7:8]
	s_branch .LBB54_627
.LBB54_623:
	s_mov_b64 s[0:1], -1
                                        ; implicit-def: $vgpr2_vgpr3
	s_branch .LBB54_645
.LBB54_624:
	s_mov_b64 s[0:1], -1
                                        ; implicit-def: $vgpr2_vgpr3
	s_branch .LBB54_633
.LBB54_625:
	s_mov_b64 s[0:1], -1
                                        ; implicit-def: $vgpr2_vgpr3
	s_branch .LBB54_630
.LBB54_626:
	s_mov_b64 s[0:1], -1
                                        ; implicit-def: $vgpr2_vgpr3
.LBB54_627:
	s_andn2_b64 vcc, exec, s[0:1]
	s_cbranch_vccnz .LBB54_629
; %bb.628:
	global_load_dword v2, v[0:1], off
	s_mov_b32 s0, 0x2f800000
	s_mov_b32 s1, 0xcf800000
	s_waitcnt vmcnt(0)
	v_trunc_f32_e32 v2, v2
	v_mul_f32_e64 v3, |v2|, s0
	v_floor_f32_e32 v3, v3
	v_cvt_u32_f32_e32 v5, v3
	v_fma_f32 v3, v3, s1, |v2|
	v_cvt_u32_f32_e32 v3, v3
	v_ashrrev_i32_e32 v6, 31, v2
	v_xor_b32_e32 v5, v5, v6
	v_xor_b32_e32 v2, v3, v6
	v_sub_co_u32_e32 v2, vcc, v2, v6
	v_subb_co_u32_e32 v3, vcc, v5, v6, vcc
.LBB54_629:
	s_mov_b64 s[0:1], 0
.LBB54_630:
	s_andn2_b64 vcc, exec, s[0:1]
	s_cbranch_vccnz .LBB54_632
; %bb.631:
	global_load_dword v2, v[0:1], off
	s_waitcnt vmcnt(0)
	v_cvt_f32_f16_e32 v2, v2
	v_cvt_i32_f32_e32 v2, v2
	v_ashrrev_i32_e32 v3, 31, v2
.LBB54_632:
	s_mov_b64 s[0:1], 0
.LBB54_633:
	s_andn2_b64 vcc, exec, s[0:1]
	s_cbranch_vccnz .LBB54_644
; %bb.634:
	s_cmp_lt_i32 s36, 6
	s_cbranch_scc1 .LBB54_637
; %bb.635:
	s_cmp_gt_i32 s36, 6
	s_cbranch_scc0 .LBB54_638
; %bb.636:
	global_load_dwordx2 v[2:3], v[0:1], off
	s_movk_i32 s0, 0xffe0
	s_waitcnt vmcnt(0)
	v_trunc_f64_e32 v[2:3], v[2:3]
	v_ldexp_f64 v[5:6], v[2:3], s0
	s_mov_b32 s0, 0
	s_mov_b32 s1, 0xc1f00000
	v_floor_f64_e32 v[5:6], v[5:6]
	v_fma_f64 v[7:8], v[5:6], s[0:1], v[2:3]
	v_cvt_i32_f64_e32 v3, v[5:6]
	s_mov_b64 s[0:1], 0
	v_cvt_u32_f64_e32 v2, v[7:8]
	s_branch .LBB54_639
.LBB54_637:
	s_mov_b64 s[0:1], -1
                                        ; implicit-def: $vgpr2_vgpr3
	s_branch .LBB54_642
.LBB54_638:
	s_mov_b64 s[0:1], -1
                                        ; implicit-def: $vgpr2_vgpr3
.LBB54_639:
	s_andn2_b64 vcc, exec, s[0:1]
	s_cbranch_vccnz .LBB54_641
; %bb.640:
	global_load_dword v2, v[0:1], off
	s_mov_b32 s0, 0x2f800000
	s_mov_b32 s1, 0xcf800000
	s_waitcnt vmcnt(0)
	v_trunc_f32_e32 v2, v2
	v_mul_f32_e64 v3, |v2|, s0
	v_floor_f32_e32 v3, v3
	v_cvt_u32_f32_e32 v5, v3
	v_fma_f32 v3, v3, s1, |v2|
	v_cvt_u32_f32_e32 v3, v3
	v_ashrrev_i32_e32 v6, 31, v2
	v_xor_b32_e32 v5, v5, v6
	v_xor_b32_e32 v2, v3, v6
	v_sub_co_u32_e32 v2, vcc, v2, v6
	v_subb_co_u32_e32 v3, vcc, v5, v6, vcc
.LBB54_641:
	s_mov_b64 s[0:1], 0
.LBB54_642:
	s_andn2_b64 vcc, exec, s[0:1]
	s_cbranch_vccnz .LBB54_644
; %bb.643:
	global_load_ushort v2, v[0:1], off
	s_waitcnt vmcnt(0)
	v_cvt_f32_f16_e32 v2, v2
	v_cvt_i32_f32_e32 v2, v2
	v_ashrrev_i32_e32 v3, 31, v2
.LBB54_644:
	s_mov_b64 s[0:1], 0
.LBB54_645:
	s_andn2_b64 vcc, exec, s[0:1]
	s_cbranch_vccnz .LBB54_665
; %bb.646:
	s_cmp_lt_i32 s36, 2
	s_cbranch_scc1 .LBB54_650
; %bb.647:
	s_cmp_lt_i32 s36, 3
	s_cbranch_scc1 .LBB54_651
; %bb.648:
	s_cmp_gt_i32 s36, 3
	s_cbranch_scc0 .LBB54_652
; %bb.649:
	global_load_dwordx2 v[2:3], v[0:1], off
	s_mov_b64 s[0:1], 0
	s_branch .LBB54_653
.LBB54_650:
	s_mov_b64 s[0:1], -1
                                        ; implicit-def: $vgpr2_vgpr3
	s_branch .LBB54_659
.LBB54_651:
	s_mov_b64 s[0:1], -1
                                        ; implicit-def: $vgpr2_vgpr3
	s_branch .LBB54_656
.LBB54_652:
	s_mov_b64 s[0:1], -1
                                        ; implicit-def: $vgpr2_vgpr3
.LBB54_653:
	s_andn2_b64 vcc, exec, s[0:1]
	s_cbranch_vccnz .LBB54_655
; %bb.654:
	global_load_dword v2, v[0:1], off
	s_waitcnt vmcnt(0)
	v_ashrrev_i32_e32 v3, 31, v2
.LBB54_655:
	s_mov_b64 s[0:1], 0
.LBB54_656:
	s_andn2_b64 vcc, exec, s[0:1]
	s_cbranch_vccnz .LBB54_658
; %bb.657:
	global_load_ushort v2, v[0:1], off
	s_waitcnt vmcnt(0)
	v_bfe_i32 v2, v2, 0, 16
	v_ashrrev_i32_e32 v3, 31, v2
.LBB54_658:
	s_mov_b64 s[0:1], 0
.LBB54_659:
	s_andn2_b64 vcc, exec, s[0:1]
	s_cbranch_vccnz .LBB54_665
; %bb.660:
	s_cmp_gt_i32 s36, 0
	s_cbranch_scc0 .LBB54_662
; %bb.661:
	global_load_sbyte v2, v[0:1], off
	s_mov_b64 s[0:1], 0
	s_waitcnt vmcnt(0)
	v_bfe_i32 v2, v2, 0, 16
	v_ashrrev_i32_e32 v3, 31, v2
	s_branch .LBB54_663
.LBB54_662:
	s_mov_b64 s[0:1], -1
                                        ; implicit-def: $vgpr2_vgpr3
.LBB54_663:
	s_andn2_b64 vcc, exec, s[0:1]
	s_cbranch_vccnz .LBB54_665
; %bb.664:
	global_load_ubyte v0, v[0:1], off
	s_mov_b32 s0, 0
	s_waitcnt vmcnt(1)
	v_mov_b32_e32 v3, s0
	s_waitcnt vmcnt(0)
	v_and_b32_e32 v2, 0xffff, v0
.LBB54_665:
	s_mov_b64 s[0:1], -1
.LBB54_666:
	s_andn2_b64 vcc, exec, s[0:1]
	s_cbranch_vccnz .LBB54_671
; %bb.667:
	s_cmp_lt_i32 s14, 1
	s_mov_b64 s[0:1], 0
	s_cbranch_scc1 .LBB54_672
; %bb.668:
	s_cmp_gt_i32 s14, 1
	s_cbranch_scc0 .LBB54_673
; %bb.669:
	s_cmp_eq_u32 s14, 2
	s_cbranch_scc0 .LBB54_674
; %bb.670:
	s_waitcnt vmcnt(0)
	v_cmp_ge_i64_e64 s[34:35], s[2:3], v[2:3]
	s_mov_b64 s[36:37], 0
	s_branch .LBB54_675
.LBB54_671:
	s_mov_b64 s[36:37], 0
                                        ; implicit-def: $vgpr4
	s_mov_b64 s[0:1], s[24:25]
	s_branch .LBB54_808
.LBB54_672:
	s_mov_b64 s[38:39], -1
                                        ; implicit-def: $sgpr34_sgpr35
	s_mov_b64 s[36:37], 0
	s_branch .LBB54_679
.LBB54_673:
	s_mov_b64 s[38:39], -1
	s_mov_b64 s[36:37], 0
                                        ; implicit-def: $sgpr34_sgpr35
	s_branch .LBB54_676
.LBB54_674:
	s_mov_b64 s[36:37], -1
                                        ; implicit-def: $sgpr34_sgpr35
.LBB54_675:
	s_mov_b64 s[38:39], 0
.LBB54_676:
	s_and_b64 vcc, exec, s[38:39]
	s_cbranch_vccz .LBB54_678
; %bb.677:
	s_waitcnt vmcnt(0)
	v_cmp_lt_i64_e32 vcc, s[2:3], v[2:3]
	s_andn2_b64 s[34:35], s[34:35], exec
	s_and_b64 s[38:39], vcc, exec
	s_or_b64 s[34:35], s[34:35], s[38:39]
.LBB54_678:
	s_mov_b64 s[38:39], 0
.LBB54_679:
	s_and_b64 vcc, exec, s[38:39]
	s_cbranch_vccz .LBB54_690
; %bb.680:
	s_cmp_lg_u32 s14, 0
	s_mov_b64 s[0:1], -1
	s_cselect_b64 s[36:37], -1, 0
	s_andn2_b64 vcc, exec, s[36:37]
	s_cbranch_vccz .LBB54_691
.LBB54_681:
	s_andn2_b64 vcc, exec, s[0:1]
	s_cbranch_vccnz .LBB54_683
.LBB54_682:
	s_waitcnt vmcnt(0)
	v_cmp_le_i64_e32 vcc, s[2:3], v[2:3]
	s_andn2_b64 s[0:1], s[34:35], exec
	s_and_b64 s[34:35], vcc, exec
	s_or_b64 s[34:35], s[0:1], s[34:35]
.LBB54_683:
	v_mul_lo_u32 v0, v4, s12
	v_mov_b32_e32 v1, s9
	s_and_b32 s43, s33, 0xff
	s_cmp_lt_i32 s43, 11
	s_waitcnt vmcnt(0)
	v_ashrrev_i32_e32 v2, 31, v0
	v_add_co_u32_e32 v0, vcc, s8, v0
	v_addc_co_u32_e32 v1, vcc, v1, v2, vcc
	s_cbranch_scc1 .LBB54_692
; %bb.684:
	s_and_b32 s44, 0xffff, s43
	s_cmp_gt_i32 s44, 25
	s_cbranch_scc0 .LBB54_693
; %bb.685:
	s_cmp_gt_i32 s44, 28
	s_cbranch_scc0 .LBB54_694
; %bb.686:
	;; [unrolled: 3-line block ×4, first 2 shown]
	s_mov_b64 s[38:39], 0
	s_mov_b64 s[0:1], -1
	s_cmp_eq_u32 s44, 46
	s_mov_b64 s[36:37], 0
	s_cbranch_scc0 .LBB54_697
; %bb.689:
	v_cndmask_b32_e64 v2, 0, 1.0, s[34:35]
	v_bfe_u32 v3, v2, 16, 1
	s_movk_i32 s0, 0x7fff
	v_add3_u32 v2, v2, v3, s0
	v_lshrrev_b32_e32 v2, 16, v2
	global_store_dword v[0:1], v2, off
	s_mov_b64 s[36:37], -1
	s_mov_b64 s[0:1], 0
	s_branch .LBB54_697
.LBB54_690:
	s_andn2_b64 vcc, exec, s[36:37]
	s_cbranch_vccnz .LBB54_681
.LBB54_691:
	s_waitcnt vmcnt(0)
	v_cmp_gt_i64_e32 vcc, s[2:3], v[2:3]
	s_andn2_b64 s[34:35], s[34:35], exec
	s_and_b64 s[36:37], vcc, exec
	s_or_b64 s[34:35], s[34:35], s[36:37]
	s_cbranch_execz .LBB54_682
	s_branch .LBB54_683
.LBB54_692:
	s_mov_b64 s[38:39], -1
	s_mov_b64 s[36:37], 0
	s_mov_b64 s[0:1], s[24:25]
	s_branch .LBB54_766
.LBB54_693:
	s_mov_b64 s[38:39], -1
	s_mov_b64 s[36:37], 0
	s_mov_b64 s[0:1], s[24:25]
	s_branch .LBB54_724
.LBB54_694:
	s_mov_b64 s[38:39], -1
	s_mov_b64 s[36:37], 0
	s_mov_b64 s[0:1], s[24:25]
	s_branch .LBB54_707
.LBB54_695:
	s_mov_b64 s[38:39], -1
	s_mov_b64 s[36:37], 0
	s_mov_b64 s[0:1], s[24:25]
	s_branch .LBB54_703
.LBB54_696:
	s_mov_b64 s[38:39], -1
	s_mov_b64 s[36:37], 0
	s_mov_b64 s[0:1], s[24:25]
.LBB54_697:
	s_and_b64 vcc, exec, s[38:39]
	s_cbranch_vccz .LBB54_702
; %bb.698:
	s_cmp_eq_u32 s44, 44
	s_mov_b64 s[0:1], -1
	s_cbranch_scc0 .LBB54_702
; %bb.699:
	v_cndmask_b32_e64 v3, 0, 1.0, s[34:35]
	v_lshrrev_b32_e32 v2, 23, v3
	s_movk_i32 s0, 0xff
	v_cmp_ne_u32_e32 vcc, s0, v2
	v_mov_b32_e32 v5, 0xff
	s_and_saveexec_b64 s[36:37], vcc
; %bb.700:
	s_mov_b32 s0, 0x3fffff
	v_and_b32_e32 v5, 0x400000, v3
	v_and_or_b32 v3, v3, s0, v2
	v_cmp_ne_u32_e32 vcc, 0, v5
	v_cmp_ne_u32_e64 s[0:1], 0, v3
	s_and_b64 s[0:1], vcc, s[0:1]
	v_cndmask_b32_e64 v3, 0, 1, s[0:1]
	v_add_u32_e32 v5, v2, v3
; %bb.701:
	s_or_b64 exec, exec, s[36:37]
	s_mov_b64 s[36:37], -1
	s_mov_b64 s[0:1], 0
	global_store_byte v[0:1], v5, off
.LBB54_702:
	s_mov_b64 s[38:39], 0
.LBB54_703:
	s_and_b64 vcc, exec, s[38:39]
	s_cbranch_vccz .LBB54_706
; %bb.704:
	s_cmp_eq_u32 s44, 29
	s_mov_b64 s[0:1], -1
	s_cbranch_scc0 .LBB54_706
; %bb.705:
	s_mov_b32 s0, 0
	v_cndmask_b32_e64 v2, 0, 1, s[34:35]
	v_mov_b32_e32 v3, s0
	global_store_dwordx2 v[0:1], v[2:3], off
	s_mov_b64 s[36:37], -1
	s_mov_b64 s[0:1], 0
.LBB54_706:
	s_mov_b64 s[38:39], 0
.LBB54_707:
	s_and_b64 vcc, exec, s[38:39]
	s_cbranch_vccz .LBB54_723
; %bb.708:
	s_cmp_lt_i32 s44, 27
	s_mov_b64 s[36:37], -1
	s_cbranch_scc1 .LBB54_714
; %bb.709:
	s_cmp_gt_i32 s44, 27
	s_cbranch_scc0 .LBB54_711
; %bb.710:
	v_cndmask_b32_e64 v2, 0, 1, s[34:35]
	s_mov_b64 s[36:37], 0
	global_store_dword v[0:1], v2, off
.LBB54_711:
	s_andn2_b64 vcc, exec, s[36:37]
	s_cbranch_vccnz .LBB54_713
; %bb.712:
	v_cndmask_b32_e64 v2, 0, 1, s[34:35]
	global_store_short v[0:1], v2, off
.LBB54_713:
	s_mov_b64 s[36:37], 0
.LBB54_714:
	s_andn2_b64 vcc, exec, s[36:37]
	s_cbranch_vccnz .LBB54_722
; %bb.715:
	v_cndmask_b32_e64 v3, 0, 1.0, s[34:35]
	s_mov_b32 s36, 0x43800000
	v_cmp_gt_u32_e32 vcc, s36, v3
	v_mov_b32_e32 v5, 0x80
	s_and_saveexec_b64 s[36:37], vcc
	s_cbranch_execz .LBB54_721
; %bb.716:
	s_mov_b32 s38, 0x3bffffff
	v_cmp_lt_u32_e32 vcc, s38, v3
	s_mov_b64 s[38:39], 0
                                        ; implicit-def: $vgpr2
	s_and_saveexec_b64 s[40:41], vcc
	s_xor_b64 s[40:41], exec, s[40:41]
	s_cbranch_execz .LBB54_822
; %bb.717:
	v_bfe_u32 v2, v3, 20, 1
	s_mov_b32 s45, 0x487ffff
	v_add3_u32 v2, v3, v2, s45
	s_mov_b64 s[38:39], exec
	v_lshrrev_b32_e32 v2, 20, v2
                                        ; implicit-def: $vgpr3
	s_andn2_saveexec_b64 s[40:41], s[40:41]
	s_cbranch_execnz .LBB54_823
.LBB54_718:
	s_or_b64 exec, exec, s[40:41]
	v_mov_b32_e32 v5, 0
	s_and_saveexec_b64 s[40:41], s[38:39]
.LBB54_719:
	v_mov_b32_e32 v5, v2
.LBB54_720:
	s_or_b64 exec, exec, s[40:41]
.LBB54_721:
	s_or_b64 exec, exec, s[36:37]
	global_store_byte v[0:1], v5, off
.LBB54_722:
	s_mov_b64 s[36:37], -1
.LBB54_723:
	s_mov_b64 s[38:39], 0
.LBB54_724:
	s_and_b64 vcc, exec, s[38:39]
	s_cbranch_vccz .LBB54_765
; %bb.725:
	s_cmp_gt_i32 s44, 22
	s_mov_b64 s[38:39], -1
	s_cbranch_scc0 .LBB54_757
; %bb.726:
	s_cmp_lt_i32 s44, 24
	s_mov_b64 s[36:37], -1
	s_cbranch_scc1 .LBB54_746
; %bb.727:
	s_cmp_gt_i32 s44, 24
	s_cbranch_scc0 .LBB54_735
; %bb.728:
	v_cndmask_b32_e64 v3, 0, 1.0, s[34:35]
	s_mov_b32 s36, 0x47800000
	v_cmp_gt_u32_e32 vcc, s36, v3
	v_mov_b32_e32 v5, 0x80
	s_and_saveexec_b64 s[36:37], vcc
	s_cbranch_execz .LBB54_734
; %bb.729:
	s_mov_b32 s38, 0x37ffffff
	v_cmp_lt_u32_e32 vcc, s38, v3
	s_mov_b64 s[38:39], 0
                                        ; implicit-def: $vgpr2
	s_and_saveexec_b64 s[40:41], vcc
	s_xor_b64 s[40:41], exec, s[40:41]
	s_cbranch_execz .LBB54_825
; %bb.730:
	v_bfe_u32 v2, v3, 21, 1
	s_mov_b32 s45, 0x88fffff
	v_add3_u32 v2, v3, v2, s45
	s_mov_b64 s[38:39], exec
	v_lshrrev_b32_e32 v2, 21, v2
                                        ; implicit-def: $vgpr3
	s_andn2_saveexec_b64 s[40:41], s[40:41]
	s_cbranch_execnz .LBB54_826
.LBB54_731:
	s_or_b64 exec, exec, s[40:41]
	v_mov_b32_e32 v5, 0
	s_and_saveexec_b64 s[40:41], s[38:39]
.LBB54_732:
	v_mov_b32_e32 v5, v2
.LBB54_733:
	s_or_b64 exec, exec, s[40:41]
.LBB54_734:
	s_or_b64 exec, exec, s[36:37]
	s_mov_b64 s[36:37], 0
	global_store_byte v[0:1], v5, off
.LBB54_735:
	s_and_b64 vcc, exec, s[36:37]
	s_cbranch_vccz .LBB54_745
; %bb.736:
	v_cndmask_b32_e64 v2, 0, 1.0, s[34:35]
	s_mov_b32 s36, 0x43f00000
	v_cmp_gt_u32_e32 vcc, s36, v2
                                        ; implicit-def: $vgpr3
	s_and_saveexec_b64 s[36:37], vcc
	s_xor_b64 s[36:37], exec, s[36:37]
	s_cbranch_execz .LBB54_742
; %bb.737:
	s_mov_b32 s38, 0x3c7fffff
	v_cmp_lt_u32_e32 vcc, s38, v2
                                        ; implicit-def: $vgpr3
	s_and_saveexec_b64 s[38:39], vcc
	s_xor_b64 s[38:39], exec, s[38:39]
; %bb.738:
	v_bfe_u32 v3, v2, 20, 1
	s_mov_b32 s40, 0x407ffff
	v_add3_u32 v2, v2, v3, s40
	v_lshrrev_b32_e32 v3, 20, v2
	v_and_b32_e32 v2, 0xff00000, v2
	s_mov_b32 s40, 0x7f00000
	v_mov_b32_e32 v5, 0x7e
	v_cmp_ne_u32_e32 vcc, s40, v2
	v_cndmask_b32_e32 v3, v5, v3, vcc
                                        ; implicit-def: $vgpr2
; %bb.739:
	s_andn2_saveexec_b64 s[38:39], s[38:39]
; %bb.740:
	v_add_f32_e32 v3, 0x46800000, v2
; %bb.741:
	s_or_b64 exec, exec, s[38:39]
                                        ; implicit-def: $vgpr2
.LBB54_742:
	s_andn2_saveexec_b64 s[36:37], s[36:37]
; %bb.743:
	s_mov_b32 s38, 0x7f800000
	v_mov_b32_e32 v3, 0x7e
	v_mov_b32_e32 v5, 0x7f
	v_cmp_lt_u32_e32 vcc, s38, v2
	v_cndmask_b32_e32 v3, v3, v5, vcc
; %bb.744:
	s_or_b64 exec, exec, s[36:37]
	global_store_byte v[0:1], v3, off
.LBB54_745:
	s_mov_b64 s[36:37], 0
.LBB54_746:
	s_andn2_b64 vcc, exec, s[36:37]
	s_cbranch_vccnz .LBB54_756
; %bb.747:
	v_cndmask_b32_e64 v2, 0, 1.0, s[34:35]
	s_mov_b32 s36, 0x47800000
	v_cmp_gt_u32_e32 vcc, s36, v2
                                        ; implicit-def: $vgpr3
	s_and_saveexec_b64 s[36:37], vcc
	s_xor_b64 s[36:37], exec, s[36:37]
	s_cbranch_execz .LBB54_753
; %bb.748:
	s_mov_b32 s38, 0x387fffff
	v_cmp_lt_u32_e32 vcc, s38, v2
                                        ; implicit-def: $vgpr3
	s_and_saveexec_b64 s[38:39], vcc
	s_xor_b64 s[38:39], exec, s[38:39]
; %bb.749:
	v_bfe_u32 v3, v2, 21, 1
	s_mov_b32 s40, 0x80fffff
	v_add3_u32 v2, v2, v3, s40
	v_lshrrev_b32_e32 v3, 21, v2
                                        ; implicit-def: $vgpr2
; %bb.750:
	s_andn2_saveexec_b64 s[38:39], s[38:39]
; %bb.751:
	v_add_f32_e32 v3, 0x43000000, v2
; %bb.752:
	s_or_b64 exec, exec, s[38:39]
                                        ; implicit-def: $vgpr2
.LBB54_753:
	s_andn2_saveexec_b64 s[36:37], s[36:37]
; %bb.754:
	s_mov_b32 s38, 0x7f800000
	v_mov_b32_e32 v3, 0x7c
	v_mov_b32_e32 v5, 0x7f
	v_cmp_lt_u32_e32 vcc, s38, v2
	v_cndmask_b32_e32 v3, v3, v5, vcc
; %bb.755:
	s_or_b64 exec, exec, s[36:37]
	global_store_byte v[0:1], v3, off
.LBB54_756:
	s_mov_b64 s[38:39], 0
	s_mov_b64 s[36:37], -1
.LBB54_757:
	s_andn2_b64 vcc, exec, s[38:39]
	s_cbranch_vccnz .LBB54_765
; %bb.758:
	s_cmp_gt_i32 s44, 14
	s_mov_b64 s[38:39], -1
	s_cbranch_scc0 .LBB54_762
; %bb.759:
	s_cmp_eq_u32 s44, 15
	s_mov_b64 s[0:1], -1
	s_cbranch_scc0 .LBB54_761
; %bb.760:
	v_cndmask_b32_e64 v2, 0, 1.0, s[34:35]
	v_bfe_u32 v3, v2, 16, 1
	s_movk_i32 s0, 0x7fff
	v_add3_u32 v2, v2, v3, s0
	global_store_short_d16_hi v[0:1], v2, off
	s_mov_b64 s[36:37], -1
	s_mov_b64 s[0:1], 0
.LBB54_761:
	s_mov_b64 s[38:39], 0
.LBB54_762:
	s_and_b64 vcc, exec, s[38:39]
	s_cbranch_vccz .LBB54_765
; %bb.763:
	s_cmp_eq_u32 s44, 11
	s_mov_b64 s[0:1], -1
	s_cbranch_scc0 .LBB54_765
; %bb.764:
	v_cndmask_b32_e64 v2, 0, 1, s[34:35]
	s_mov_b64 s[36:37], -1
	s_mov_b64 s[0:1], 0
	global_store_byte v[0:1], v2, off
.LBB54_765:
	s_mov_b64 s[38:39], 0
.LBB54_766:
	s_and_b64 vcc, exec, s[38:39]
	s_cbranch_vccz .LBB54_805
; %bb.767:
	s_and_b32 s38, 0xffff, s43
	s_cmp_lt_i32 s38, 5
	s_mov_b64 s[36:37], -1
	s_cbranch_scc1 .LBB54_788
; %bb.768:
	s_cmp_lt_i32 s38, 8
	s_cbranch_scc1 .LBB54_778
; %bb.769:
	s_cmp_lt_i32 s38, 9
	s_cbranch_scc1 .LBB54_775
; %bb.770:
	s_cmp_gt_i32 s38, 9
	s_cbranch_scc0 .LBB54_772
; %bb.771:
	v_cndmask_b32_e64 v2, 0, 1, s[34:35]
	v_cvt_f64_u32_e32 v[5:6], v2
	v_mov_b32_e32 v7, 0
	v_mov_b32_e32 v8, v7
	s_mov_b64 s[36:37], 0
	global_store_dwordx4 v[0:1], v[5:8], off
.LBB54_772:
	s_andn2_b64 vcc, exec, s[36:37]
	s_cbranch_vccnz .LBB54_774
; %bb.773:
	v_cndmask_b32_e64 v2, 0, 1.0, s[34:35]
	v_mov_b32_e32 v3, 0
	global_store_dwordx2 v[0:1], v[2:3], off
.LBB54_774:
	s_mov_b64 s[36:37], 0
.LBB54_775:
	s_andn2_b64 vcc, exec, s[36:37]
	s_cbranch_vccnz .LBB54_777
; %bb.776:
	v_cndmask_b32_e64 v2, 0, 1.0, s[34:35]
	v_cvt_f16_f32_e32 v2, v2
	global_store_dword v[0:1], v2, off
.LBB54_777:
	s_mov_b64 s[36:37], 0
.LBB54_778:
	s_andn2_b64 vcc, exec, s[36:37]
	s_cbranch_vccnz .LBB54_787
; %bb.779:
	s_cmp_lt_i32 s38, 6
	s_mov_b64 s[36:37], -1
	s_cbranch_scc1 .LBB54_785
; %bb.780:
	s_cmp_gt_i32 s38, 6
	s_cbranch_scc0 .LBB54_782
; %bb.781:
	v_cndmask_b32_e64 v2, 0, 1, s[34:35]
	v_cvt_f64_u32_e32 v[2:3], v2
	s_mov_b64 s[36:37], 0
	global_store_dwordx2 v[0:1], v[2:3], off
.LBB54_782:
	s_andn2_b64 vcc, exec, s[36:37]
	s_cbranch_vccnz .LBB54_784
; %bb.783:
	v_cndmask_b32_e64 v2, 0, 1.0, s[34:35]
	global_store_dword v[0:1], v2, off
.LBB54_784:
	s_mov_b64 s[36:37], 0
.LBB54_785:
	s_andn2_b64 vcc, exec, s[36:37]
	s_cbranch_vccnz .LBB54_787
; %bb.786:
	v_cndmask_b32_e64 v2, 0, 1.0, s[34:35]
	v_cvt_f16_f32_e32 v2, v2
	global_store_short v[0:1], v2, off
.LBB54_787:
	s_mov_b64 s[36:37], 0
.LBB54_788:
	s_andn2_b64 vcc, exec, s[36:37]
	s_cbranch_vccnz .LBB54_804
; %bb.789:
	s_cmp_lt_i32 s38, 2
	s_mov_b64 s[36:37], -1
	s_cbranch_scc1 .LBB54_799
; %bb.790:
	s_cmp_lt_i32 s38, 3
	s_cbranch_scc1 .LBB54_796
; %bb.791:
	s_cmp_gt_i32 s38, 3
	s_cbranch_scc0 .LBB54_793
; %bb.792:
	s_mov_b32 s36, 0
	v_cndmask_b32_e64 v2, 0, 1, s[34:35]
	v_mov_b32_e32 v3, s36
	s_mov_b64 s[36:37], 0
	global_store_dwordx2 v[0:1], v[2:3], off
.LBB54_793:
	s_andn2_b64 vcc, exec, s[36:37]
	s_cbranch_vccnz .LBB54_795
; %bb.794:
	v_cndmask_b32_e64 v2, 0, 1, s[34:35]
	global_store_dword v[0:1], v2, off
.LBB54_795:
	s_mov_b64 s[36:37], 0
.LBB54_796:
	s_andn2_b64 vcc, exec, s[36:37]
	s_cbranch_vccnz .LBB54_798
; %bb.797:
	v_cndmask_b32_e64 v2, 0, 1, s[34:35]
	global_store_short v[0:1], v2, off
.LBB54_798:
	s_mov_b64 s[36:37], 0
.LBB54_799:
	s_andn2_b64 vcc, exec, s[36:37]
	s_cbranch_vccnz .LBB54_804
; %bb.800:
	s_mov_b64 s[36:37], -1
	s_cmp_gt_i32 s38, 0
	v_cndmask_b32_e64 v2, 0, 1, s[34:35]
	s_cbranch_scc0 .LBB54_802
; %bb.801:
	s_mov_b64 s[36:37], 0
	global_store_byte v[0:1], v2, off
.LBB54_802:
	s_andn2_b64 vcc, exec, s[36:37]
	s_cbranch_vccnz .LBB54_804
; %bb.803:
	global_store_byte v[0:1], v2, off
.LBB54_804:
	s_mov_b64 s[36:37], -1
.LBB54_805:
	s_andn2_b64 vcc, exec, s[36:37]
	s_cbranch_vccnz .LBB54_807
; %bb.806:
	v_add_u32_e32 v4, 0x80, v4
	s_mov_b64 s[36:37], -1
	s_branch .LBB54_808
.LBB54_807:
	s_mov_b64 s[36:37], 0
                                        ; implicit-def: $vgpr4
.LBB54_808:
	s_andn2_b64 s[34:35], s[24:25], exec
	s_and_b64 s[0:1], s[0:1], exec
	s_or_b64 s[34:35], s[34:35], s[0:1]
	s_andn2_b64 s[0:1], s[22:23], exec
	s_and_b64 s[30:31], s[30:31], exec
	s_or_b64 s[0:1], s[0:1], s[30:31]
	s_orn2_b64 s[38:39], s[36:37], exec
.LBB54_809:
	s_or_b64 exec, exec, s[28:29]
	s_mov_b64 s[36:37], 0
	s_mov_b64 s[30:31], 0
	;; [unrolled: 1-line block ×3, first 2 shown]
                                        ; implicit-def: $vgpr0_vgpr1
                                        ; implicit-def: $vgpr2_vgpr3
	s_and_saveexec_b64 s[28:29], s[38:39]
	s_cbranch_execz .LBB54_890
; %bb.810:
	v_cmp_gt_i32_e32 vcc, s42, v4
	s_mov_b64 s[38:39], 0
	s_mov_b64 s[42:43], s[0:1]
	;; [unrolled: 1-line block ×3, first 2 shown]
                                        ; implicit-def: $vgpr0_vgpr1
                                        ; implicit-def: $vgpr2_vgpr3
	s_and_saveexec_b64 s[30:31], vcc
	s_cbranch_execz .LBB54_889
; %bb.811:
	v_mul_lo_u32 v0, v4, s13
	v_mov_b32_e32 v1, s11
	s_and_b32 s44, 0xffff, s15
	s_cmp_lt_i32 s44, 11
	s_waitcnt vmcnt(0)
	v_ashrrev_i32_e32 v2, 31, v0
	v_add_co_u32_e32 v0, vcc, s10, v0
	v_addc_co_u32_e32 v1, vcc, v1, v2, vcc
	s_cbranch_scc1 .LBB54_818
; %bb.812:
	s_cmp_gt_i32 s44, 25
	s_cbranch_scc0 .LBB54_819
; %bb.813:
	s_cmp_gt_i32 s44, 28
	s_cbranch_scc0 .LBB54_820
	;; [unrolled: 3-line block ×4, first 2 shown]
; %bb.816:
	s_cmp_eq_u32 s44, 46
	s_mov_b64 s[42:43], 0
	s_cbranch_scc0 .LBB54_827
; %bb.817:
	global_load_dword v2, v[0:1], off
	s_mov_b32 s36, 0x2f800000
	s_mov_b32 s37, 0xcf800000
	s_mov_b64 s[40:41], -1
	s_waitcnt vmcnt(0)
	v_lshlrev_b32_e32 v2, 16, v2
	v_trunc_f32_e32 v2, v2
	v_mul_f32_e64 v3, |v2|, s36
	v_floor_f32_e32 v3, v3
	v_fma_f32 v5, v3, s37, |v2|
	v_cvt_u32_f32_e32 v5, v5
	v_cvt_u32_f32_e32 v3, v3
	v_ashrrev_i32_e32 v6, 31, v2
	s_mov_b64 s[36:37], 0
	v_xor_b32_e32 v2, v5, v6
	v_xor_b32_e32 v3, v3, v6
	v_sub_co_u32_e32 v2, vcc, v2, v6
	v_subb_co_u32_e32 v3, vcc, v3, v6, vcc
	s_branch .LBB54_829
.LBB54_818:
	s_mov_b64 s[42:43], -1
                                        ; implicit-def: $vgpr2_vgpr3
	s_mov_b64 s[36:37], s[0:1]
	s_branch .LBB54_888
.LBB54_819:
	s_mov_b64 s[42:43], -1
	s_mov_b64 s[36:37], s[0:1]
                                        ; implicit-def: $vgpr2_vgpr3
	s_branch .LBB54_858
.LBB54_820:
	s_mov_b64 s[42:43], -1
	s_mov_b64 s[36:37], s[0:1]
                                        ; implicit-def: $vgpr2_vgpr3
	s_branch .LBB54_839
.LBB54_821:
	s_mov_b64 s[42:43], -1
	s_mov_b64 s[36:37], s[0:1]
                                        ; implicit-def: $vgpr2_vgpr3
	s_branch .LBB54_834
.LBB54_822:
	s_andn2_saveexec_b64 s[40:41], s[40:41]
	s_cbranch_execz .LBB54_718
.LBB54_823:
	v_add_f32_e32 v2, 0x46000000, v3
	v_and_b32_e32 v2, 0xff, v2
	v_cmp_ne_u32_e32 vcc, 0, v2
	s_andn2_b64 s[38:39], s[38:39], exec
	s_and_b64 s[46:47], vcc, exec
	s_or_b64 s[38:39], s[38:39], s[46:47]
	s_or_b64 exec, exec, s[40:41]
	v_mov_b32_e32 v5, 0
	s_and_saveexec_b64 s[40:41], s[38:39]
	s_cbranch_execnz .LBB54_719
	s_branch .LBB54_720
.LBB54_824:
	s_mov_b64 s[42:43], -1
	s_mov_b64 s[36:37], s[0:1]
	s_branch .LBB54_828
.LBB54_825:
	s_andn2_saveexec_b64 s[40:41], s[40:41]
	s_cbranch_execz .LBB54_731
.LBB54_826:
	v_add_f32_e32 v2, 0x42800000, v3
	v_and_b32_e32 v2, 0xff, v2
	v_cmp_ne_u32_e32 vcc, 0, v2
	s_andn2_b64 s[38:39], s[38:39], exec
	s_and_b64 s[46:47], vcc, exec
	s_or_b64 s[38:39], s[38:39], s[46:47]
	s_or_b64 exec, exec, s[40:41]
	v_mov_b32_e32 v5, 0
	s_and_saveexec_b64 s[40:41], s[38:39]
	s_cbranch_execnz .LBB54_732
	s_branch .LBB54_733
.LBB54_827:
	s_mov_b64 s[36:37], -1
.LBB54_828:
                                        ; implicit-def: $vgpr2_vgpr3
.LBB54_829:
	s_and_b64 vcc, exec, s[42:43]
	s_cbranch_vccz .LBB54_833
; %bb.830:
	s_cmp_eq_u32 s44, 44
	s_cbranch_scc0 .LBB54_832
; %bb.831:
	global_load_ubyte v2, v[0:1], off
	s_mov_b32 s36, 0x2f800000
	s_mov_b32 s37, 0xcf800000
	s_mov_b64 s[40:41], -1
	s_waitcnt vmcnt(0)
	v_lshlrev_b32_e32 v3, 23, v2
	v_trunc_f32_e32 v3, v3
	v_mul_f32_e64 v5, |v3|, s36
	v_floor_f32_e32 v5, v5
	v_fma_f32 v6, v5, s37, |v3|
	v_cvt_u32_f32_e32 v6, v6
	v_cvt_u32_f32_e32 v5, v5
	v_ashrrev_i32_e32 v3, 31, v3
	s_mov_b64 s[36:37], 0
	v_xor_b32_e32 v6, v6, v3
	v_xor_b32_e32 v5, v5, v3
	v_sub_co_u32_e32 v6, vcc, v6, v3
	v_subb_co_u32_e32 v3, vcc, v5, v3, vcc
	v_cmp_ne_u32_e32 vcc, 0, v2
	v_cndmask_b32_e32 v3, 0, v3, vcc
	v_cndmask_b32_e32 v2, 0, v6, vcc
	s_branch .LBB54_833
.LBB54_832:
	s_mov_b64 s[36:37], -1
                                        ; implicit-def: $vgpr2_vgpr3
.LBB54_833:
	s_mov_b64 s[42:43], 0
.LBB54_834:
	s_and_b64 vcc, exec, s[42:43]
	s_cbranch_vccz .LBB54_838
; %bb.835:
	s_cmp_eq_u32 s44, 29
	s_cbranch_scc0 .LBB54_837
; %bb.836:
	global_load_dwordx2 v[2:3], v[0:1], off
	s_mov_b64 s[36:37], 0
	s_mov_b64 s[40:41], -1
	s_branch .LBB54_838
.LBB54_837:
	s_mov_b64 s[36:37], -1
                                        ; implicit-def: $vgpr2_vgpr3
.LBB54_838:
	s_mov_b64 s[42:43], 0
.LBB54_839:
	s_and_b64 vcc, exec, s[42:43]
	s_cbranch_vccz .LBB54_857
; %bb.840:
	s_cmp_lt_i32 s44, 27
	s_cbranch_scc1 .LBB54_843
; %bb.841:
	s_cmp_gt_i32 s44, 27
	s_cbranch_scc0 .LBB54_844
; %bb.842:
	global_load_dword v2, v[0:1], off
	s_waitcnt vmcnt(1)
	v_mov_b32_e32 v3, 0
	s_mov_b64 s[40:41], 0
	s_branch .LBB54_845
.LBB54_843:
	s_mov_b64 s[40:41], -1
                                        ; implicit-def: $vgpr2_vgpr3
	s_branch .LBB54_848
.LBB54_844:
	s_mov_b64 s[40:41], -1
                                        ; implicit-def: $vgpr2_vgpr3
.LBB54_845:
	s_andn2_b64 vcc, exec, s[40:41]
	s_cbranch_vccnz .LBB54_847
; %bb.846:
	global_load_ushort v2, v[0:1], off
	s_mov_b32 s40, 0
	s_waitcnt vmcnt(1)
	v_mov_b32_e32 v3, s40
	s_waitcnt vmcnt(0)
	v_and_b32_e32 v2, 0xffff, v2
.LBB54_847:
	s_mov_b64 s[40:41], 0
.LBB54_848:
	s_andn2_b64 vcc, exec, s[40:41]
	s_cbranch_vccnz .LBB54_856
; %bb.849:
	global_load_ubyte v5, v[0:1], off
	s_movk_i32 s40, 0x7f
	s_mov_b64 s[42:43], 0
	s_waitcnt vmcnt(0)
	v_cmp_lt_i16_e32 vcc, s40, v5
	s_and_saveexec_b64 s[40:41], vcc
	s_xor_b64 s[40:41], exec, s[40:41]
; %bb.850:
	s_movk_i32 s42, 0x80
	v_cmp_ne_u16_e32 vcc, s42, v5
	s_and_b64 s[42:43], vcc, exec
; %bb.851:
	s_andn2_saveexec_b64 s[40:41], s[40:41]
; %bb.852:
	v_cmp_ne_u16_e32 vcc, 0, v5
	s_andn2_b64 s[42:43], s[42:43], exec
	s_and_b64 s[46:47], vcc, exec
	s_or_b64 s[42:43], s[42:43], s[46:47]
; %bb.853:
	s_or_b64 exec, exec, s[40:41]
	v_mov_b32_e32 v2, 0
	v_mov_b32_e32 v3, 0
	s_and_saveexec_b64 s[40:41], s[42:43]
	s_cbranch_execz .LBB54_855
; %bb.854:
	v_and_b32_e32 v3, 0xffff, v5
	v_lshlrev_b32_e32 v2, 24, v5
	v_and_b32_e32 v5, 7, v3
	v_ffbh_u32_e32 v7, v5
	v_min_u32_e32 v7, 32, v7
	v_subrev_u32_e32 v8, 28, v7
	v_bfe_u32 v6, v3, 3, 4
	v_lshlrev_b32_e32 v3, v8, v3
	v_sub_u32_e32 v7, 29, v7
	v_and_b32_e32 v3, 7, v3
	v_cmp_eq_u32_e32 vcc, 0, v6
	v_cndmask_b32_e32 v6, v6, v7, vcc
	v_cndmask_b32_e32 v3, v5, v3, vcc
	v_mov_b32_e32 v5, 0x3b800000
	v_lshlrev_b32_e32 v3, 20, v3
	v_and_b32_e32 v2, 0x80000000, v2
	v_lshl_add_u32 v5, v6, 23, v5
	v_or3_b32 v2, v2, v5, v3
	v_trunc_f32_e32 v2, v2
	s_mov_b32 s42, 0x2f800000
	v_mul_f32_e64 v3, |v2|, s42
	v_floor_f32_e32 v3, v3
	s_mov_b32 s42, 0xcf800000
	v_fma_f32 v5, v3, s42, |v2|
	v_cvt_u32_f32_e32 v5, v5
	v_cvt_u32_f32_e32 v3, v3
	v_ashrrev_i32_e32 v6, 31, v2
	v_xor_b32_e32 v2, v5, v6
	v_xor_b32_e32 v3, v3, v6
	v_sub_co_u32_e32 v2, vcc, v2, v6
	v_subb_co_u32_e32 v3, vcc, v3, v6, vcc
.LBB54_855:
	s_or_b64 exec, exec, s[40:41]
.LBB54_856:
	s_mov_b64 s[40:41], -1
.LBB54_857:
	s_mov_b64 s[42:43], 0
.LBB54_858:
	s_and_b64 vcc, exec, s[42:43]
	s_cbranch_vccz .LBB54_887
; %bb.859:
	s_cmp_gt_i32 s44, 22
	s_cbranch_scc0 .LBB54_869
; %bb.860:
	s_cmp_lt_i32 s44, 24
	s_cbranch_scc1 .LBB54_870
; %bb.861:
	s_cmp_gt_i32 s44, 24
	s_cbranch_scc0 .LBB54_871
; %bb.862:
	global_load_ubyte v5, v[0:1], off
	s_movk_i32 s38, 0x7f
	s_mov_b64 s[40:41], 0
	s_waitcnt vmcnt(0)
	v_cmp_lt_i16_e32 vcc, s38, v5
	s_and_saveexec_b64 s[38:39], vcc
	s_xor_b64 s[38:39], exec, s[38:39]
; %bb.863:
	s_movk_i32 s40, 0x80
	v_cmp_ne_u16_e32 vcc, s40, v5
	s_and_b64 s[40:41], vcc, exec
; %bb.864:
	s_andn2_saveexec_b64 s[38:39], s[38:39]
; %bb.865:
	v_cmp_ne_u16_e32 vcc, 0, v5
	s_andn2_b64 s[40:41], s[40:41], exec
	s_and_b64 s[42:43], vcc, exec
	s_or_b64 s[40:41], s[40:41], s[42:43]
; %bb.866:
	s_or_b64 exec, exec, s[38:39]
	v_mov_b32_e32 v2, 0
	v_mov_b32_e32 v3, 0
	s_and_saveexec_b64 s[38:39], s[40:41]
	s_cbranch_execz .LBB54_868
; %bb.867:
	v_and_b32_e32 v3, 0xffff, v5
	v_lshlrev_b32_e32 v2, 24, v5
	v_and_b32_e32 v5, 3, v3
	v_ffbh_u32_e32 v7, v5
	v_min_u32_e32 v7, 32, v7
	v_subrev_u32_e32 v8, 29, v7
	v_bfe_u32 v6, v3, 2, 5
	v_lshlrev_b32_e32 v3, v8, v3
	v_sub_u32_e32 v7, 30, v7
	v_and_b32_e32 v3, 3, v3
	v_cmp_eq_u32_e32 vcc, 0, v6
	v_cndmask_b32_e32 v6, v6, v7, vcc
	v_cndmask_b32_e32 v3, v5, v3, vcc
	v_mov_b32_e32 v5, 0x37800000
	v_lshlrev_b32_e32 v3, 21, v3
	v_and_b32_e32 v2, 0x80000000, v2
	v_lshl_add_u32 v5, v6, 23, v5
	v_or3_b32 v2, v2, v5, v3
	v_trunc_f32_e32 v2, v2
	s_mov_b32 s40, 0x2f800000
	v_mul_f32_e64 v3, |v2|, s40
	v_floor_f32_e32 v3, v3
	s_mov_b32 s40, 0xcf800000
	v_fma_f32 v5, v3, s40, |v2|
	v_cvt_u32_f32_e32 v5, v5
	v_cvt_u32_f32_e32 v3, v3
	v_ashrrev_i32_e32 v6, 31, v2
	v_xor_b32_e32 v2, v5, v6
	v_xor_b32_e32 v3, v3, v6
	v_sub_co_u32_e32 v2, vcc, v2, v6
	v_subb_co_u32_e32 v3, vcc, v3, v6, vcc
.LBB54_868:
	s_or_b64 exec, exec, s[38:39]
	s_mov_b64 s[38:39], 0
	s_branch .LBB54_872
.LBB54_869:
	s_mov_b64 s[38:39], -1
                                        ; implicit-def: $vgpr2_vgpr3
	s_branch .LBB54_878
.LBB54_870:
	s_mov_b64 s[38:39], -1
                                        ; implicit-def: $vgpr2_vgpr3
	s_branch .LBB54_875
.LBB54_871:
	s_mov_b64 s[38:39], -1
                                        ; implicit-def: $vgpr2_vgpr3
.LBB54_872:
	s_and_b64 vcc, exec, s[38:39]
	s_cbranch_vccz .LBB54_874
; %bb.873:
	global_load_ubyte v2, v[0:1], off
	s_mov_b32 s38, 0x7f800000
	s_brev_b32 s39, 1
	s_mov_b32 s40, 0x2f800000
	s_mov_b32 s41, 0xcf800000
	s_waitcnt vmcnt(0)
	v_lshlrev_b32_e32 v2, 24, v2
	v_and_b32_e32 v3, 0x7f000000, v2
	v_ffbh_u32_e32 v5, v3
	v_min_u32_e32 v5, 32, v5
	v_sub_u32_e64 v5, v5, 4 clamp
	v_lshlrev_b32_e32 v7, v5, v3
	v_lshlrev_b32_e32 v5, 23, v5
	v_lshrrev_b32_e32 v7, 4, v7
	v_add_u32_e32 v6, 0x1000000, v3
	v_sub_u32_e32 v5, v7, v5
	v_ashrrev_i32_e32 v6, 8, v6
	v_add_u32_e32 v5, 0x3c000000, v5
	v_and_or_b32 v5, v6, s38, v5
	v_cmp_ne_u32_e32 vcc, 0, v3
	v_cndmask_b32_e32 v3, 0, v5, vcc
	v_and_or_b32 v2, v2, s39, v3
	v_trunc_f32_e32 v2, v2
	v_mul_f32_e64 v3, |v2|, s40
	v_floor_f32_e32 v3, v3
	v_fma_f32 v5, v3, s41, |v2|
	v_cvt_u32_f32_e32 v5, v5
	v_cvt_u32_f32_e32 v3, v3
	v_ashrrev_i32_e32 v6, 31, v2
	v_xor_b32_e32 v2, v5, v6
	v_xor_b32_e32 v3, v3, v6
	v_sub_co_u32_e32 v2, vcc, v2, v6
	v_subb_co_u32_e32 v3, vcc, v3, v6, vcc
.LBB54_874:
	s_mov_b64 s[38:39], 0
.LBB54_875:
	s_andn2_b64 vcc, exec, s[38:39]
	s_cbranch_vccnz .LBB54_877
; %bb.876:
	global_load_ubyte v2, v[0:1], off
	s_movk_i32 s38, 0x7f00
	s_brev_b32 s39, 16
	s_brev_b32 s40, 1
	s_mov_b32 s41, 0x2f800000
	s_mov_b32 s42, 0xcf800000
	s_waitcnt vmcnt(0)
	v_lshlrev_b16_e32 v3, 8, v2
	v_lshlrev_b32_e32 v2, 25, v2
	v_lshrrev_b32_e32 v5, 4, v2
	v_and_or_b32 v6, v3, s38, 0.5
	v_or_b32_e32 v5, 0x70000000, v5
	v_add_f32_e32 v6, -0.5, v6
	v_mul_f32_e32 v5, 0x7800000, v5
	v_cmp_gt_u32_e32 vcc, s39, v2
	v_bfe_i32 v3, v3, 0, 16
	v_cndmask_b32_e32 v2, v5, v6, vcc
	v_and_or_b32 v2, v3, s40, v2
	v_trunc_f32_e32 v2, v2
	v_mul_f32_e64 v3, |v2|, s41
	v_floor_f32_e32 v3, v3
	v_fma_f32 v5, v3, s42, |v2|
	v_cvt_u32_f32_e32 v5, v5
	v_cvt_u32_f32_e32 v3, v3
	v_ashrrev_i32_e32 v6, 31, v2
	v_xor_b32_e32 v2, v5, v6
	v_xor_b32_e32 v3, v3, v6
	v_sub_co_u32_e32 v2, vcc, v2, v6
	v_subb_co_u32_e32 v3, vcc, v3, v6, vcc
.LBB54_877:
	s_mov_b64 s[38:39], 0
	s_mov_b64 s[40:41], -1
.LBB54_878:
	s_andn2_b64 vcc, exec, s[38:39]
	s_mov_b64 s[38:39], 0
	s_cbranch_vccnz .LBB54_887
; %bb.879:
	s_cmp_gt_i32 s44, 14
	s_cbranch_scc0 .LBB54_882
; %bb.880:
	s_cmp_eq_u32 s44, 15
	s_cbranch_scc0 .LBB54_883
; %bb.881:
	global_load_ushort v2, v[0:1], off
	s_mov_b32 s36, 0x2f800000
	s_mov_b32 s37, 0xcf800000
	s_mov_b64 s[40:41], -1
	s_waitcnt vmcnt(0)
	v_lshlrev_b32_e32 v2, 16, v2
	v_trunc_f32_e32 v2, v2
	v_mul_f32_e64 v3, |v2|, s36
	v_floor_f32_e32 v3, v3
	v_fma_f32 v5, v3, s37, |v2|
	v_cvt_u32_f32_e32 v5, v5
	v_cvt_u32_f32_e32 v3, v3
	v_ashrrev_i32_e32 v6, 31, v2
	s_mov_b64 s[36:37], 0
	v_xor_b32_e32 v2, v5, v6
	v_xor_b32_e32 v3, v3, v6
	v_sub_co_u32_e32 v2, vcc, v2, v6
	v_subb_co_u32_e32 v3, vcc, v3, v6, vcc
	s_branch .LBB54_884
.LBB54_882:
	s_mov_b64 s[42:43], -1
                                        ; implicit-def: $vgpr2_vgpr3
	s_branch .LBB54_885
.LBB54_883:
	s_mov_b64 s[36:37], -1
                                        ; implicit-def: $vgpr2_vgpr3
.LBB54_884:
	s_mov_b64 s[42:43], 0
.LBB54_885:
	s_and_b64 vcc, exec, s[42:43]
	s_cbranch_vccz .LBB54_887
; %bb.886:
	s_cmp_lg_u32 s44, 11
	s_cselect_b64 s[42:43], -1, 0
	s_andn2_b64 s[36:37], s[36:37], exec
	s_and_b64 s[42:43], s[42:43], exec
	s_mov_b64 s[38:39], -1
	s_or_b64 s[36:37], s[36:37], s[42:43]
.LBB54_887:
	s_mov_b64 s[42:43], 0
.LBB54_888:
	s_and_b64 s[44:45], s[42:43], exec
	s_andn2_b64 s[42:43], s[0:1], exec
	s_and_b64 s[36:37], s[36:37], exec
	s_and_b64 s[40:41], s[40:41], exec
	;; [unrolled: 1-line block ×3, first 2 shown]
	s_or_b64 s[42:43], s[42:43], s[36:37]
.LBB54_889:
	s_or_b64 exec, exec, s[30:31]
	s_and_b64 s[36:37], s[38:39], exec
	s_andn2_b64 s[0:1], s[0:1], exec
	s_and_b64 s[38:39], s[42:43], exec
	s_and_b64 s[40:41], s[40:41], exec
	;; [unrolled: 1-line block ×3, first 2 shown]
	s_or_b64 s[0:1], s[0:1], s[38:39]
.LBB54_890:
	s_or_b64 exec, exec, s[28:29]
	s_andn2_b64 s[24:25], s[24:25], exec
	s_and_b64 s[28:29], s[34:35], exec
	s_andn2_b64 s[22:23], s[22:23], exec
	s_and_b64 s[0:1], s[0:1], exec
	s_or_b64 s[24:25], s[24:25], s[28:29]
	s_and_b64 s[34:35], s[40:41], exec
	s_and_b64 s[30:31], s[30:31], exec
	;; [unrolled: 1-line block ×3, first 2 shown]
	s_or_b64 s[22:23], s[22:23], s[0:1]
.LBB54_891:
	s_or_b64 exec, exec, s[26:27]
	s_andn2_b64 s[0:1], s[16:17], exec
	s_and_b64 s[16:17], s[24:25], exec
	s_andn2_b64 s[18:19], s[18:19], exec
	s_and_b64 s[22:23], s[22:23], exec
	s_or_b64 s[16:17], s[0:1], s[16:17]
	s_and_b64 s[0:1], s[34:35], exec
	s_and_b64 s[26:27], s[30:31], exec
	;; [unrolled: 1-line block ×3, first 2 shown]
	s_or_b64 s[18:19], s[18:19], s[22:23]
	s_or_b64 exec, exec, s[20:21]
	s_mov_b64 s[20:21], 0
	s_and_saveexec_b64 s[22:23], s[18:19]
	s_cbranch_execz .LBB54_274
.LBB54_892:
	s_mov_b64 s[20:21], exec
	s_andn2_b64 s[24:25], s[24:25], exec
	s_trap 2
	s_or_b64 exec, exec, s[22:23]
	s_and_saveexec_b64 s[18:19], s[24:25]
	s_xor_b64 s[18:19], exec, s[18:19]
	s_cbranch_execnz .LBB54_275
.LBB54_893:
	s_or_b64 exec, exec, s[18:19]
	s_and_saveexec_b64 s[18:19], s[26:27]
	s_cbranch_execz .LBB54_939
.LBB54_894:
	s_sext_i32_i16 s22, s15
	s_cmp_lt_i32 s22, 5
	s_cbranch_scc1 .LBB54_899
; %bb.895:
	s_cmp_lt_i32 s22, 8
	s_cbranch_scc1 .LBB54_900
; %bb.896:
	;; [unrolled: 3-line block ×3, first 2 shown]
	s_cmp_gt_i32 s22, 9
	s_cbranch_scc0 .LBB54_902
; %bb.898:
	global_load_dwordx2 v[2:3], v[0:1], off
	s_movk_i32 s22, 0xffe0
	s_waitcnt vmcnt(0)
	v_trunc_f64_e32 v[2:3], v[2:3]
	v_ldexp_f64 v[5:6], v[2:3], s22
	s_mov_b32 s22, 0
	s_mov_b32 s23, 0xc1f00000
	v_floor_f64_e32 v[5:6], v[5:6]
	v_fma_f64 v[7:8], v[5:6], s[22:23], v[2:3]
	v_cvt_i32_f64_e32 v3, v[5:6]
	s_mov_b64 s[22:23], 0
	v_cvt_u32_f64_e32 v2, v[7:8]
	s_branch .LBB54_903
.LBB54_899:
                                        ; implicit-def: $vgpr2_vgpr3
	s_branch .LBB54_920
.LBB54_900:
                                        ; implicit-def: $vgpr2_vgpr3
	s_branch .LBB54_909
.LBB54_901:
	s_mov_b64 s[22:23], -1
                                        ; implicit-def: $vgpr2_vgpr3
	s_branch .LBB54_906
.LBB54_902:
	s_mov_b64 s[22:23], -1
                                        ; implicit-def: $vgpr2_vgpr3
.LBB54_903:
	s_andn2_b64 vcc, exec, s[22:23]
	s_cbranch_vccnz .LBB54_905
; %bb.904:
	global_load_dword v2, v[0:1], off
	s_mov_b32 s22, 0x2f800000
	s_mov_b32 s23, 0xcf800000
	s_waitcnt vmcnt(0)
	v_trunc_f32_e32 v2, v2
	v_mul_f32_e64 v3, |v2|, s22
	v_floor_f32_e32 v3, v3
	v_cvt_u32_f32_e32 v5, v3
	v_fma_f32 v3, v3, s23, |v2|
	v_cvt_u32_f32_e32 v3, v3
	v_ashrrev_i32_e32 v6, 31, v2
	v_xor_b32_e32 v5, v5, v6
	v_xor_b32_e32 v2, v3, v6
	v_sub_co_u32_e32 v2, vcc, v2, v6
	v_subb_co_u32_e32 v3, vcc, v5, v6, vcc
.LBB54_905:
	s_mov_b64 s[22:23], 0
.LBB54_906:
	s_andn2_b64 vcc, exec, s[22:23]
	s_cbranch_vccnz .LBB54_908
; %bb.907:
	global_load_dword v2, v[0:1], off
	s_waitcnt vmcnt(0)
	v_cvt_f32_f16_e32 v2, v2
	v_cvt_i32_f32_e32 v2, v2
	v_ashrrev_i32_e32 v3, 31, v2
.LBB54_908:
	s_cbranch_execnz .LBB54_919
.LBB54_909:
	s_sext_i32_i16 s22, s15
	s_cmp_lt_i32 s22, 6
	s_cbranch_scc1 .LBB54_912
; %bb.910:
	s_cmp_gt_i32 s22, 6
	s_cbranch_scc0 .LBB54_913
; %bb.911:
	global_load_dwordx2 v[2:3], v[0:1], off
	s_movk_i32 s22, 0xffe0
	s_waitcnt vmcnt(0)
	v_trunc_f64_e32 v[2:3], v[2:3]
	v_ldexp_f64 v[5:6], v[2:3], s22
	s_mov_b32 s22, 0
	s_mov_b32 s23, 0xc1f00000
	v_floor_f64_e32 v[5:6], v[5:6]
	v_fma_f64 v[7:8], v[5:6], s[22:23], v[2:3]
	v_cvt_i32_f64_e32 v3, v[5:6]
	s_mov_b64 s[22:23], 0
	v_cvt_u32_f64_e32 v2, v[7:8]
	s_branch .LBB54_914
.LBB54_912:
	s_mov_b64 s[22:23], -1
                                        ; implicit-def: $vgpr2_vgpr3
	s_branch .LBB54_917
.LBB54_913:
	s_mov_b64 s[22:23], -1
                                        ; implicit-def: $vgpr2_vgpr3
.LBB54_914:
	s_andn2_b64 vcc, exec, s[22:23]
	s_cbranch_vccnz .LBB54_916
; %bb.915:
	global_load_dword v2, v[0:1], off
	s_mov_b32 s22, 0x2f800000
	s_mov_b32 s23, 0xcf800000
	s_waitcnt vmcnt(0)
	v_trunc_f32_e32 v2, v2
	v_mul_f32_e64 v3, |v2|, s22
	v_floor_f32_e32 v3, v3
	v_cvt_u32_f32_e32 v5, v3
	v_fma_f32 v3, v3, s23, |v2|
	v_cvt_u32_f32_e32 v3, v3
	v_ashrrev_i32_e32 v6, 31, v2
	v_xor_b32_e32 v5, v5, v6
	v_xor_b32_e32 v2, v3, v6
	v_sub_co_u32_e32 v2, vcc, v2, v6
	v_subb_co_u32_e32 v3, vcc, v5, v6, vcc
.LBB54_916:
	s_mov_b64 s[22:23], 0
.LBB54_917:
	s_andn2_b64 vcc, exec, s[22:23]
	s_cbranch_vccnz .LBB54_919
; %bb.918:
	global_load_ushort v2, v[0:1], off
	s_waitcnt vmcnt(0)
	v_cvt_f32_f16_e32 v2, v2
	v_cvt_i32_f32_e32 v2, v2
	v_ashrrev_i32_e32 v3, 31, v2
.LBB54_919:
	s_cbranch_execnz .LBB54_938
.LBB54_920:
	s_sext_i32_i16 s22, s15
	s_cmp_lt_i32 s22, 2
	s_cbranch_scc1 .LBB54_924
; %bb.921:
	s_cmp_lt_i32 s22, 3
	s_cbranch_scc1 .LBB54_925
; %bb.922:
	s_cmp_gt_i32 s22, 3
	s_cbranch_scc0 .LBB54_926
; %bb.923:
	global_load_dwordx2 v[2:3], v[0:1], off
	s_mov_b64 s[22:23], 0
	s_branch .LBB54_927
.LBB54_924:
                                        ; implicit-def: $vgpr2_vgpr3
	s_branch .LBB54_933
.LBB54_925:
	s_mov_b64 s[22:23], -1
                                        ; implicit-def: $vgpr2_vgpr3
	s_branch .LBB54_930
.LBB54_926:
	s_mov_b64 s[22:23], -1
                                        ; implicit-def: $vgpr2_vgpr3
.LBB54_927:
	s_andn2_b64 vcc, exec, s[22:23]
	s_cbranch_vccnz .LBB54_929
; %bb.928:
	global_load_dword v2, v[0:1], off
	s_waitcnt vmcnt(0)
	v_ashrrev_i32_e32 v3, 31, v2
.LBB54_929:
	s_mov_b64 s[22:23], 0
.LBB54_930:
	s_andn2_b64 vcc, exec, s[22:23]
	s_cbranch_vccnz .LBB54_932
; %bb.931:
	global_load_ushort v2, v[0:1], off
	s_waitcnt vmcnt(0)
	v_bfe_i32 v2, v2, 0, 16
	v_ashrrev_i32_e32 v3, 31, v2
.LBB54_932:
	s_cbranch_execnz .LBB54_938
.LBB54_933:
	s_sext_i32_i16 s22, s15
	s_cmp_gt_i32 s22, 0
	s_cbranch_scc0 .LBB54_935
; %bb.934:
	global_load_sbyte v2, v[0:1], off
	s_mov_b64 s[22:23], 0
	s_waitcnt vmcnt(0)
	v_bfe_i32 v2, v2, 0, 16
	v_ashrrev_i32_e32 v3, 31, v2
	s_branch .LBB54_936
.LBB54_935:
	s_mov_b64 s[22:23], -1
                                        ; implicit-def: $vgpr2_vgpr3
.LBB54_936:
	s_andn2_b64 vcc, exec, s[22:23]
	s_cbranch_vccnz .LBB54_938
; %bb.937:
	global_load_ubyte v0, v[0:1], off
	s_mov_b32 s22, 0
	s_waitcnt vmcnt(1)
	v_mov_b32_e32 v3, s22
	s_waitcnt vmcnt(0)
	v_and_b32_e32 v2, 0xffff, v0
.LBB54_938:
	s_or_b64 s[0:1], s[0:1], exec
.LBB54_939:
	s_or_b64 exec, exec, s[18:19]
	s_mov_b64 s[26:27], 0
	s_mov_b64 s[24:25], 0
                                        ; implicit-def: $sgpr18_sgpr19
                                        ; implicit-def: $sgpr34
                                        ; implicit-def: $vgpr0_vgpr1
	s_and_saveexec_b64 s[22:23], s[0:1]
	s_cbranch_execz .LBB54_944
; %bb.940:
	s_cmp_lt_i32 s14, 1
	s_mov_b64 s[0:1], 0
	s_cbranch_scc1 .LBB54_947
; %bb.941:
	s_cmp_gt_i32 s14, 1
	s_cbranch_scc0 .LBB54_948
; %bb.942:
	s_cmp_eq_u32 s14, 2
	s_cbranch_scc0 .LBB54_949
; %bb.943:
	s_waitcnt vmcnt(0)
	v_cmp_ge_i64_e64 s[18:19], s[2:3], v[2:3]
	s_branch .LBB54_951
.LBB54_944:
	s_or_b64 exec, exec, s[22:23]
	s_and_saveexec_b64 s[0:1], s[16:17]
	s_cbranch_execnz .LBB54_1036
.LBB54_945:
	s_or_b64 exec, exec, s[0:1]
	s_and_saveexec_b64 s[0:1], s[26:27]
	s_xor_b64 s[0:1], exec, s[0:1]
	s_cbranch_execz .LBB54_1037
.LBB54_946:
	s_waitcnt vmcnt(0)
	v_cndmask_b32_e64 v2, 0, 1, s[18:19]
	global_store_byte v[0:1], v2, off
	s_or_b64 exec, exec, s[0:1]
	s_and_saveexec_b64 s[0:1], s[24:25]
	s_xor_b64 s[0:1], exec, s[0:1]
	s_cbranch_execz .LBB54_1075
	s_branch .LBB54_1038
.LBB54_947:
                                        ; implicit-def: $sgpr18_sgpr19
	s_cbranch_execnz .LBB54_954
	s_branch .LBB54_955
.LBB54_948:
	s_mov_b64 s[26:27], -1
	s_branch .LBB54_950
.LBB54_949:
	s_mov_b64 s[24:25], -1
.LBB54_950:
                                        ; implicit-def: $sgpr18_sgpr19
.LBB54_951:
	s_and_b64 vcc, exec, s[26:27]
	s_cbranch_vccz .LBB54_953
; %bb.952:
	s_waitcnt vmcnt(0)
	v_cmp_lt_i64_e32 vcc, s[2:3], v[2:3]
	s_andn2_b64 s[18:19], s[18:19], exec
	s_and_b64 s[26:27], vcc, exec
	s_or_b64 s[18:19], s[18:19], s[26:27]
.LBB54_953:
	s_branch .LBB54_955
.LBB54_954:
	s_cmp_lg_u32 s14, 0
	s_mov_b64 s[0:1], -1
	s_cselect_b64 s[24:25], -1, 0
.LBB54_955:
	s_andn2_b64 vcc, exec, s[24:25]
	s_cbranch_vccnz .LBB54_957
; %bb.956:
	s_waitcnt vmcnt(0)
	v_cmp_gt_i64_e32 vcc, s[2:3], v[2:3]
	s_andn2_b64 s[18:19], s[18:19], exec
	s_and_b64 s[24:25], vcc, exec
	s_or_b64 s[18:19], s[18:19], s[24:25]
	s_cbranch_execz .LBB54_958
	s_branch .LBB54_959
.LBB54_957:
	s_andn2_b64 vcc, exec, s[0:1]
	s_cbranch_vccnz .LBB54_959
.LBB54_958:
	s_waitcnt vmcnt(0)
	v_cmp_le_i64_e32 vcc, s[2:3], v[2:3]
	s_andn2_b64 s[0:1], s[18:19], exec
	s_and_b64 s[18:19], vcc, exec
	s_or_b64 s[18:19], s[0:1], s[18:19]
.LBB54_959:
	v_mul_lo_u32 v0, v4, s12
	v_mov_b32_e32 v1, s9
	s_and_b32 s34, s33, 0xff
	s_cmp_lt_i32 s34, 11
	s_waitcnt vmcnt(0)
	v_ashrrev_i32_e32 v2, 31, v0
	v_add_co_u32_e32 v0, vcc, s8, v0
	v_addc_co_u32_e32 v1, vcc, v1, v2, vcc
	s_cbranch_scc1 .LBB54_1033
; %bb.960:
	s_and_b32 s35, 0xffff, s34
	s_mov_b64 s[26:27], -1
	s_cmp_gt_i32 s35, 25
	s_mov_b64 s[0:1], s[16:17]
	s_cbranch_scc0 .LBB54_993
; %bb.961:
	s_mov_b64 s[24:25], -1
	s_cmp_gt_i32 s35, 28
	s_mov_b64 s[0:1], s[16:17]
	s_cbranch_scc0 .LBB54_977
; %bb.962:
	s_cmp_gt_i32 s35, 43
	s_mov_b64 s[0:1], s[16:17]
	s_cbranch_scc0 .LBB54_973
; %bb.963:
	;; [unrolled: 4-line block ×3, first 2 shown]
	s_cmp_eq_u32 s35, 46
	s_mov_b64 s[0:1], -1
	s_cbranch_scc0 .LBB54_966
; %bb.965:
	v_cndmask_b32_e64 v2, 0, 1.0, s[18:19]
	v_bfe_u32 v3, v2, 16, 1
	s_movk_i32 s0, 0x7fff
	v_add3_u32 v2, v2, v3, s0
	v_lshrrev_b32_e32 v2, 16, v2
	global_store_dword v[0:1], v2, off
	s_mov_b64 s[0:1], 0
.LBB54_966:
	s_mov_b64 s[24:25], 0
.LBB54_967:
	s_and_b64 vcc, exec, s[24:25]
	s_cbranch_vccz .LBB54_972
; %bb.968:
	s_cmp_eq_u32 s35, 44
	s_mov_b64 s[0:1], -1
	s_cbranch_scc0 .LBB54_972
; %bb.969:
	v_cndmask_b32_e64 v3, 0, 1.0, s[18:19]
	v_lshrrev_b32_e32 v2, 23, v3
	s_movk_i32 s0, 0xff
	v_cmp_ne_u32_e32 vcc, s0, v2
	v_mov_b32_e32 v4, 0xff
	s_and_saveexec_b64 s[24:25], vcc
; %bb.970:
	s_mov_b32 s0, 0x3fffff
	v_and_b32_e32 v4, 0x400000, v3
	v_and_or_b32 v3, v3, s0, v2
	v_cmp_ne_u32_e32 vcc, 0, v4
	v_cmp_ne_u32_e64 s[0:1], 0, v3
	s_and_b64 s[0:1], vcc, s[0:1]
	v_cndmask_b32_e64 v3, 0, 1, s[0:1]
	v_add_u32_e32 v4, v2, v3
; %bb.971:
	s_or_b64 exec, exec, s[24:25]
	s_mov_b64 s[0:1], 0
	global_store_byte v[0:1], v4, off
.LBB54_972:
	s_mov_b64 s[24:25], 0
.LBB54_973:
	s_and_b64 vcc, exec, s[24:25]
	s_cbranch_vccz .LBB54_976
; %bb.974:
	s_cmp_eq_u32 s35, 29
	s_mov_b64 s[0:1], -1
	s_cbranch_scc0 .LBB54_976
; %bb.975:
	s_mov_b32 s0, 0
	v_cndmask_b32_e64 v2, 0, 1, s[18:19]
	v_mov_b32_e32 v3, s0
	global_store_dwordx2 v[0:1], v[2:3], off
	s_mov_b64 s[0:1], 0
.LBB54_976:
	s_mov_b64 s[24:25], 0
.LBB54_977:
	s_and_b64 vcc, exec, s[24:25]
	s_cbranch_vccz .LBB54_992
; %bb.978:
	s_cmp_lt_i32 s35, 27
	s_mov_b64 s[24:25], -1
	s_cbranch_scc1 .LBB54_984
; %bb.979:
	s_cmp_gt_i32 s35, 27
	v_cndmask_b32_e64 v2, 0, 1, s[18:19]
	s_cbranch_scc0 .LBB54_981
; %bb.980:
	s_mov_b64 s[24:25], 0
	global_store_dword v[0:1], v2, off
.LBB54_981:
	s_andn2_b64 vcc, exec, s[24:25]
	s_cbranch_vccnz .LBB54_983
; %bb.982:
	global_store_short v[0:1], v2, off
.LBB54_983:
	s_mov_b64 s[24:25], 0
.LBB54_984:
	s_andn2_b64 vcc, exec, s[24:25]
	s_cbranch_vccnz .LBB54_992
; %bb.985:
	v_cndmask_b32_e64 v3, 0, 1.0, s[18:19]
	s_mov_b32 s24, 0x43800000
	v_cmp_gt_u32_e32 vcc, s24, v3
	v_mov_b32_e32 v4, 0x80
	s_and_saveexec_b64 s[24:25], vcc
	s_cbranch_execz .LBB54_991
; %bb.986:
	s_mov_b32 s26, 0x3bffffff
	v_cmp_lt_u32_e32 vcc, s26, v3
	s_mov_b64 s[26:27], 0
                                        ; implicit-def: $vgpr2
	s_and_saveexec_b64 s[28:29], vcc
	s_xor_b64 s[28:29], exec, s[28:29]
	s_cbranch_execz .LBB54_1090
; %bb.987:
	v_bfe_u32 v2, v3, 20, 1
	s_mov_b32 s30, 0x487ffff
	v_add3_u32 v2, v3, v2, s30
	s_mov_b64 s[26:27], exec
	v_lshrrev_b32_e32 v2, 20, v2
                                        ; implicit-def: $vgpr3
	s_andn2_saveexec_b64 s[28:29], s[28:29]
	s_cbranch_execnz .LBB54_1091
.LBB54_988:
	s_or_b64 exec, exec, s[28:29]
	v_mov_b32_e32 v4, 0
	s_and_saveexec_b64 s[28:29], s[26:27]
.LBB54_989:
	v_mov_b32_e32 v4, v2
.LBB54_990:
	s_or_b64 exec, exec, s[28:29]
.LBB54_991:
	s_or_b64 exec, exec, s[24:25]
	global_store_byte v[0:1], v4, off
.LBB54_992:
	s_mov_b64 s[26:27], 0
.LBB54_993:
	s_mov_b64 s[24:25], 0
	s_and_b64 vcc, exec, s[26:27]
	s_cbranch_vccz .LBB54_1034
; %bb.994:
	s_cmp_gt_i32 s35, 22
	s_mov_b64 s[26:27], -1
	s_cbranch_scc0 .LBB54_1026
; %bb.995:
	s_cmp_lt_i32 s35, 24
	s_cbranch_scc1 .LBB54_1015
; %bb.996:
	s_cmp_gt_i32 s35, 24
	s_cbranch_scc0 .LBB54_1004
; %bb.997:
	v_cndmask_b32_e64 v3, 0, 1.0, s[18:19]
	s_mov_b32 s26, 0x47800000
	v_cmp_gt_u32_e32 vcc, s26, v3
	v_mov_b32_e32 v4, 0x80
	s_and_saveexec_b64 s[26:27], vcc
	s_cbranch_execz .LBB54_1003
; %bb.998:
	s_mov_b32 s28, 0x37ffffff
	v_cmp_lt_u32_e32 vcc, s28, v3
	s_mov_b64 s[28:29], 0
                                        ; implicit-def: $vgpr2
	s_and_saveexec_b64 s[30:31], vcc
	s_xor_b64 s[30:31], exec, s[30:31]
	s_cbranch_execz .LBB54_1225
; %bb.999:
	v_bfe_u32 v2, v3, 21, 1
	s_mov_b32 s36, 0x88fffff
	v_add3_u32 v2, v3, v2, s36
	s_mov_b64 s[28:29], exec
	v_lshrrev_b32_e32 v2, 21, v2
                                        ; implicit-def: $vgpr3
	s_andn2_saveexec_b64 s[30:31], s[30:31]
	s_cbranch_execnz .LBB54_1226
.LBB54_1000:
	s_or_b64 exec, exec, s[30:31]
	v_mov_b32_e32 v4, 0
	s_and_saveexec_b64 s[30:31], s[28:29]
.LBB54_1001:
	v_mov_b32_e32 v4, v2
.LBB54_1002:
	s_or_b64 exec, exec, s[30:31]
.LBB54_1003:
	s_or_b64 exec, exec, s[26:27]
	s_mov_b64 s[26:27], 0
	global_store_byte v[0:1], v4, off
.LBB54_1004:
	s_and_b64 vcc, exec, s[26:27]
	s_cbranch_vccz .LBB54_1014
; %bb.1005:
	v_cndmask_b32_e64 v2, 0, 1.0, s[18:19]
	s_mov_b32 s26, 0x43f00000
	v_cmp_gt_u32_e32 vcc, s26, v2
                                        ; implicit-def: $vgpr3
	s_and_saveexec_b64 s[26:27], vcc
	s_xor_b64 s[26:27], exec, s[26:27]
	s_cbranch_execz .LBB54_1011
; %bb.1006:
	s_mov_b32 s28, 0x3c7fffff
	v_cmp_lt_u32_e32 vcc, s28, v2
                                        ; implicit-def: $vgpr3
	s_and_saveexec_b64 s[28:29], vcc
	s_xor_b64 s[28:29], exec, s[28:29]
; %bb.1007:
	v_bfe_u32 v3, v2, 20, 1
	s_mov_b32 s30, 0x407ffff
	v_add3_u32 v2, v2, v3, s30
	v_lshrrev_b32_e32 v3, 20, v2
	v_and_b32_e32 v2, 0xff00000, v2
	s_mov_b32 s30, 0x7f00000
	v_mov_b32_e32 v4, 0x7e
	v_cmp_ne_u32_e32 vcc, s30, v2
	v_cndmask_b32_e32 v3, v4, v3, vcc
                                        ; implicit-def: $vgpr2
; %bb.1008:
	s_andn2_saveexec_b64 s[28:29], s[28:29]
; %bb.1009:
	v_add_f32_e32 v3, 0x46800000, v2
; %bb.1010:
	s_or_b64 exec, exec, s[28:29]
                                        ; implicit-def: $vgpr2
.LBB54_1011:
	s_andn2_saveexec_b64 s[26:27], s[26:27]
; %bb.1012:
	s_mov_b32 s28, 0x7f800000
	v_mov_b32_e32 v3, 0x7e
	v_mov_b32_e32 v4, 0x7f
	v_cmp_lt_u32_e32 vcc, s28, v2
	v_cndmask_b32_e32 v3, v3, v4, vcc
; %bb.1013:
	s_or_b64 exec, exec, s[26:27]
	global_store_byte v[0:1], v3, off
.LBB54_1014:
	s_mov_b64 s[26:27], 0
.LBB54_1015:
	s_andn2_b64 vcc, exec, s[26:27]
	s_cbranch_vccnz .LBB54_1025
; %bb.1016:
	v_cndmask_b32_e64 v2, 0, 1.0, s[18:19]
	s_mov_b32 s26, 0x47800000
	v_cmp_gt_u32_e32 vcc, s26, v2
                                        ; implicit-def: $vgpr3
	s_and_saveexec_b64 s[26:27], vcc
	s_xor_b64 s[26:27], exec, s[26:27]
	s_cbranch_execz .LBB54_1022
; %bb.1017:
	s_mov_b32 s28, 0x387fffff
	v_cmp_lt_u32_e32 vcc, s28, v2
                                        ; implicit-def: $vgpr3
	s_and_saveexec_b64 s[28:29], vcc
	s_xor_b64 s[28:29], exec, s[28:29]
; %bb.1018:
	v_bfe_u32 v3, v2, 21, 1
	s_mov_b32 s30, 0x80fffff
	v_add3_u32 v2, v2, v3, s30
	v_lshrrev_b32_e32 v3, 21, v2
                                        ; implicit-def: $vgpr2
; %bb.1019:
	s_andn2_saveexec_b64 s[28:29], s[28:29]
; %bb.1020:
	v_add_f32_e32 v3, 0x43000000, v2
; %bb.1021:
	s_or_b64 exec, exec, s[28:29]
                                        ; implicit-def: $vgpr2
.LBB54_1022:
	s_andn2_saveexec_b64 s[26:27], s[26:27]
; %bb.1023:
	s_mov_b32 s28, 0x7f800000
	v_mov_b32_e32 v3, 0x7c
	v_mov_b32_e32 v4, 0x7f
	v_cmp_lt_u32_e32 vcc, s28, v2
	v_cndmask_b32_e32 v3, v3, v4, vcc
; %bb.1024:
	s_or_b64 exec, exec, s[26:27]
	global_store_byte v[0:1], v3, off
.LBB54_1025:
	s_mov_b64 s[26:27], 0
.LBB54_1026:
	s_andn2_b64 vcc, exec, s[26:27]
	s_mov_b64 s[26:27], 0
	s_cbranch_vccnz .LBB54_1035
; %bb.1027:
	s_cmp_gt_i32 s35, 14
	s_mov_b64 s[28:29], -1
	s_cbranch_scc0 .LBB54_1031
; %bb.1028:
	s_cmp_eq_u32 s35, 15
	s_mov_b64 s[0:1], -1
	s_cbranch_scc0 .LBB54_1030
; %bb.1029:
	v_cndmask_b32_e64 v2, 0, 1.0, s[18:19]
	v_bfe_u32 v3, v2, 16, 1
	s_movk_i32 s0, 0x7fff
	v_add3_u32 v2, v2, v3, s0
	global_store_short_d16_hi v[0:1], v2, off
	s_mov_b64 s[0:1], 0
.LBB54_1030:
	s_mov_b64 s[28:29], 0
.LBB54_1031:
	s_and_b64 vcc, exec, s[28:29]
	s_cbranch_vccz .LBB54_1035
; %bb.1032:
	s_cmp_lg_u32 s35, 11
	s_cselect_b64 s[28:29], -1, 0
	s_andn2_b64 s[0:1], s[0:1], exec
	s_and_b64 s[28:29], s[28:29], exec
	s_mov_b64 s[26:27], -1
	s_or_b64 s[0:1], s[0:1], s[28:29]
	s_branch .LBB54_1035
.LBB54_1033:
	s_mov_b64 s[26:27], 0
	s_mov_b64 s[24:25], -1
	s_mov_b64 s[0:1], s[16:17]
	s_branch .LBB54_1035
.LBB54_1034:
	s_mov_b64 s[26:27], 0
.LBB54_1035:
	s_andn2_b64 s[16:17], s[16:17], exec
	s_and_b64 s[0:1], s[0:1], exec
	s_and_b64 s[24:25], s[24:25], exec
	;; [unrolled: 1-line block ×3, first 2 shown]
	s_or_b64 s[16:17], s[16:17], s[0:1]
	s_or_b64 exec, exec, s[22:23]
	s_and_saveexec_b64 s[0:1], s[16:17]
	s_cbranch_execz .LBB54_945
.LBB54_1036:
	s_or_b64 s[20:21], s[20:21], exec
	s_andn2_b64 s[26:27], s[26:27], exec
	s_trap 2
	s_or_b64 exec, exec, s[0:1]
	s_and_saveexec_b64 s[0:1], s[26:27]
	s_xor_b64 s[0:1], exec, s[0:1]
	s_cbranch_execnz .LBB54_946
.LBB54_1037:
	s_or_b64 exec, exec, s[0:1]
	s_and_saveexec_b64 s[0:1], s[24:25]
	s_xor_b64 s[0:1], exec, s[0:1]
	s_cbranch_execz .LBB54_1075
.LBB54_1038:
	s_sext_i32_i16 s22, s34
	s_cmp_lt_i32 s22, 5
	s_mov_b64 s[16:17], -1
	s_cbranch_scc1 .LBB54_1059
; %bb.1039:
	s_cmp_lt_i32 s22, 8
	s_cbranch_scc1 .LBB54_1049
; %bb.1040:
	s_cmp_lt_i32 s22, 9
	s_cbranch_scc1 .LBB54_1046
; %bb.1041:
	s_cmp_gt_i32 s22, 9
	s_cbranch_scc0 .LBB54_1043
; %bb.1042:
	s_waitcnt vmcnt(0)
	v_cndmask_b32_e64 v2, 0, 1, s[18:19]
	v_cvt_f64_u32_e32 v[2:3], v2
	v_mov_b32_e32 v4, 0
	v_mov_b32_e32 v5, v4
	s_mov_b64 s[16:17], 0
	global_store_dwordx4 v[0:1], v[2:5], off
.LBB54_1043:
	s_andn2_b64 vcc, exec, s[16:17]
	s_cbranch_vccnz .LBB54_1045
; %bb.1044:
	s_waitcnt vmcnt(0)
	v_cndmask_b32_e64 v2, 0, 1.0, s[18:19]
	v_mov_b32_e32 v3, 0
	global_store_dwordx2 v[0:1], v[2:3], off
.LBB54_1045:
	s_mov_b64 s[16:17], 0
.LBB54_1046:
	s_andn2_b64 vcc, exec, s[16:17]
	s_cbranch_vccnz .LBB54_1048
; %bb.1047:
	s_waitcnt vmcnt(0)
	v_cndmask_b32_e64 v2, 0, 1.0, s[18:19]
	v_cvt_f16_f32_e32 v2, v2
	global_store_dword v[0:1], v2, off
.LBB54_1048:
	s_mov_b64 s[16:17], 0
.LBB54_1049:
	s_andn2_b64 vcc, exec, s[16:17]
	s_cbranch_vccnz .LBB54_1058
; %bb.1050:
	s_sext_i32_i16 s22, s34
	s_cmp_lt_i32 s22, 6
	s_mov_b64 s[16:17], -1
	s_cbranch_scc1 .LBB54_1056
; %bb.1051:
	s_cmp_gt_i32 s22, 6
	s_cbranch_scc0 .LBB54_1053
; %bb.1052:
	s_waitcnt vmcnt(0)
	v_cndmask_b32_e64 v2, 0, 1, s[18:19]
	v_cvt_f64_u32_e32 v[2:3], v2
	s_mov_b64 s[16:17], 0
	global_store_dwordx2 v[0:1], v[2:3], off
.LBB54_1053:
	s_andn2_b64 vcc, exec, s[16:17]
	s_cbranch_vccnz .LBB54_1055
; %bb.1054:
	s_waitcnt vmcnt(0)
	v_cndmask_b32_e64 v2, 0, 1.0, s[18:19]
	global_store_dword v[0:1], v2, off
.LBB54_1055:
	s_mov_b64 s[16:17], 0
.LBB54_1056:
	s_andn2_b64 vcc, exec, s[16:17]
	s_cbranch_vccnz .LBB54_1058
; %bb.1057:
	s_waitcnt vmcnt(0)
	v_cndmask_b32_e64 v2, 0, 1.0, s[18:19]
	v_cvt_f16_f32_e32 v2, v2
	global_store_short v[0:1], v2, off
.LBB54_1058:
	s_mov_b64 s[16:17], 0
.LBB54_1059:
	s_andn2_b64 vcc, exec, s[16:17]
	s_cbranch_vccnz .LBB54_1075
; %bb.1060:
	s_sext_i32_i16 s22, s34
	s_cmp_lt_i32 s22, 2
	s_mov_b64 s[16:17], -1
	s_cbranch_scc1 .LBB54_1070
; %bb.1061:
	s_cmp_lt_i32 s22, 3
	s_cbranch_scc1 .LBB54_1067
; %bb.1062:
	s_cmp_gt_i32 s22, 3
	s_cbranch_scc0 .LBB54_1064
; %bb.1063:
	s_mov_b32 s16, 0
	s_waitcnt vmcnt(0)
	v_cndmask_b32_e64 v2, 0, 1, s[18:19]
	v_mov_b32_e32 v3, s16
	s_mov_b64 s[16:17], 0
	global_store_dwordx2 v[0:1], v[2:3], off
.LBB54_1064:
	s_andn2_b64 vcc, exec, s[16:17]
	s_cbranch_vccnz .LBB54_1066
; %bb.1065:
	s_waitcnt vmcnt(0)
	v_cndmask_b32_e64 v2, 0, 1, s[18:19]
	global_store_dword v[0:1], v2, off
.LBB54_1066:
	s_mov_b64 s[16:17], 0
.LBB54_1067:
	s_andn2_b64 vcc, exec, s[16:17]
	s_cbranch_vccnz .LBB54_1069
; %bb.1068:
	s_waitcnt vmcnt(0)
	v_cndmask_b32_e64 v2, 0, 1, s[18:19]
	global_store_short v[0:1], v2, off
.LBB54_1069:
	s_mov_b64 s[16:17], 0
.LBB54_1070:
	s_andn2_b64 vcc, exec, s[16:17]
	s_cbranch_vccnz .LBB54_1075
; %bb.1071:
	s_sext_i32_i16 s22, s34
	s_mov_b64 s[16:17], -1
	s_cmp_gt_i32 s22, 0
	s_waitcnt vmcnt(0)
	v_cndmask_b32_e64 v2, 0, 1, s[18:19]
	s_cbranch_scc0 .LBB54_1073
; %bb.1072:
	s_mov_b64 s[16:17], 0
	global_store_byte v[0:1], v2, off
.LBB54_1073:
	s_andn2_b64 vcc, exec, s[16:17]
	s_cbranch_vccnz .LBB54_1075
; %bb.1074:
	global_store_byte v[0:1], v2, off
.LBB54_1075:
	s_or_b64 exec, exec, s[0:1]
	s_and_b64 s[16:17], s[20:21], exec
                                        ; implicit-def: $vgpr4
.LBB54_1076:
	s_or_saveexec_b64 s[6:7], s[6:7]
	s_mov_b64 s[0:1], 0
                                        ; implicit-def: $sgpr24_sgpr25
                                        ; implicit-def: $sgpr28
                                        ; implicit-def: $vgpr0_vgpr1
	s_xor_b64 exec, exec, s[6:7]
	s_cbranch_execz .LBB54_1626
; %bb.1077:
	v_mul_lo_u32 v5, s13, v4
	v_mov_b32_e32 v1, s11
	s_and_b32 s15, 0xffff, s15
	s_cmp_lt_i32 s15, 11
	s_waitcnt vmcnt(0)
	v_ashrrev_i32_e32 v2, 31, v5
	v_add_co_u32_e32 v0, vcc, s10, v5
	v_addc_co_u32_e32 v1, vcc, v1, v2, vcc
	s_cbranch_scc1 .LBB54_1084
; %bb.1078:
	s_cmp_gt_i32 s15, 25
	s_cbranch_scc0 .LBB54_1086
; %bb.1079:
	s_cmp_gt_i32 s15, 28
	s_cbranch_scc0 .LBB54_1087
	;; [unrolled: 3-line block ×4, first 2 shown]
; %bb.1082:
	s_cmp_eq_u32 s15, 46
	s_mov_b64 s[18:19], 0
	s_cbranch_scc0 .LBB54_1092
; %bb.1083:
	global_load_dword v2, v[0:1], off
	s_mov_b32 s0, 0x2f800000
	s_mov_b32 s1, 0xcf800000
	s_mov_b64 s[20:21], -1
	s_waitcnt vmcnt(0)
	v_lshlrev_b32_e32 v2, 16, v2
	v_trunc_f32_e32 v2, v2
	v_mul_f32_e64 v3, |v2|, s0
	v_floor_f32_e32 v3, v3
	v_fma_f32 v6, v3, s1, |v2|
	v_cvt_u32_f32_e32 v6, v6
	v_cvt_u32_f32_e32 v3, v3
	v_ashrrev_i32_e32 v7, 31, v2
	s_mov_b64 s[0:1], 0
	v_xor_b32_e32 v2, v6, v7
	v_xor_b32_e32 v3, v3, v7
	v_sub_co_u32_e32 v2, vcc, v2, v7
	v_subb_co_u32_e32 v3, vcc, v3, v7, vcc
	s_branch .LBB54_1093
.LBB54_1084:
	s_mov_b64 s[20:21], 0
                                        ; implicit-def: $vgpr2_vgpr3
	s_mov_b64 s[18:19], s[16:17]
	s_cbranch_execnz .LBB54_1151
.LBB54_1085:
	s_andn2_b64 vcc, exec, s[20:21]
	s_cbranch_vccz .LBB54_1196
	s_branch .LBB54_1623
.LBB54_1086:
	s_mov_b64 s[20:21], 0
                                        ; implicit-def: $vgpr2_vgpr3
	s_cbranch_execnz .LBB54_1120
	s_branch .LBB54_1147
.LBB54_1087:
	s_mov_b64 s[20:21], 0
                                        ; implicit-def: $vgpr2_vgpr3
	s_cbranch_execz .LBB54_1119
	s_branch .LBB54_1102
.LBB54_1088:
	s_mov_b64 s[20:21], 0
                                        ; implicit-def: $vgpr2_vgpr3
	s_cbranch_execnz .LBB54_1098
	s_branch .LBB54_1101
.LBB54_1089:
	s_mov_b64 s[18:19], -1
	s_mov_b64 s[20:21], 0
                                        ; implicit-def: $vgpr2_vgpr3
	s_branch .LBB54_1093
.LBB54_1090:
	s_andn2_saveexec_b64 s[28:29], s[28:29]
	s_cbranch_execz .LBB54_988
.LBB54_1091:
	v_add_f32_e32 v2, 0x46000000, v3
	v_and_b32_e32 v2, 0xff, v2
	v_cmp_ne_u32_e32 vcc, 0, v2
	s_andn2_b64 s[26:27], s[26:27], exec
	s_and_b64 s[30:31], vcc, exec
	s_or_b64 s[26:27], s[26:27], s[30:31]
	s_or_b64 exec, exec, s[28:29]
	v_mov_b32_e32 v4, 0
	s_and_saveexec_b64 s[28:29], s[26:27]
	s_cbranch_execnz .LBB54_989
	s_branch .LBB54_990
.LBB54_1092:
	s_mov_b64 s[0:1], -1
                                        ; implicit-def: $vgpr2_vgpr3
	s_mov_b64 s[20:21], 0
.LBB54_1093:
	s_and_b64 vcc, exec, s[18:19]
	s_cbranch_vccz .LBB54_1096
; %bb.1094:
	s_cmp_eq_u32 s15, 44
	s_cbranch_scc0 .LBB54_1097
; %bb.1095:
	global_load_ubyte v2, v[0:1], off
	s_mov_b32 s0, 0x2f800000
	s_mov_b32 s1, 0xcf800000
	s_mov_b64 s[20:21], -1
	s_waitcnt vmcnt(0)
	v_lshlrev_b32_e32 v3, 23, v2
	v_trunc_f32_e32 v3, v3
	v_mul_f32_e64 v6, |v3|, s0
	v_floor_f32_e32 v6, v6
	v_fma_f32 v7, v6, s1, |v3|
	v_cvt_u32_f32_e32 v7, v7
	v_cvt_u32_f32_e32 v6, v6
	v_ashrrev_i32_e32 v3, 31, v3
	s_mov_b64 s[0:1], 0
	v_xor_b32_e32 v7, v7, v3
	v_xor_b32_e32 v6, v6, v3
	v_sub_co_u32_e32 v7, vcc, v7, v3
	v_subb_co_u32_e32 v3, vcc, v6, v3, vcc
	v_cmp_ne_u32_e32 vcc, 0, v2
	v_cndmask_b32_e32 v3, 0, v3, vcc
	v_cndmask_b32_e32 v2, 0, v7, vcc
.LBB54_1096:
	s_branch .LBB54_1101
.LBB54_1097:
	s_mov_b64 s[0:1], -1
                                        ; implicit-def: $vgpr2_vgpr3
	s_branch .LBB54_1101
.LBB54_1098:
	s_cmp_eq_u32 s15, 29
	s_cbranch_scc0 .LBB54_1100
; %bb.1099:
	global_load_dwordx2 v[2:3], v[0:1], off
	s_mov_b64 s[0:1], 0
	s_mov_b64 s[20:21], -1
	s_branch .LBB54_1101
.LBB54_1100:
	s_mov_b64 s[0:1], -1
                                        ; implicit-def: $vgpr2_vgpr3
.LBB54_1101:
	s_branch .LBB54_1119
.LBB54_1102:
	s_cmp_lt_i32 s15, 27
	s_cbranch_scc1 .LBB54_1105
; %bb.1103:
	s_cmp_gt_i32 s15, 27
	s_cbranch_scc0 .LBB54_1106
; %bb.1104:
	global_load_dword v2, v[0:1], off
	s_waitcnt vmcnt(1)
	v_mov_b32_e32 v3, 0
	s_mov_b64 s[18:19], 0
	s_branch .LBB54_1107
.LBB54_1105:
	s_mov_b64 s[18:19], -1
                                        ; implicit-def: $vgpr2_vgpr3
	s_branch .LBB54_1110
.LBB54_1106:
	s_mov_b64 s[18:19], -1
                                        ; implicit-def: $vgpr2_vgpr3
.LBB54_1107:
	s_andn2_b64 vcc, exec, s[18:19]
	s_cbranch_vccnz .LBB54_1109
; %bb.1108:
	global_load_ushort v2, v[0:1], off
	s_mov_b32 s18, 0
	s_waitcnt vmcnt(1)
	v_mov_b32_e32 v3, s18
	s_waitcnt vmcnt(0)
	v_and_b32_e32 v2, 0xffff, v2
.LBB54_1109:
	s_mov_b64 s[18:19], 0
.LBB54_1110:
	s_andn2_b64 vcc, exec, s[18:19]
	s_cbranch_vccnz .LBB54_1118
; %bb.1111:
	global_load_ubyte v6, v[0:1], off
	s_movk_i32 s18, 0x7f
	s_mov_b64 s[20:21], 0
	s_waitcnt vmcnt(0)
	v_cmp_lt_i16_e32 vcc, s18, v6
	s_and_saveexec_b64 s[18:19], vcc
	s_xor_b64 s[18:19], exec, s[18:19]
; %bb.1112:
	s_movk_i32 s20, 0x80
	v_cmp_ne_u16_e32 vcc, s20, v6
	s_and_b64 s[20:21], vcc, exec
; %bb.1113:
	s_andn2_saveexec_b64 s[18:19], s[18:19]
; %bb.1114:
	v_cmp_ne_u16_e32 vcc, 0, v6
	s_andn2_b64 s[20:21], s[20:21], exec
	s_and_b64 s[22:23], vcc, exec
	s_or_b64 s[20:21], s[20:21], s[22:23]
; %bb.1115:
	s_or_b64 exec, exec, s[18:19]
	v_mov_b32_e32 v2, 0
	v_mov_b32_e32 v3, 0
	s_and_saveexec_b64 s[18:19], s[20:21]
	s_cbranch_execz .LBB54_1117
; %bb.1116:
	v_and_b32_e32 v3, 0xffff, v6
	v_lshlrev_b32_e32 v2, 24, v6
	v_and_b32_e32 v6, 7, v3
	v_ffbh_u32_e32 v8, v6
	v_min_u32_e32 v8, 32, v8
	v_subrev_u32_e32 v9, 28, v8
	v_bfe_u32 v7, v3, 3, 4
	v_lshlrev_b32_e32 v3, v9, v3
	v_sub_u32_e32 v8, 29, v8
	v_and_b32_e32 v3, 7, v3
	v_cmp_eq_u32_e32 vcc, 0, v7
	v_cndmask_b32_e32 v7, v7, v8, vcc
	v_cndmask_b32_e32 v3, v6, v3, vcc
	v_mov_b32_e32 v6, 0x3b800000
	v_lshlrev_b32_e32 v3, 20, v3
	v_and_b32_e32 v2, 0x80000000, v2
	v_lshl_add_u32 v6, v7, 23, v6
	v_or3_b32 v2, v2, v6, v3
	v_trunc_f32_e32 v2, v2
	s_mov_b32 s20, 0x2f800000
	v_mul_f32_e64 v3, |v2|, s20
	v_floor_f32_e32 v3, v3
	s_mov_b32 s20, 0xcf800000
	v_fma_f32 v6, v3, s20, |v2|
	v_cvt_u32_f32_e32 v6, v6
	v_cvt_u32_f32_e32 v3, v3
	v_ashrrev_i32_e32 v7, 31, v2
	v_xor_b32_e32 v2, v6, v7
	v_xor_b32_e32 v3, v3, v7
	v_sub_co_u32_e32 v2, vcc, v2, v7
	v_subb_co_u32_e32 v3, vcc, v3, v7, vcc
.LBB54_1117:
	s_or_b64 exec, exec, s[18:19]
.LBB54_1118:
	s_mov_b64 s[20:21], -1
.LBB54_1119:
	s_branch .LBB54_1147
.LBB54_1120:
	s_cmp_gt_i32 s15, 22
	s_cbranch_scc0 .LBB54_1130
; %bb.1121:
	s_cmp_lt_i32 s15, 24
	s_cbranch_scc1 .LBB54_1131
; %bb.1122:
	s_cmp_gt_i32 s15, 24
	s_cbranch_scc0 .LBB54_1132
; %bb.1123:
	global_load_ubyte v6, v[0:1], off
	s_movk_i32 s4, 0x7f
	s_mov_b64 s[18:19], 0
	s_waitcnt vmcnt(0)
	v_cmp_lt_i16_e32 vcc, s4, v6
	s_and_saveexec_b64 s[4:5], vcc
	s_xor_b64 s[4:5], exec, s[4:5]
; %bb.1124:
	s_movk_i32 s18, 0x80
	v_cmp_ne_u16_e32 vcc, s18, v6
	s_and_b64 s[18:19], vcc, exec
; %bb.1125:
	s_andn2_saveexec_b64 s[4:5], s[4:5]
; %bb.1126:
	v_cmp_ne_u16_e32 vcc, 0, v6
	s_andn2_b64 s[18:19], s[18:19], exec
	s_and_b64 s[20:21], vcc, exec
	s_or_b64 s[18:19], s[18:19], s[20:21]
; %bb.1127:
	s_or_b64 exec, exec, s[4:5]
	v_mov_b32_e32 v2, 0
	v_mov_b32_e32 v3, 0
	s_and_saveexec_b64 s[4:5], s[18:19]
	s_cbranch_execz .LBB54_1129
; %bb.1128:
	v_and_b32_e32 v3, 0xffff, v6
	v_lshlrev_b32_e32 v2, 24, v6
	v_and_b32_e32 v6, 3, v3
	v_ffbh_u32_e32 v8, v6
	v_min_u32_e32 v8, 32, v8
	v_subrev_u32_e32 v9, 29, v8
	v_bfe_u32 v7, v3, 2, 5
	v_lshlrev_b32_e32 v3, v9, v3
	v_sub_u32_e32 v8, 30, v8
	v_and_b32_e32 v3, 3, v3
	v_cmp_eq_u32_e32 vcc, 0, v7
	v_cndmask_b32_e32 v7, v7, v8, vcc
	v_cndmask_b32_e32 v3, v6, v3, vcc
	v_mov_b32_e32 v6, 0x37800000
	v_lshlrev_b32_e32 v3, 21, v3
	v_and_b32_e32 v2, 0x80000000, v2
	v_lshl_add_u32 v6, v7, 23, v6
	v_or3_b32 v2, v2, v6, v3
	v_trunc_f32_e32 v2, v2
	s_mov_b32 s18, 0x2f800000
	v_mul_f32_e64 v3, |v2|, s18
	v_floor_f32_e32 v3, v3
	s_mov_b32 s18, 0xcf800000
	v_fma_f32 v6, v3, s18, |v2|
	v_cvt_u32_f32_e32 v6, v6
	v_cvt_u32_f32_e32 v3, v3
	v_ashrrev_i32_e32 v7, 31, v2
	v_xor_b32_e32 v2, v6, v7
	v_xor_b32_e32 v3, v3, v7
	v_sub_co_u32_e32 v2, vcc, v2, v7
	v_subb_co_u32_e32 v3, vcc, v3, v7, vcc
.LBB54_1129:
	s_or_b64 exec, exec, s[4:5]
	s_mov_b64 s[4:5], 0
	s_branch .LBB54_1133
.LBB54_1130:
                                        ; implicit-def: $vgpr2_vgpr3
	s_mov_b64 s[4:5], 0
	s_branch .LBB54_1139
.LBB54_1131:
	s_mov_b64 s[4:5], -1
                                        ; implicit-def: $vgpr2_vgpr3
	s_branch .LBB54_1136
.LBB54_1132:
	s_mov_b64 s[4:5], -1
                                        ; implicit-def: $vgpr2_vgpr3
.LBB54_1133:
	s_and_b64 vcc, exec, s[4:5]
	s_cbranch_vccz .LBB54_1135
; %bb.1134:
	global_load_ubyte v2, v[0:1], off
	s_mov_b32 s4, 0x7f800000
	s_brev_b32 s5, 1
	s_mov_b32 s18, 0x2f800000
	s_mov_b32 s19, 0xcf800000
	s_waitcnt vmcnt(0)
	v_lshlrev_b32_e32 v2, 24, v2
	v_and_b32_e32 v3, 0x7f000000, v2
	v_ffbh_u32_e32 v6, v3
	v_min_u32_e32 v6, 32, v6
	v_sub_u32_e64 v6, v6, 4 clamp
	v_lshlrev_b32_e32 v8, v6, v3
	v_lshlrev_b32_e32 v6, 23, v6
	v_lshrrev_b32_e32 v8, 4, v8
	v_add_u32_e32 v7, 0x1000000, v3
	v_sub_u32_e32 v6, v8, v6
	v_ashrrev_i32_e32 v7, 8, v7
	v_add_u32_e32 v6, 0x3c000000, v6
	v_and_or_b32 v6, v7, s4, v6
	v_cmp_ne_u32_e32 vcc, 0, v3
	v_cndmask_b32_e32 v3, 0, v6, vcc
	v_and_or_b32 v2, v2, s5, v3
	v_trunc_f32_e32 v2, v2
	v_mul_f32_e64 v3, |v2|, s18
	v_floor_f32_e32 v3, v3
	v_fma_f32 v6, v3, s19, |v2|
	v_cvt_u32_f32_e32 v6, v6
	v_cvt_u32_f32_e32 v3, v3
	v_ashrrev_i32_e32 v7, 31, v2
	v_xor_b32_e32 v2, v6, v7
	v_xor_b32_e32 v3, v3, v7
	v_sub_co_u32_e32 v2, vcc, v2, v7
	v_subb_co_u32_e32 v3, vcc, v3, v7, vcc
.LBB54_1135:
	s_mov_b64 s[4:5], 0
.LBB54_1136:
	s_andn2_b64 vcc, exec, s[4:5]
	s_cbranch_vccnz .LBB54_1138
; %bb.1137:
	global_load_ubyte v2, v[0:1], off
	s_movk_i32 s4, 0x7f00
	s_brev_b32 s5, 16
	s_brev_b32 s18, 1
	s_mov_b32 s19, 0x2f800000
	s_mov_b32 s20, 0xcf800000
	s_waitcnt vmcnt(0)
	v_lshlrev_b16_e32 v3, 8, v2
	v_lshlrev_b32_e32 v2, 25, v2
	v_lshrrev_b32_e32 v6, 4, v2
	v_and_or_b32 v7, v3, s4, 0.5
	v_or_b32_e32 v6, 0x70000000, v6
	v_add_f32_e32 v7, -0.5, v7
	v_mul_f32_e32 v6, 0x7800000, v6
	v_cmp_gt_u32_e32 vcc, s5, v2
	v_bfe_i32 v3, v3, 0, 16
	v_cndmask_b32_e32 v2, v6, v7, vcc
	v_and_or_b32 v2, v3, s18, v2
	v_trunc_f32_e32 v2, v2
	v_mul_f32_e64 v3, |v2|, s19
	v_floor_f32_e32 v3, v3
	v_fma_f32 v6, v3, s20, |v2|
	v_cvt_u32_f32_e32 v6, v6
	v_cvt_u32_f32_e32 v3, v3
	v_ashrrev_i32_e32 v7, 31, v2
	v_xor_b32_e32 v2, v6, v7
	v_xor_b32_e32 v3, v3, v7
	v_sub_co_u32_e32 v2, vcc, v2, v7
	v_subb_co_u32_e32 v3, vcc, v3, v7, vcc
.LBB54_1138:
	s_mov_b64 s[20:21], -1
	s_mov_b64 s[4:5], 0
	s_cbranch_execnz .LBB54_1147
.LBB54_1139:
	s_cmp_gt_i32 s15, 14
	s_cbranch_scc0 .LBB54_1142
; %bb.1140:
	s_cmp_eq_u32 s15, 15
	s_cbranch_scc0 .LBB54_1143
; %bb.1141:
	global_load_ushort v2, v[0:1], off
	s_mov_b32 s0, 0x2f800000
	s_mov_b32 s1, 0xcf800000
	s_mov_b64 s[20:21], -1
	s_waitcnt vmcnt(0)
	v_lshlrev_b32_e32 v2, 16, v2
	v_trunc_f32_e32 v2, v2
	v_mul_f32_e64 v3, |v2|, s0
	v_floor_f32_e32 v3, v3
	v_fma_f32 v6, v3, s1, |v2|
	v_cvt_u32_f32_e32 v6, v6
	v_cvt_u32_f32_e32 v3, v3
	v_ashrrev_i32_e32 v7, 31, v2
	s_mov_b64 s[0:1], 0
	v_xor_b32_e32 v2, v6, v7
	v_xor_b32_e32 v3, v3, v7
	v_sub_co_u32_e32 v2, vcc, v2, v7
	v_subb_co_u32_e32 v3, vcc, v3, v7, vcc
	s_branch .LBB54_1144
.LBB54_1142:
	s_mov_b64 s[18:19], -1
                                        ; implicit-def: $vgpr2_vgpr3
	s_branch .LBB54_1145
.LBB54_1143:
	s_mov_b64 s[0:1], -1
                                        ; implicit-def: $vgpr2_vgpr3
.LBB54_1144:
	s_mov_b64 s[18:19], 0
.LBB54_1145:
	s_and_b64 vcc, exec, s[18:19]
	s_cbranch_vccz .LBB54_1147
; %bb.1146:
	s_cmp_lg_u32 s15, 11
	s_mov_b64 s[4:5], -1
	s_cselect_b64 s[0:1], -1, 0
.LBB54_1147:
	s_and_b64 vcc, exec, s[0:1]
	s_mov_b64 s[18:19], s[16:17]
	s_cbranch_vccnz .LBB54_1223
; %bb.1148:
	s_andn2_b64 vcc, exec, s[4:5]
	s_cbranch_vccnz .LBB54_1150
.LBB54_1149:
	global_load_ubyte v2, v[0:1], off
	s_mov_b32 s0, 0
	s_waitcnt vmcnt(1)
	v_mov_b32_e32 v3, s0
	s_mov_b64 s[20:21], -1
	s_waitcnt vmcnt(0)
	v_cmp_ne_u16_e32 vcc, 0, v2
	v_cndmask_b32_e64 v2, 0, 1, vcc
.LBB54_1150:
	s_branch .LBB54_1085
.LBB54_1151:
	s_cmp_lt_i32 s15, 5
	s_cbranch_scc1 .LBB54_1156
; %bb.1152:
	s_cmp_lt_i32 s15, 8
	s_cbranch_scc1 .LBB54_1157
; %bb.1153:
	;; [unrolled: 3-line block ×3, first 2 shown]
	s_cmp_gt_i32 s15, 9
	s_cbranch_scc0 .LBB54_1159
; %bb.1155:
	global_load_dwordx2 v[2:3], v[0:1], off
	s_movk_i32 s0, 0xffe0
	s_waitcnt vmcnt(0)
	v_trunc_f64_e32 v[2:3], v[2:3]
	v_ldexp_f64 v[6:7], v[2:3], s0
	s_mov_b32 s0, 0
	s_mov_b32 s1, 0xc1f00000
	v_floor_f64_e32 v[6:7], v[6:7]
	v_fma_f64 v[8:9], v[6:7], s[0:1], v[2:3]
	v_cvt_i32_f64_e32 v3, v[6:7]
	s_mov_b64 s[0:1], 0
	v_cvt_u32_f64_e32 v2, v[8:9]
	s_branch .LBB54_1160
.LBB54_1156:
                                        ; implicit-def: $vgpr2_vgpr3
	s_branch .LBB54_1177
.LBB54_1157:
                                        ; implicit-def: $vgpr2_vgpr3
	s_branch .LBB54_1166
.LBB54_1158:
	s_mov_b64 s[0:1], -1
                                        ; implicit-def: $vgpr2_vgpr3
	s_branch .LBB54_1163
.LBB54_1159:
	s_mov_b64 s[0:1], -1
                                        ; implicit-def: $vgpr2_vgpr3
.LBB54_1160:
	s_andn2_b64 vcc, exec, s[0:1]
	s_cbranch_vccnz .LBB54_1162
; %bb.1161:
	global_load_dword v2, v[0:1], off
	s_mov_b32 s0, 0x2f800000
	s_mov_b32 s1, 0xcf800000
	s_waitcnt vmcnt(0)
	v_trunc_f32_e32 v2, v2
	v_mul_f32_e64 v3, |v2|, s0
	v_floor_f32_e32 v3, v3
	v_cvt_u32_f32_e32 v6, v3
	v_fma_f32 v3, v3, s1, |v2|
	v_cvt_u32_f32_e32 v3, v3
	v_ashrrev_i32_e32 v7, 31, v2
	v_xor_b32_e32 v6, v6, v7
	v_xor_b32_e32 v2, v3, v7
	v_sub_co_u32_e32 v2, vcc, v2, v7
	v_subb_co_u32_e32 v3, vcc, v6, v7, vcc
.LBB54_1162:
	s_mov_b64 s[0:1], 0
.LBB54_1163:
	s_andn2_b64 vcc, exec, s[0:1]
	s_cbranch_vccnz .LBB54_1165
; %bb.1164:
	global_load_dword v2, v[0:1], off
	s_waitcnt vmcnt(0)
	v_cvt_f32_f16_e32 v2, v2
	v_cvt_i32_f32_e32 v2, v2
	v_ashrrev_i32_e32 v3, 31, v2
.LBB54_1165:
	s_cbranch_execnz .LBB54_1176
.LBB54_1166:
	s_cmp_lt_i32 s15, 6
	s_cbranch_scc1 .LBB54_1169
; %bb.1167:
	s_cmp_gt_i32 s15, 6
	s_cbranch_scc0 .LBB54_1170
; %bb.1168:
	global_load_dwordx2 v[2:3], v[0:1], off
	s_movk_i32 s0, 0xffe0
	s_waitcnt vmcnt(0)
	v_trunc_f64_e32 v[2:3], v[2:3]
	v_ldexp_f64 v[6:7], v[2:3], s0
	s_mov_b32 s0, 0
	s_mov_b32 s1, 0xc1f00000
	v_floor_f64_e32 v[6:7], v[6:7]
	v_fma_f64 v[8:9], v[6:7], s[0:1], v[2:3]
	v_cvt_i32_f64_e32 v3, v[6:7]
	s_mov_b64 s[0:1], 0
	v_cvt_u32_f64_e32 v2, v[8:9]
	s_branch .LBB54_1171
.LBB54_1169:
	s_mov_b64 s[0:1], -1
                                        ; implicit-def: $vgpr2_vgpr3
	s_branch .LBB54_1174
.LBB54_1170:
	s_mov_b64 s[0:1], -1
                                        ; implicit-def: $vgpr2_vgpr3
.LBB54_1171:
	s_andn2_b64 vcc, exec, s[0:1]
	s_cbranch_vccnz .LBB54_1173
; %bb.1172:
	global_load_dword v2, v[0:1], off
	s_mov_b32 s0, 0x2f800000
	s_mov_b32 s1, 0xcf800000
	s_waitcnt vmcnt(0)
	v_trunc_f32_e32 v2, v2
	v_mul_f32_e64 v3, |v2|, s0
	v_floor_f32_e32 v3, v3
	v_cvt_u32_f32_e32 v6, v3
	v_fma_f32 v3, v3, s1, |v2|
	v_cvt_u32_f32_e32 v3, v3
	v_ashrrev_i32_e32 v7, 31, v2
	v_xor_b32_e32 v6, v6, v7
	v_xor_b32_e32 v2, v3, v7
	v_sub_co_u32_e32 v2, vcc, v2, v7
	v_subb_co_u32_e32 v3, vcc, v6, v7, vcc
.LBB54_1173:
	s_mov_b64 s[0:1], 0
.LBB54_1174:
	s_andn2_b64 vcc, exec, s[0:1]
	s_cbranch_vccnz .LBB54_1176
; %bb.1175:
	global_load_ushort v2, v[0:1], off
	s_waitcnt vmcnt(0)
	v_cvt_f32_f16_e32 v2, v2
	v_cvt_i32_f32_e32 v2, v2
	v_ashrrev_i32_e32 v3, 31, v2
.LBB54_1176:
	s_cbranch_execnz .LBB54_1195
.LBB54_1177:
	s_cmp_lt_i32 s15, 2
	s_cbranch_scc1 .LBB54_1181
; %bb.1178:
	s_cmp_lt_i32 s15, 3
	s_cbranch_scc1 .LBB54_1182
; %bb.1179:
	s_cmp_gt_i32 s15, 3
	s_cbranch_scc0 .LBB54_1183
; %bb.1180:
	global_load_dwordx2 v[2:3], v[0:1], off
	s_mov_b64 s[0:1], 0
	s_branch .LBB54_1184
.LBB54_1181:
                                        ; implicit-def: $vgpr2_vgpr3
	s_branch .LBB54_1190
.LBB54_1182:
	s_mov_b64 s[0:1], -1
                                        ; implicit-def: $vgpr2_vgpr3
	s_branch .LBB54_1187
.LBB54_1183:
	s_mov_b64 s[0:1], -1
                                        ; implicit-def: $vgpr2_vgpr3
.LBB54_1184:
	s_andn2_b64 vcc, exec, s[0:1]
	s_cbranch_vccnz .LBB54_1186
; %bb.1185:
	global_load_dword v2, v[0:1], off
	s_waitcnt vmcnt(0)
	v_ashrrev_i32_e32 v3, 31, v2
.LBB54_1186:
	s_mov_b64 s[0:1], 0
.LBB54_1187:
	s_andn2_b64 vcc, exec, s[0:1]
	s_cbranch_vccnz .LBB54_1189
; %bb.1188:
	global_load_ushort v2, v[0:1], off
	s_waitcnt vmcnt(0)
	v_bfe_i32 v2, v2, 0, 16
	v_ashrrev_i32_e32 v3, 31, v2
.LBB54_1189:
	s_cbranch_execnz .LBB54_1195
.LBB54_1190:
	s_cmp_gt_i32 s15, 0
	s_cbranch_scc0 .LBB54_1192
; %bb.1191:
	global_load_sbyte v2, v[0:1], off
	s_mov_b64 s[0:1], 0
	s_waitcnt vmcnt(0)
	v_bfe_i32 v2, v2, 0, 16
	v_ashrrev_i32_e32 v3, 31, v2
	s_branch .LBB54_1193
.LBB54_1192:
	s_mov_b64 s[0:1], -1
                                        ; implicit-def: $vgpr2_vgpr3
.LBB54_1193:
	s_andn2_b64 vcc, exec, s[0:1]
	s_cbranch_vccnz .LBB54_1195
; %bb.1194:
	global_load_ubyte v0, v[0:1], off
	s_mov_b32 s0, 0
	s_waitcnt vmcnt(1)
	v_mov_b32_e32 v3, s0
	s_waitcnt vmcnt(0)
	v_and_b32_e32 v2, 0xffff, v0
.LBB54_1195:
.LBB54_1196:
	s_cmp_lt_i32 s14, 1
	s_mov_b64 s[0:1], 0
	s_cbranch_scc1 .LBB54_1200
; %bb.1197:
	s_cmp_gt_i32 s14, 1
	s_cbranch_scc0 .LBB54_1201
; %bb.1198:
	s_cmp_eq_u32 s14, 2
	s_cbranch_scc0 .LBB54_1202
; %bb.1199:
	s_waitcnt vmcnt(0)
	v_cmp_ge_i64_e64 s[4:5], s[2:3], v[2:3]
	s_mov_b64 s[20:21], 0
	s_branch .LBB54_1203
.LBB54_1200:
                                        ; implicit-def: $sgpr4_sgpr5
	s_mov_b64 s[20:21], 0
	s_cbranch_execnz .LBB54_1206
	s_branch .LBB54_1207
.LBB54_1201:
	s_mov_b64 s[20:21], 0
                                        ; implicit-def: $sgpr4_sgpr5
	s_cbranch_execnz .LBB54_1204
	s_branch .LBB54_1205
.LBB54_1202:
	s_mov_b64 s[20:21], -1
                                        ; implicit-def: $sgpr4_sgpr5
.LBB54_1203:
	s_branch .LBB54_1205
.LBB54_1204:
	s_waitcnt vmcnt(0)
	v_cmp_lt_i64_e32 vcc, s[2:3], v[2:3]
	s_andn2_b64 s[4:5], s[4:5], exec
	s_and_b64 s[22:23], vcc, exec
	s_or_b64 s[4:5], s[4:5], s[22:23]
.LBB54_1205:
	s_branch .LBB54_1207
.LBB54_1206:
	s_cmp_lg_u32 s14, 0
	s_mov_b64 s[0:1], -1
	s_cselect_b64 s[20:21], -1, 0
.LBB54_1207:
	s_andn2_b64 vcc, exec, s[20:21]
	s_cbranch_vccnz .LBB54_1209
; %bb.1208:
	s_waitcnt vmcnt(0)
	v_cmp_gt_i64_e32 vcc, s[2:3], v[2:3]
	s_andn2_b64 s[4:5], s[4:5], exec
	s_and_b64 s[20:21], vcc, exec
	s_or_b64 s[4:5], s[4:5], s[20:21]
	s_cbranch_execz .LBB54_1210
	s_branch .LBB54_1211
.LBB54_1209:
	s_andn2_b64 vcc, exec, s[0:1]
	s_cbranch_vccnz .LBB54_1211
.LBB54_1210:
	s_waitcnt vmcnt(0)
	v_cmp_le_i64_e32 vcc, s[2:3], v[2:3]
	s_andn2_b64 s[0:1], s[4:5], exec
	s_and_b64 s[4:5], vcc, exec
	s_or_b64 s[4:5], s[0:1], s[4:5]
.LBB54_1211:
	s_lshl_b32 s13, s13, 7
	v_add_u32_e32 v5, s13, v5
	v_ashrrev_i32_e32 v1, 31, v5
	s_waitcnt vmcnt(0)
	v_mov_b32_e32 v2, s11
	v_add_co_u32_e32 v0, vcc, s10, v5
	s_cmp_lt_i32 s15, 11
	v_addc_co_u32_e32 v1, vcc, v2, v1, vcc
	s_cbranch_scc1 .LBB54_1218
; %bb.1212:
	s_cmp_gt_i32 s15, 25
	s_mov_b64 s[20:21], 0
	s_cbranch_scc0 .LBB54_1220
; %bb.1213:
	s_cmp_gt_i32 s15, 28
	s_cbranch_scc0 .LBB54_1221
; %bb.1214:
	s_cmp_gt_i32 s15, 43
	;; [unrolled: 3-line block ×3, first 2 shown]
	s_cbranch_scc0 .LBB54_1224
; %bb.1216:
	s_cmp_eq_u32 s15, 46
	s_mov_b64 s[24:25], 0
	s_cbranch_scc0 .LBB54_1227
; %bb.1217:
	global_load_dword v2, v[0:1], off
	s_mov_b32 s0, 0x2f800000
	s_mov_b32 s1, 0xcf800000
	s_mov_b64 s[22:23], -1
	s_waitcnt vmcnt(0)
	v_lshlrev_b32_e32 v2, 16, v2
	v_trunc_f32_e32 v2, v2
	v_mul_f32_e64 v3, |v2|, s0
	v_floor_f32_e32 v3, v3
	v_fma_f32 v6, v3, s1, |v2|
	v_cvt_u32_f32_e32 v6, v6
	v_cvt_u32_f32_e32 v3, v3
	v_ashrrev_i32_e32 v7, 31, v2
	s_mov_b64 s[0:1], 0
	v_xor_b32_e32 v2, v6, v7
	v_xor_b32_e32 v3, v3, v7
	v_sub_co_u32_e32 v2, vcc, v2, v7
	v_subb_co_u32_e32 v3, vcc, v3, v7, vcc
	s_branch .LBB54_1228
.LBB54_1218:
	s_mov_b64 s[22:23], 0
                                        ; implicit-def: $vgpr2_vgpr3
	s_cbranch_execnz .LBB54_1289
.LBB54_1219:
	s_andn2_b64 vcc, exec, s[22:23]
	s_cbranch_vccnz .LBB54_1623
	s_branch .LBB54_1336
.LBB54_1220:
	s_mov_b64 s[22:23], 0
	s_mov_b64 s[0:1], 0
                                        ; implicit-def: $vgpr2_vgpr3
	s_cbranch_execnz .LBB54_1257
	s_branch .LBB54_1285
.LBB54_1221:
	s_mov_b64 s[24:25], -1
	s_mov_b64 s[22:23], 0
	s_mov_b64 s[0:1], 0
                                        ; implicit-def: $vgpr2_vgpr3
	s_branch .LBB54_1238
.LBB54_1222:
	s_mov_b64 s[24:25], -1
	s_mov_b64 s[22:23], 0
	s_mov_b64 s[0:1], 0
                                        ; implicit-def: $vgpr2_vgpr3
	s_branch .LBB54_1233
.LBB54_1223:
	s_or_b64 s[18:19], s[16:17], exec
	s_trap 2
	s_cbranch_execz .LBB54_1149
	s_branch .LBB54_1150
.LBB54_1224:
	s_mov_b64 s[24:25], -1
	s_mov_b64 s[22:23], 0
	s_mov_b64 s[0:1], 0
                                        ; implicit-def: $vgpr2_vgpr3
	s_branch .LBB54_1228
.LBB54_1225:
	s_andn2_saveexec_b64 s[30:31], s[30:31]
	s_cbranch_execz .LBB54_1000
.LBB54_1226:
	v_add_f32_e32 v2, 0x42800000, v3
	v_and_b32_e32 v2, 0xff, v2
	v_cmp_ne_u32_e32 vcc, 0, v2
	s_andn2_b64 s[28:29], s[28:29], exec
	s_and_b64 s[36:37], vcc, exec
	s_or_b64 s[28:29], s[28:29], s[36:37]
	s_or_b64 exec, exec, s[30:31]
	v_mov_b32_e32 v4, 0
	s_and_saveexec_b64 s[30:31], s[28:29]
	s_cbranch_execnz .LBB54_1001
	s_branch .LBB54_1002
.LBB54_1227:
	s_mov_b64 s[0:1], -1
                                        ; implicit-def: $vgpr2_vgpr3
	s_mov_b64 s[22:23], 0
.LBB54_1228:
	s_and_b64 vcc, exec, s[24:25]
	s_cbranch_vccz .LBB54_1232
; %bb.1229:
	s_cmp_eq_u32 s15, 44
	s_cbranch_scc0 .LBB54_1231
; %bb.1230:
	global_load_ubyte v2, v[0:1], off
	s_mov_b32 s0, 0x2f800000
	s_mov_b32 s1, 0xcf800000
	s_mov_b64 s[22:23], -1
	s_waitcnt vmcnt(0)
	v_lshlrev_b32_e32 v3, 23, v2
	v_trunc_f32_e32 v3, v3
	v_mul_f32_e64 v6, |v3|, s0
	v_floor_f32_e32 v6, v6
	v_fma_f32 v7, v6, s1, |v3|
	v_cvt_u32_f32_e32 v7, v7
	v_cvt_u32_f32_e32 v6, v6
	v_ashrrev_i32_e32 v3, 31, v3
	s_mov_b64 s[0:1], 0
	v_xor_b32_e32 v7, v7, v3
	v_xor_b32_e32 v6, v6, v3
	v_sub_co_u32_e32 v7, vcc, v7, v3
	v_subb_co_u32_e32 v3, vcc, v6, v3, vcc
	v_cmp_ne_u32_e32 vcc, 0, v2
	v_cndmask_b32_e32 v3, 0, v3, vcc
	v_cndmask_b32_e32 v2, 0, v7, vcc
	s_branch .LBB54_1232
.LBB54_1231:
	s_mov_b64 s[0:1], -1
                                        ; implicit-def: $vgpr2_vgpr3
.LBB54_1232:
	s_mov_b64 s[24:25], 0
.LBB54_1233:
	s_and_b64 vcc, exec, s[24:25]
	s_cbranch_vccz .LBB54_1237
; %bb.1234:
	s_cmp_eq_u32 s15, 29
	s_cbranch_scc0 .LBB54_1236
; %bb.1235:
	global_load_dwordx2 v[2:3], v[0:1], off
	s_mov_b64 s[0:1], 0
	s_mov_b64 s[22:23], -1
	s_branch .LBB54_1237
.LBB54_1236:
	s_mov_b64 s[0:1], -1
                                        ; implicit-def: $vgpr2_vgpr3
.LBB54_1237:
	s_mov_b64 s[24:25], 0
.LBB54_1238:
	s_and_b64 vcc, exec, s[24:25]
	s_cbranch_vccz .LBB54_1256
; %bb.1239:
	s_cmp_lt_i32 s15, 27
	s_cbranch_scc1 .LBB54_1242
; %bb.1240:
	s_cmp_gt_i32 s15, 27
	s_cbranch_scc0 .LBB54_1243
; %bb.1241:
	global_load_dword v2, v[0:1], off
	s_waitcnt vmcnt(1)
	v_mov_b32_e32 v3, 0
	s_mov_b64 s[22:23], 0
	s_branch .LBB54_1244
.LBB54_1242:
	s_mov_b64 s[22:23], -1
                                        ; implicit-def: $vgpr2_vgpr3
	s_branch .LBB54_1247
.LBB54_1243:
	s_mov_b64 s[22:23], -1
                                        ; implicit-def: $vgpr2_vgpr3
.LBB54_1244:
	s_andn2_b64 vcc, exec, s[22:23]
	s_cbranch_vccnz .LBB54_1246
; %bb.1245:
	global_load_ushort v2, v[0:1], off
	s_mov_b32 s22, 0
	s_waitcnt vmcnt(1)
	v_mov_b32_e32 v3, s22
	s_waitcnt vmcnt(0)
	v_and_b32_e32 v2, 0xffff, v2
.LBB54_1246:
	s_mov_b64 s[22:23], 0
.LBB54_1247:
	s_andn2_b64 vcc, exec, s[22:23]
	s_cbranch_vccnz .LBB54_1255
; %bb.1248:
	global_load_ubyte v6, v[0:1], off
	s_movk_i32 s22, 0x7f
	s_mov_b64 s[24:25], 0
	s_waitcnt vmcnt(0)
	v_cmp_lt_i16_e32 vcc, s22, v6
	s_and_saveexec_b64 s[22:23], vcc
	s_xor_b64 s[22:23], exec, s[22:23]
; %bb.1249:
	s_movk_i32 s24, 0x80
	v_cmp_ne_u16_e32 vcc, s24, v6
	s_and_b64 s[24:25], vcc, exec
; %bb.1250:
	s_andn2_saveexec_b64 s[22:23], s[22:23]
; %bb.1251:
	v_cmp_ne_u16_e32 vcc, 0, v6
	s_andn2_b64 s[24:25], s[24:25], exec
	s_and_b64 s[26:27], vcc, exec
	s_or_b64 s[24:25], s[24:25], s[26:27]
; %bb.1252:
	s_or_b64 exec, exec, s[22:23]
	v_mov_b32_e32 v2, 0
	v_mov_b32_e32 v3, 0
	s_and_saveexec_b64 s[22:23], s[24:25]
	s_cbranch_execz .LBB54_1254
; %bb.1253:
	v_and_b32_e32 v3, 0xffff, v6
	v_lshlrev_b32_e32 v2, 24, v6
	v_and_b32_e32 v6, 7, v3
	v_ffbh_u32_e32 v8, v6
	v_min_u32_e32 v8, 32, v8
	v_subrev_u32_e32 v9, 28, v8
	v_bfe_u32 v7, v3, 3, 4
	v_lshlrev_b32_e32 v3, v9, v3
	v_sub_u32_e32 v8, 29, v8
	v_and_b32_e32 v3, 7, v3
	v_cmp_eq_u32_e32 vcc, 0, v7
	v_cndmask_b32_e32 v7, v7, v8, vcc
	v_cndmask_b32_e32 v3, v6, v3, vcc
	v_mov_b32_e32 v6, 0x3b800000
	v_lshlrev_b32_e32 v3, 20, v3
	v_and_b32_e32 v2, 0x80000000, v2
	v_lshl_add_u32 v6, v7, 23, v6
	v_or3_b32 v2, v2, v6, v3
	v_trunc_f32_e32 v2, v2
	s_mov_b32 s24, 0x2f800000
	v_mul_f32_e64 v3, |v2|, s24
	v_floor_f32_e32 v3, v3
	s_mov_b32 s24, 0xcf800000
	v_fma_f32 v6, v3, s24, |v2|
	v_cvt_u32_f32_e32 v6, v6
	v_cvt_u32_f32_e32 v3, v3
	v_ashrrev_i32_e32 v7, 31, v2
	v_xor_b32_e32 v2, v6, v7
	v_xor_b32_e32 v3, v3, v7
	v_sub_co_u32_e32 v2, vcc, v2, v7
	v_subb_co_u32_e32 v3, vcc, v3, v7, vcc
.LBB54_1254:
	s_or_b64 exec, exec, s[22:23]
.LBB54_1255:
	s_mov_b64 s[22:23], -1
.LBB54_1256:
	s_branch .LBB54_1285
.LBB54_1257:
	s_cmp_gt_i32 s15, 22
	s_cbranch_scc0 .LBB54_1267
; %bb.1258:
	s_cmp_lt_i32 s15, 24
	s_cbranch_scc1 .LBB54_1268
; %bb.1259:
	s_cmp_gt_i32 s15, 24
	s_cbranch_scc0 .LBB54_1269
; %bb.1260:
	global_load_ubyte v6, v[0:1], off
	s_movk_i32 s20, 0x7f
	s_mov_b64 s[22:23], 0
	s_waitcnt vmcnt(0)
	v_cmp_lt_i16_e32 vcc, s20, v6
	s_and_saveexec_b64 s[20:21], vcc
	s_xor_b64 s[20:21], exec, s[20:21]
; %bb.1261:
	s_movk_i32 s22, 0x80
	v_cmp_ne_u16_e32 vcc, s22, v6
	s_and_b64 s[22:23], vcc, exec
; %bb.1262:
	s_andn2_saveexec_b64 s[20:21], s[20:21]
; %bb.1263:
	v_cmp_ne_u16_e32 vcc, 0, v6
	s_andn2_b64 s[22:23], s[22:23], exec
	s_and_b64 s[24:25], vcc, exec
	s_or_b64 s[22:23], s[22:23], s[24:25]
; %bb.1264:
	s_or_b64 exec, exec, s[20:21]
	v_mov_b32_e32 v2, 0
	v_mov_b32_e32 v3, 0
	s_and_saveexec_b64 s[20:21], s[22:23]
	s_cbranch_execz .LBB54_1266
; %bb.1265:
	v_and_b32_e32 v3, 0xffff, v6
	v_lshlrev_b32_e32 v2, 24, v6
	v_and_b32_e32 v6, 3, v3
	v_ffbh_u32_e32 v8, v6
	v_min_u32_e32 v8, 32, v8
	v_subrev_u32_e32 v9, 29, v8
	v_bfe_u32 v7, v3, 2, 5
	v_lshlrev_b32_e32 v3, v9, v3
	v_sub_u32_e32 v8, 30, v8
	v_and_b32_e32 v3, 3, v3
	v_cmp_eq_u32_e32 vcc, 0, v7
	v_cndmask_b32_e32 v7, v7, v8, vcc
	v_cndmask_b32_e32 v3, v6, v3, vcc
	v_mov_b32_e32 v6, 0x37800000
	v_lshlrev_b32_e32 v3, 21, v3
	v_and_b32_e32 v2, 0x80000000, v2
	v_lshl_add_u32 v6, v7, 23, v6
	v_or3_b32 v2, v2, v6, v3
	v_trunc_f32_e32 v2, v2
	s_mov_b32 s22, 0x2f800000
	v_mul_f32_e64 v3, |v2|, s22
	v_floor_f32_e32 v3, v3
	s_mov_b32 s22, 0xcf800000
	v_fma_f32 v6, v3, s22, |v2|
	v_cvt_u32_f32_e32 v6, v6
	v_cvt_u32_f32_e32 v3, v3
	v_ashrrev_i32_e32 v7, 31, v2
	v_xor_b32_e32 v2, v6, v7
	v_xor_b32_e32 v3, v3, v7
	v_sub_co_u32_e32 v2, vcc, v2, v7
	v_subb_co_u32_e32 v3, vcc, v3, v7, vcc
.LBB54_1266:
	s_or_b64 exec, exec, s[20:21]
	s_mov_b64 s[20:21], 0
	s_branch .LBB54_1270
.LBB54_1267:
	s_mov_b64 s[20:21], -1
                                        ; implicit-def: $vgpr2_vgpr3
	s_branch .LBB54_1276
.LBB54_1268:
	s_mov_b64 s[20:21], -1
                                        ; implicit-def: $vgpr2_vgpr3
	s_branch .LBB54_1273
.LBB54_1269:
	s_mov_b64 s[20:21], -1
                                        ; implicit-def: $vgpr2_vgpr3
.LBB54_1270:
	s_and_b64 vcc, exec, s[20:21]
	s_cbranch_vccz .LBB54_1272
; %bb.1271:
	global_load_ubyte v2, v[0:1], off
	s_mov_b32 s20, 0x7f800000
	s_brev_b32 s21, 1
	s_mov_b32 s22, 0x2f800000
	s_mov_b32 s23, 0xcf800000
	s_waitcnt vmcnt(0)
	v_lshlrev_b32_e32 v2, 24, v2
	v_and_b32_e32 v3, 0x7f000000, v2
	v_ffbh_u32_e32 v6, v3
	v_min_u32_e32 v6, 32, v6
	v_sub_u32_e64 v6, v6, 4 clamp
	v_lshlrev_b32_e32 v8, v6, v3
	v_lshlrev_b32_e32 v6, 23, v6
	v_lshrrev_b32_e32 v8, 4, v8
	v_add_u32_e32 v7, 0x1000000, v3
	v_sub_u32_e32 v6, v8, v6
	v_ashrrev_i32_e32 v7, 8, v7
	v_add_u32_e32 v6, 0x3c000000, v6
	v_and_or_b32 v6, v7, s20, v6
	v_cmp_ne_u32_e32 vcc, 0, v3
	v_cndmask_b32_e32 v3, 0, v6, vcc
	v_and_or_b32 v2, v2, s21, v3
	v_trunc_f32_e32 v2, v2
	v_mul_f32_e64 v3, |v2|, s22
	v_floor_f32_e32 v3, v3
	v_fma_f32 v6, v3, s23, |v2|
	v_cvt_u32_f32_e32 v6, v6
	v_cvt_u32_f32_e32 v3, v3
	v_ashrrev_i32_e32 v7, 31, v2
	v_xor_b32_e32 v2, v6, v7
	v_xor_b32_e32 v3, v3, v7
	v_sub_co_u32_e32 v2, vcc, v2, v7
	v_subb_co_u32_e32 v3, vcc, v3, v7, vcc
.LBB54_1272:
	s_mov_b64 s[20:21], 0
.LBB54_1273:
	s_andn2_b64 vcc, exec, s[20:21]
	s_cbranch_vccnz .LBB54_1275
; %bb.1274:
	global_load_ubyte v2, v[0:1], off
	s_movk_i32 s20, 0x7f00
	s_brev_b32 s21, 16
	s_brev_b32 s22, 1
	s_mov_b32 s23, 0x2f800000
	s_mov_b32 s24, 0xcf800000
	s_waitcnt vmcnt(0)
	v_lshlrev_b16_e32 v3, 8, v2
	v_lshlrev_b32_e32 v2, 25, v2
	v_lshrrev_b32_e32 v6, 4, v2
	v_and_or_b32 v7, v3, s20, 0.5
	v_or_b32_e32 v6, 0x70000000, v6
	v_add_f32_e32 v7, -0.5, v7
	v_mul_f32_e32 v6, 0x7800000, v6
	v_cmp_gt_u32_e32 vcc, s21, v2
	v_bfe_i32 v3, v3, 0, 16
	v_cndmask_b32_e32 v2, v6, v7, vcc
	v_and_or_b32 v2, v3, s22, v2
	v_trunc_f32_e32 v2, v2
	v_mul_f32_e64 v3, |v2|, s23
	v_floor_f32_e32 v3, v3
	v_fma_f32 v6, v3, s24, |v2|
	v_cvt_u32_f32_e32 v6, v6
	v_cvt_u32_f32_e32 v3, v3
	v_ashrrev_i32_e32 v7, 31, v2
	v_xor_b32_e32 v2, v6, v7
	v_xor_b32_e32 v3, v3, v7
	v_sub_co_u32_e32 v2, vcc, v2, v7
	v_subb_co_u32_e32 v3, vcc, v3, v7, vcc
.LBB54_1275:
	s_mov_b64 s[20:21], 0
	s_mov_b64 s[22:23], -1
.LBB54_1276:
	s_andn2_b64 vcc, exec, s[20:21]
	s_mov_b64 s[20:21], 0
	s_cbranch_vccnz .LBB54_1285
; %bb.1277:
	s_cmp_gt_i32 s15, 14
	s_cbranch_scc0 .LBB54_1280
; %bb.1278:
	s_cmp_eq_u32 s15, 15
	s_cbranch_scc0 .LBB54_1281
; %bb.1279:
	global_load_ushort v2, v[0:1], off
	s_mov_b32 s0, 0x2f800000
	s_mov_b32 s1, 0xcf800000
	s_mov_b64 s[22:23], -1
	s_waitcnt vmcnt(0)
	v_lshlrev_b32_e32 v2, 16, v2
	v_trunc_f32_e32 v2, v2
	v_mul_f32_e64 v3, |v2|, s0
	v_floor_f32_e32 v3, v3
	v_fma_f32 v6, v3, s1, |v2|
	v_cvt_u32_f32_e32 v6, v6
	v_cvt_u32_f32_e32 v3, v3
	v_ashrrev_i32_e32 v7, 31, v2
	s_mov_b64 s[0:1], 0
	v_xor_b32_e32 v2, v6, v7
	v_xor_b32_e32 v3, v3, v7
	v_sub_co_u32_e32 v2, vcc, v2, v7
	v_subb_co_u32_e32 v3, vcc, v3, v7, vcc
	s_branch .LBB54_1282
.LBB54_1280:
	s_mov_b64 s[24:25], -1
                                        ; implicit-def: $vgpr2_vgpr3
	s_branch .LBB54_1283
.LBB54_1281:
	s_mov_b64 s[0:1], -1
                                        ; implicit-def: $vgpr2_vgpr3
.LBB54_1282:
	s_mov_b64 s[24:25], 0
.LBB54_1283:
	s_and_b64 vcc, exec, s[24:25]
	s_cbranch_vccz .LBB54_1285
; %bb.1284:
	s_cmp_lg_u32 s15, 11
	s_mov_b64 s[20:21], -1
	s_cselect_b64 s[0:1], -1, 0
.LBB54_1285:
	s_and_b64 vcc, exec, s[0:1]
	s_cbranch_vccnz .LBB54_1364
; %bb.1286:
	s_andn2_b64 vcc, exec, s[20:21]
	s_cbranch_vccnz .LBB54_1288
.LBB54_1287:
	global_load_ubyte v2, v[0:1], off
	s_mov_b32 s0, 0
	s_waitcnt vmcnt(1)
	v_mov_b32_e32 v3, s0
	s_mov_b64 s[22:23], -1
	s_waitcnt vmcnt(0)
	v_cmp_ne_u16_e32 vcc, 0, v2
	v_cndmask_b32_e64 v2, 0, 1, vcc
.LBB54_1288:
	s_branch .LBB54_1219
.LBB54_1289:
	s_cmp_lt_i32 s15, 5
	s_cbranch_scc1 .LBB54_1294
; %bb.1290:
	s_cmp_lt_i32 s15, 8
	s_cbranch_scc1 .LBB54_1295
; %bb.1291:
	;; [unrolled: 3-line block ×3, first 2 shown]
	s_cmp_gt_i32 s15, 9
	s_cbranch_scc0 .LBB54_1297
; %bb.1293:
	global_load_dwordx2 v[2:3], v[0:1], off
	s_movk_i32 s0, 0xffe0
	s_waitcnt vmcnt(0)
	v_trunc_f64_e32 v[2:3], v[2:3]
	v_ldexp_f64 v[6:7], v[2:3], s0
	s_mov_b32 s0, 0
	s_mov_b32 s1, 0xc1f00000
	v_floor_f64_e32 v[6:7], v[6:7]
	v_fma_f64 v[8:9], v[6:7], s[0:1], v[2:3]
	v_cvt_i32_f64_e32 v3, v[6:7]
	s_mov_b64 s[0:1], 0
	v_cvt_u32_f64_e32 v2, v[8:9]
	s_branch .LBB54_1298
.LBB54_1294:
                                        ; implicit-def: $vgpr2_vgpr3
	s_branch .LBB54_1316
.LBB54_1295:
	s_mov_b64 s[0:1], -1
                                        ; implicit-def: $vgpr2_vgpr3
	s_branch .LBB54_1304
.LBB54_1296:
	s_mov_b64 s[0:1], -1
                                        ; implicit-def: $vgpr2_vgpr3
	s_branch .LBB54_1301
.LBB54_1297:
	s_mov_b64 s[0:1], -1
                                        ; implicit-def: $vgpr2_vgpr3
.LBB54_1298:
	s_andn2_b64 vcc, exec, s[0:1]
	s_cbranch_vccnz .LBB54_1300
; %bb.1299:
	global_load_dword v2, v[0:1], off
	s_mov_b32 s0, 0x2f800000
	s_mov_b32 s1, 0xcf800000
	s_waitcnt vmcnt(0)
	v_trunc_f32_e32 v2, v2
	v_mul_f32_e64 v3, |v2|, s0
	v_floor_f32_e32 v3, v3
	v_cvt_u32_f32_e32 v6, v3
	v_fma_f32 v3, v3, s1, |v2|
	v_cvt_u32_f32_e32 v3, v3
	v_ashrrev_i32_e32 v7, 31, v2
	v_xor_b32_e32 v6, v6, v7
	v_xor_b32_e32 v2, v3, v7
	v_sub_co_u32_e32 v2, vcc, v2, v7
	v_subb_co_u32_e32 v3, vcc, v6, v7, vcc
.LBB54_1300:
	s_mov_b64 s[0:1], 0
.LBB54_1301:
	s_andn2_b64 vcc, exec, s[0:1]
	s_cbranch_vccnz .LBB54_1303
; %bb.1302:
	global_load_dword v2, v[0:1], off
	s_waitcnt vmcnt(0)
	v_cvt_f32_f16_e32 v2, v2
	v_cvt_i32_f32_e32 v2, v2
	v_ashrrev_i32_e32 v3, 31, v2
.LBB54_1303:
	s_mov_b64 s[0:1], 0
.LBB54_1304:
	s_andn2_b64 vcc, exec, s[0:1]
	s_cbranch_vccnz .LBB54_1315
; %bb.1305:
	s_cmp_lt_i32 s15, 6
	s_cbranch_scc1 .LBB54_1308
; %bb.1306:
	s_cmp_gt_i32 s15, 6
	s_cbranch_scc0 .LBB54_1309
; %bb.1307:
	global_load_dwordx2 v[2:3], v[0:1], off
	s_movk_i32 s0, 0xffe0
	s_waitcnt vmcnt(0)
	v_trunc_f64_e32 v[2:3], v[2:3]
	v_ldexp_f64 v[6:7], v[2:3], s0
	s_mov_b32 s0, 0
	s_mov_b32 s1, 0xc1f00000
	v_floor_f64_e32 v[6:7], v[6:7]
	v_fma_f64 v[8:9], v[6:7], s[0:1], v[2:3]
	v_cvt_i32_f64_e32 v3, v[6:7]
	s_mov_b64 s[0:1], 0
	v_cvt_u32_f64_e32 v2, v[8:9]
	s_branch .LBB54_1310
.LBB54_1308:
	s_mov_b64 s[0:1], -1
                                        ; implicit-def: $vgpr2_vgpr3
	s_branch .LBB54_1313
.LBB54_1309:
	s_mov_b64 s[0:1], -1
                                        ; implicit-def: $vgpr2_vgpr3
.LBB54_1310:
	s_andn2_b64 vcc, exec, s[0:1]
	s_cbranch_vccnz .LBB54_1312
; %bb.1311:
	global_load_dword v2, v[0:1], off
	s_mov_b32 s0, 0x2f800000
	s_mov_b32 s1, 0xcf800000
	s_waitcnt vmcnt(0)
	v_trunc_f32_e32 v2, v2
	v_mul_f32_e64 v3, |v2|, s0
	v_floor_f32_e32 v3, v3
	v_cvt_u32_f32_e32 v6, v3
	v_fma_f32 v3, v3, s1, |v2|
	v_cvt_u32_f32_e32 v3, v3
	v_ashrrev_i32_e32 v7, 31, v2
	v_xor_b32_e32 v6, v6, v7
	v_xor_b32_e32 v2, v3, v7
	v_sub_co_u32_e32 v2, vcc, v2, v7
	v_subb_co_u32_e32 v3, vcc, v6, v7, vcc
.LBB54_1312:
	s_mov_b64 s[0:1], 0
.LBB54_1313:
	s_andn2_b64 vcc, exec, s[0:1]
	s_cbranch_vccnz .LBB54_1315
; %bb.1314:
	global_load_ushort v2, v[0:1], off
	s_waitcnt vmcnt(0)
	v_cvt_f32_f16_e32 v2, v2
	v_cvt_i32_f32_e32 v2, v2
	v_ashrrev_i32_e32 v3, 31, v2
.LBB54_1315:
	s_cbranch_execnz .LBB54_1335
.LBB54_1316:
	s_cmp_lt_i32 s15, 2
	s_cbranch_scc1 .LBB54_1320
; %bb.1317:
	s_cmp_lt_i32 s15, 3
	s_cbranch_scc1 .LBB54_1321
; %bb.1318:
	s_cmp_gt_i32 s15, 3
	s_cbranch_scc0 .LBB54_1322
; %bb.1319:
	global_load_dwordx2 v[2:3], v[0:1], off
	s_mov_b64 s[0:1], 0
	s_branch .LBB54_1323
.LBB54_1320:
	s_mov_b64 s[0:1], -1
                                        ; implicit-def: $vgpr2_vgpr3
	s_branch .LBB54_1329
.LBB54_1321:
	s_mov_b64 s[0:1], -1
                                        ; implicit-def: $vgpr2_vgpr3
	s_branch .LBB54_1326
.LBB54_1322:
	s_mov_b64 s[0:1], -1
                                        ; implicit-def: $vgpr2_vgpr3
.LBB54_1323:
	s_andn2_b64 vcc, exec, s[0:1]
	s_cbranch_vccnz .LBB54_1325
; %bb.1324:
	global_load_dword v2, v[0:1], off
	s_waitcnt vmcnt(0)
	v_ashrrev_i32_e32 v3, 31, v2
.LBB54_1325:
	s_mov_b64 s[0:1], 0
.LBB54_1326:
	s_andn2_b64 vcc, exec, s[0:1]
	s_cbranch_vccnz .LBB54_1328
; %bb.1327:
	global_load_ushort v2, v[0:1], off
	s_waitcnt vmcnt(0)
	v_bfe_i32 v2, v2, 0, 16
	v_ashrrev_i32_e32 v3, 31, v2
.LBB54_1328:
	s_mov_b64 s[0:1], 0
.LBB54_1329:
	s_andn2_b64 vcc, exec, s[0:1]
	s_cbranch_vccnz .LBB54_1335
; %bb.1330:
	s_cmp_gt_i32 s15, 0
	s_cbranch_scc0 .LBB54_1332
; %bb.1331:
	global_load_sbyte v2, v[0:1], off
	s_mov_b64 s[0:1], 0
	s_waitcnt vmcnt(0)
	v_bfe_i32 v2, v2, 0, 16
	v_ashrrev_i32_e32 v3, 31, v2
	s_branch .LBB54_1333
.LBB54_1332:
	s_mov_b64 s[0:1], -1
                                        ; implicit-def: $vgpr2_vgpr3
.LBB54_1333:
	s_andn2_b64 vcc, exec, s[0:1]
	s_cbranch_vccnz .LBB54_1335
; %bb.1334:
	global_load_ubyte v0, v[0:1], off
	s_mov_b32 s0, 0
	s_waitcnt vmcnt(1)
	v_mov_b32_e32 v3, s0
	s_waitcnt vmcnt(0)
	v_and_b32_e32 v2, 0xffff, v0
.LBB54_1335:
.LBB54_1336:
	s_cmp_lt_i32 s14, 1
	s_mov_b64 s[0:1], 0
	s_cbranch_scc1 .LBB54_1340
; %bb.1337:
	s_cmp_gt_i32 s14, 1
	s_cbranch_scc0 .LBB54_1341
; %bb.1338:
	s_cmp_eq_u32 s14, 2
	s_cbranch_scc0 .LBB54_1342
; %bb.1339:
	s_waitcnt vmcnt(0)
	v_cmp_ge_i64_e64 s[20:21], s[2:3], v[2:3]
	s_mov_b64 s[22:23], 0
	s_branch .LBB54_1343
.LBB54_1340:
                                        ; implicit-def: $sgpr20_sgpr21
	s_mov_b64 s[22:23], 0
	s_cbranch_execnz .LBB54_1347
	s_branch .LBB54_1348
.LBB54_1341:
	s_mov_b64 s[24:25], -1
	s_mov_b64 s[22:23], 0
                                        ; implicit-def: $sgpr20_sgpr21
	s_branch .LBB54_1344
.LBB54_1342:
	s_mov_b64 s[22:23], -1
                                        ; implicit-def: $sgpr20_sgpr21
.LBB54_1343:
	s_mov_b64 s[24:25], 0
.LBB54_1344:
	s_and_b64 vcc, exec, s[24:25]
	s_cbranch_vccz .LBB54_1346
; %bb.1345:
	s_waitcnt vmcnt(0)
	v_cmp_lt_i64_e32 vcc, s[2:3], v[2:3]
	s_andn2_b64 s[20:21], s[20:21], exec
	s_and_b64 s[24:25], vcc, exec
	s_or_b64 s[20:21], s[20:21], s[24:25]
.LBB54_1346:
	s_branch .LBB54_1348
.LBB54_1347:
	s_cmp_lg_u32 s14, 0
	s_mov_b64 s[0:1], -1
	s_cselect_b64 s[22:23], -1, 0
.LBB54_1348:
	s_andn2_b64 vcc, exec, s[22:23]
	s_cbranch_vccnz .LBB54_1350
; %bb.1349:
	s_waitcnt vmcnt(0)
	v_cmp_gt_i64_e32 vcc, s[2:3], v[2:3]
	s_andn2_b64 s[20:21], s[20:21], exec
	s_and_b64 s[22:23], vcc, exec
	s_or_b64 s[20:21], s[20:21], s[22:23]
	s_cbranch_execz .LBB54_1351
	s_branch .LBB54_1352
.LBB54_1350:
	s_andn2_b64 vcc, exec, s[0:1]
	s_cbranch_vccnz .LBB54_1352
.LBB54_1351:
	s_waitcnt vmcnt(0)
	v_cmp_le_i64_e32 vcc, s[2:3], v[2:3]
	s_andn2_b64 s[0:1], s[20:21], exec
	s_and_b64 s[20:21], vcc, exec
	s_or_b64 s[20:21], s[0:1], s[20:21]
.LBB54_1352:
	v_add_u32_e32 v5, s13, v5
	v_ashrrev_i32_e32 v1, 31, v5
	s_waitcnt vmcnt(0)
	v_mov_b32_e32 v2, s11
	v_add_co_u32_e32 v0, vcc, s10, v5
	s_cmp_lt_i32 s15, 11
	v_addc_co_u32_e32 v1, vcc, v2, v1, vcc
	s_cbranch_scc1 .LBB54_1359
; %bb.1353:
	s_cmp_gt_i32 s15, 25
	s_mov_b64 s[22:23], 0
	s_cbranch_scc0 .LBB54_1361
; %bb.1354:
	s_cmp_gt_i32 s15, 28
	s_cbranch_scc0 .LBB54_1362
; %bb.1355:
	s_cmp_gt_i32 s15, 43
	;; [unrolled: 3-line block ×3, first 2 shown]
	s_cbranch_scc0 .LBB54_1365
; %bb.1357:
	s_cmp_eq_u32 s15, 46
	s_mov_b64 s[26:27], 0
	s_cbranch_scc0 .LBB54_1366
; %bb.1358:
	global_load_dword v2, v[0:1], off
	s_mov_b32 s0, 0x2f800000
	s_mov_b32 s1, 0xcf800000
	s_mov_b64 s[24:25], -1
	s_waitcnt vmcnt(0)
	v_lshlrev_b32_e32 v2, 16, v2
	v_trunc_f32_e32 v2, v2
	v_mul_f32_e64 v3, |v2|, s0
	v_floor_f32_e32 v3, v3
	v_fma_f32 v6, v3, s1, |v2|
	v_cvt_u32_f32_e32 v6, v6
	v_cvt_u32_f32_e32 v3, v3
	v_ashrrev_i32_e32 v7, 31, v2
	s_mov_b64 s[0:1], 0
	v_xor_b32_e32 v2, v6, v7
	v_xor_b32_e32 v3, v3, v7
	v_sub_co_u32_e32 v2, vcc, v2, v7
	v_subb_co_u32_e32 v3, vcc, v3, v7, vcc
	s_branch .LBB54_1367
.LBB54_1359:
	s_mov_b64 s[24:25], 0
                                        ; implicit-def: $vgpr2_vgpr3
	s_cbranch_execnz .LBB54_1429
.LBB54_1360:
	s_andn2_b64 vcc, exec, s[24:25]
	s_cbranch_vccnz .LBB54_1623
	s_branch .LBB54_1477
.LBB54_1361:
	s_mov_b64 s[26:27], -1
	s_mov_b64 s[24:25], 0
	s_mov_b64 s[0:1], 0
                                        ; implicit-def: $vgpr2_vgpr3
	s_branch .LBB54_1396
.LBB54_1362:
	s_mov_b64 s[26:27], -1
	s_mov_b64 s[24:25], 0
	s_mov_b64 s[0:1], 0
                                        ; implicit-def: $vgpr2_vgpr3
	s_branch .LBB54_1377
.LBB54_1363:
	s_mov_b64 s[26:27], -1
	s_mov_b64 s[24:25], 0
	s_mov_b64 s[0:1], 0
                                        ; implicit-def: $vgpr2_vgpr3
	s_branch .LBB54_1372
.LBB54_1364:
	s_trap 2
	s_or_b64 s[18:19], s[18:19], exec
	s_cbranch_execz .LBB54_1287
	s_branch .LBB54_1288
.LBB54_1365:
	s_mov_b64 s[26:27], -1
	s_mov_b64 s[24:25], 0
	s_mov_b64 s[0:1], 0
                                        ; implicit-def: $vgpr2_vgpr3
	s_branch .LBB54_1367
.LBB54_1366:
	s_mov_b64 s[0:1], -1
                                        ; implicit-def: $vgpr2_vgpr3
	s_mov_b64 s[24:25], 0
.LBB54_1367:
	s_and_b64 vcc, exec, s[26:27]
	s_cbranch_vccz .LBB54_1371
; %bb.1368:
	s_cmp_eq_u32 s15, 44
	s_cbranch_scc0 .LBB54_1370
; %bb.1369:
	global_load_ubyte v2, v[0:1], off
	s_mov_b32 s0, 0x2f800000
	s_mov_b32 s1, 0xcf800000
	s_mov_b64 s[24:25], -1
	s_waitcnt vmcnt(0)
	v_lshlrev_b32_e32 v3, 23, v2
	v_trunc_f32_e32 v3, v3
	v_mul_f32_e64 v6, |v3|, s0
	v_floor_f32_e32 v6, v6
	v_fma_f32 v7, v6, s1, |v3|
	v_cvt_u32_f32_e32 v7, v7
	v_cvt_u32_f32_e32 v6, v6
	v_ashrrev_i32_e32 v3, 31, v3
	s_mov_b64 s[0:1], 0
	v_xor_b32_e32 v7, v7, v3
	v_xor_b32_e32 v6, v6, v3
	v_sub_co_u32_e32 v7, vcc, v7, v3
	v_subb_co_u32_e32 v3, vcc, v6, v3, vcc
	v_cmp_ne_u32_e32 vcc, 0, v2
	v_cndmask_b32_e32 v3, 0, v3, vcc
	v_cndmask_b32_e32 v2, 0, v7, vcc
	s_branch .LBB54_1371
.LBB54_1370:
	s_mov_b64 s[0:1], -1
                                        ; implicit-def: $vgpr2_vgpr3
.LBB54_1371:
	s_mov_b64 s[26:27], 0
.LBB54_1372:
	s_and_b64 vcc, exec, s[26:27]
	s_cbranch_vccz .LBB54_1376
; %bb.1373:
	s_cmp_eq_u32 s15, 29
	s_cbranch_scc0 .LBB54_1375
; %bb.1374:
	global_load_dwordx2 v[2:3], v[0:1], off
	s_mov_b64 s[0:1], 0
	s_mov_b64 s[24:25], -1
	s_branch .LBB54_1376
.LBB54_1375:
	s_mov_b64 s[0:1], -1
                                        ; implicit-def: $vgpr2_vgpr3
.LBB54_1376:
	s_mov_b64 s[26:27], 0
.LBB54_1377:
	s_and_b64 vcc, exec, s[26:27]
	s_cbranch_vccz .LBB54_1395
; %bb.1378:
	s_cmp_lt_i32 s15, 27
	s_cbranch_scc1 .LBB54_1381
; %bb.1379:
	s_cmp_gt_i32 s15, 27
	s_cbranch_scc0 .LBB54_1382
; %bb.1380:
	global_load_dword v2, v[0:1], off
	s_waitcnt vmcnt(1)
	v_mov_b32_e32 v3, 0
	s_mov_b64 s[24:25], 0
	s_branch .LBB54_1383
.LBB54_1381:
	s_mov_b64 s[24:25], -1
                                        ; implicit-def: $vgpr2_vgpr3
	s_branch .LBB54_1386
.LBB54_1382:
	s_mov_b64 s[24:25], -1
                                        ; implicit-def: $vgpr2_vgpr3
.LBB54_1383:
	s_andn2_b64 vcc, exec, s[24:25]
	s_cbranch_vccnz .LBB54_1385
; %bb.1384:
	global_load_ushort v2, v[0:1], off
	s_mov_b32 s24, 0
	s_waitcnt vmcnt(1)
	v_mov_b32_e32 v3, s24
	s_waitcnt vmcnt(0)
	v_and_b32_e32 v2, 0xffff, v2
.LBB54_1385:
	s_mov_b64 s[24:25], 0
.LBB54_1386:
	s_andn2_b64 vcc, exec, s[24:25]
	s_cbranch_vccnz .LBB54_1394
; %bb.1387:
	global_load_ubyte v6, v[0:1], off
	s_movk_i32 s24, 0x7f
	s_mov_b64 s[26:27], 0
	s_waitcnt vmcnt(0)
	v_cmp_lt_i16_e32 vcc, s24, v6
	s_and_saveexec_b64 s[24:25], vcc
	s_xor_b64 s[24:25], exec, s[24:25]
; %bb.1388:
	s_movk_i32 s26, 0x80
	v_cmp_ne_u16_e32 vcc, s26, v6
	s_and_b64 s[26:27], vcc, exec
; %bb.1389:
	s_andn2_saveexec_b64 s[24:25], s[24:25]
; %bb.1390:
	v_cmp_ne_u16_e32 vcc, 0, v6
	s_andn2_b64 s[26:27], s[26:27], exec
	s_and_b64 s[28:29], vcc, exec
	s_or_b64 s[26:27], s[26:27], s[28:29]
; %bb.1391:
	s_or_b64 exec, exec, s[24:25]
	v_mov_b32_e32 v2, 0
	v_mov_b32_e32 v3, 0
	s_and_saveexec_b64 s[24:25], s[26:27]
	s_cbranch_execz .LBB54_1393
; %bb.1392:
	v_and_b32_e32 v3, 0xffff, v6
	v_lshlrev_b32_e32 v2, 24, v6
	v_and_b32_e32 v6, 7, v3
	v_ffbh_u32_e32 v8, v6
	v_min_u32_e32 v8, 32, v8
	v_subrev_u32_e32 v9, 28, v8
	v_bfe_u32 v7, v3, 3, 4
	v_lshlrev_b32_e32 v3, v9, v3
	v_sub_u32_e32 v8, 29, v8
	v_and_b32_e32 v3, 7, v3
	v_cmp_eq_u32_e32 vcc, 0, v7
	v_cndmask_b32_e32 v7, v7, v8, vcc
	v_cndmask_b32_e32 v3, v6, v3, vcc
	v_mov_b32_e32 v6, 0x3b800000
	v_lshlrev_b32_e32 v3, 20, v3
	v_and_b32_e32 v2, 0x80000000, v2
	v_lshl_add_u32 v6, v7, 23, v6
	v_or3_b32 v2, v2, v6, v3
	v_trunc_f32_e32 v2, v2
	s_mov_b32 s26, 0x2f800000
	v_mul_f32_e64 v3, |v2|, s26
	v_floor_f32_e32 v3, v3
	s_mov_b32 s26, 0xcf800000
	v_fma_f32 v6, v3, s26, |v2|
	v_cvt_u32_f32_e32 v6, v6
	v_cvt_u32_f32_e32 v3, v3
	v_ashrrev_i32_e32 v7, 31, v2
	v_xor_b32_e32 v2, v6, v7
	v_xor_b32_e32 v3, v3, v7
	v_sub_co_u32_e32 v2, vcc, v2, v7
	v_subb_co_u32_e32 v3, vcc, v3, v7, vcc
.LBB54_1393:
	s_or_b64 exec, exec, s[24:25]
.LBB54_1394:
	s_mov_b64 s[24:25], -1
.LBB54_1395:
	s_mov_b64 s[26:27], 0
.LBB54_1396:
	s_and_b64 vcc, exec, s[26:27]
	s_cbranch_vccz .LBB54_1425
; %bb.1397:
	s_cmp_gt_i32 s15, 22
	s_cbranch_scc0 .LBB54_1407
; %bb.1398:
	s_cmp_lt_i32 s15, 24
	s_cbranch_scc1 .LBB54_1408
; %bb.1399:
	s_cmp_gt_i32 s15, 24
	s_cbranch_scc0 .LBB54_1409
; %bb.1400:
	global_load_ubyte v6, v[0:1], off
	s_movk_i32 s22, 0x7f
	s_mov_b64 s[24:25], 0
	s_waitcnt vmcnt(0)
	v_cmp_lt_i16_e32 vcc, s22, v6
	s_and_saveexec_b64 s[22:23], vcc
	s_xor_b64 s[22:23], exec, s[22:23]
; %bb.1401:
	s_movk_i32 s24, 0x80
	v_cmp_ne_u16_e32 vcc, s24, v6
	s_and_b64 s[24:25], vcc, exec
; %bb.1402:
	s_andn2_saveexec_b64 s[22:23], s[22:23]
; %bb.1403:
	v_cmp_ne_u16_e32 vcc, 0, v6
	s_andn2_b64 s[24:25], s[24:25], exec
	s_and_b64 s[26:27], vcc, exec
	s_or_b64 s[24:25], s[24:25], s[26:27]
; %bb.1404:
	s_or_b64 exec, exec, s[22:23]
	v_mov_b32_e32 v2, 0
	v_mov_b32_e32 v3, 0
	s_and_saveexec_b64 s[22:23], s[24:25]
	s_cbranch_execz .LBB54_1406
; %bb.1405:
	v_and_b32_e32 v3, 0xffff, v6
	v_lshlrev_b32_e32 v2, 24, v6
	v_and_b32_e32 v6, 3, v3
	v_ffbh_u32_e32 v8, v6
	v_min_u32_e32 v8, 32, v8
	v_subrev_u32_e32 v9, 29, v8
	v_bfe_u32 v7, v3, 2, 5
	v_lshlrev_b32_e32 v3, v9, v3
	v_sub_u32_e32 v8, 30, v8
	v_and_b32_e32 v3, 3, v3
	v_cmp_eq_u32_e32 vcc, 0, v7
	v_cndmask_b32_e32 v7, v7, v8, vcc
	v_cndmask_b32_e32 v3, v6, v3, vcc
	v_mov_b32_e32 v6, 0x37800000
	v_lshlrev_b32_e32 v3, 21, v3
	v_and_b32_e32 v2, 0x80000000, v2
	v_lshl_add_u32 v6, v7, 23, v6
	v_or3_b32 v2, v2, v6, v3
	v_trunc_f32_e32 v2, v2
	s_mov_b32 s24, 0x2f800000
	v_mul_f32_e64 v3, |v2|, s24
	v_floor_f32_e32 v3, v3
	s_mov_b32 s24, 0xcf800000
	v_fma_f32 v6, v3, s24, |v2|
	v_cvt_u32_f32_e32 v6, v6
	v_cvt_u32_f32_e32 v3, v3
	v_ashrrev_i32_e32 v7, 31, v2
	v_xor_b32_e32 v2, v6, v7
	v_xor_b32_e32 v3, v3, v7
	v_sub_co_u32_e32 v2, vcc, v2, v7
	v_subb_co_u32_e32 v3, vcc, v3, v7, vcc
.LBB54_1406:
	s_or_b64 exec, exec, s[22:23]
	s_mov_b64 s[22:23], 0
	s_branch .LBB54_1410
.LBB54_1407:
	s_mov_b64 s[22:23], -1
                                        ; implicit-def: $vgpr2_vgpr3
	s_branch .LBB54_1416
.LBB54_1408:
	s_mov_b64 s[22:23], -1
                                        ; implicit-def: $vgpr2_vgpr3
	s_branch .LBB54_1413
.LBB54_1409:
	s_mov_b64 s[22:23], -1
                                        ; implicit-def: $vgpr2_vgpr3
.LBB54_1410:
	s_and_b64 vcc, exec, s[22:23]
	s_cbranch_vccz .LBB54_1412
; %bb.1411:
	global_load_ubyte v2, v[0:1], off
	s_mov_b32 s22, 0x7f800000
	s_brev_b32 s23, 1
	s_mov_b32 s24, 0x2f800000
	s_mov_b32 s25, 0xcf800000
	s_waitcnt vmcnt(0)
	v_lshlrev_b32_e32 v2, 24, v2
	v_and_b32_e32 v3, 0x7f000000, v2
	v_ffbh_u32_e32 v6, v3
	v_min_u32_e32 v6, 32, v6
	v_sub_u32_e64 v6, v6, 4 clamp
	v_lshlrev_b32_e32 v8, v6, v3
	v_lshlrev_b32_e32 v6, 23, v6
	v_lshrrev_b32_e32 v8, 4, v8
	v_add_u32_e32 v7, 0x1000000, v3
	v_sub_u32_e32 v6, v8, v6
	v_ashrrev_i32_e32 v7, 8, v7
	v_add_u32_e32 v6, 0x3c000000, v6
	v_and_or_b32 v6, v7, s22, v6
	v_cmp_ne_u32_e32 vcc, 0, v3
	v_cndmask_b32_e32 v3, 0, v6, vcc
	v_and_or_b32 v2, v2, s23, v3
	v_trunc_f32_e32 v2, v2
	v_mul_f32_e64 v3, |v2|, s24
	v_floor_f32_e32 v3, v3
	v_fma_f32 v6, v3, s25, |v2|
	v_cvt_u32_f32_e32 v6, v6
	v_cvt_u32_f32_e32 v3, v3
	v_ashrrev_i32_e32 v7, 31, v2
	v_xor_b32_e32 v2, v6, v7
	v_xor_b32_e32 v3, v3, v7
	v_sub_co_u32_e32 v2, vcc, v2, v7
	v_subb_co_u32_e32 v3, vcc, v3, v7, vcc
.LBB54_1412:
	s_mov_b64 s[22:23], 0
.LBB54_1413:
	s_andn2_b64 vcc, exec, s[22:23]
	s_cbranch_vccnz .LBB54_1415
; %bb.1414:
	global_load_ubyte v2, v[0:1], off
	s_movk_i32 s22, 0x7f00
	s_brev_b32 s23, 16
	s_brev_b32 s24, 1
	s_mov_b32 s25, 0x2f800000
	s_mov_b32 s26, 0xcf800000
	s_waitcnt vmcnt(0)
	v_lshlrev_b16_e32 v3, 8, v2
	v_lshlrev_b32_e32 v2, 25, v2
	v_lshrrev_b32_e32 v6, 4, v2
	v_and_or_b32 v7, v3, s22, 0.5
	v_or_b32_e32 v6, 0x70000000, v6
	v_add_f32_e32 v7, -0.5, v7
	v_mul_f32_e32 v6, 0x7800000, v6
	v_cmp_gt_u32_e32 vcc, s23, v2
	v_bfe_i32 v3, v3, 0, 16
	v_cndmask_b32_e32 v2, v6, v7, vcc
	v_and_or_b32 v2, v3, s24, v2
	v_trunc_f32_e32 v2, v2
	v_mul_f32_e64 v3, |v2|, s25
	v_floor_f32_e32 v3, v3
	v_fma_f32 v6, v3, s26, |v2|
	v_cvt_u32_f32_e32 v6, v6
	v_cvt_u32_f32_e32 v3, v3
	v_ashrrev_i32_e32 v7, 31, v2
	v_xor_b32_e32 v2, v6, v7
	v_xor_b32_e32 v3, v3, v7
	v_sub_co_u32_e32 v2, vcc, v2, v7
	v_subb_co_u32_e32 v3, vcc, v3, v7, vcc
.LBB54_1415:
	s_mov_b64 s[22:23], 0
	s_mov_b64 s[24:25], -1
.LBB54_1416:
	s_andn2_b64 vcc, exec, s[22:23]
	s_mov_b64 s[22:23], 0
	s_cbranch_vccnz .LBB54_1425
; %bb.1417:
	s_cmp_gt_i32 s15, 14
	s_cbranch_scc0 .LBB54_1420
; %bb.1418:
	s_cmp_eq_u32 s15, 15
	s_cbranch_scc0 .LBB54_1421
; %bb.1419:
	global_load_ushort v2, v[0:1], off
	s_mov_b32 s0, 0x2f800000
	s_mov_b32 s1, 0xcf800000
	s_mov_b64 s[24:25], -1
	s_waitcnt vmcnt(0)
	v_lshlrev_b32_e32 v2, 16, v2
	v_trunc_f32_e32 v2, v2
	v_mul_f32_e64 v3, |v2|, s0
	v_floor_f32_e32 v3, v3
	v_fma_f32 v6, v3, s1, |v2|
	v_cvt_u32_f32_e32 v6, v6
	v_cvt_u32_f32_e32 v3, v3
	v_ashrrev_i32_e32 v7, 31, v2
	s_mov_b64 s[0:1], 0
	v_xor_b32_e32 v2, v6, v7
	v_xor_b32_e32 v3, v3, v7
	v_sub_co_u32_e32 v2, vcc, v2, v7
	v_subb_co_u32_e32 v3, vcc, v3, v7, vcc
	s_branch .LBB54_1422
.LBB54_1420:
	s_mov_b64 s[26:27], -1
                                        ; implicit-def: $vgpr2_vgpr3
	s_branch .LBB54_1423
.LBB54_1421:
	s_mov_b64 s[0:1], -1
                                        ; implicit-def: $vgpr2_vgpr3
.LBB54_1422:
	s_mov_b64 s[26:27], 0
.LBB54_1423:
	s_and_b64 vcc, exec, s[26:27]
	s_cbranch_vccz .LBB54_1425
; %bb.1424:
	s_cmp_lg_u32 s15, 11
	s_mov_b64 s[22:23], -1
	s_cselect_b64 s[0:1], -1, 0
.LBB54_1425:
	s_and_b64 vcc, exec, s[0:1]
	s_cbranch_vccnz .LBB54_1504
; %bb.1426:
	s_andn2_b64 vcc, exec, s[22:23]
	s_cbranch_vccnz .LBB54_1428
.LBB54_1427:
	global_load_ubyte v2, v[0:1], off
	s_mov_b32 s0, 0
	s_waitcnt vmcnt(1)
	v_mov_b32_e32 v3, s0
	s_mov_b64 s[24:25], -1
	s_waitcnt vmcnt(0)
	v_cmp_ne_u16_e32 vcc, 0, v2
	v_cndmask_b32_e64 v2, 0, 1, vcc
.LBB54_1428:
	s_branch .LBB54_1360
.LBB54_1429:
	s_cmp_lt_i32 s15, 5
	s_cbranch_scc1 .LBB54_1434
; %bb.1430:
	s_cmp_lt_i32 s15, 8
	s_cbranch_scc1 .LBB54_1435
; %bb.1431:
	;; [unrolled: 3-line block ×3, first 2 shown]
	s_cmp_gt_i32 s15, 9
	s_cbranch_scc0 .LBB54_1437
; %bb.1433:
	global_load_dwordx2 v[2:3], v[0:1], off
	s_movk_i32 s0, 0xffe0
	s_waitcnt vmcnt(0)
	v_trunc_f64_e32 v[2:3], v[2:3]
	v_ldexp_f64 v[6:7], v[2:3], s0
	s_mov_b32 s0, 0
	s_mov_b32 s1, 0xc1f00000
	v_floor_f64_e32 v[6:7], v[6:7]
	v_fma_f64 v[8:9], v[6:7], s[0:1], v[2:3]
	v_cvt_i32_f64_e32 v3, v[6:7]
	s_mov_b64 s[0:1], 0
	v_cvt_u32_f64_e32 v2, v[8:9]
	s_branch .LBB54_1438
.LBB54_1434:
	s_mov_b64 s[0:1], -1
                                        ; implicit-def: $vgpr2_vgpr3
	s_branch .LBB54_1456
.LBB54_1435:
	s_mov_b64 s[0:1], -1
                                        ; implicit-def: $vgpr2_vgpr3
	s_branch .LBB54_1444
.LBB54_1436:
	s_mov_b64 s[0:1], -1
                                        ; implicit-def: $vgpr2_vgpr3
	s_branch .LBB54_1441
.LBB54_1437:
	s_mov_b64 s[0:1], -1
                                        ; implicit-def: $vgpr2_vgpr3
.LBB54_1438:
	s_andn2_b64 vcc, exec, s[0:1]
	s_cbranch_vccnz .LBB54_1440
; %bb.1439:
	global_load_dword v2, v[0:1], off
	s_mov_b32 s0, 0x2f800000
	s_mov_b32 s1, 0xcf800000
	s_waitcnt vmcnt(0)
	v_trunc_f32_e32 v2, v2
	v_mul_f32_e64 v3, |v2|, s0
	v_floor_f32_e32 v3, v3
	v_cvt_u32_f32_e32 v6, v3
	v_fma_f32 v3, v3, s1, |v2|
	v_cvt_u32_f32_e32 v3, v3
	v_ashrrev_i32_e32 v7, 31, v2
	v_xor_b32_e32 v6, v6, v7
	v_xor_b32_e32 v2, v3, v7
	v_sub_co_u32_e32 v2, vcc, v2, v7
	v_subb_co_u32_e32 v3, vcc, v6, v7, vcc
.LBB54_1440:
	s_mov_b64 s[0:1], 0
.LBB54_1441:
	s_andn2_b64 vcc, exec, s[0:1]
	s_cbranch_vccnz .LBB54_1443
; %bb.1442:
	global_load_dword v2, v[0:1], off
	s_waitcnt vmcnt(0)
	v_cvt_f32_f16_e32 v2, v2
	v_cvt_i32_f32_e32 v2, v2
	v_ashrrev_i32_e32 v3, 31, v2
.LBB54_1443:
	s_mov_b64 s[0:1], 0
.LBB54_1444:
	s_andn2_b64 vcc, exec, s[0:1]
	s_cbranch_vccnz .LBB54_1455
; %bb.1445:
	s_cmp_lt_i32 s15, 6
	s_cbranch_scc1 .LBB54_1448
; %bb.1446:
	s_cmp_gt_i32 s15, 6
	s_cbranch_scc0 .LBB54_1449
; %bb.1447:
	global_load_dwordx2 v[2:3], v[0:1], off
	s_movk_i32 s0, 0xffe0
	s_waitcnt vmcnt(0)
	v_trunc_f64_e32 v[2:3], v[2:3]
	v_ldexp_f64 v[6:7], v[2:3], s0
	s_mov_b32 s0, 0
	s_mov_b32 s1, 0xc1f00000
	v_floor_f64_e32 v[6:7], v[6:7]
	v_fma_f64 v[8:9], v[6:7], s[0:1], v[2:3]
	v_cvt_i32_f64_e32 v3, v[6:7]
	s_mov_b64 s[0:1], 0
	v_cvt_u32_f64_e32 v2, v[8:9]
	s_branch .LBB54_1450
.LBB54_1448:
	s_mov_b64 s[0:1], -1
                                        ; implicit-def: $vgpr2_vgpr3
	s_branch .LBB54_1453
.LBB54_1449:
	s_mov_b64 s[0:1], -1
                                        ; implicit-def: $vgpr2_vgpr3
.LBB54_1450:
	s_andn2_b64 vcc, exec, s[0:1]
	s_cbranch_vccnz .LBB54_1452
; %bb.1451:
	global_load_dword v2, v[0:1], off
	s_mov_b32 s0, 0x2f800000
	s_mov_b32 s1, 0xcf800000
	s_waitcnt vmcnt(0)
	v_trunc_f32_e32 v2, v2
	v_mul_f32_e64 v3, |v2|, s0
	v_floor_f32_e32 v3, v3
	v_cvt_u32_f32_e32 v6, v3
	v_fma_f32 v3, v3, s1, |v2|
	v_cvt_u32_f32_e32 v3, v3
	v_ashrrev_i32_e32 v7, 31, v2
	v_xor_b32_e32 v6, v6, v7
	v_xor_b32_e32 v2, v3, v7
	v_sub_co_u32_e32 v2, vcc, v2, v7
	v_subb_co_u32_e32 v3, vcc, v6, v7, vcc
.LBB54_1452:
	s_mov_b64 s[0:1], 0
.LBB54_1453:
	s_andn2_b64 vcc, exec, s[0:1]
	s_cbranch_vccnz .LBB54_1455
; %bb.1454:
	global_load_ushort v2, v[0:1], off
	s_waitcnt vmcnt(0)
	v_cvt_f32_f16_e32 v2, v2
	v_cvt_i32_f32_e32 v2, v2
	v_ashrrev_i32_e32 v3, 31, v2
.LBB54_1455:
	s_mov_b64 s[0:1], 0
.LBB54_1456:
	s_andn2_b64 vcc, exec, s[0:1]
	s_cbranch_vccnz .LBB54_1476
; %bb.1457:
	s_cmp_lt_i32 s15, 2
	s_cbranch_scc1 .LBB54_1461
; %bb.1458:
	s_cmp_lt_i32 s15, 3
	s_cbranch_scc1 .LBB54_1462
; %bb.1459:
	s_cmp_gt_i32 s15, 3
	s_cbranch_scc0 .LBB54_1463
; %bb.1460:
	global_load_dwordx2 v[2:3], v[0:1], off
	s_mov_b64 s[0:1], 0
	s_branch .LBB54_1464
.LBB54_1461:
	s_mov_b64 s[0:1], -1
                                        ; implicit-def: $vgpr2_vgpr3
	s_branch .LBB54_1470
.LBB54_1462:
	s_mov_b64 s[0:1], -1
                                        ; implicit-def: $vgpr2_vgpr3
	s_branch .LBB54_1467
.LBB54_1463:
	s_mov_b64 s[0:1], -1
                                        ; implicit-def: $vgpr2_vgpr3
.LBB54_1464:
	s_andn2_b64 vcc, exec, s[0:1]
	s_cbranch_vccnz .LBB54_1466
; %bb.1465:
	global_load_dword v2, v[0:1], off
	s_waitcnt vmcnt(0)
	v_ashrrev_i32_e32 v3, 31, v2
.LBB54_1466:
	s_mov_b64 s[0:1], 0
.LBB54_1467:
	s_andn2_b64 vcc, exec, s[0:1]
	s_cbranch_vccnz .LBB54_1469
; %bb.1468:
	global_load_ushort v2, v[0:1], off
	s_waitcnt vmcnt(0)
	v_bfe_i32 v2, v2, 0, 16
	v_ashrrev_i32_e32 v3, 31, v2
.LBB54_1469:
	s_mov_b64 s[0:1], 0
.LBB54_1470:
	s_andn2_b64 vcc, exec, s[0:1]
	s_cbranch_vccnz .LBB54_1476
; %bb.1471:
	s_cmp_gt_i32 s15, 0
	s_cbranch_scc0 .LBB54_1473
; %bb.1472:
	global_load_sbyte v2, v[0:1], off
	s_mov_b64 s[0:1], 0
	s_waitcnt vmcnt(0)
	v_bfe_i32 v2, v2, 0, 16
	v_ashrrev_i32_e32 v3, 31, v2
	s_branch .LBB54_1474
.LBB54_1473:
	s_mov_b64 s[0:1], -1
                                        ; implicit-def: $vgpr2_vgpr3
.LBB54_1474:
	s_andn2_b64 vcc, exec, s[0:1]
	s_cbranch_vccnz .LBB54_1476
; %bb.1475:
	global_load_ubyte v0, v[0:1], off
	s_mov_b32 s0, 0
	s_waitcnt vmcnt(1)
	v_mov_b32_e32 v3, s0
	s_waitcnt vmcnt(0)
	v_and_b32_e32 v2, 0xffff, v0
.LBB54_1476:
.LBB54_1477:
	s_cmp_lt_i32 s14, 1
	s_mov_b64 s[0:1], 0
	s_cbranch_scc1 .LBB54_1481
; %bb.1478:
	s_cmp_gt_i32 s14, 1
	s_cbranch_scc0 .LBB54_1484
; %bb.1479:
	s_cmp_eq_u32 s14, 2
	s_cbranch_scc0 .LBB54_1485
; %bb.1480:
	s_waitcnt vmcnt(0)
	v_cmp_ge_i64_e64 s[22:23], s[2:3], v[2:3]
	s_mov_b64 s[24:25], 0
	s_branch .LBB54_1486
.LBB54_1481:
                                        ; implicit-def: $sgpr22_sgpr23
	s_mov_b64 s[24:25], 0
	s_cbranch_execnz .LBB54_1490
.LBB54_1482:
	s_andn2_b64 vcc, exec, s[24:25]
	s_cbranch_vccnz .LBB54_1491
.LBB54_1483:
	s_waitcnt vmcnt(0)
	v_cmp_gt_i64_e32 vcc, s[2:3], v[2:3]
	s_andn2_b64 s[22:23], s[22:23], exec
	s_and_b64 s[24:25], vcc, exec
	s_or_b64 s[22:23], s[22:23], s[24:25]
	s_cbranch_execz .LBB54_1492
	s_branch .LBB54_1493
.LBB54_1484:
	s_mov_b64 s[26:27], -1
	s_mov_b64 s[24:25], 0
                                        ; implicit-def: $sgpr22_sgpr23
	s_branch .LBB54_1487
.LBB54_1485:
	s_mov_b64 s[24:25], -1
                                        ; implicit-def: $sgpr22_sgpr23
.LBB54_1486:
	s_mov_b64 s[26:27], 0
.LBB54_1487:
	s_and_b64 vcc, exec, s[26:27]
	s_cbranch_vccz .LBB54_1489
; %bb.1488:
	s_waitcnt vmcnt(0)
	v_cmp_lt_i64_e32 vcc, s[2:3], v[2:3]
	s_andn2_b64 s[22:23], s[22:23], exec
	s_and_b64 s[26:27], vcc, exec
	s_or_b64 s[22:23], s[22:23], s[26:27]
.LBB54_1489:
	s_branch .LBB54_1482
.LBB54_1490:
	s_cmp_lg_u32 s14, 0
	s_mov_b64 s[0:1], -1
	s_cselect_b64 s[24:25], -1, 0
	s_andn2_b64 vcc, exec, s[24:25]
	s_cbranch_vccz .LBB54_1483
.LBB54_1491:
	s_andn2_b64 vcc, exec, s[0:1]
	s_cbranch_vccnz .LBB54_1493
.LBB54_1492:
	s_waitcnt vmcnt(0)
	v_cmp_le_i64_e32 vcc, s[2:3], v[2:3]
	s_andn2_b64 s[0:1], s[22:23], exec
	s_and_b64 s[22:23], vcc, exec
	s_or_b64 s[22:23], s[0:1], s[22:23]
.LBB54_1493:
	v_add_u32_e32 v0, s13, v5
	v_ashrrev_i32_e32 v1, 31, v0
	s_waitcnt vmcnt(0)
	v_mov_b32_e32 v2, s11
	v_add_co_u32_e32 v0, vcc, s10, v0
	s_cmp_lt_i32 s15, 11
	v_addc_co_u32_e32 v1, vcc, v2, v1, vcc
	s_cbranch_scc1 .LBB54_1500
; %bb.1494:
	s_cmp_gt_i32 s15, 25
	s_mov_b64 s[10:11], 0
	s_cbranch_scc0 .LBB54_1501
; %bb.1495:
	s_cmp_gt_i32 s15, 28
	s_cbranch_scc0 .LBB54_1502
; %bb.1496:
	s_cmp_gt_i32 s15, 43
	;; [unrolled: 3-line block ×3, first 2 shown]
	s_cbranch_scc0 .LBB54_1505
; %bb.1498:
	s_cmp_eq_u32 s15, 46
	s_mov_b64 s[26:27], 0
	s_cbranch_scc0 .LBB54_1506
; %bb.1499:
	global_load_dword v2, v[0:1], off
	s_mov_b32 s0, 0x2f800000
	s_mov_b32 s1, 0xcf800000
	s_mov_b64 s[24:25], -1
	s_waitcnt vmcnt(0)
	v_lshlrev_b32_e32 v2, 16, v2
	v_trunc_f32_e32 v2, v2
	v_mul_f32_e64 v3, |v2|, s0
	v_floor_f32_e32 v3, v3
	v_fma_f32 v5, v3, s1, |v2|
	v_cvt_u32_f32_e32 v5, v5
	v_cvt_u32_f32_e32 v3, v3
	v_ashrrev_i32_e32 v6, 31, v2
	s_mov_b64 s[0:1], 0
	v_xor_b32_e32 v2, v5, v6
	v_xor_b32_e32 v3, v3, v6
	v_sub_co_u32_e32 v2, vcc, v2, v6
	v_subb_co_u32_e32 v3, vcc, v3, v6, vcc
	s_branch .LBB54_1507
.LBB54_1500:
	s_mov_b64 s[0:1], -1
	s_mov_b64 s[24:25], 0
                                        ; implicit-def: $vgpr2_vgpr3
	s_branch .LBB54_1569
.LBB54_1501:
	s_mov_b64 s[26:27], -1
	s_mov_b64 s[24:25], 0
	s_mov_b64 s[0:1], 0
                                        ; implicit-def: $vgpr2_vgpr3
	s_branch .LBB54_1536
.LBB54_1502:
	s_mov_b64 s[26:27], -1
	s_mov_b64 s[24:25], 0
	s_mov_b64 s[0:1], 0
                                        ; implicit-def: $vgpr2_vgpr3
	s_branch .LBB54_1517
.LBB54_1503:
	s_mov_b64 s[26:27], -1
	s_mov_b64 s[24:25], 0
	s_mov_b64 s[0:1], 0
                                        ; implicit-def: $vgpr2_vgpr3
	s_branch .LBB54_1512
.LBB54_1504:
	s_trap 2
	s_or_b64 s[18:19], s[18:19], exec
	s_cbranch_execz .LBB54_1427
	s_branch .LBB54_1428
.LBB54_1505:
	s_mov_b64 s[26:27], -1
	s_mov_b64 s[24:25], 0
	s_mov_b64 s[0:1], 0
                                        ; implicit-def: $vgpr2_vgpr3
	s_branch .LBB54_1507
.LBB54_1506:
	s_mov_b64 s[0:1], -1
                                        ; implicit-def: $vgpr2_vgpr3
	s_mov_b64 s[24:25], 0
.LBB54_1507:
	s_and_b64 vcc, exec, s[26:27]
	s_cbranch_vccz .LBB54_1511
; %bb.1508:
	s_cmp_eq_u32 s15, 44
	s_cbranch_scc0 .LBB54_1510
; %bb.1509:
	global_load_ubyte v2, v[0:1], off
	s_mov_b32 s0, 0x2f800000
	s_mov_b32 s1, 0xcf800000
	s_mov_b64 s[24:25], -1
	s_waitcnt vmcnt(0)
	v_lshlrev_b32_e32 v3, 23, v2
	v_trunc_f32_e32 v3, v3
	v_mul_f32_e64 v5, |v3|, s0
	v_floor_f32_e32 v5, v5
	v_fma_f32 v6, v5, s1, |v3|
	v_cvt_u32_f32_e32 v6, v6
	v_cvt_u32_f32_e32 v5, v5
	v_ashrrev_i32_e32 v3, 31, v3
	s_mov_b64 s[0:1], 0
	v_xor_b32_e32 v6, v6, v3
	v_xor_b32_e32 v5, v5, v3
	v_sub_co_u32_e32 v6, vcc, v6, v3
	v_subb_co_u32_e32 v3, vcc, v5, v3, vcc
	v_cmp_ne_u32_e32 vcc, 0, v2
	v_cndmask_b32_e32 v3, 0, v3, vcc
	v_cndmask_b32_e32 v2, 0, v6, vcc
	s_branch .LBB54_1511
.LBB54_1510:
	s_mov_b64 s[0:1], -1
                                        ; implicit-def: $vgpr2_vgpr3
.LBB54_1511:
	s_mov_b64 s[26:27], 0
.LBB54_1512:
	s_and_b64 vcc, exec, s[26:27]
	s_cbranch_vccz .LBB54_1516
; %bb.1513:
	s_cmp_eq_u32 s15, 29
	s_cbranch_scc0 .LBB54_1515
; %bb.1514:
	global_load_dwordx2 v[2:3], v[0:1], off
	s_mov_b64 s[0:1], 0
	s_mov_b64 s[24:25], -1
	s_branch .LBB54_1516
.LBB54_1515:
	s_mov_b64 s[0:1], -1
                                        ; implicit-def: $vgpr2_vgpr3
.LBB54_1516:
	s_mov_b64 s[26:27], 0
.LBB54_1517:
	s_and_b64 vcc, exec, s[26:27]
	s_cbranch_vccz .LBB54_1535
; %bb.1518:
	s_cmp_lt_i32 s15, 27
	s_cbranch_scc1 .LBB54_1521
; %bb.1519:
	s_cmp_gt_i32 s15, 27
	s_cbranch_scc0 .LBB54_1522
; %bb.1520:
	global_load_dword v2, v[0:1], off
	s_waitcnt vmcnt(1)
	v_mov_b32_e32 v3, 0
	s_mov_b64 s[24:25], 0
	s_branch .LBB54_1523
.LBB54_1521:
	s_mov_b64 s[24:25], -1
                                        ; implicit-def: $vgpr2_vgpr3
	s_branch .LBB54_1526
.LBB54_1522:
	s_mov_b64 s[24:25], -1
                                        ; implicit-def: $vgpr2_vgpr3
.LBB54_1523:
	s_andn2_b64 vcc, exec, s[24:25]
	s_cbranch_vccnz .LBB54_1525
; %bb.1524:
	global_load_ushort v2, v[0:1], off
	s_mov_b32 s13, 0
	s_waitcnt vmcnt(1)
	v_mov_b32_e32 v3, s13
	s_waitcnt vmcnt(0)
	v_and_b32_e32 v2, 0xffff, v2
.LBB54_1525:
	s_mov_b64 s[24:25], 0
.LBB54_1526:
	s_andn2_b64 vcc, exec, s[24:25]
	s_cbranch_vccnz .LBB54_1534
; %bb.1527:
	global_load_ubyte v5, v[0:1], off
	s_movk_i32 s13, 0x7f
	s_mov_b64 s[26:27], 0
	s_waitcnt vmcnt(0)
	v_cmp_lt_i16_e32 vcc, s13, v5
	s_and_saveexec_b64 s[24:25], vcc
	s_xor_b64 s[24:25], exec, s[24:25]
; %bb.1528:
	s_movk_i32 s13, 0x80
	v_cmp_ne_u16_e32 vcc, s13, v5
	s_and_b64 s[26:27], vcc, exec
; %bb.1529:
	s_andn2_saveexec_b64 s[24:25], s[24:25]
; %bb.1530:
	v_cmp_ne_u16_e32 vcc, 0, v5
	s_andn2_b64 s[26:27], s[26:27], exec
	s_and_b64 s[28:29], vcc, exec
	s_or_b64 s[26:27], s[26:27], s[28:29]
; %bb.1531:
	s_or_b64 exec, exec, s[24:25]
	v_mov_b32_e32 v2, 0
	v_mov_b32_e32 v3, 0
	s_and_saveexec_b64 s[24:25], s[26:27]
	s_cbranch_execz .LBB54_1533
; %bb.1532:
	v_and_b32_e32 v3, 0xffff, v5
	v_lshlrev_b32_e32 v2, 24, v5
	v_and_b32_e32 v5, 7, v3
	v_ffbh_u32_e32 v7, v5
	v_min_u32_e32 v7, 32, v7
	v_subrev_u32_e32 v8, 28, v7
	v_bfe_u32 v6, v3, 3, 4
	v_lshlrev_b32_e32 v3, v8, v3
	v_sub_u32_e32 v7, 29, v7
	v_and_b32_e32 v3, 7, v3
	v_cmp_eq_u32_e32 vcc, 0, v6
	v_cndmask_b32_e32 v6, v6, v7, vcc
	v_cndmask_b32_e32 v3, v5, v3, vcc
	v_mov_b32_e32 v5, 0x3b800000
	v_lshlrev_b32_e32 v3, 20, v3
	v_and_b32_e32 v2, 0x80000000, v2
	v_lshl_add_u32 v5, v6, 23, v5
	v_or3_b32 v2, v2, v5, v3
	v_trunc_f32_e32 v2, v2
	s_mov_b32 s13, 0x2f800000
	v_mul_f32_e64 v3, |v2|, s13
	v_floor_f32_e32 v3, v3
	s_mov_b32 s13, 0xcf800000
	v_fma_f32 v5, v3, s13, |v2|
	v_cvt_u32_f32_e32 v5, v5
	v_cvt_u32_f32_e32 v3, v3
	v_ashrrev_i32_e32 v6, 31, v2
	v_xor_b32_e32 v2, v5, v6
	v_xor_b32_e32 v3, v3, v6
	v_sub_co_u32_e32 v2, vcc, v2, v6
	v_subb_co_u32_e32 v3, vcc, v3, v6, vcc
.LBB54_1533:
	s_or_b64 exec, exec, s[24:25]
.LBB54_1534:
	s_mov_b64 s[24:25], -1
.LBB54_1535:
	s_mov_b64 s[26:27], 0
.LBB54_1536:
	s_and_b64 vcc, exec, s[26:27]
	s_cbranch_vccz .LBB54_1565
; %bb.1537:
	s_cmp_gt_i32 s15, 22
	s_cbranch_scc0 .LBB54_1547
; %bb.1538:
	s_cmp_lt_i32 s15, 24
	s_cbranch_scc1 .LBB54_1548
; %bb.1539:
	s_cmp_gt_i32 s15, 24
	s_cbranch_scc0 .LBB54_1549
; %bb.1540:
	global_load_ubyte v5, v[0:1], off
	s_movk_i32 s10, 0x7f
	s_mov_b64 s[24:25], 0
	s_waitcnt vmcnt(0)
	v_cmp_lt_i16_e32 vcc, s10, v5
	s_and_saveexec_b64 s[10:11], vcc
	s_xor_b64 s[10:11], exec, s[10:11]
; %bb.1541:
	s_movk_i32 s13, 0x80
	v_cmp_ne_u16_e32 vcc, s13, v5
	s_and_b64 s[24:25], vcc, exec
; %bb.1542:
	s_andn2_saveexec_b64 s[10:11], s[10:11]
; %bb.1543:
	v_cmp_ne_u16_e32 vcc, 0, v5
	s_andn2_b64 s[24:25], s[24:25], exec
	s_and_b64 s[26:27], vcc, exec
	s_or_b64 s[24:25], s[24:25], s[26:27]
; %bb.1544:
	s_or_b64 exec, exec, s[10:11]
	v_mov_b32_e32 v2, 0
	v_mov_b32_e32 v3, 0
	s_and_saveexec_b64 s[10:11], s[24:25]
	s_cbranch_execz .LBB54_1546
; %bb.1545:
	v_and_b32_e32 v3, 0xffff, v5
	v_lshlrev_b32_e32 v2, 24, v5
	v_and_b32_e32 v5, 3, v3
	v_ffbh_u32_e32 v7, v5
	v_min_u32_e32 v7, 32, v7
	v_subrev_u32_e32 v8, 29, v7
	v_bfe_u32 v6, v3, 2, 5
	v_lshlrev_b32_e32 v3, v8, v3
	v_sub_u32_e32 v7, 30, v7
	v_and_b32_e32 v3, 3, v3
	v_cmp_eq_u32_e32 vcc, 0, v6
	v_cndmask_b32_e32 v6, v6, v7, vcc
	v_cndmask_b32_e32 v3, v5, v3, vcc
	v_mov_b32_e32 v5, 0x37800000
	v_lshlrev_b32_e32 v3, 21, v3
	v_and_b32_e32 v2, 0x80000000, v2
	v_lshl_add_u32 v5, v6, 23, v5
	v_or3_b32 v2, v2, v5, v3
	v_trunc_f32_e32 v2, v2
	s_mov_b32 s13, 0x2f800000
	v_mul_f32_e64 v3, |v2|, s13
	v_floor_f32_e32 v3, v3
	s_mov_b32 s13, 0xcf800000
	v_fma_f32 v5, v3, s13, |v2|
	v_cvt_u32_f32_e32 v5, v5
	v_cvt_u32_f32_e32 v3, v3
	v_ashrrev_i32_e32 v6, 31, v2
	v_xor_b32_e32 v2, v5, v6
	v_xor_b32_e32 v3, v3, v6
	v_sub_co_u32_e32 v2, vcc, v2, v6
	v_subb_co_u32_e32 v3, vcc, v3, v6, vcc
.LBB54_1546:
	s_or_b64 exec, exec, s[10:11]
	s_mov_b64 s[10:11], 0
	s_branch .LBB54_1550
.LBB54_1547:
	s_mov_b64 s[10:11], -1
                                        ; implicit-def: $vgpr2_vgpr3
	s_branch .LBB54_1556
.LBB54_1548:
	s_mov_b64 s[10:11], -1
                                        ; implicit-def: $vgpr2_vgpr3
	s_branch .LBB54_1553
.LBB54_1549:
	s_mov_b64 s[10:11], -1
                                        ; implicit-def: $vgpr2_vgpr3
.LBB54_1550:
	s_and_b64 vcc, exec, s[10:11]
	s_cbranch_vccz .LBB54_1552
; %bb.1551:
	global_load_ubyte v2, v[0:1], off
	s_mov_b32 s10, 0x7f800000
	s_brev_b32 s11, 1
	s_mov_b32 s13, 0x2f800000
	s_mov_b32 s24, 0xcf800000
	s_waitcnt vmcnt(0)
	v_lshlrev_b32_e32 v2, 24, v2
	v_and_b32_e32 v3, 0x7f000000, v2
	v_ffbh_u32_e32 v5, v3
	v_min_u32_e32 v5, 32, v5
	v_sub_u32_e64 v5, v5, 4 clamp
	v_lshlrev_b32_e32 v7, v5, v3
	v_lshlrev_b32_e32 v5, 23, v5
	v_lshrrev_b32_e32 v7, 4, v7
	v_add_u32_e32 v6, 0x1000000, v3
	v_sub_u32_e32 v5, v7, v5
	v_ashrrev_i32_e32 v6, 8, v6
	v_add_u32_e32 v5, 0x3c000000, v5
	v_and_or_b32 v5, v6, s10, v5
	v_cmp_ne_u32_e32 vcc, 0, v3
	v_cndmask_b32_e32 v3, 0, v5, vcc
	v_and_or_b32 v2, v2, s11, v3
	v_trunc_f32_e32 v2, v2
	v_mul_f32_e64 v3, |v2|, s13
	v_floor_f32_e32 v3, v3
	v_fma_f32 v5, v3, s24, |v2|
	v_cvt_u32_f32_e32 v5, v5
	v_cvt_u32_f32_e32 v3, v3
	v_ashrrev_i32_e32 v6, 31, v2
	v_xor_b32_e32 v2, v5, v6
	v_xor_b32_e32 v3, v3, v6
	v_sub_co_u32_e32 v2, vcc, v2, v6
	v_subb_co_u32_e32 v3, vcc, v3, v6, vcc
.LBB54_1552:
	s_mov_b64 s[10:11], 0
.LBB54_1553:
	s_andn2_b64 vcc, exec, s[10:11]
	s_cbranch_vccnz .LBB54_1555
; %bb.1554:
	global_load_ubyte v2, v[0:1], off
	s_movk_i32 s10, 0x7f00
	s_brev_b32 s11, 16
	s_brev_b32 s13, 1
	s_mov_b32 s24, 0x2f800000
	s_mov_b32 s25, 0xcf800000
	s_waitcnt vmcnt(0)
	v_lshlrev_b16_e32 v3, 8, v2
	v_lshlrev_b32_e32 v2, 25, v2
	v_lshrrev_b32_e32 v5, 4, v2
	v_and_or_b32 v6, v3, s10, 0.5
	v_or_b32_e32 v5, 0x70000000, v5
	v_add_f32_e32 v6, -0.5, v6
	v_mul_f32_e32 v5, 0x7800000, v5
	v_cmp_gt_u32_e32 vcc, s11, v2
	v_bfe_i32 v3, v3, 0, 16
	v_cndmask_b32_e32 v2, v5, v6, vcc
	v_and_or_b32 v2, v3, s13, v2
	v_trunc_f32_e32 v2, v2
	v_mul_f32_e64 v3, |v2|, s24
	v_floor_f32_e32 v3, v3
	v_fma_f32 v5, v3, s25, |v2|
	v_cvt_u32_f32_e32 v5, v5
	v_cvt_u32_f32_e32 v3, v3
	v_ashrrev_i32_e32 v6, 31, v2
	v_xor_b32_e32 v2, v5, v6
	v_xor_b32_e32 v3, v3, v6
	v_sub_co_u32_e32 v2, vcc, v2, v6
	v_subb_co_u32_e32 v3, vcc, v3, v6, vcc
.LBB54_1555:
	s_mov_b64 s[10:11], 0
	s_mov_b64 s[24:25], -1
.LBB54_1556:
	s_andn2_b64 vcc, exec, s[10:11]
	s_mov_b64 s[10:11], 0
	s_cbranch_vccnz .LBB54_1565
; %bb.1557:
	s_cmp_gt_i32 s15, 14
	s_cbranch_scc0 .LBB54_1560
; %bb.1558:
	s_cmp_eq_u32 s15, 15
	s_cbranch_scc0 .LBB54_1561
; %bb.1559:
	global_load_ushort v2, v[0:1], off
	s_mov_b32 s0, 0x2f800000
	s_mov_b32 s1, 0xcf800000
	s_mov_b64 s[24:25], -1
	s_waitcnt vmcnt(0)
	v_lshlrev_b32_e32 v2, 16, v2
	v_trunc_f32_e32 v2, v2
	v_mul_f32_e64 v3, |v2|, s0
	v_floor_f32_e32 v3, v3
	v_fma_f32 v5, v3, s1, |v2|
	v_cvt_u32_f32_e32 v5, v5
	v_cvt_u32_f32_e32 v3, v3
	v_ashrrev_i32_e32 v6, 31, v2
	s_mov_b64 s[0:1], 0
	v_xor_b32_e32 v2, v5, v6
	v_xor_b32_e32 v3, v3, v6
	v_sub_co_u32_e32 v2, vcc, v2, v6
	v_subb_co_u32_e32 v3, vcc, v3, v6, vcc
	s_branch .LBB54_1562
.LBB54_1560:
	s_mov_b64 s[26:27], -1
                                        ; implicit-def: $vgpr2_vgpr3
	s_branch .LBB54_1563
.LBB54_1561:
	s_mov_b64 s[0:1], -1
                                        ; implicit-def: $vgpr2_vgpr3
.LBB54_1562:
	s_mov_b64 s[26:27], 0
.LBB54_1563:
	s_and_b64 vcc, exec, s[26:27]
	s_cbranch_vccz .LBB54_1565
; %bb.1564:
	s_cmp_lg_u32 s15, 11
	s_mov_b64 s[10:11], -1
	s_cselect_b64 s[0:1], -1, 0
.LBB54_1565:
	s_and_b64 vcc, exec, s[0:1]
	s_cbranch_vccnz .LBB54_2117
; %bb.1566:
	s_andn2_b64 vcc, exec, s[10:11]
	s_cbranch_vccnz .LBB54_1568
.LBB54_1567:
	global_load_ubyte v2, v[0:1], off
	s_mov_b32 s0, 0
	s_waitcnt vmcnt(1)
	v_mov_b32_e32 v3, s0
	s_mov_b64 s[24:25], -1
	s_waitcnt vmcnt(0)
	v_cmp_ne_u16_e32 vcc, 0, v2
	v_cndmask_b32_e64 v2, 0, 1, vcc
.LBB54_1568:
	s_mov_b64 s[0:1], 0
.LBB54_1569:
	s_and_b64 vcc, exec, s[0:1]
	s_cbranch_vccz .LBB54_1618
; %bb.1570:
	s_cmp_lt_i32 s15, 5
	s_cbranch_scc1 .LBB54_1575
; %bb.1571:
	s_cmp_lt_i32 s15, 8
	s_cbranch_scc1 .LBB54_1576
	;; [unrolled: 3-line block ×3, first 2 shown]
; %bb.1573:
	s_cmp_gt_i32 s15, 9
	s_cbranch_scc0 .LBB54_1578
; %bb.1574:
	global_load_dwordx2 v[2:3], v[0:1], off
	s_movk_i32 s0, 0xffe0
	s_waitcnt vmcnt(0)
	v_trunc_f64_e32 v[2:3], v[2:3]
	v_ldexp_f64 v[5:6], v[2:3], s0
	s_mov_b32 s0, 0
	s_mov_b32 s1, 0xc1f00000
	v_floor_f64_e32 v[5:6], v[5:6]
	v_fma_f64 v[7:8], v[5:6], s[0:1], v[2:3]
	v_cvt_i32_f64_e32 v3, v[5:6]
	s_mov_b64 s[0:1], 0
	v_cvt_u32_f64_e32 v2, v[7:8]
	s_branch .LBB54_1579
.LBB54_1575:
	s_mov_b64 s[0:1], -1
                                        ; implicit-def: $vgpr2_vgpr3
	s_branch .LBB54_1597
.LBB54_1576:
	s_mov_b64 s[0:1], -1
                                        ; implicit-def: $vgpr2_vgpr3
	s_branch .LBB54_1585
.LBB54_1577:
	s_mov_b64 s[0:1], -1
                                        ; implicit-def: $vgpr2_vgpr3
	s_branch .LBB54_1582
.LBB54_1578:
	s_mov_b64 s[0:1], -1
                                        ; implicit-def: $vgpr2_vgpr3
.LBB54_1579:
	s_andn2_b64 vcc, exec, s[0:1]
	s_cbranch_vccnz .LBB54_1581
; %bb.1580:
	global_load_dword v2, v[0:1], off
	s_mov_b32 s0, 0x2f800000
	s_mov_b32 s1, 0xcf800000
	s_waitcnt vmcnt(0)
	v_trunc_f32_e32 v2, v2
	v_mul_f32_e64 v3, |v2|, s0
	v_floor_f32_e32 v3, v3
	v_cvt_u32_f32_e32 v5, v3
	v_fma_f32 v3, v3, s1, |v2|
	v_cvt_u32_f32_e32 v3, v3
	v_ashrrev_i32_e32 v6, 31, v2
	v_xor_b32_e32 v5, v5, v6
	v_xor_b32_e32 v2, v3, v6
	v_sub_co_u32_e32 v2, vcc, v2, v6
	v_subb_co_u32_e32 v3, vcc, v5, v6, vcc
.LBB54_1581:
	s_mov_b64 s[0:1], 0
.LBB54_1582:
	s_andn2_b64 vcc, exec, s[0:1]
	s_cbranch_vccnz .LBB54_1584
; %bb.1583:
	global_load_dword v2, v[0:1], off
	s_waitcnt vmcnt(0)
	v_cvt_f32_f16_e32 v2, v2
	v_cvt_i32_f32_e32 v2, v2
	v_ashrrev_i32_e32 v3, 31, v2
.LBB54_1584:
	s_mov_b64 s[0:1], 0
.LBB54_1585:
	s_andn2_b64 vcc, exec, s[0:1]
	s_cbranch_vccnz .LBB54_1596
; %bb.1586:
	s_cmp_lt_i32 s15, 6
	s_cbranch_scc1 .LBB54_1589
; %bb.1587:
	s_cmp_gt_i32 s15, 6
	s_cbranch_scc0 .LBB54_1590
; %bb.1588:
	global_load_dwordx2 v[2:3], v[0:1], off
	s_movk_i32 s0, 0xffe0
	s_waitcnt vmcnt(0)
	v_trunc_f64_e32 v[2:3], v[2:3]
	v_ldexp_f64 v[5:6], v[2:3], s0
	s_mov_b32 s0, 0
	s_mov_b32 s1, 0xc1f00000
	v_floor_f64_e32 v[5:6], v[5:6]
	v_fma_f64 v[7:8], v[5:6], s[0:1], v[2:3]
	v_cvt_i32_f64_e32 v3, v[5:6]
	s_mov_b64 s[0:1], 0
	v_cvt_u32_f64_e32 v2, v[7:8]
	s_branch .LBB54_1591
.LBB54_1589:
	s_mov_b64 s[0:1], -1
                                        ; implicit-def: $vgpr2_vgpr3
	s_branch .LBB54_1594
.LBB54_1590:
	s_mov_b64 s[0:1], -1
                                        ; implicit-def: $vgpr2_vgpr3
.LBB54_1591:
	s_andn2_b64 vcc, exec, s[0:1]
	s_cbranch_vccnz .LBB54_1593
; %bb.1592:
	global_load_dword v2, v[0:1], off
	s_mov_b32 s0, 0x2f800000
	s_mov_b32 s1, 0xcf800000
	s_waitcnt vmcnt(0)
	v_trunc_f32_e32 v2, v2
	v_mul_f32_e64 v3, |v2|, s0
	v_floor_f32_e32 v3, v3
	v_cvt_u32_f32_e32 v5, v3
	v_fma_f32 v3, v3, s1, |v2|
	v_cvt_u32_f32_e32 v3, v3
	v_ashrrev_i32_e32 v6, 31, v2
	v_xor_b32_e32 v5, v5, v6
	v_xor_b32_e32 v2, v3, v6
	v_sub_co_u32_e32 v2, vcc, v2, v6
	v_subb_co_u32_e32 v3, vcc, v5, v6, vcc
.LBB54_1593:
	s_mov_b64 s[0:1], 0
.LBB54_1594:
	s_andn2_b64 vcc, exec, s[0:1]
	s_cbranch_vccnz .LBB54_1596
; %bb.1595:
	global_load_ushort v2, v[0:1], off
	s_waitcnt vmcnt(0)
	v_cvt_f32_f16_e32 v2, v2
	v_cvt_i32_f32_e32 v2, v2
	v_ashrrev_i32_e32 v3, 31, v2
.LBB54_1596:
	s_mov_b64 s[0:1], 0
.LBB54_1597:
	s_andn2_b64 vcc, exec, s[0:1]
	s_cbranch_vccnz .LBB54_1617
; %bb.1598:
	s_cmp_lt_i32 s15, 2
	s_cbranch_scc1 .LBB54_1602
; %bb.1599:
	s_cmp_lt_i32 s15, 3
	s_cbranch_scc1 .LBB54_1603
; %bb.1600:
	s_cmp_gt_i32 s15, 3
	s_cbranch_scc0 .LBB54_1604
; %bb.1601:
	global_load_dwordx2 v[2:3], v[0:1], off
	s_mov_b64 s[0:1], 0
	s_branch .LBB54_1605
.LBB54_1602:
	s_mov_b64 s[0:1], -1
                                        ; implicit-def: $vgpr2_vgpr3
	s_branch .LBB54_1611
.LBB54_1603:
	s_mov_b64 s[0:1], -1
                                        ; implicit-def: $vgpr2_vgpr3
	s_branch .LBB54_1608
.LBB54_1604:
	s_mov_b64 s[0:1], -1
                                        ; implicit-def: $vgpr2_vgpr3
.LBB54_1605:
	s_andn2_b64 vcc, exec, s[0:1]
	s_cbranch_vccnz .LBB54_1607
; %bb.1606:
	global_load_dword v2, v[0:1], off
	s_waitcnt vmcnt(0)
	v_ashrrev_i32_e32 v3, 31, v2
.LBB54_1607:
	s_mov_b64 s[0:1], 0
.LBB54_1608:
	s_andn2_b64 vcc, exec, s[0:1]
	s_cbranch_vccnz .LBB54_1610
; %bb.1609:
	global_load_ushort v2, v[0:1], off
	s_waitcnt vmcnt(0)
	v_bfe_i32 v2, v2, 0, 16
	v_ashrrev_i32_e32 v3, 31, v2
.LBB54_1610:
	s_mov_b64 s[0:1], 0
.LBB54_1611:
	s_andn2_b64 vcc, exec, s[0:1]
	s_cbranch_vccnz .LBB54_1617
; %bb.1612:
	s_cmp_gt_i32 s15, 0
	s_cbranch_scc0 .LBB54_1614
; %bb.1613:
	global_load_sbyte v2, v[0:1], off
	s_mov_b64 s[0:1], 0
	s_waitcnt vmcnt(0)
	v_bfe_i32 v2, v2, 0, 16
	v_ashrrev_i32_e32 v3, 31, v2
	s_branch .LBB54_1615
.LBB54_1614:
	s_mov_b64 s[0:1], -1
                                        ; implicit-def: $vgpr2_vgpr3
.LBB54_1615:
	s_andn2_b64 vcc, exec, s[0:1]
	s_cbranch_vccnz .LBB54_1617
; %bb.1616:
	global_load_ubyte v0, v[0:1], off
	s_mov_b32 s0, 0
	s_waitcnt vmcnt(1)
	v_mov_b32_e32 v3, s0
	s_waitcnt vmcnt(0)
	v_and_b32_e32 v2, 0xffff, v0
.LBB54_1617:
	s_mov_b64 s[24:25], -1
.LBB54_1618:
	s_andn2_b64 vcc, exec, s[24:25]
	s_cbranch_vccnz .LBB54_1623
; %bb.1619:
	s_cmp_lt_i32 s14, 1
	s_mov_b64 s[0:1], 0
	s_cbranch_scc1 .LBB54_1669
; %bb.1620:
	s_cmp_gt_i32 s14, 1
	s_cbranch_scc0 .LBB54_1670
; %bb.1621:
	s_cmp_eq_u32 s14, 2
	s_cbranch_scc0 .LBB54_1671
; %bb.1622:
	s_waitcnt vmcnt(0)
	v_cmp_ge_i64_e64 s[24:25], s[2:3], v[2:3]
	s_mov_b64 s[10:11], 0
	s_branch .LBB54_1672
.LBB54_1623:
	s_mov_b64 s[0:1], 0
                                        ; implicit-def: $sgpr24_sgpr25
.LBB54_1624:
	s_mov_b64 s[2:3], 0
                                        ; implicit-def: $sgpr28
                                        ; implicit-def: $vgpr0_vgpr1
.LBB54_1625:
	s_and_b64 s[4:5], s[2:3], exec
	s_andn2_b64 s[2:3], s[16:17], exec
	s_and_b64 s[8:9], s[18:19], exec
	s_and_b64 s[0:1], s[0:1], exec
	s_or_b64 s[16:17], s[2:3], s[8:9]
.LBB54_1626:
	s_or_b64 exec, exec, s[6:7]
	s_and_saveexec_b64 s[2:3], s[16:17]
	s_cbranch_execz .LBB54_1629
; %bb.1627:
	; divergent unreachable
	s_or_b64 exec, exec, s[2:3]
	s_and_saveexec_b64 s[2:3], s[4:5]
	s_xor_b64 s[2:3], exec, s[2:3]
	s_cbranch_execnz .LBB54_1630
.LBB54_1628:
	s_or_b64 exec, exec, s[2:3]
	s_and_saveexec_b64 s[2:3], s[0:1]
	s_cbranch_execnz .LBB54_1631
	s_branch .LBB54_1668
.LBB54_1629:
	s_or_b64 exec, exec, s[2:3]
	s_and_saveexec_b64 s[2:3], s[4:5]
	s_xor_b64 s[2:3], exec, s[2:3]
	s_cbranch_execz .LBB54_1628
.LBB54_1630:
	s_waitcnt vmcnt(0)
	v_cndmask_b32_e64 v2, 0, 1, s[24:25]
	global_store_byte v[0:1], v2, off
	s_or_b64 exec, exec, s[2:3]
	s_and_saveexec_b64 s[2:3], s[0:1]
	s_cbranch_execz .LBB54_1668
.LBB54_1631:
	s_sext_i32_i16 s2, s28
	s_cmp_lt_i32 s2, 5
	s_mov_b64 s[0:1], -1
	s_cbranch_scc1 .LBB54_1652
; %bb.1632:
	s_cmp_lt_i32 s2, 8
	s_cbranch_scc1 .LBB54_1642
; %bb.1633:
	s_cmp_lt_i32 s2, 9
	s_cbranch_scc1 .LBB54_1639
; %bb.1634:
	s_cmp_gt_i32 s2, 9
	s_cbranch_scc0 .LBB54_1636
; %bb.1635:
	s_waitcnt vmcnt(0)
	v_cndmask_b32_e64 v2, 0, 1, s[24:25]
	v_cvt_f64_u32_e32 v[2:3], v2
	v_mov_b32_e32 v4, 0
	v_mov_b32_e32 v5, v4
	s_mov_b64 s[0:1], 0
	global_store_dwordx4 v[0:1], v[2:5], off
.LBB54_1636:
	s_andn2_b64 vcc, exec, s[0:1]
	s_cbranch_vccnz .LBB54_1638
; %bb.1637:
	s_waitcnt vmcnt(0)
	v_cndmask_b32_e64 v2, 0, 1.0, s[24:25]
	v_mov_b32_e32 v3, 0
	global_store_dwordx2 v[0:1], v[2:3], off
.LBB54_1638:
	s_mov_b64 s[0:1], 0
.LBB54_1639:
	s_andn2_b64 vcc, exec, s[0:1]
	s_cbranch_vccnz .LBB54_1641
; %bb.1640:
	s_waitcnt vmcnt(0)
	v_cndmask_b32_e64 v2, 0, 1.0, s[24:25]
	v_cvt_f16_f32_e32 v2, v2
	global_store_dword v[0:1], v2, off
.LBB54_1641:
	s_mov_b64 s[0:1], 0
.LBB54_1642:
	s_andn2_b64 vcc, exec, s[0:1]
	s_cbranch_vccnz .LBB54_1651
; %bb.1643:
	s_sext_i32_i16 s2, s28
	s_cmp_lt_i32 s2, 6
	s_mov_b64 s[0:1], -1
	s_cbranch_scc1 .LBB54_1649
; %bb.1644:
	s_cmp_gt_i32 s2, 6
	s_cbranch_scc0 .LBB54_1646
; %bb.1645:
	s_waitcnt vmcnt(0)
	v_cndmask_b32_e64 v2, 0, 1, s[24:25]
	v_cvt_f64_u32_e32 v[2:3], v2
	s_mov_b64 s[0:1], 0
	global_store_dwordx2 v[0:1], v[2:3], off
.LBB54_1646:
	s_andn2_b64 vcc, exec, s[0:1]
	s_cbranch_vccnz .LBB54_1648
; %bb.1647:
	s_waitcnt vmcnt(0)
	v_cndmask_b32_e64 v2, 0, 1.0, s[24:25]
	global_store_dword v[0:1], v2, off
.LBB54_1648:
	s_mov_b64 s[0:1], 0
.LBB54_1649:
	s_andn2_b64 vcc, exec, s[0:1]
	s_cbranch_vccnz .LBB54_1651
; %bb.1650:
	s_waitcnt vmcnt(0)
	v_cndmask_b32_e64 v2, 0, 1.0, s[24:25]
	v_cvt_f16_f32_e32 v2, v2
	global_store_short v[0:1], v2, off
.LBB54_1651:
	s_mov_b64 s[0:1], 0
.LBB54_1652:
	s_andn2_b64 vcc, exec, s[0:1]
	s_cbranch_vccnz .LBB54_1668
; %bb.1653:
	s_sext_i32_i16 s2, s28
	s_cmp_lt_i32 s2, 2
	s_mov_b64 s[0:1], -1
	s_cbranch_scc1 .LBB54_1663
; %bb.1654:
	s_cmp_lt_i32 s2, 3
	s_cbranch_scc1 .LBB54_1660
; %bb.1655:
	s_cmp_gt_i32 s2, 3
	s_cbranch_scc0 .LBB54_1657
; %bb.1656:
	s_mov_b32 s0, 0
	s_waitcnt vmcnt(0)
	v_cndmask_b32_e64 v2, 0, 1, s[24:25]
	v_mov_b32_e32 v3, s0
	global_store_dwordx2 v[0:1], v[2:3], off
	s_mov_b64 s[0:1], 0
.LBB54_1657:
	s_andn2_b64 vcc, exec, s[0:1]
	s_cbranch_vccnz .LBB54_1659
; %bb.1658:
	s_waitcnt vmcnt(0)
	v_cndmask_b32_e64 v2, 0, 1, s[24:25]
	global_store_dword v[0:1], v2, off
.LBB54_1659:
	s_mov_b64 s[0:1], 0
.LBB54_1660:
	s_andn2_b64 vcc, exec, s[0:1]
	s_cbranch_vccnz .LBB54_1662
; %bb.1661:
	s_waitcnt vmcnt(0)
	v_cndmask_b32_e64 v2, 0, 1, s[24:25]
	global_store_short v[0:1], v2, off
.LBB54_1662:
	s_mov_b64 s[0:1], 0
.LBB54_1663:
	s_andn2_b64 vcc, exec, s[0:1]
	s_cbranch_vccnz .LBB54_1668
; %bb.1664:
	s_sext_i32_i16 s2, s28
	s_mov_b64 s[0:1], -1
	s_cmp_gt_i32 s2, 0
	s_waitcnt vmcnt(0)
	v_cndmask_b32_e64 v2, 0, 1, s[24:25]
	s_cbranch_scc0 .LBB54_1666
; %bb.1665:
	global_store_byte v[0:1], v2, off
	s_mov_b64 s[0:1], 0
.LBB54_1666:
	s_andn2_b64 vcc, exec, s[0:1]
	s_cbranch_vccnz .LBB54_1668
; %bb.1667:
	global_store_byte v[0:1], v2, off
	s_endpgm
.LBB54_1668:
	s_endpgm
.LBB54_1669:
	s_mov_b64 s[26:27], -1
                                        ; implicit-def: $sgpr24_sgpr25
	s_mov_b64 s[10:11], 0
	s_branch .LBB54_1676
.LBB54_1670:
	s_mov_b64 s[26:27], -1
	s_mov_b64 s[10:11], 0
                                        ; implicit-def: $sgpr24_sgpr25
	s_branch .LBB54_1673
.LBB54_1671:
	s_mov_b64 s[10:11], -1
                                        ; implicit-def: $sgpr24_sgpr25
.LBB54_1672:
	s_mov_b64 s[26:27], 0
.LBB54_1673:
	s_and_b64 vcc, exec, s[26:27]
	s_cbranch_vccz .LBB54_1675
; %bb.1674:
	s_waitcnt vmcnt(0)
	v_cmp_lt_i64_e32 vcc, s[2:3], v[2:3]
	s_andn2_b64 s[24:25], s[24:25], exec
	s_and_b64 s[26:27], vcc, exec
	s_or_b64 s[24:25], s[24:25], s[26:27]
.LBB54_1675:
	s_mov_b64 s[26:27], 0
.LBB54_1676:
	s_and_b64 vcc, exec, s[26:27]
	s_cbranch_vccz .LBB54_1758
; %bb.1677:
	s_cmp_lg_u32 s14, 0
	s_mov_b64 s[0:1], -1
	s_cselect_b64 s[10:11], -1, 0
	s_andn2_b64 vcc, exec, s[10:11]
	s_cbranch_vccz .LBB54_1759
.LBB54_1678:
	s_andn2_b64 vcc, exec, s[0:1]
	s_cbranch_vccnz .LBB54_1680
.LBB54_1679:
	s_waitcnt vmcnt(0)
	v_cmp_le_i64_e32 vcc, s[2:3], v[2:3]
	s_andn2_b64 s[0:1], s[24:25], exec
	s_and_b64 s[2:3], vcc, exec
	s_or_b64 s[24:25], s[0:1], s[2:3]
.LBB54_1680:
	s_waitcnt vmcnt(0)
	v_mul_lo_u32 v2, s12, v4
	v_mov_b32_e32 v1, s9
	s_and_b32 s28, s33, 0xff
	s_cmp_lt_i32 s28, 11
	v_ashrrev_i32_e32 v3, 31, v2
	v_add_co_u32_e32 v0, vcc, s8, v2
	v_addc_co_u32_e32 v1, vcc, v1, v3, vcc
	s_cbranch_scc1 .LBB54_1760
; %bb.1681:
	s_and_b32 s13, 0xffff, s28
	s_mov_b64 s[14:15], -1
	s_mov_b64 s[2:3], 0
	s_cmp_gt_i32 s13, 25
	s_mov_b64 s[10:11], 0
	s_mov_b64 s[0:1], 0
	s_cbranch_scc0 .LBB54_1714
; %bb.1682:
	s_cmp_gt_i32 s13, 28
	s_cbranch_scc0 .LBB54_1697
; %bb.1683:
	s_cmp_gt_i32 s13, 43
	s_cbranch_scc0 .LBB54_1693
; %bb.1684:
	s_cmp_gt_i32 s13, 45
	s_cbranch_scc0 .LBB54_1687
; %bb.1685:
	s_mov_b64 s[0:1], -1
	s_mov_b64 s[14:15], 0
	s_cmp_eq_u32 s13, 46
	s_cbranch_scc0 .LBB54_1687
; %bb.1686:
	v_cndmask_b32_e64 v3, 0, 1.0, s[4:5]
	v_bfe_u32 v4, v3, 16, 1
	s_movk_i32 s0, 0x7fff
	v_add3_u32 v3, v3, v4, s0
	v_lshrrev_b32_e32 v3, 16, v3
	global_store_dword v[0:1], v3, off
	s_mov_b64 s[0:1], 0
	s_mov_b64 s[10:11], -1
.LBB54_1687:
	s_and_b64 vcc, exec, s[14:15]
	s_cbranch_vccz .LBB54_1692
; %bb.1688:
	s_cmp_eq_u32 s13, 44
	s_mov_b64 s[0:1], -1
	s_cbranch_scc0 .LBB54_1692
; %bb.1689:
	v_cndmask_b32_e64 v4, 0, 1.0, s[4:5]
	v_lshrrev_b32_e32 v3, 23, v4
	s_movk_i32 s0, 0xff
	v_cmp_ne_u32_e32 vcc, s0, v3
	v_mov_b32_e32 v5, 0xff
	s_and_saveexec_b64 s[10:11], vcc
; %bb.1690:
	s_mov_b32 s0, 0x3fffff
	v_and_b32_e32 v5, 0x400000, v4
	v_and_or_b32 v4, v4, s0, v3
	v_cmp_ne_u32_e32 vcc, 0, v5
	v_cmp_ne_u32_e64 s[0:1], 0, v4
	s_and_b64 s[0:1], vcc, s[0:1]
	v_cndmask_b32_e64 v4, 0, 1, s[0:1]
	v_add_u32_e32 v5, v3, v4
; %bb.1691:
	s_or_b64 exec, exec, s[10:11]
	s_mov_b64 s[0:1], 0
	s_mov_b64 s[10:11], -1
	global_store_byte v[0:1], v5, off
.LBB54_1692:
	s_mov_b64 s[14:15], 0
.LBB54_1693:
	s_and_b64 vcc, exec, s[14:15]
	s_cbranch_vccz .LBB54_1696
; %bb.1694:
	s_cmp_eq_u32 s13, 29
	s_mov_b64 s[0:1], -1
	s_cbranch_scc0 .LBB54_1696
; %bb.1695:
	s_mov_b32 s0, 0
	v_cndmask_b32_e64 v3, 0, 1, s[4:5]
	v_mov_b32_e32 v4, s0
	global_store_dwordx2 v[0:1], v[3:4], off
	s_mov_b64 s[0:1], 0
	s_mov_b64 s[10:11], -1
.LBB54_1696:
	s_mov_b64 s[14:15], 0
.LBB54_1697:
	s_and_b64 vcc, exec, s[14:15]
	s_cbranch_vccz .LBB54_1713
; %bb.1698:
	s_cmp_lt_i32 s13, 27
	s_mov_b64 s[10:11], -1
	s_cbranch_scc1 .LBB54_1704
; %bb.1699:
	s_cmp_gt_i32 s13, 27
	s_cbranch_scc0 .LBB54_1701
; %bb.1700:
	v_cndmask_b32_e64 v3, 0, 1, s[4:5]
	s_mov_b64 s[10:11], 0
	global_store_dword v[0:1], v3, off
.LBB54_1701:
	s_andn2_b64 vcc, exec, s[10:11]
	s_cbranch_vccnz .LBB54_1703
; %bb.1702:
	v_cndmask_b32_e64 v3, 0, 1, s[4:5]
	global_store_short v[0:1], v3, off
.LBB54_1703:
	s_mov_b64 s[10:11], 0
.LBB54_1704:
	s_andn2_b64 vcc, exec, s[10:11]
	s_cbranch_vccnz .LBB54_1712
; %bb.1705:
	v_cndmask_b32_e64 v4, 0, 1.0, s[4:5]
	s_mov_b32 s10, 0x43800000
	v_cmp_gt_u32_e32 vcc, s10, v4
	v_mov_b32_e32 v5, 0x80
	s_and_saveexec_b64 s[10:11], vcc
	s_cbranch_execz .LBB54_1711
; %bb.1706:
	s_mov_b32 s14, 0x3bffffff
	v_cmp_lt_u32_e32 vcc, s14, v4
	s_mov_b64 s[14:15], 0
                                        ; implicit-def: $vgpr3
	s_and_saveexec_b64 s[26:27], vcc
	s_xor_b64 s[26:27], exec, s[26:27]
	s_cbranch_execz .LBB54_2118
; %bb.1707:
	v_bfe_u32 v3, v4, 20, 1
	s_mov_b32 s29, 0x487ffff
	v_add3_u32 v3, v4, v3, s29
	s_mov_b64 s[14:15], exec
	v_lshrrev_b32_e32 v3, 20, v3
                                        ; implicit-def: $vgpr4
	s_andn2_saveexec_b64 s[26:27], s[26:27]
	s_cbranch_execnz .LBB54_2119
.LBB54_1708:
	s_or_b64 exec, exec, s[26:27]
	v_mov_b32_e32 v5, 0
	s_and_saveexec_b64 s[26:27], s[14:15]
.LBB54_1709:
	v_mov_b32_e32 v5, v3
.LBB54_1710:
	s_or_b64 exec, exec, s[26:27]
.LBB54_1711:
	s_or_b64 exec, exec, s[10:11]
	global_store_byte v[0:1], v5, off
.LBB54_1712:
	s_mov_b64 s[10:11], -1
.LBB54_1713:
	s_mov_b64 s[14:15], 0
.LBB54_1714:
	s_and_b64 vcc, exec, s[14:15]
	s_cbranch_vccz .LBB54_1754
; %bb.1715:
	s_cmp_gt_i32 s13, 22
	s_mov_b64 s[2:3], -1
	s_cbranch_scc0 .LBB54_1747
; %bb.1716:
	s_cmp_lt_i32 s13, 24
	s_cbranch_scc1 .LBB54_1736
; %bb.1717:
	s_cmp_gt_i32 s13, 24
	s_cbranch_scc0 .LBB54_1725
; %bb.1718:
	v_cndmask_b32_e64 v4, 0, 1.0, s[4:5]
	s_mov_b32 s2, 0x47800000
	v_cmp_gt_u32_e32 vcc, s2, v4
	v_mov_b32_e32 v5, 0x80
	s_and_saveexec_b64 s[2:3], vcc
	s_cbranch_execz .LBB54_1724
; %bb.1719:
	s_mov_b32 s10, 0x37ffffff
	v_cmp_lt_u32_e32 vcc, s10, v4
	s_mov_b64 s[10:11], 0
                                        ; implicit-def: $vgpr3
	s_and_saveexec_b64 s[14:15], vcc
	s_xor_b64 s[14:15], exec, s[14:15]
	s_cbranch_execz .LBB54_2121
; %bb.1720:
	v_bfe_u32 v3, v4, 21, 1
	s_mov_b32 s26, 0x88fffff
	v_add3_u32 v3, v4, v3, s26
	s_mov_b64 s[10:11], exec
	v_lshrrev_b32_e32 v3, 21, v3
                                        ; implicit-def: $vgpr4
	s_andn2_saveexec_b64 s[14:15], s[14:15]
	s_cbranch_execnz .LBB54_2122
.LBB54_1721:
	s_or_b64 exec, exec, s[14:15]
	v_mov_b32_e32 v5, 0
	s_and_saveexec_b64 s[14:15], s[10:11]
.LBB54_1722:
	v_mov_b32_e32 v5, v3
.LBB54_1723:
	s_or_b64 exec, exec, s[14:15]
.LBB54_1724:
	s_or_b64 exec, exec, s[2:3]
	s_mov_b64 s[2:3], 0
	global_store_byte v[0:1], v5, off
.LBB54_1725:
	s_and_b64 vcc, exec, s[2:3]
	s_cbranch_vccz .LBB54_1735
; %bb.1726:
	v_cndmask_b32_e64 v3, 0, 1.0, s[4:5]
	s_mov_b32 s2, 0x43f00000
	v_cmp_gt_u32_e32 vcc, s2, v3
                                        ; implicit-def: $vgpr4
	s_and_saveexec_b64 s[2:3], vcc
	s_xor_b64 s[2:3], exec, s[2:3]
	s_cbranch_execz .LBB54_1732
; %bb.1727:
	s_mov_b32 s10, 0x3c7fffff
	v_cmp_lt_u32_e32 vcc, s10, v3
                                        ; implicit-def: $vgpr4
	s_and_saveexec_b64 s[10:11], vcc
	s_xor_b64 s[10:11], exec, s[10:11]
; %bb.1728:
	v_bfe_u32 v4, v3, 20, 1
	s_mov_b32 s14, 0x407ffff
	v_add3_u32 v3, v3, v4, s14
	v_lshrrev_b32_e32 v4, 20, v3
	v_and_b32_e32 v3, 0xff00000, v3
	s_mov_b32 s14, 0x7f00000
	v_mov_b32_e32 v5, 0x7e
	v_cmp_ne_u32_e32 vcc, s14, v3
	v_cndmask_b32_e32 v4, v5, v4, vcc
                                        ; implicit-def: $vgpr3
; %bb.1729:
	s_andn2_saveexec_b64 s[10:11], s[10:11]
; %bb.1730:
	v_add_f32_e32 v4, 0x46800000, v3
; %bb.1731:
	s_or_b64 exec, exec, s[10:11]
                                        ; implicit-def: $vgpr3
.LBB54_1732:
	s_andn2_saveexec_b64 s[2:3], s[2:3]
; %bb.1733:
	s_mov_b32 s10, 0x7f800000
	v_mov_b32_e32 v4, 0x7e
	v_mov_b32_e32 v5, 0x7f
	v_cmp_lt_u32_e32 vcc, s10, v3
	v_cndmask_b32_e32 v4, v4, v5, vcc
; %bb.1734:
	s_or_b64 exec, exec, s[2:3]
	global_store_byte v[0:1], v4, off
.LBB54_1735:
	s_mov_b64 s[2:3], 0
.LBB54_1736:
	s_andn2_b64 vcc, exec, s[2:3]
	s_cbranch_vccnz .LBB54_1746
; %bb.1737:
	v_cndmask_b32_e64 v3, 0, 1.0, s[4:5]
	s_mov_b32 s2, 0x47800000
	v_cmp_gt_u32_e32 vcc, s2, v3
                                        ; implicit-def: $vgpr4
	s_and_saveexec_b64 s[2:3], vcc
	s_xor_b64 s[2:3], exec, s[2:3]
	s_cbranch_execz .LBB54_1743
; %bb.1738:
	s_mov_b32 s10, 0x387fffff
	v_cmp_lt_u32_e32 vcc, s10, v3
                                        ; implicit-def: $vgpr4
	s_and_saveexec_b64 s[10:11], vcc
	s_xor_b64 s[10:11], exec, s[10:11]
; %bb.1739:
	v_bfe_u32 v4, v3, 21, 1
	s_mov_b32 s14, 0x80fffff
	v_add3_u32 v3, v3, v4, s14
	v_lshrrev_b32_e32 v4, 21, v3
                                        ; implicit-def: $vgpr3
; %bb.1740:
	s_andn2_saveexec_b64 s[10:11], s[10:11]
; %bb.1741:
	v_add_f32_e32 v4, 0x43000000, v3
; %bb.1742:
	s_or_b64 exec, exec, s[10:11]
                                        ; implicit-def: $vgpr3
.LBB54_1743:
	s_andn2_saveexec_b64 s[2:3], s[2:3]
; %bb.1744:
	s_mov_b32 s10, 0x7f800000
	v_mov_b32_e32 v4, 0x7c
	v_mov_b32_e32 v5, 0x7f
	v_cmp_lt_u32_e32 vcc, s10, v3
	v_cndmask_b32_e32 v4, v4, v5, vcc
; %bb.1745:
	s_or_b64 exec, exec, s[2:3]
	global_store_byte v[0:1], v4, off
.LBB54_1746:
	s_mov_b64 s[2:3], 0
	s_mov_b64 s[10:11], -1
.LBB54_1747:
	s_andn2_b64 vcc, exec, s[2:3]
	s_mov_b64 s[2:3], 0
	s_cbranch_vccnz .LBB54_1754
; %bb.1748:
	s_cmp_gt_i32 s13, 14
	s_mov_b64 s[14:15], -1
	s_cbranch_scc0 .LBB54_1752
; %bb.1749:
	s_cmp_eq_u32 s13, 15
	s_mov_b64 s[0:1], -1
	s_cbranch_scc0 .LBB54_1751
; %bb.1750:
	v_cndmask_b32_e64 v3, 0, 1.0, s[4:5]
	v_bfe_u32 v4, v3, 16, 1
	s_movk_i32 s0, 0x7fff
	v_add3_u32 v3, v3, v4, s0
	global_store_short_d16_hi v[0:1], v3, off
	s_mov_b64 s[0:1], 0
	s_mov_b64 s[10:11], -1
.LBB54_1751:
	s_mov_b64 s[14:15], 0
.LBB54_1752:
	s_and_b64 vcc, exec, s[14:15]
	s_cbranch_vccz .LBB54_1754
; %bb.1753:
	s_cmp_lg_u32 s13, 11
	s_mov_b64 s[2:3], -1
	s_cselect_b64 s[0:1], -1, 0
.LBB54_1754:
	s_and_b64 vcc, exec, s[0:1]
	s_cbranch_vccnz .LBB54_2120
; %bb.1755:
	s_andn2_b64 vcc, exec, s[2:3]
	s_cbranch_vccnz .LBB54_1757
.LBB54_1756:
	v_cndmask_b32_e64 v3, 0, 1, s[4:5]
	s_mov_b64 s[10:11], -1
	global_store_byte v[0:1], v3, off
.LBB54_1757:
	s_mov_b64 s[0:1], 0
	s_branch .LBB54_1761
.LBB54_1758:
	s_andn2_b64 vcc, exec, s[10:11]
	s_cbranch_vccnz .LBB54_1678
.LBB54_1759:
	s_waitcnt vmcnt(0)
	v_cmp_gt_i64_e32 vcc, s[2:3], v[2:3]
	s_andn2_b64 s[10:11], s[24:25], exec
	s_and_b64 s[14:15], vcc, exec
	s_or_b64 s[24:25], s[10:11], s[14:15]
	s_cbranch_execz .LBB54_1679
	s_branch .LBB54_1680
.LBB54_1760:
	s_mov_b64 s[0:1], -1
	s_mov_b64 s[10:11], 0
.LBB54_1761:
	s_and_b64 vcc, exec, s[0:1]
	s_cbranch_vccz .LBB54_1800
; %bb.1762:
	s_and_b32 s2, 0xffff, s28
	s_cmp_lt_i32 s2, 5
	s_mov_b64 s[0:1], -1
	s_cbranch_scc1 .LBB54_1783
; %bb.1763:
	s_cmp_lt_i32 s2, 8
	s_cbranch_scc1 .LBB54_1773
; %bb.1764:
	s_cmp_lt_i32 s2, 9
	s_cbranch_scc1 .LBB54_1770
; %bb.1765:
	s_cmp_gt_i32 s2, 9
	s_cbranch_scc0 .LBB54_1767
; %bb.1766:
	v_cndmask_b32_e64 v3, 0, 1, s[4:5]
	v_cvt_f64_u32_e32 v[3:4], v3
	v_mov_b32_e32 v5, 0
	v_mov_b32_e32 v6, v5
	s_mov_b64 s[0:1], 0
	global_store_dwordx4 v[0:1], v[3:6], off
.LBB54_1767:
	s_andn2_b64 vcc, exec, s[0:1]
	s_cbranch_vccnz .LBB54_1769
; %bb.1768:
	v_cndmask_b32_e64 v3, 0, 1.0, s[4:5]
	v_mov_b32_e32 v4, 0
	global_store_dwordx2 v[0:1], v[3:4], off
.LBB54_1769:
	s_mov_b64 s[0:1], 0
.LBB54_1770:
	s_andn2_b64 vcc, exec, s[0:1]
	s_cbranch_vccnz .LBB54_1772
; %bb.1771:
	v_cndmask_b32_e64 v3, 0, 1.0, s[4:5]
	v_cvt_f16_f32_e32 v3, v3
	global_store_dword v[0:1], v3, off
.LBB54_1772:
	s_mov_b64 s[0:1], 0
.LBB54_1773:
	s_andn2_b64 vcc, exec, s[0:1]
	s_cbranch_vccnz .LBB54_1782
; %bb.1774:
	s_cmp_lt_i32 s2, 6
	s_mov_b64 s[0:1], -1
	s_cbranch_scc1 .LBB54_1780
; %bb.1775:
	s_cmp_gt_i32 s2, 6
	s_cbranch_scc0 .LBB54_1777
; %bb.1776:
	v_cndmask_b32_e64 v3, 0, 1, s[4:5]
	v_cvt_f64_u32_e32 v[3:4], v3
	s_mov_b64 s[0:1], 0
	global_store_dwordx2 v[0:1], v[3:4], off
.LBB54_1777:
	s_andn2_b64 vcc, exec, s[0:1]
	s_cbranch_vccnz .LBB54_1779
; %bb.1778:
	v_cndmask_b32_e64 v3, 0, 1.0, s[4:5]
	global_store_dword v[0:1], v3, off
.LBB54_1779:
	s_mov_b64 s[0:1], 0
.LBB54_1780:
	s_andn2_b64 vcc, exec, s[0:1]
	s_cbranch_vccnz .LBB54_1782
; %bb.1781:
	v_cndmask_b32_e64 v3, 0, 1.0, s[4:5]
	v_cvt_f16_f32_e32 v3, v3
	global_store_short v[0:1], v3, off
.LBB54_1782:
	s_mov_b64 s[0:1], 0
.LBB54_1783:
	s_andn2_b64 vcc, exec, s[0:1]
	s_cbranch_vccnz .LBB54_1799
; %bb.1784:
	s_cmp_lt_i32 s2, 2
	s_mov_b64 s[0:1], -1
	s_cbranch_scc1 .LBB54_1794
; %bb.1785:
	s_cmp_lt_i32 s2, 3
	s_cbranch_scc1 .LBB54_1791
; %bb.1786:
	s_cmp_gt_i32 s2, 3
	s_cbranch_scc0 .LBB54_1788
; %bb.1787:
	s_mov_b32 s0, 0
	v_cndmask_b32_e64 v3, 0, 1, s[4:5]
	v_mov_b32_e32 v4, s0
	global_store_dwordx2 v[0:1], v[3:4], off
	s_mov_b64 s[0:1], 0
.LBB54_1788:
	s_andn2_b64 vcc, exec, s[0:1]
	s_cbranch_vccnz .LBB54_1790
; %bb.1789:
	v_cndmask_b32_e64 v3, 0, 1, s[4:5]
	global_store_dword v[0:1], v3, off
.LBB54_1790:
	s_mov_b64 s[0:1], 0
.LBB54_1791:
	s_andn2_b64 vcc, exec, s[0:1]
	s_cbranch_vccnz .LBB54_1793
; %bb.1792:
	v_cndmask_b32_e64 v3, 0, 1, s[4:5]
	global_store_short v[0:1], v3, off
.LBB54_1793:
	s_mov_b64 s[0:1], 0
.LBB54_1794:
	s_andn2_b64 vcc, exec, s[0:1]
	s_cbranch_vccnz .LBB54_1799
; %bb.1795:
	s_mov_b64 s[0:1], -1
	s_cmp_gt_i32 s2, 0
	v_cndmask_b32_e64 v3, 0, 1, s[4:5]
	s_cbranch_scc0 .LBB54_1797
; %bb.1796:
	global_store_byte v[0:1], v3, off
	s_mov_b64 s[0:1], 0
.LBB54_1797:
	s_andn2_b64 vcc, exec, s[0:1]
	s_cbranch_vccnz .LBB54_1799
; %bb.1798:
	global_store_byte v[0:1], v3, off
.LBB54_1799:
	s_mov_b64 s[10:11], -1
.LBB54_1800:
	s_andn2_b64 vcc, exec, s[10:11]
	s_cbranch_vccnz .LBB54_2115
; %bb.1801:
	s_lshl_b32 s14, s12, 7
	v_add_u32_e32 v2, s14, v2
	v_ashrrev_i32_e32 v1, 31, v2
	v_mov_b32_e32 v3, s9
	v_add_co_u32_e32 v0, vcc, s8, v2
	s_cmp_lt_i32 s28, 11
	v_addc_co_u32_e32 v1, vcc, v3, v1, vcc
	s_cbranch_scc1 .LBB54_1879
; %bb.1802:
	s_and_b32 s15, 0xffff, s28
	s_mov_b64 s[10:11], -1
	s_mov_b64 s[2:3], 0
	s_cmp_gt_i32 s15, 25
	s_mov_b64 s[4:5], 0
	s_mov_b64 s[0:1], 0
	s_cbranch_scc0 .LBB54_1835
; %bb.1803:
	s_cmp_gt_i32 s15, 28
	s_cbranch_scc0 .LBB54_1818
; %bb.1804:
	s_cmp_gt_i32 s15, 43
	;; [unrolled: 3-line block ×3, first 2 shown]
	s_cbranch_scc0 .LBB54_1808
; %bb.1806:
	s_mov_b64 s[0:1], -1
	s_mov_b64 s[10:11], 0
	s_cmp_eq_u32 s15, 46
	s_cbranch_scc0 .LBB54_1808
; %bb.1807:
	v_cndmask_b32_e64 v3, 0, 1.0, s[20:21]
	v_bfe_u32 v4, v3, 16, 1
	s_movk_i32 s0, 0x7fff
	v_add3_u32 v3, v3, v4, s0
	v_lshrrev_b32_e32 v3, 16, v3
	global_store_dword v[0:1], v3, off
	s_mov_b64 s[0:1], 0
	s_mov_b64 s[4:5], -1
.LBB54_1808:
	s_and_b64 vcc, exec, s[10:11]
	s_cbranch_vccz .LBB54_1813
; %bb.1809:
	s_cmp_eq_u32 s15, 44
	s_mov_b64 s[0:1], -1
	s_cbranch_scc0 .LBB54_1813
; %bb.1810:
	v_cndmask_b32_e64 v4, 0, 1.0, s[20:21]
	v_lshrrev_b32_e32 v3, 23, v4
	s_movk_i32 s0, 0xff
	v_cmp_ne_u32_e32 vcc, s0, v3
	v_mov_b32_e32 v5, 0xff
	s_and_saveexec_b64 s[4:5], vcc
; %bb.1811:
	s_mov_b32 s0, 0x3fffff
	v_and_b32_e32 v5, 0x400000, v4
	v_and_or_b32 v4, v4, s0, v3
	v_cmp_ne_u32_e32 vcc, 0, v5
	v_cmp_ne_u32_e64 s[0:1], 0, v4
	s_and_b64 s[0:1], vcc, s[0:1]
	v_cndmask_b32_e64 v4, 0, 1, s[0:1]
	v_add_u32_e32 v5, v3, v4
; %bb.1812:
	s_or_b64 exec, exec, s[4:5]
	s_mov_b64 s[0:1], 0
	s_mov_b64 s[4:5], -1
	global_store_byte v[0:1], v5, off
.LBB54_1813:
	s_mov_b64 s[10:11], 0
.LBB54_1814:
	s_and_b64 vcc, exec, s[10:11]
	s_cbranch_vccz .LBB54_1817
; %bb.1815:
	s_cmp_eq_u32 s15, 29
	s_mov_b64 s[0:1], -1
	s_cbranch_scc0 .LBB54_1817
; %bb.1816:
	s_mov_b32 s0, 0
	v_cndmask_b32_e64 v3, 0, 1, s[20:21]
	v_mov_b32_e32 v4, s0
	global_store_dwordx2 v[0:1], v[3:4], off
	s_mov_b64 s[0:1], 0
	s_mov_b64 s[4:5], -1
.LBB54_1817:
	s_mov_b64 s[10:11], 0
.LBB54_1818:
	s_and_b64 vcc, exec, s[10:11]
	s_cbranch_vccz .LBB54_1834
; %bb.1819:
	s_cmp_lt_i32 s15, 27
	s_mov_b64 s[4:5], -1
	s_cbranch_scc1 .LBB54_1825
; %bb.1820:
	s_cmp_gt_i32 s15, 27
	s_cbranch_scc0 .LBB54_1822
; %bb.1821:
	v_cndmask_b32_e64 v3, 0, 1, s[20:21]
	s_mov_b64 s[4:5], 0
	global_store_dword v[0:1], v3, off
.LBB54_1822:
	s_andn2_b64 vcc, exec, s[4:5]
	s_cbranch_vccnz .LBB54_1824
; %bb.1823:
	v_cndmask_b32_e64 v3, 0, 1, s[20:21]
	global_store_short v[0:1], v3, off
.LBB54_1824:
	s_mov_b64 s[4:5], 0
.LBB54_1825:
	s_andn2_b64 vcc, exec, s[4:5]
	s_cbranch_vccnz .LBB54_1833
; %bb.1826:
	v_cndmask_b32_e64 v4, 0, 1.0, s[20:21]
	s_mov_b32 s4, 0x43800000
	v_cmp_gt_u32_e32 vcc, s4, v4
	v_mov_b32_e32 v5, 0x80
	s_and_saveexec_b64 s[4:5], vcc
	s_cbranch_execz .LBB54_1832
; %bb.1827:
	s_mov_b32 s10, 0x3bffffff
	v_cmp_lt_u32_e32 vcc, s10, v4
	s_mov_b64 s[10:11], 0
                                        ; implicit-def: $vgpr3
	s_and_saveexec_b64 s[12:13], vcc
	s_xor_b64 s[12:13], exec, s[12:13]
	s_cbranch_execz .LBB54_2123
; %bb.1828:
	v_bfe_u32 v3, v4, 20, 1
	s_mov_b32 s26, 0x487ffff
	v_add3_u32 v3, v4, v3, s26
	s_mov_b64 s[10:11], exec
	v_lshrrev_b32_e32 v3, 20, v3
                                        ; implicit-def: $vgpr4
	s_andn2_saveexec_b64 s[12:13], s[12:13]
	s_cbranch_execnz .LBB54_2124
.LBB54_1829:
	s_or_b64 exec, exec, s[12:13]
	v_mov_b32_e32 v5, 0
	s_and_saveexec_b64 s[12:13], s[10:11]
.LBB54_1830:
	v_mov_b32_e32 v5, v3
.LBB54_1831:
	s_or_b64 exec, exec, s[12:13]
.LBB54_1832:
	s_or_b64 exec, exec, s[4:5]
	global_store_byte v[0:1], v5, off
.LBB54_1833:
	s_mov_b64 s[4:5], -1
.LBB54_1834:
	s_mov_b64 s[10:11], 0
.LBB54_1835:
	s_and_b64 vcc, exec, s[10:11]
	s_cbranch_vccz .LBB54_1875
; %bb.1836:
	s_cmp_gt_i32 s15, 22
	s_mov_b64 s[2:3], -1
	s_cbranch_scc0 .LBB54_1868
; %bb.1837:
	s_cmp_lt_i32 s15, 24
	s_cbranch_scc1 .LBB54_1857
; %bb.1838:
	s_cmp_gt_i32 s15, 24
	s_cbranch_scc0 .LBB54_1846
; %bb.1839:
	v_cndmask_b32_e64 v4, 0, 1.0, s[20:21]
	s_mov_b32 s2, 0x47800000
	v_cmp_gt_u32_e32 vcc, s2, v4
	v_mov_b32_e32 v5, 0x80
	s_and_saveexec_b64 s[2:3], vcc
	s_cbranch_execz .LBB54_1845
; %bb.1840:
	s_mov_b32 s4, 0x37ffffff
	v_cmp_lt_u32_e32 vcc, s4, v4
	s_mov_b64 s[4:5], 0
                                        ; implicit-def: $vgpr3
	s_and_saveexec_b64 s[10:11], vcc
	s_xor_b64 s[10:11], exec, s[10:11]
	s_cbranch_execz .LBB54_2126
; %bb.1841:
	v_bfe_u32 v3, v4, 21, 1
	s_mov_b32 s12, 0x88fffff
	v_add3_u32 v3, v4, v3, s12
	s_mov_b64 s[4:5], exec
	v_lshrrev_b32_e32 v3, 21, v3
                                        ; implicit-def: $vgpr4
	s_andn2_saveexec_b64 s[10:11], s[10:11]
	s_cbranch_execnz .LBB54_2127
.LBB54_1842:
	s_or_b64 exec, exec, s[10:11]
	v_mov_b32_e32 v5, 0
	s_and_saveexec_b64 s[10:11], s[4:5]
.LBB54_1843:
	v_mov_b32_e32 v5, v3
.LBB54_1844:
	s_or_b64 exec, exec, s[10:11]
.LBB54_1845:
	s_or_b64 exec, exec, s[2:3]
	s_mov_b64 s[2:3], 0
	global_store_byte v[0:1], v5, off
.LBB54_1846:
	s_and_b64 vcc, exec, s[2:3]
	s_cbranch_vccz .LBB54_1856
; %bb.1847:
	v_cndmask_b32_e64 v3, 0, 1.0, s[20:21]
	s_mov_b32 s2, 0x43f00000
	v_cmp_gt_u32_e32 vcc, s2, v3
                                        ; implicit-def: $vgpr4
	s_and_saveexec_b64 s[2:3], vcc
	s_xor_b64 s[2:3], exec, s[2:3]
	s_cbranch_execz .LBB54_1853
; %bb.1848:
	s_mov_b32 s4, 0x3c7fffff
	v_cmp_lt_u32_e32 vcc, s4, v3
                                        ; implicit-def: $vgpr4
	s_and_saveexec_b64 s[4:5], vcc
	s_xor_b64 s[4:5], exec, s[4:5]
; %bb.1849:
	v_bfe_u32 v4, v3, 20, 1
	s_mov_b32 s10, 0x407ffff
	v_add3_u32 v3, v3, v4, s10
	v_lshrrev_b32_e32 v4, 20, v3
	v_and_b32_e32 v3, 0xff00000, v3
	s_mov_b32 s10, 0x7f00000
	v_mov_b32_e32 v5, 0x7e
	v_cmp_ne_u32_e32 vcc, s10, v3
	v_cndmask_b32_e32 v4, v5, v4, vcc
                                        ; implicit-def: $vgpr3
; %bb.1850:
	s_andn2_saveexec_b64 s[4:5], s[4:5]
; %bb.1851:
	v_add_f32_e32 v4, 0x46800000, v3
; %bb.1852:
	s_or_b64 exec, exec, s[4:5]
                                        ; implicit-def: $vgpr3
.LBB54_1853:
	s_andn2_saveexec_b64 s[2:3], s[2:3]
; %bb.1854:
	s_mov_b32 s4, 0x7f800000
	v_mov_b32_e32 v4, 0x7e
	v_mov_b32_e32 v5, 0x7f
	v_cmp_lt_u32_e32 vcc, s4, v3
	v_cndmask_b32_e32 v4, v4, v5, vcc
; %bb.1855:
	s_or_b64 exec, exec, s[2:3]
	global_store_byte v[0:1], v4, off
.LBB54_1856:
	s_mov_b64 s[2:3], 0
.LBB54_1857:
	s_andn2_b64 vcc, exec, s[2:3]
	s_cbranch_vccnz .LBB54_1867
; %bb.1858:
	v_cndmask_b32_e64 v3, 0, 1.0, s[20:21]
	s_mov_b32 s2, 0x47800000
	v_cmp_gt_u32_e32 vcc, s2, v3
                                        ; implicit-def: $vgpr4
	s_and_saveexec_b64 s[2:3], vcc
	s_xor_b64 s[2:3], exec, s[2:3]
	s_cbranch_execz .LBB54_1864
; %bb.1859:
	s_mov_b32 s4, 0x387fffff
	v_cmp_lt_u32_e32 vcc, s4, v3
                                        ; implicit-def: $vgpr4
	s_and_saveexec_b64 s[4:5], vcc
	s_xor_b64 s[4:5], exec, s[4:5]
; %bb.1860:
	v_bfe_u32 v4, v3, 21, 1
	s_mov_b32 s10, 0x80fffff
	v_add3_u32 v3, v3, v4, s10
	v_lshrrev_b32_e32 v4, 21, v3
                                        ; implicit-def: $vgpr3
; %bb.1861:
	s_andn2_saveexec_b64 s[4:5], s[4:5]
; %bb.1862:
	v_add_f32_e32 v4, 0x43000000, v3
; %bb.1863:
	s_or_b64 exec, exec, s[4:5]
                                        ; implicit-def: $vgpr3
.LBB54_1864:
	s_andn2_saveexec_b64 s[2:3], s[2:3]
; %bb.1865:
	s_mov_b32 s4, 0x7f800000
	v_mov_b32_e32 v4, 0x7c
	v_mov_b32_e32 v5, 0x7f
	v_cmp_lt_u32_e32 vcc, s4, v3
	v_cndmask_b32_e32 v4, v4, v5, vcc
; %bb.1866:
	s_or_b64 exec, exec, s[2:3]
	global_store_byte v[0:1], v4, off
.LBB54_1867:
	s_mov_b64 s[2:3], 0
	s_mov_b64 s[4:5], -1
.LBB54_1868:
	s_andn2_b64 vcc, exec, s[2:3]
	s_mov_b64 s[2:3], 0
	s_cbranch_vccnz .LBB54_1875
; %bb.1869:
	s_cmp_gt_i32 s15, 14
	s_mov_b64 s[10:11], -1
	s_cbranch_scc0 .LBB54_1873
; %bb.1870:
	s_cmp_eq_u32 s15, 15
	s_mov_b64 s[0:1], -1
	s_cbranch_scc0 .LBB54_1872
; %bb.1871:
	v_cndmask_b32_e64 v3, 0, 1.0, s[20:21]
	v_bfe_u32 v4, v3, 16, 1
	s_movk_i32 s0, 0x7fff
	v_add3_u32 v3, v3, v4, s0
	global_store_short_d16_hi v[0:1], v3, off
	s_mov_b64 s[0:1], 0
	s_mov_b64 s[4:5], -1
.LBB54_1872:
	s_mov_b64 s[10:11], 0
.LBB54_1873:
	s_and_b64 vcc, exec, s[10:11]
	s_cbranch_vccz .LBB54_1875
; %bb.1874:
	s_cmp_lg_u32 s15, 11
	s_mov_b64 s[2:3], -1
	s_cselect_b64 s[0:1], -1, 0
.LBB54_1875:
	s_and_b64 vcc, exec, s[0:1]
	s_cbranch_vccnz .LBB54_2125
; %bb.1876:
	s_andn2_b64 vcc, exec, s[2:3]
	s_cbranch_vccnz .LBB54_1878
.LBB54_1877:
	v_cndmask_b32_e64 v3, 0, 1, s[20:21]
	s_mov_b64 s[4:5], -1
	global_store_byte v[0:1], v3, off
.LBB54_1878:
	s_mov_b64 s[0:1], 0
	s_branch .LBB54_1880
.LBB54_1879:
	s_mov_b64 s[0:1], -1
	s_mov_b64 s[4:5], 0
.LBB54_1880:
	s_and_b64 vcc, exec, s[0:1]
	s_cbranch_vccz .LBB54_1919
; %bb.1881:
	s_and_b32 s2, 0xffff, s28
	s_cmp_lt_i32 s2, 5
	s_mov_b64 s[0:1], -1
	s_cbranch_scc1 .LBB54_1902
; %bb.1882:
	s_cmp_lt_i32 s2, 8
	s_cbranch_scc1 .LBB54_1892
; %bb.1883:
	s_cmp_lt_i32 s2, 9
	s_cbranch_scc1 .LBB54_1889
; %bb.1884:
	s_cmp_gt_i32 s2, 9
	s_cbranch_scc0 .LBB54_1886
; %bb.1885:
	v_cndmask_b32_e64 v3, 0, 1, s[20:21]
	v_cvt_f64_u32_e32 v[3:4], v3
	v_mov_b32_e32 v5, 0
	v_mov_b32_e32 v6, v5
	s_mov_b64 s[0:1], 0
	global_store_dwordx4 v[0:1], v[3:6], off
.LBB54_1886:
	s_andn2_b64 vcc, exec, s[0:1]
	s_cbranch_vccnz .LBB54_1888
; %bb.1887:
	v_cndmask_b32_e64 v3, 0, 1.0, s[20:21]
	v_mov_b32_e32 v4, 0
	global_store_dwordx2 v[0:1], v[3:4], off
.LBB54_1888:
	s_mov_b64 s[0:1], 0
.LBB54_1889:
	s_andn2_b64 vcc, exec, s[0:1]
	s_cbranch_vccnz .LBB54_1891
; %bb.1890:
	v_cndmask_b32_e64 v3, 0, 1.0, s[20:21]
	v_cvt_f16_f32_e32 v3, v3
	global_store_dword v[0:1], v3, off
.LBB54_1891:
	s_mov_b64 s[0:1], 0
.LBB54_1892:
	s_andn2_b64 vcc, exec, s[0:1]
	s_cbranch_vccnz .LBB54_1901
; %bb.1893:
	s_cmp_lt_i32 s2, 6
	s_mov_b64 s[0:1], -1
	s_cbranch_scc1 .LBB54_1899
; %bb.1894:
	s_cmp_gt_i32 s2, 6
	s_cbranch_scc0 .LBB54_1896
; %bb.1895:
	v_cndmask_b32_e64 v3, 0, 1, s[20:21]
	v_cvt_f64_u32_e32 v[3:4], v3
	s_mov_b64 s[0:1], 0
	global_store_dwordx2 v[0:1], v[3:4], off
.LBB54_1896:
	s_andn2_b64 vcc, exec, s[0:1]
	s_cbranch_vccnz .LBB54_1898
; %bb.1897:
	v_cndmask_b32_e64 v3, 0, 1.0, s[20:21]
	global_store_dword v[0:1], v3, off
.LBB54_1898:
	s_mov_b64 s[0:1], 0
.LBB54_1899:
	s_andn2_b64 vcc, exec, s[0:1]
	s_cbranch_vccnz .LBB54_1901
; %bb.1900:
	v_cndmask_b32_e64 v3, 0, 1.0, s[20:21]
	v_cvt_f16_f32_e32 v3, v3
	global_store_short v[0:1], v3, off
.LBB54_1901:
	s_mov_b64 s[0:1], 0
.LBB54_1902:
	s_andn2_b64 vcc, exec, s[0:1]
	s_cbranch_vccnz .LBB54_1918
; %bb.1903:
	s_cmp_lt_i32 s2, 2
	s_mov_b64 s[0:1], -1
	s_cbranch_scc1 .LBB54_1913
; %bb.1904:
	s_cmp_lt_i32 s2, 3
	s_cbranch_scc1 .LBB54_1910
; %bb.1905:
	s_cmp_gt_i32 s2, 3
	s_cbranch_scc0 .LBB54_1907
; %bb.1906:
	s_mov_b32 s0, 0
	v_cndmask_b32_e64 v3, 0, 1, s[20:21]
	v_mov_b32_e32 v4, s0
	global_store_dwordx2 v[0:1], v[3:4], off
	s_mov_b64 s[0:1], 0
.LBB54_1907:
	s_andn2_b64 vcc, exec, s[0:1]
	s_cbranch_vccnz .LBB54_1909
; %bb.1908:
	v_cndmask_b32_e64 v3, 0, 1, s[20:21]
	global_store_dword v[0:1], v3, off
.LBB54_1909:
	s_mov_b64 s[0:1], 0
.LBB54_1910:
	s_andn2_b64 vcc, exec, s[0:1]
	s_cbranch_vccnz .LBB54_1912
; %bb.1911:
	v_cndmask_b32_e64 v3, 0, 1, s[20:21]
	global_store_short v[0:1], v3, off
.LBB54_1912:
	s_mov_b64 s[0:1], 0
.LBB54_1913:
	s_andn2_b64 vcc, exec, s[0:1]
	s_cbranch_vccnz .LBB54_1918
; %bb.1914:
	s_mov_b64 s[0:1], -1
	s_cmp_gt_i32 s2, 0
	v_cndmask_b32_e64 v3, 0, 1, s[20:21]
	s_cbranch_scc0 .LBB54_1916
; %bb.1915:
	global_store_byte v[0:1], v3, off
	s_mov_b64 s[0:1], 0
.LBB54_1916:
	s_andn2_b64 vcc, exec, s[0:1]
	s_cbranch_vccnz .LBB54_1918
; %bb.1917:
	global_store_byte v[0:1], v3, off
.LBB54_1918:
	s_mov_b64 s[4:5], -1
.LBB54_1919:
	s_andn2_b64 vcc, exec, s[4:5]
	s_cbranch_vccnz .LBB54_2115
; %bb.1920:
	v_add_u32_e32 v2, s14, v2
	v_ashrrev_i32_e32 v1, 31, v2
	v_mov_b32_e32 v3, s9
	v_add_co_u32_e32 v0, vcc, s8, v2
	s_cmp_lt_i32 s28, 11
	v_addc_co_u32_e32 v1, vcc, v3, v1, vcc
	s_cbranch_scc1 .LBB54_1998
; %bb.1921:
	s_and_b32 s15, 0xffff, s28
	s_mov_b64 s[10:11], -1
	s_mov_b64 s[2:3], 0
	s_cmp_gt_i32 s15, 25
	s_mov_b64 s[4:5], 0
	s_mov_b64 s[0:1], 0
	s_cbranch_scc0 .LBB54_1954
; %bb.1922:
	s_cmp_gt_i32 s15, 28
	s_cbranch_scc0 .LBB54_1937
; %bb.1923:
	s_cmp_gt_i32 s15, 43
	;; [unrolled: 3-line block ×3, first 2 shown]
	s_cbranch_scc0 .LBB54_1927
; %bb.1925:
	s_mov_b64 s[0:1], -1
	s_mov_b64 s[10:11], 0
	s_cmp_eq_u32 s15, 46
	s_cbranch_scc0 .LBB54_1927
; %bb.1926:
	v_cndmask_b32_e64 v3, 0, 1.0, s[22:23]
	v_bfe_u32 v4, v3, 16, 1
	s_movk_i32 s0, 0x7fff
	v_add3_u32 v3, v3, v4, s0
	v_lshrrev_b32_e32 v3, 16, v3
	global_store_dword v[0:1], v3, off
	s_mov_b64 s[0:1], 0
	s_mov_b64 s[4:5], -1
.LBB54_1927:
	s_and_b64 vcc, exec, s[10:11]
	s_cbranch_vccz .LBB54_1932
; %bb.1928:
	s_cmp_eq_u32 s15, 44
	s_mov_b64 s[0:1], -1
	s_cbranch_scc0 .LBB54_1932
; %bb.1929:
	v_cndmask_b32_e64 v4, 0, 1.0, s[22:23]
	v_lshrrev_b32_e32 v3, 23, v4
	s_movk_i32 s0, 0xff
	v_cmp_ne_u32_e32 vcc, s0, v3
	v_mov_b32_e32 v5, 0xff
	s_and_saveexec_b64 s[4:5], vcc
; %bb.1930:
	s_mov_b32 s0, 0x3fffff
	v_and_b32_e32 v5, 0x400000, v4
	v_and_or_b32 v4, v4, s0, v3
	v_cmp_ne_u32_e32 vcc, 0, v5
	v_cmp_ne_u32_e64 s[0:1], 0, v4
	s_and_b64 s[0:1], vcc, s[0:1]
	v_cndmask_b32_e64 v4, 0, 1, s[0:1]
	v_add_u32_e32 v5, v3, v4
; %bb.1931:
	s_or_b64 exec, exec, s[4:5]
	s_mov_b64 s[0:1], 0
	s_mov_b64 s[4:5], -1
	global_store_byte v[0:1], v5, off
.LBB54_1932:
	s_mov_b64 s[10:11], 0
.LBB54_1933:
	s_and_b64 vcc, exec, s[10:11]
	s_cbranch_vccz .LBB54_1936
; %bb.1934:
	s_cmp_eq_u32 s15, 29
	s_mov_b64 s[0:1], -1
	s_cbranch_scc0 .LBB54_1936
; %bb.1935:
	s_mov_b32 s0, 0
	v_cndmask_b32_e64 v3, 0, 1, s[22:23]
	v_mov_b32_e32 v4, s0
	global_store_dwordx2 v[0:1], v[3:4], off
	s_mov_b64 s[0:1], 0
	s_mov_b64 s[4:5], -1
.LBB54_1936:
	s_mov_b64 s[10:11], 0
.LBB54_1937:
	s_and_b64 vcc, exec, s[10:11]
	s_cbranch_vccz .LBB54_1953
; %bb.1938:
	s_cmp_lt_i32 s15, 27
	s_mov_b64 s[4:5], -1
	s_cbranch_scc1 .LBB54_1944
; %bb.1939:
	s_cmp_gt_i32 s15, 27
	s_cbranch_scc0 .LBB54_1941
; %bb.1940:
	v_cndmask_b32_e64 v3, 0, 1, s[22:23]
	s_mov_b64 s[4:5], 0
	global_store_dword v[0:1], v3, off
.LBB54_1941:
	s_andn2_b64 vcc, exec, s[4:5]
	s_cbranch_vccnz .LBB54_1943
; %bb.1942:
	v_cndmask_b32_e64 v3, 0, 1, s[22:23]
	global_store_short v[0:1], v3, off
.LBB54_1943:
	s_mov_b64 s[4:5], 0
.LBB54_1944:
	s_andn2_b64 vcc, exec, s[4:5]
	s_cbranch_vccnz .LBB54_1952
; %bb.1945:
	v_cndmask_b32_e64 v4, 0, 1.0, s[22:23]
	s_mov_b32 s4, 0x43800000
	v_cmp_gt_u32_e32 vcc, s4, v4
	v_mov_b32_e32 v5, 0x80
	s_and_saveexec_b64 s[4:5], vcc
	s_cbranch_execz .LBB54_1951
; %bb.1946:
	s_mov_b32 s10, 0x3bffffff
	v_cmp_lt_u32_e32 vcc, s10, v4
	s_mov_b64 s[10:11], 0
                                        ; implicit-def: $vgpr3
	s_and_saveexec_b64 s[12:13], vcc
	s_xor_b64 s[12:13], exec, s[12:13]
	s_cbranch_execz .LBB54_2128
; %bb.1947:
	v_bfe_u32 v3, v4, 20, 1
	s_mov_b32 s20, 0x487ffff
	v_add3_u32 v3, v4, v3, s20
	s_mov_b64 s[10:11], exec
	v_lshrrev_b32_e32 v3, 20, v3
                                        ; implicit-def: $vgpr4
	s_andn2_saveexec_b64 s[12:13], s[12:13]
	s_cbranch_execnz .LBB54_2129
.LBB54_1948:
	s_or_b64 exec, exec, s[12:13]
	v_mov_b32_e32 v5, 0
	s_and_saveexec_b64 s[12:13], s[10:11]
.LBB54_1949:
	v_mov_b32_e32 v5, v3
.LBB54_1950:
	s_or_b64 exec, exec, s[12:13]
.LBB54_1951:
	s_or_b64 exec, exec, s[4:5]
	global_store_byte v[0:1], v5, off
.LBB54_1952:
	s_mov_b64 s[4:5], -1
.LBB54_1953:
	s_mov_b64 s[10:11], 0
.LBB54_1954:
	s_and_b64 vcc, exec, s[10:11]
	s_cbranch_vccz .LBB54_1994
; %bb.1955:
	s_cmp_gt_i32 s15, 22
	s_mov_b64 s[2:3], -1
	s_cbranch_scc0 .LBB54_1987
; %bb.1956:
	s_cmp_lt_i32 s15, 24
	s_cbranch_scc1 .LBB54_1976
; %bb.1957:
	s_cmp_gt_i32 s15, 24
	s_cbranch_scc0 .LBB54_1965
; %bb.1958:
	v_cndmask_b32_e64 v4, 0, 1.0, s[22:23]
	s_mov_b32 s2, 0x47800000
	v_cmp_gt_u32_e32 vcc, s2, v4
	v_mov_b32_e32 v5, 0x80
	s_and_saveexec_b64 s[2:3], vcc
	s_cbranch_execz .LBB54_1964
; %bb.1959:
	s_mov_b32 s4, 0x37ffffff
	v_cmp_lt_u32_e32 vcc, s4, v4
	s_mov_b64 s[4:5], 0
                                        ; implicit-def: $vgpr3
	s_and_saveexec_b64 s[10:11], vcc
	s_xor_b64 s[10:11], exec, s[10:11]
	s_cbranch_execz .LBB54_2131
; %bb.1960:
	v_bfe_u32 v3, v4, 21, 1
	s_mov_b32 s12, 0x88fffff
	v_add3_u32 v3, v4, v3, s12
	s_mov_b64 s[4:5], exec
	v_lshrrev_b32_e32 v3, 21, v3
                                        ; implicit-def: $vgpr4
	s_andn2_saveexec_b64 s[10:11], s[10:11]
	s_cbranch_execnz .LBB54_2132
.LBB54_1961:
	s_or_b64 exec, exec, s[10:11]
	v_mov_b32_e32 v5, 0
	s_and_saveexec_b64 s[10:11], s[4:5]
.LBB54_1962:
	v_mov_b32_e32 v5, v3
.LBB54_1963:
	s_or_b64 exec, exec, s[10:11]
.LBB54_1964:
	s_or_b64 exec, exec, s[2:3]
	s_mov_b64 s[2:3], 0
	global_store_byte v[0:1], v5, off
.LBB54_1965:
	s_and_b64 vcc, exec, s[2:3]
	s_cbranch_vccz .LBB54_1975
; %bb.1966:
	v_cndmask_b32_e64 v3, 0, 1.0, s[22:23]
	s_mov_b32 s2, 0x43f00000
	v_cmp_gt_u32_e32 vcc, s2, v3
                                        ; implicit-def: $vgpr4
	s_and_saveexec_b64 s[2:3], vcc
	s_xor_b64 s[2:3], exec, s[2:3]
	s_cbranch_execz .LBB54_1972
; %bb.1967:
	s_mov_b32 s4, 0x3c7fffff
	v_cmp_lt_u32_e32 vcc, s4, v3
                                        ; implicit-def: $vgpr4
	s_and_saveexec_b64 s[4:5], vcc
	s_xor_b64 s[4:5], exec, s[4:5]
; %bb.1968:
	v_bfe_u32 v4, v3, 20, 1
	s_mov_b32 s10, 0x407ffff
	v_add3_u32 v3, v3, v4, s10
	v_lshrrev_b32_e32 v4, 20, v3
	v_and_b32_e32 v3, 0xff00000, v3
	s_mov_b32 s10, 0x7f00000
	v_mov_b32_e32 v5, 0x7e
	v_cmp_ne_u32_e32 vcc, s10, v3
	v_cndmask_b32_e32 v4, v5, v4, vcc
                                        ; implicit-def: $vgpr3
; %bb.1969:
	s_andn2_saveexec_b64 s[4:5], s[4:5]
; %bb.1970:
	v_add_f32_e32 v4, 0x46800000, v3
; %bb.1971:
	s_or_b64 exec, exec, s[4:5]
                                        ; implicit-def: $vgpr3
.LBB54_1972:
	s_andn2_saveexec_b64 s[2:3], s[2:3]
; %bb.1973:
	s_mov_b32 s4, 0x7f800000
	v_mov_b32_e32 v4, 0x7e
	v_mov_b32_e32 v5, 0x7f
	v_cmp_lt_u32_e32 vcc, s4, v3
	v_cndmask_b32_e32 v4, v4, v5, vcc
; %bb.1974:
	s_or_b64 exec, exec, s[2:3]
	global_store_byte v[0:1], v4, off
.LBB54_1975:
	s_mov_b64 s[2:3], 0
.LBB54_1976:
	s_andn2_b64 vcc, exec, s[2:3]
	s_cbranch_vccnz .LBB54_1986
; %bb.1977:
	v_cndmask_b32_e64 v3, 0, 1.0, s[22:23]
	s_mov_b32 s2, 0x47800000
	v_cmp_gt_u32_e32 vcc, s2, v3
                                        ; implicit-def: $vgpr4
	s_and_saveexec_b64 s[2:3], vcc
	s_xor_b64 s[2:3], exec, s[2:3]
	s_cbranch_execz .LBB54_1983
; %bb.1978:
	s_mov_b32 s4, 0x387fffff
	v_cmp_lt_u32_e32 vcc, s4, v3
                                        ; implicit-def: $vgpr4
	s_and_saveexec_b64 s[4:5], vcc
	s_xor_b64 s[4:5], exec, s[4:5]
; %bb.1979:
	v_bfe_u32 v4, v3, 21, 1
	s_mov_b32 s10, 0x80fffff
	v_add3_u32 v3, v3, v4, s10
	v_lshrrev_b32_e32 v4, 21, v3
                                        ; implicit-def: $vgpr3
; %bb.1980:
	s_andn2_saveexec_b64 s[4:5], s[4:5]
; %bb.1981:
	v_add_f32_e32 v4, 0x43000000, v3
; %bb.1982:
	s_or_b64 exec, exec, s[4:5]
                                        ; implicit-def: $vgpr3
.LBB54_1983:
	s_andn2_saveexec_b64 s[2:3], s[2:3]
; %bb.1984:
	s_mov_b32 s4, 0x7f800000
	v_mov_b32_e32 v4, 0x7c
	v_mov_b32_e32 v5, 0x7f
	v_cmp_lt_u32_e32 vcc, s4, v3
	v_cndmask_b32_e32 v4, v4, v5, vcc
; %bb.1985:
	s_or_b64 exec, exec, s[2:3]
	global_store_byte v[0:1], v4, off
.LBB54_1986:
	s_mov_b64 s[2:3], 0
	s_mov_b64 s[4:5], -1
.LBB54_1987:
	s_andn2_b64 vcc, exec, s[2:3]
	s_mov_b64 s[2:3], 0
	s_cbranch_vccnz .LBB54_1994
; %bb.1988:
	s_cmp_gt_i32 s15, 14
	s_mov_b64 s[10:11], -1
	s_cbranch_scc0 .LBB54_1992
; %bb.1989:
	s_cmp_eq_u32 s15, 15
	s_mov_b64 s[0:1], -1
	s_cbranch_scc0 .LBB54_1991
; %bb.1990:
	v_cndmask_b32_e64 v3, 0, 1.0, s[22:23]
	v_bfe_u32 v4, v3, 16, 1
	s_movk_i32 s0, 0x7fff
	v_add3_u32 v3, v3, v4, s0
	global_store_short_d16_hi v[0:1], v3, off
	s_mov_b64 s[0:1], 0
	s_mov_b64 s[4:5], -1
.LBB54_1991:
	s_mov_b64 s[10:11], 0
.LBB54_1992:
	s_and_b64 vcc, exec, s[10:11]
	s_cbranch_vccz .LBB54_1994
; %bb.1993:
	s_cmp_lg_u32 s15, 11
	s_mov_b64 s[2:3], -1
	s_cselect_b64 s[0:1], -1, 0
.LBB54_1994:
	s_and_b64 vcc, exec, s[0:1]
	s_cbranch_vccnz .LBB54_2130
; %bb.1995:
	s_andn2_b64 vcc, exec, s[2:3]
	s_cbranch_vccnz .LBB54_1997
.LBB54_1996:
	v_cndmask_b32_e64 v3, 0, 1, s[22:23]
	s_mov_b64 s[4:5], -1
	global_store_byte v[0:1], v3, off
.LBB54_1997:
	s_mov_b64 s[0:1], 0
	s_branch .LBB54_1999
.LBB54_1998:
	s_mov_b64 s[0:1], -1
	s_mov_b64 s[4:5], 0
.LBB54_1999:
	s_and_b64 vcc, exec, s[0:1]
	s_cbranch_vccz .LBB54_2038
; %bb.2000:
	s_and_b32 s2, 0xffff, s28
	s_cmp_lt_i32 s2, 5
	s_mov_b64 s[0:1], -1
	s_cbranch_scc1 .LBB54_2021
; %bb.2001:
	s_cmp_lt_i32 s2, 8
	s_cbranch_scc1 .LBB54_2011
; %bb.2002:
	s_cmp_lt_i32 s2, 9
	s_cbranch_scc1 .LBB54_2008
; %bb.2003:
	s_cmp_gt_i32 s2, 9
	s_cbranch_scc0 .LBB54_2005
; %bb.2004:
	v_cndmask_b32_e64 v3, 0, 1, s[22:23]
	v_cvt_f64_u32_e32 v[3:4], v3
	v_mov_b32_e32 v5, 0
	v_mov_b32_e32 v6, v5
	s_mov_b64 s[0:1], 0
	global_store_dwordx4 v[0:1], v[3:6], off
.LBB54_2005:
	s_andn2_b64 vcc, exec, s[0:1]
	s_cbranch_vccnz .LBB54_2007
; %bb.2006:
	v_cndmask_b32_e64 v3, 0, 1.0, s[22:23]
	v_mov_b32_e32 v4, 0
	global_store_dwordx2 v[0:1], v[3:4], off
.LBB54_2007:
	s_mov_b64 s[0:1], 0
.LBB54_2008:
	s_andn2_b64 vcc, exec, s[0:1]
	s_cbranch_vccnz .LBB54_2010
; %bb.2009:
	v_cndmask_b32_e64 v3, 0, 1.0, s[22:23]
	v_cvt_f16_f32_e32 v3, v3
	global_store_dword v[0:1], v3, off
.LBB54_2010:
	s_mov_b64 s[0:1], 0
.LBB54_2011:
	s_andn2_b64 vcc, exec, s[0:1]
	s_cbranch_vccnz .LBB54_2020
; %bb.2012:
	s_cmp_lt_i32 s2, 6
	s_mov_b64 s[0:1], -1
	s_cbranch_scc1 .LBB54_2018
; %bb.2013:
	s_cmp_gt_i32 s2, 6
	s_cbranch_scc0 .LBB54_2015
; %bb.2014:
	v_cndmask_b32_e64 v3, 0, 1, s[22:23]
	v_cvt_f64_u32_e32 v[3:4], v3
	s_mov_b64 s[0:1], 0
	global_store_dwordx2 v[0:1], v[3:4], off
.LBB54_2015:
	s_andn2_b64 vcc, exec, s[0:1]
	s_cbranch_vccnz .LBB54_2017
; %bb.2016:
	v_cndmask_b32_e64 v3, 0, 1.0, s[22:23]
	global_store_dword v[0:1], v3, off
.LBB54_2017:
	s_mov_b64 s[0:1], 0
.LBB54_2018:
	s_andn2_b64 vcc, exec, s[0:1]
	s_cbranch_vccnz .LBB54_2020
; %bb.2019:
	v_cndmask_b32_e64 v3, 0, 1.0, s[22:23]
	v_cvt_f16_f32_e32 v3, v3
	global_store_short v[0:1], v3, off
.LBB54_2020:
	s_mov_b64 s[0:1], 0
.LBB54_2021:
	s_andn2_b64 vcc, exec, s[0:1]
	s_cbranch_vccnz .LBB54_2037
; %bb.2022:
	s_cmp_lt_i32 s2, 2
	s_mov_b64 s[0:1], -1
	s_cbranch_scc1 .LBB54_2032
; %bb.2023:
	s_cmp_lt_i32 s2, 3
	s_cbranch_scc1 .LBB54_2029
; %bb.2024:
	s_cmp_gt_i32 s2, 3
	s_cbranch_scc0 .LBB54_2026
; %bb.2025:
	s_mov_b32 s0, 0
	v_cndmask_b32_e64 v3, 0, 1, s[22:23]
	v_mov_b32_e32 v4, s0
	global_store_dwordx2 v[0:1], v[3:4], off
	s_mov_b64 s[0:1], 0
.LBB54_2026:
	s_andn2_b64 vcc, exec, s[0:1]
	s_cbranch_vccnz .LBB54_2028
; %bb.2027:
	v_cndmask_b32_e64 v3, 0, 1, s[22:23]
	global_store_dword v[0:1], v3, off
.LBB54_2028:
	s_mov_b64 s[0:1], 0
.LBB54_2029:
	s_andn2_b64 vcc, exec, s[0:1]
	s_cbranch_vccnz .LBB54_2031
; %bb.2030:
	v_cndmask_b32_e64 v3, 0, 1, s[22:23]
	global_store_short v[0:1], v3, off
.LBB54_2031:
	s_mov_b64 s[0:1], 0
.LBB54_2032:
	s_andn2_b64 vcc, exec, s[0:1]
	s_cbranch_vccnz .LBB54_2037
; %bb.2033:
	s_mov_b64 s[0:1], -1
	s_cmp_gt_i32 s2, 0
	v_cndmask_b32_e64 v3, 0, 1, s[22:23]
	s_cbranch_scc0 .LBB54_2035
; %bb.2034:
	global_store_byte v[0:1], v3, off
	s_mov_b64 s[0:1], 0
.LBB54_2035:
	s_andn2_b64 vcc, exec, s[0:1]
	s_cbranch_vccnz .LBB54_2037
; %bb.2036:
	global_store_byte v[0:1], v3, off
.LBB54_2037:
	s_mov_b64 s[4:5], -1
.LBB54_2038:
	s_andn2_b64 vcc, exec, s[4:5]
	s_cbranch_vccnz .LBB54_2115
; %bb.2039:
	v_add_u32_e32 v0, s14, v2
	v_ashrrev_i32_e32 v1, 31, v0
	v_mov_b32_e32 v2, s9
	v_add_co_u32_e32 v0, vcc, s8, v0
	s_cmp_lt_i32 s28, 11
	v_addc_co_u32_e32 v1, vcc, v2, v1, vcc
	s_cbranch_scc1 .LBB54_2116
; %bb.2040:
	s_and_b32 s12, 0xffff, s28
	s_mov_b64 s[4:5], -1
	s_mov_b64 s[2:3], 0
	s_cmp_gt_i32 s12, 25
	s_mov_b64 s[0:1], 0
	s_cbranch_scc0 .LBB54_2073
; %bb.2041:
	s_cmp_gt_i32 s12, 28
	s_cbranch_scc0 .LBB54_2057
; %bb.2042:
	s_cmp_gt_i32 s12, 43
	;; [unrolled: 3-line block ×3, first 2 shown]
	s_cbranch_scc0 .LBB54_2047
; %bb.2044:
	s_cmp_eq_u32 s12, 46
	s_mov_b64 s[0:1], -1
	s_cbranch_scc0 .LBB54_2046
; %bb.2045:
	v_cndmask_b32_e64 v2, 0, 1.0, s[24:25]
	v_bfe_u32 v3, v2, 16, 1
	s_movk_i32 s0, 0x7fff
	v_add3_u32 v2, v2, v3, s0
	v_lshrrev_b32_e32 v2, 16, v2
	global_store_dword v[0:1], v2, off
	s_mov_b64 s[0:1], 0
.LBB54_2046:
	s_mov_b64 s[4:5], 0
.LBB54_2047:
	s_and_b64 vcc, exec, s[4:5]
	s_cbranch_vccz .LBB54_2052
; %bb.2048:
	s_cmp_eq_u32 s12, 44
	s_mov_b64 s[0:1], -1
	s_cbranch_scc0 .LBB54_2052
; %bb.2049:
	v_cndmask_b32_e64 v3, 0, 1.0, s[24:25]
	v_lshrrev_b32_e32 v2, 23, v3
	s_movk_i32 s0, 0xff
	v_cmp_ne_u32_e32 vcc, s0, v2
	v_mov_b32_e32 v4, 0xff
	s_and_saveexec_b64 s[4:5], vcc
; %bb.2050:
	s_mov_b32 s0, 0x3fffff
	v_and_b32_e32 v4, 0x400000, v3
	v_and_or_b32 v3, v3, s0, v2
	v_cmp_ne_u32_e32 vcc, 0, v4
	v_cmp_ne_u32_e64 s[0:1], 0, v3
	s_and_b64 s[0:1], vcc, s[0:1]
	v_cndmask_b32_e64 v3, 0, 1, s[0:1]
	v_add_u32_e32 v4, v2, v3
; %bb.2051:
	s_or_b64 exec, exec, s[4:5]
	s_mov_b64 s[0:1], 0
	global_store_byte v[0:1], v4, off
.LBB54_2052:
	s_mov_b64 s[4:5], 0
.LBB54_2053:
	s_and_b64 vcc, exec, s[4:5]
	s_cbranch_vccz .LBB54_2056
; %bb.2054:
	s_cmp_eq_u32 s12, 29
	s_mov_b64 s[0:1], -1
	s_cbranch_scc0 .LBB54_2056
; %bb.2055:
	s_mov_b32 s0, 0
	v_cndmask_b32_e64 v2, 0, 1, s[24:25]
	v_mov_b32_e32 v3, s0
	global_store_dwordx2 v[0:1], v[2:3], off
	s_mov_b64 s[0:1], 0
.LBB54_2056:
	s_mov_b64 s[4:5], 0
.LBB54_2057:
	s_and_b64 vcc, exec, s[4:5]
	s_cbranch_vccz .LBB54_2072
; %bb.2058:
	s_cmp_lt_i32 s12, 27
	s_mov_b64 s[4:5], -1
	s_cbranch_scc1 .LBB54_2064
; %bb.2059:
	s_cmp_gt_i32 s12, 27
	v_cndmask_b32_e64 v2, 0, 1, s[24:25]
	s_cbranch_scc0 .LBB54_2061
; %bb.2060:
	global_store_dword v[0:1], v2, off
	s_mov_b64 s[4:5], 0
.LBB54_2061:
	s_andn2_b64 vcc, exec, s[4:5]
	s_cbranch_vccnz .LBB54_2063
; %bb.2062:
	global_store_short v[0:1], v2, off
.LBB54_2063:
	s_mov_b64 s[4:5], 0
.LBB54_2064:
	s_andn2_b64 vcc, exec, s[4:5]
	s_cbranch_vccnz .LBB54_2072
; %bb.2065:
	v_cndmask_b32_e64 v3, 0, 1.0, s[24:25]
	s_mov_b32 s4, 0x43800000
	v_cmp_gt_u32_e32 vcc, s4, v3
	v_mov_b32_e32 v4, 0x80
	s_and_saveexec_b64 s[4:5], vcc
	s_cbranch_execz .LBB54_2071
; %bb.2066:
	s_mov_b32 s8, 0x3bffffff
	v_cmp_lt_u32_e32 vcc, s8, v3
	s_mov_b64 s[8:9], 0
                                        ; implicit-def: $vgpr2
	s_and_saveexec_b64 s[10:11], vcc
	s_xor_b64 s[10:11], exec, s[10:11]
	s_cbranch_execz .LBB54_2133
; %bb.2067:
	v_bfe_u32 v2, v3, 20, 1
	s_mov_b32 s13, 0x487ffff
	v_add3_u32 v2, v3, v2, s13
	s_mov_b64 s[8:9], exec
	v_lshrrev_b32_e32 v2, 20, v2
                                        ; implicit-def: $vgpr3
	s_andn2_saveexec_b64 s[10:11], s[10:11]
	s_cbranch_execnz .LBB54_2134
.LBB54_2068:
	s_or_b64 exec, exec, s[10:11]
	v_mov_b32_e32 v4, 0
	s_and_saveexec_b64 s[10:11], s[8:9]
.LBB54_2069:
	v_mov_b32_e32 v4, v2
.LBB54_2070:
	s_or_b64 exec, exec, s[10:11]
.LBB54_2071:
	s_or_b64 exec, exec, s[4:5]
	global_store_byte v[0:1], v4, off
.LBB54_2072:
	s_mov_b64 s[4:5], 0
.LBB54_2073:
	s_and_b64 vcc, exec, s[4:5]
	s_cbranch_vccz .LBB54_2113
; %bb.2074:
	s_cmp_gt_i32 s12, 22
	s_mov_b64 s[2:3], -1
	s_cbranch_scc0 .LBB54_2106
; %bb.2075:
	s_cmp_lt_i32 s12, 24
	s_cbranch_scc1 .LBB54_2095
; %bb.2076:
	s_cmp_gt_i32 s12, 24
	s_cbranch_scc0 .LBB54_2084
; %bb.2077:
	v_cndmask_b32_e64 v3, 0, 1.0, s[24:25]
	s_mov_b32 s2, 0x47800000
	v_cmp_gt_u32_e32 vcc, s2, v3
	v_mov_b32_e32 v4, 0x80
	s_and_saveexec_b64 s[2:3], vcc
	s_cbranch_execz .LBB54_2083
; %bb.2078:
	s_mov_b32 s4, 0x37ffffff
	v_cmp_lt_u32_e32 vcc, s4, v3
	s_mov_b64 s[4:5], 0
                                        ; implicit-def: $vgpr2
	s_and_saveexec_b64 s[8:9], vcc
	s_xor_b64 s[8:9], exec, s[8:9]
	s_cbranch_execz .LBB54_2136
; %bb.2079:
	v_bfe_u32 v2, v3, 21, 1
	s_mov_b32 s10, 0x88fffff
	v_add3_u32 v2, v3, v2, s10
	s_mov_b64 s[4:5], exec
	v_lshrrev_b32_e32 v2, 21, v2
                                        ; implicit-def: $vgpr3
	s_andn2_saveexec_b64 s[8:9], s[8:9]
	s_cbranch_execnz .LBB54_2137
.LBB54_2080:
	s_or_b64 exec, exec, s[8:9]
	v_mov_b32_e32 v4, 0
	s_and_saveexec_b64 s[8:9], s[4:5]
.LBB54_2081:
	v_mov_b32_e32 v4, v2
.LBB54_2082:
	s_or_b64 exec, exec, s[8:9]
.LBB54_2083:
	s_or_b64 exec, exec, s[2:3]
	s_mov_b64 s[2:3], 0
	global_store_byte v[0:1], v4, off
.LBB54_2084:
	s_and_b64 vcc, exec, s[2:3]
	s_cbranch_vccz .LBB54_2094
; %bb.2085:
	v_cndmask_b32_e64 v2, 0, 1.0, s[24:25]
	s_mov_b32 s2, 0x43f00000
	v_cmp_gt_u32_e32 vcc, s2, v2
                                        ; implicit-def: $vgpr3
	s_and_saveexec_b64 s[2:3], vcc
	s_xor_b64 s[2:3], exec, s[2:3]
	s_cbranch_execz .LBB54_2091
; %bb.2086:
	s_mov_b32 s4, 0x3c7fffff
	v_cmp_lt_u32_e32 vcc, s4, v2
                                        ; implicit-def: $vgpr3
	s_and_saveexec_b64 s[4:5], vcc
	s_xor_b64 s[4:5], exec, s[4:5]
; %bb.2087:
	v_bfe_u32 v3, v2, 20, 1
	s_mov_b32 s8, 0x407ffff
	v_add3_u32 v2, v2, v3, s8
	v_lshrrev_b32_e32 v3, 20, v2
	v_and_b32_e32 v2, 0xff00000, v2
	s_mov_b32 s8, 0x7f00000
	v_mov_b32_e32 v4, 0x7e
	v_cmp_ne_u32_e32 vcc, s8, v2
	v_cndmask_b32_e32 v3, v4, v3, vcc
                                        ; implicit-def: $vgpr2
; %bb.2088:
	s_andn2_saveexec_b64 s[4:5], s[4:5]
; %bb.2089:
	v_add_f32_e32 v3, 0x46800000, v2
; %bb.2090:
	s_or_b64 exec, exec, s[4:5]
                                        ; implicit-def: $vgpr2
.LBB54_2091:
	s_andn2_saveexec_b64 s[2:3], s[2:3]
; %bb.2092:
	s_mov_b32 s4, 0x7f800000
	v_mov_b32_e32 v3, 0x7e
	v_mov_b32_e32 v4, 0x7f
	v_cmp_lt_u32_e32 vcc, s4, v2
	v_cndmask_b32_e32 v3, v3, v4, vcc
; %bb.2093:
	s_or_b64 exec, exec, s[2:3]
	global_store_byte v[0:1], v3, off
.LBB54_2094:
	s_mov_b64 s[2:3], 0
.LBB54_2095:
	s_andn2_b64 vcc, exec, s[2:3]
	s_cbranch_vccnz .LBB54_2105
; %bb.2096:
	v_cndmask_b32_e64 v2, 0, 1.0, s[24:25]
	s_mov_b32 s2, 0x47800000
	v_cmp_gt_u32_e32 vcc, s2, v2
                                        ; implicit-def: $vgpr3
	s_and_saveexec_b64 s[2:3], vcc
	s_xor_b64 s[2:3], exec, s[2:3]
	s_cbranch_execz .LBB54_2102
; %bb.2097:
	s_mov_b32 s4, 0x387fffff
	v_cmp_lt_u32_e32 vcc, s4, v2
                                        ; implicit-def: $vgpr3
	s_and_saveexec_b64 s[4:5], vcc
	s_xor_b64 s[4:5], exec, s[4:5]
; %bb.2098:
	v_bfe_u32 v3, v2, 21, 1
	s_mov_b32 s8, 0x80fffff
	v_add3_u32 v2, v2, v3, s8
	v_lshrrev_b32_e32 v3, 21, v2
                                        ; implicit-def: $vgpr2
; %bb.2099:
	s_andn2_saveexec_b64 s[4:5], s[4:5]
; %bb.2100:
	v_add_f32_e32 v3, 0x43000000, v2
; %bb.2101:
	s_or_b64 exec, exec, s[4:5]
                                        ; implicit-def: $vgpr2
.LBB54_2102:
	s_andn2_saveexec_b64 s[2:3], s[2:3]
; %bb.2103:
	s_mov_b32 s4, 0x7f800000
	v_mov_b32_e32 v3, 0x7c
	v_mov_b32_e32 v4, 0x7f
	v_cmp_lt_u32_e32 vcc, s4, v2
	v_cndmask_b32_e32 v3, v3, v4, vcc
; %bb.2104:
	s_or_b64 exec, exec, s[2:3]
	global_store_byte v[0:1], v3, off
.LBB54_2105:
	s_mov_b64 s[2:3], 0
.LBB54_2106:
	s_andn2_b64 vcc, exec, s[2:3]
	s_mov_b64 s[2:3], 0
	s_cbranch_vccnz .LBB54_2113
; %bb.2107:
	s_cmp_gt_i32 s12, 14
	s_mov_b64 s[4:5], -1
	s_cbranch_scc0 .LBB54_2111
; %bb.2108:
	s_cmp_eq_u32 s12, 15
	s_mov_b64 s[0:1], -1
	s_cbranch_scc0 .LBB54_2110
; %bb.2109:
	v_cndmask_b32_e64 v2, 0, 1.0, s[24:25]
	v_bfe_u32 v3, v2, 16, 1
	s_movk_i32 s0, 0x7fff
	v_add3_u32 v2, v2, v3, s0
	global_store_short_d16_hi v[0:1], v2, off
	s_mov_b64 s[0:1], 0
.LBB54_2110:
	s_mov_b64 s[4:5], 0
.LBB54_2111:
	s_and_b64 vcc, exec, s[4:5]
	s_cbranch_vccz .LBB54_2113
; %bb.2112:
	s_cmp_lg_u32 s12, 11
	s_mov_b64 s[2:3], -1
	s_cselect_b64 s[0:1], -1, 0
.LBB54_2113:
	s_and_b64 vcc, exec, s[0:1]
	s_cbranch_vccnz .LBB54_2135
.LBB54_2114:
	s_mov_b64 s[0:1], 0
	s_branch .LBB54_1625
.LBB54_2115:
	s_mov_b64 s[0:1], 0
	s_branch .LBB54_1624
.LBB54_2116:
	s_mov_b64 s[2:3], 0
	s_mov_b64 s[0:1], -1
	s_branch .LBB54_1625
.LBB54_2117:
	s_trap 2
	s_or_b64 s[18:19], s[18:19], exec
	s_cbranch_execz .LBB54_1567
	s_branch .LBB54_1568
.LBB54_2118:
	s_andn2_saveexec_b64 s[26:27], s[26:27]
	s_cbranch_execz .LBB54_1708
.LBB54_2119:
	v_add_f32_e32 v3, 0x46000000, v4
	v_and_b32_e32 v3, 0xff, v3
	v_cmp_ne_u32_e32 vcc, 0, v3
	s_andn2_b64 s[14:15], s[14:15], exec
	s_and_b64 s[30:31], vcc, exec
	s_or_b64 s[14:15], s[14:15], s[30:31]
	s_or_b64 exec, exec, s[26:27]
	v_mov_b32_e32 v5, 0
	s_and_saveexec_b64 s[26:27], s[14:15]
	s_cbranch_execnz .LBB54_1709
	s_branch .LBB54_1710
.LBB54_2120:
	s_trap 2
	s_or_b64 s[18:19], s[18:19], exec
	s_cbranch_execz .LBB54_1756
	s_branch .LBB54_1757
.LBB54_2121:
	s_andn2_saveexec_b64 s[14:15], s[14:15]
	s_cbranch_execz .LBB54_1721
.LBB54_2122:
	v_add_f32_e32 v3, 0x42800000, v4
	v_and_b32_e32 v3, 0xff, v3
	v_cmp_ne_u32_e32 vcc, 0, v3
	s_andn2_b64 s[10:11], s[10:11], exec
	s_and_b64 s[26:27], vcc, exec
	s_or_b64 s[10:11], s[10:11], s[26:27]
	s_or_b64 exec, exec, s[14:15]
	v_mov_b32_e32 v5, 0
	s_and_saveexec_b64 s[14:15], s[10:11]
	s_cbranch_execnz .LBB54_1722
	s_branch .LBB54_1723
.LBB54_2123:
	s_andn2_saveexec_b64 s[12:13], s[12:13]
	s_cbranch_execz .LBB54_1829
.LBB54_2124:
	v_add_f32_e32 v3, 0x46000000, v4
	v_and_b32_e32 v3, 0xff, v3
	v_cmp_ne_u32_e32 vcc, 0, v3
	s_andn2_b64 s[10:11], s[10:11], exec
	s_and_b64 s[26:27], vcc, exec
	s_or_b64 s[10:11], s[10:11], s[26:27]
	s_or_b64 exec, exec, s[12:13]
	v_mov_b32_e32 v5, 0
	s_and_saveexec_b64 s[12:13], s[10:11]
	s_cbranch_execnz .LBB54_1830
	s_branch .LBB54_1831
.LBB54_2125:
	s_trap 2
	s_or_b64 s[18:19], s[18:19], exec
	s_cbranch_execz .LBB54_1877
	s_branch .LBB54_1878
.LBB54_2126:
	s_andn2_saveexec_b64 s[10:11], s[10:11]
	s_cbranch_execz .LBB54_1842
.LBB54_2127:
	v_add_f32_e32 v3, 0x42800000, v4
	v_and_b32_e32 v3, 0xff, v3
	v_cmp_ne_u32_e32 vcc, 0, v3
	s_andn2_b64 s[4:5], s[4:5], exec
	s_and_b64 s[12:13], vcc, exec
	s_or_b64 s[4:5], s[4:5], s[12:13]
	s_or_b64 exec, exec, s[10:11]
	v_mov_b32_e32 v5, 0
	s_and_saveexec_b64 s[10:11], s[4:5]
	s_cbranch_execnz .LBB54_1843
	s_branch .LBB54_1844
.LBB54_2128:
	s_andn2_saveexec_b64 s[12:13], s[12:13]
	s_cbranch_execz .LBB54_1948
.LBB54_2129:
	v_add_f32_e32 v3, 0x46000000, v4
	v_and_b32_e32 v3, 0xff, v3
	v_cmp_ne_u32_e32 vcc, 0, v3
	s_andn2_b64 s[10:11], s[10:11], exec
	s_and_b64 s[20:21], vcc, exec
	s_or_b64 s[10:11], s[10:11], s[20:21]
	s_or_b64 exec, exec, s[12:13]
	v_mov_b32_e32 v5, 0
	s_and_saveexec_b64 s[12:13], s[10:11]
	s_cbranch_execnz .LBB54_1949
	s_branch .LBB54_1950
.LBB54_2130:
	s_trap 2
	s_or_b64 s[18:19], s[18:19], exec
	s_cbranch_execz .LBB54_1996
	s_branch .LBB54_1997
.LBB54_2131:
	s_andn2_saveexec_b64 s[10:11], s[10:11]
	s_cbranch_execz .LBB54_1961
.LBB54_2132:
	v_add_f32_e32 v3, 0x42800000, v4
	v_and_b32_e32 v3, 0xff, v3
	v_cmp_ne_u32_e32 vcc, 0, v3
	s_andn2_b64 s[4:5], s[4:5], exec
	s_and_b64 s[12:13], vcc, exec
	s_or_b64 s[4:5], s[4:5], s[12:13]
	s_or_b64 exec, exec, s[10:11]
	v_mov_b32_e32 v5, 0
	s_and_saveexec_b64 s[10:11], s[4:5]
	s_cbranch_execnz .LBB54_1962
	s_branch .LBB54_1963
.LBB54_2133:
	s_andn2_saveexec_b64 s[10:11], s[10:11]
	s_cbranch_execz .LBB54_2068
.LBB54_2134:
	v_add_f32_e32 v2, 0x46000000, v3
	v_and_b32_e32 v2, 0xff, v2
	v_cmp_ne_u32_e32 vcc, 0, v2
	s_andn2_b64 s[8:9], s[8:9], exec
	s_and_b64 s[14:15], vcc, exec
	s_or_b64 s[8:9], s[8:9], s[14:15]
	s_or_b64 exec, exec, s[10:11]
	v_mov_b32_e32 v4, 0
	s_and_saveexec_b64 s[10:11], s[8:9]
	s_cbranch_execnz .LBB54_2069
	s_branch .LBB54_2070
.LBB54_2135:
	s_mov_b64 s[2:3], 0
	s_or_b64 s[18:19], s[18:19], exec
	s_trap 2
	s_branch .LBB54_2114
.LBB54_2136:
	s_andn2_saveexec_b64 s[8:9], s[8:9]
	s_cbranch_execz .LBB54_2080
.LBB54_2137:
	v_add_f32_e32 v2, 0x42800000, v3
	v_and_b32_e32 v2, 0xff, v2
	v_cmp_ne_u32_e32 vcc, 0, v2
	s_andn2_b64 s[4:5], s[4:5], exec
	s_and_b64 s[10:11], vcc, exec
	s_or_b64 s[4:5], s[4:5], s[10:11]
	s_or_b64 exec, exec, s[8:9]
	v_mov_b32_e32 v4, 0
	s_and_saveexec_b64 s[8:9], s[4:5]
	s_cbranch_execnz .LBB54_2081
	s_branch .LBB54_2082
	.section	.rodata,"a",@progbits
	.p2align	6, 0x0
	.amdhsa_kernel _ZN2at6native32elementwise_kernel_manual_unrollILi128ELi4EZNS0_15gpu_kernel_implIZNS0_21compare_scalar_kernelIlEEvRNS_18TensorIteratorBaseENS0_12_GLOBAL__N_16OpTypeET_EUllE_EEvS5_RKS8_EUlibE_EEviT1_
		.amdhsa_group_segment_fixed_size 0
		.amdhsa_private_segment_fixed_size 0
		.amdhsa_kernarg_size 56
		.amdhsa_user_sgpr_count 6
		.amdhsa_user_sgpr_private_segment_buffer 1
		.amdhsa_user_sgpr_dispatch_ptr 0
		.amdhsa_user_sgpr_queue_ptr 0
		.amdhsa_user_sgpr_kernarg_segment_ptr 1
		.amdhsa_user_sgpr_dispatch_id 0
		.amdhsa_user_sgpr_flat_scratch_init 0
		.amdhsa_user_sgpr_private_segment_size 0
		.amdhsa_uses_dynamic_stack 0
		.amdhsa_system_sgpr_private_segment_wavefront_offset 0
		.amdhsa_system_sgpr_workgroup_id_x 1
		.amdhsa_system_sgpr_workgroup_id_y 0
		.amdhsa_system_sgpr_workgroup_id_z 0
		.amdhsa_system_sgpr_workgroup_info 0
		.amdhsa_system_vgpr_workitem_id 0
		.amdhsa_next_free_vgpr 10
		.amdhsa_next_free_sgpr 48
		.amdhsa_reserve_vcc 1
		.amdhsa_reserve_flat_scratch 0
		.amdhsa_float_round_mode_32 0
		.amdhsa_float_round_mode_16_64 0
		.amdhsa_float_denorm_mode_32 3
		.amdhsa_float_denorm_mode_16_64 3
		.amdhsa_dx10_clamp 1
		.amdhsa_ieee_mode 1
		.amdhsa_fp16_overflow 0
		.amdhsa_exception_fp_ieee_invalid_op 0
		.amdhsa_exception_fp_denorm_src 0
		.amdhsa_exception_fp_ieee_div_zero 0
		.amdhsa_exception_fp_ieee_overflow 0
		.amdhsa_exception_fp_ieee_underflow 0
		.amdhsa_exception_fp_ieee_inexact 0
		.amdhsa_exception_int_div_zero 0
	.end_amdhsa_kernel
	.section	.text._ZN2at6native32elementwise_kernel_manual_unrollILi128ELi4EZNS0_15gpu_kernel_implIZNS0_21compare_scalar_kernelIlEEvRNS_18TensorIteratorBaseENS0_12_GLOBAL__N_16OpTypeET_EUllE_EEvS5_RKS8_EUlibE_EEviT1_,"axG",@progbits,_ZN2at6native32elementwise_kernel_manual_unrollILi128ELi4EZNS0_15gpu_kernel_implIZNS0_21compare_scalar_kernelIlEEvRNS_18TensorIteratorBaseENS0_12_GLOBAL__N_16OpTypeET_EUllE_EEvS5_RKS8_EUlibE_EEviT1_,comdat
.Lfunc_end54:
	.size	_ZN2at6native32elementwise_kernel_manual_unrollILi128ELi4EZNS0_15gpu_kernel_implIZNS0_21compare_scalar_kernelIlEEvRNS_18TensorIteratorBaseENS0_12_GLOBAL__N_16OpTypeET_EUllE_EEvS5_RKS8_EUlibE_EEviT1_, .Lfunc_end54-_ZN2at6native32elementwise_kernel_manual_unrollILi128ELi4EZNS0_15gpu_kernel_implIZNS0_21compare_scalar_kernelIlEEvRNS_18TensorIteratorBaseENS0_12_GLOBAL__N_16OpTypeET_EUllE_EEvS5_RKS8_EUlibE_EEviT1_
                                        ; -- End function
	.set _ZN2at6native32elementwise_kernel_manual_unrollILi128ELi4EZNS0_15gpu_kernel_implIZNS0_21compare_scalar_kernelIlEEvRNS_18TensorIteratorBaseENS0_12_GLOBAL__N_16OpTypeET_EUllE_EEvS5_RKS8_EUlibE_EEviT1_.num_vgpr, 10
	.set _ZN2at6native32elementwise_kernel_manual_unrollILi128ELi4EZNS0_15gpu_kernel_implIZNS0_21compare_scalar_kernelIlEEvRNS_18TensorIteratorBaseENS0_12_GLOBAL__N_16OpTypeET_EUllE_EEvS5_RKS8_EUlibE_EEviT1_.num_agpr, 0
	.set _ZN2at6native32elementwise_kernel_manual_unrollILi128ELi4EZNS0_15gpu_kernel_implIZNS0_21compare_scalar_kernelIlEEvRNS_18TensorIteratorBaseENS0_12_GLOBAL__N_16OpTypeET_EUllE_EEvS5_RKS8_EUlibE_EEviT1_.numbered_sgpr, 48
	.set _ZN2at6native32elementwise_kernel_manual_unrollILi128ELi4EZNS0_15gpu_kernel_implIZNS0_21compare_scalar_kernelIlEEvRNS_18TensorIteratorBaseENS0_12_GLOBAL__N_16OpTypeET_EUllE_EEvS5_RKS8_EUlibE_EEviT1_.num_named_barrier, 0
	.set _ZN2at6native32elementwise_kernel_manual_unrollILi128ELi4EZNS0_15gpu_kernel_implIZNS0_21compare_scalar_kernelIlEEvRNS_18TensorIteratorBaseENS0_12_GLOBAL__N_16OpTypeET_EUllE_EEvS5_RKS8_EUlibE_EEviT1_.private_seg_size, 0
	.set _ZN2at6native32elementwise_kernel_manual_unrollILi128ELi4EZNS0_15gpu_kernel_implIZNS0_21compare_scalar_kernelIlEEvRNS_18TensorIteratorBaseENS0_12_GLOBAL__N_16OpTypeET_EUllE_EEvS5_RKS8_EUlibE_EEviT1_.uses_vcc, 1
	.set _ZN2at6native32elementwise_kernel_manual_unrollILi128ELi4EZNS0_15gpu_kernel_implIZNS0_21compare_scalar_kernelIlEEvRNS_18TensorIteratorBaseENS0_12_GLOBAL__N_16OpTypeET_EUllE_EEvS5_RKS8_EUlibE_EEviT1_.uses_flat_scratch, 0
	.set _ZN2at6native32elementwise_kernel_manual_unrollILi128ELi4EZNS0_15gpu_kernel_implIZNS0_21compare_scalar_kernelIlEEvRNS_18TensorIteratorBaseENS0_12_GLOBAL__N_16OpTypeET_EUllE_EEvS5_RKS8_EUlibE_EEviT1_.has_dyn_sized_stack, 0
	.set _ZN2at6native32elementwise_kernel_manual_unrollILi128ELi4EZNS0_15gpu_kernel_implIZNS0_21compare_scalar_kernelIlEEvRNS_18TensorIteratorBaseENS0_12_GLOBAL__N_16OpTypeET_EUllE_EEvS5_RKS8_EUlibE_EEviT1_.has_recursion, 0
	.set _ZN2at6native32elementwise_kernel_manual_unrollILi128ELi4EZNS0_15gpu_kernel_implIZNS0_21compare_scalar_kernelIlEEvRNS_18TensorIteratorBaseENS0_12_GLOBAL__N_16OpTypeET_EUllE_EEvS5_RKS8_EUlibE_EEviT1_.has_indirect_call, 0
	.section	.AMDGPU.csdata,"",@progbits
; Kernel info:
; codeLenInByte = 36480
; TotalNumSgprs: 52
; NumVgprs: 10
; ScratchSize: 0
; MemoryBound: 1
; FloatMode: 240
; IeeeMode: 1
; LDSByteSize: 0 bytes/workgroup (compile time only)
; SGPRBlocks: 6
; VGPRBlocks: 2
; NumSGPRsForWavesPerEU: 52
; NumVGPRsForWavesPerEU: 10
; Occupancy: 10
; WaveLimiterHint : 0
; COMPUTE_PGM_RSRC2:SCRATCH_EN: 0
; COMPUTE_PGM_RSRC2:USER_SGPR: 6
; COMPUTE_PGM_RSRC2:TRAP_HANDLER: 0
; COMPUTE_PGM_RSRC2:TGID_X_EN: 1
; COMPUTE_PGM_RSRC2:TGID_Y_EN: 0
; COMPUTE_PGM_RSRC2:TGID_Z_EN: 0
; COMPUTE_PGM_RSRC2:TIDIG_COMP_CNT: 0
	.section	.text._ZN2at6native32elementwise_kernel_manual_unrollILi128ELi4EZNS0_15gpu_kernel_implIZNS0_21compare_scalar_kernelIlEEvRNS_18TensorIteratorBaseENS0_12_GLOBAL__N_16OpTypeET_EUllE_EEvS5_RKS8_EUlibE0_EEviT1_,"axG",@progbits,_ZN2at6native32elementwise_kernel_manual_unrollILi128ELi4EZNS0_15gpu_kernel_implIZNS0_21compare_scalar_kernelIlEEvRNS_18TensorIteratorBaseENS0_12_GLOBAL__N_16OpTypeET_EUllE_EEvS5_RKS8_EUlibE0_EEviT1_,comdat
	.globl	_ZN2at6native32elementwise_kernel_manual_unrollILi128ELi4EZNS0_15gpu_kernel_implIZNS0_21compare_scalar_kernelIlEEvRNS_18TensorIteratorBaseENS0_12_GLOBAL__N_16OpTypeET_EUllE_EEvS5_RKS8_EUlibE0_EEviT1_ ; -- Begin function _ZN2at6native32elementwise_kernel_manual_unrollILi128ELi4EZNS0_15gpu_kernel_implIZNS0_21compare_scalar_kernelIlEEvRNS_18TensorIteratorBaseENS0_12_GLOBAL__N_16OpTypeET_EUllE_EEvS5_RKS8_EUlibE0_EEviT1_
	.p2align	8
	.type	_ZN2at6native32elementwise_kernel_manual_unrollILi128ELi4EZNS0_15gpu_kernel_implIZNS0_21compare_scalar_kernelIlEEvRNS_18TensorIteratorBaseENS0_12_GLOBAL__N_16OpTypeET_EUllE_EEvS5_RKS8_EUlibE0_EEviT1_,@function
_ZN2at6native32elementwise_kernel_manual_unrollILi128ELi4EZNS0_15gpu_kernel_implIZNS0_21compare_scalar_kernelIlEEvRNS_18TensorIteratorBaseENS0_12_GLOBAL__N_16OpTypeET_EUllE_EEvS5_RKS8_EUlibE0_EEviT1_: ; @_ZN2at6native32elementwise_kernel_manual_unrollILi128ELi4EZNS0_15gpu_kernel_implIZNS0_21compare_scalar_kernelIlEEvRNS_18TensorIteratorBaseENS0_12_GLOBAL__N_16OpTypeET_EUllE_EEvS5_RKS8_EUlibE0_EEviT1_
; %bb.0:
	s_load_dword s72, s[4:5], 0x0
	s_load_dword s33, s[4:5], 0x8
	s_add_u32 s34, s4, 8
	s_addc_u32 s35, s5, 0
	v_lshl_or_b32 v8, s6, 9, v0
	v_or_b32_e32 v15, 0x180, v8
	s_waitcnt lgkmcnt(0)
	s_add_i32 s74, s33, -1
	s_cmp_gt_u32 s74, 1
	v_cmp_le_i32_e32 vcc, s72, v15
	s_cselect_b64 s[40:41], -1, 0
	s_mov_b64 s[6:7], 0
	s_mov_b64 s[28:29], 0
	s_and_saveexec_b64 s[0:1], vcc
	s_xor_b64 s[42:43], exec, s[0:1]
	s_cbranch_execz .LBB55_1135
; %bb.1:
	s_load_dwordx4 s[28:31], s[34:35], 0x4
	s_load_dwordx2 s[46:47], s[34:35], 0x14
	s_load_dword s76, s[34:35], 0x158
	s_load_dwordx2 s[44:45], s[34:35], 0x160
	s_load_dword s75, s[34:35], 0x168
	s_cmp_lg_u32 s33, 0
	s_load_dwordx4 s[36:39], s[34:35], 0xc4
	s_load_dwordx4 s[24:27], s[34:35], 0x148
	s_cselect_b64 s[52:53], -1, 0
	s_add_u32 s50, s34, 0xc4
	s_addc_u32 s51, s35, 0
	s_min_u32 s78, s74, 15
	s_cmp_gt_u32 s33, 1
	s_cselect_b64 s[48:49], -1, 0
	s_waitcnt lgkmcnt(0)
	s_bfe_u32 s77, s75, 0x80008
	v_cmp_gt_i32_e32 vcc, s72, v8
	s_mov_b64 s[2:3], -1
	s_mov_b64 s[62:63], 0
	s_mov_b64 s[56:57], 0
	;; [unrolled: 1-line block ×3, first 2 shown]
	s_and_saveexec_b64 s[58:59], vcc
	s_cbranch_execz .LBB55_278
; %bb.2:
	s_andn2_b64 vcc, exec, s[40:41]
	s_cbranch_vccnz .LBB55_7
; %bb.3:
	s_andn2_b64 vcc, exec, s[52:53]
	s_cbranch_vccnz .LBB55_8
; %bb.4:
	s_add_i32 s61, s78, 1
	s_cmp_eq_u32 s74, 2
	s_cbranch_scc1 .LBB55_9
; %bb.5:
	s_and_b32 s60, s61, 28
	v_mov_b32_e32 v2, 0
	s_mov_b32 s64, 0
	s_mov_b64 s[54:55], s[34:35]
	s_mov_b64 s[56:57], s[50:51]
	v_mov_b32_e32 v0, 0
	v_mov_b32_e32 v1, v8
.LBB55_6:                               ; =>This Inner Loop Header: Depth=1
	s_load_dwordx8 s[16:23], s[54:55], 0x4
	s_load_dwordx4 s[0:3], s[54:55], 0x24
	s_load_dwordx8 s[8:15], s[56:57], 0x0
	s_add_u32 s54, s54, 48
	s_addc_u32 s55, s55, 0
	s_waitcnt lgkmcnt(0)
	v_mul_hi_u32 v3, s17, v1
	s_add_i32 s64, s64, 4
	s_add_u32 s56, s56, 32
	s_addc_u32 s57, s57, 0
	v_add_u32_e32 v3, v1, v3
	v_lshrrev_b32_e32 v3, s18, v3
	v_mul_lo_u32 v4, v3, s16
	v_mul_hi_u32 v5, s20, v3
	s_cmp_lg_u32 s60, s64
	v_sub_u32_e32 v1, v1, v4
	v_add_u32_e32 v4, v3, v5
	v_mul_lo_u32 v5, v1, s8
	v_mul_lo_u32 v6, v1, s9
	v_lshrrev_b32_e32 v1, s21, v4
	v_mul_lo_u32 v4, v1, s19
	v_mul_hi_u32 v7, s23, v1
	v_sub_u32_e32 v3, v3, v4
	v_add_u32_e32 v4, v1, v7
	v_lshrrev_b32_e32 v4, s0, v4
	v_mul_hi_u32 v9, s2, v4
	v_mul_lo_u32 v10, v4, s22
	v_mul_lo_u32 v7, v3, s10
	;; [unrolled: 1-line block ×3, first 2 shown]
	v_sub_u32_e32 v10, v1, v10
	v_add_u32_e32 v1, v4, v9
	v_lshrrev_b32_e32 v1, s3, v1
	v_mul_lo_u32 v9, v1, s1
	v_mul_lo_u32 v11, v10, s12
	;; [unrolled: 1-line block ×3, first 2 shown]
	v_add3_u32 v0, v5, v0, v7
	v_sub_u32_e32 v4, v4, v9
	v_mul_lo_u32 v9, v4, s14
	v_mul_lo_u32 v4, v4, s15
	v_add3_u32 v2, v6, v2, v3
	v_add3_u32 v0, v11, v0, v9
	;; [unrolled: 1-line block ×3, first 2 shown]
	s_cbranch_scc1 .LBB55_6
	s_branch .LBB55_10
.LBB55_7:
                                        ; implicit-def: $vgpr0
                                        ; implicit-def: $vgpr2
	s_branch .LBB55_14
.LBB55_8:
	v_mov_b32_e32 v0, 0
	v_mov_b32_e32 v2, 0
	s_branch .LBB55_13
.LBB55_9:
	s_mov_b32 s60, 0
	v_mov_b32_e32 v0, 0
	v_mov_b32_e32 v2, 0
	;; [unrolled: 1-line block ×3, first 2 shown]
.LBB55_10:
	s_and_b32 s8, s61, 3
	s_cmp_eq_u32 s8, 0
	s_cbranch_scc1 .LBB55_13
; %bb.11:
	s_lshl_b32 s0, s60, 3
	s_add_u32 s0, s34, s0
	s_addc_u32 s1, s35, 0
	s_add_u32 s0, s0, 0xc4
	s_addc_u32 s1, s1, 0
	s_mul_i32 s2, s60, 12
	s_add_u32 s2, s34, s2
	s_addc_u32 s3, s35, 0
.LBB55_12:                              ; =>This Inner Loop Header: Depth=1
	s_load_dwordx2 s[10:11], s[2:3], 0x4
	s_load_dword s9, s[2:3], 0xc
	s_load_dwordx2 s[12:13], s[0:1], 0x0
	s_add_u32 s2, s2, 12
	s_addc_u32 s3, s3, 0
	s_waitcnt lgkmcnt(0)
	v_mul_hi_u32 v3, s11, v1
	s_add_u32 s0, s0, 8
	s_addc_u32 s1, s1, 0
	s_add_i32 s8, s8, -1
	v_add_u32_e32 v3, v1, v3
	v_lshrrev_b32_e32 v4, s9, v3
	v_mul_lo_u32 v3, v4, s10
	s_cmp_lg_u32 s8, 0
	v_sub_u32_e32 v3, v1, v3
	v_mad_u64_u32 v[0:1], s[10:11], v3, s12, v[0:1]
	v_mad_u64_u32 v[2:3], s[10:11], v3, s13, v[2:3]
	v_mov_b32_e32 v1, v4
	s_cbranch_scc1 .LBB55_12
.LBB55_13:
	s_cbranch_execnz .LBB55_16
.LBB55_14:
	v_mul_hi_u32 v0, s29, v8
	s_andn2_b64 vcc, exec, s[48:49]
	v_add_u32_e32 v0, v8, v0
	v_lshrrev_b32_e32 v1, s30, v0
	v_mul_lo_u32 v0, v1, s28
	v_sub_u32_e32 v2, v8, v0
	v_mul_lo_u32 v0, v2, s36
	v_mul_lo_u32 v2, v2, s37
	s_cbranch_vccnz .LBB55_16
; %bb.15:
	v_mul_hi_u32 v3, s46, v1
	v_add_u32_e32 v3, v1, v3
	v_lshrrev_b32_e32 v3, s47, v3
	v_mul_lo_u32 v3, v3, s31
	v_sub_u32_e32 v3, v1, v3
	v_mad_u64_u32 v[0:1], s[0:1], v3, s38, v[0:1]
	v_mad_u64_u32 v[2:3], s[0:1], v3, s39, v[2:3]
.LBB55_16:
	v_mov_b32_e32 v3, s27
	s_and_b32 s10, 0xffff, s77
	v_add_co_u32_e32 v1, vcc, s26, v2
	s_cmp_lt_i32 s10, 11
	v_addc_co_u32_e32 v2, vcc, 0, v3, vcc
	s_cbranch_scc1 .LBB55_23
; %bb.17:
	s_cmp_gt_i32 s10, 25
	s_cbranch_scc0 .LBB55_29
; %bb.18:
	s_cmp_gt_i32 s10, 28
	s_cbranch_scc0 .LBB55_31
	;; [unrolled: 3-line block ×4, first 2 shown]
; %bb.21:
	s_cmp_eq_u32 s10, 46
	s_mov_b64 s[8:9], 0
	s_cbranch_scc0 .LBB55_57
; %bb.22:
	global_load_dword v3, v[1:2], off
	s_mov_b32 s0, 0x2f800000
	s_mov_b32 s1, 0xcf800000
	s_mov_b64 s[2:3], 0
	s_waitcnt vmcnt(0)
	v_lshlrev_b32_e32 v3, 16, v3
	v_trunc_f32_e32 v3, v3
	v_mul_f32_e64 v4, |v3|, s0
	v_floor_f32_e32 v4, v4
	v_fma_f32 v5, v4, s1, |v3|
	v_cvt_u32_f32_e32 v5, v5
	v_cvt_u32_f32_e32 v4, v4
	v_ashrrev_i32_e32 v6, 31, v3
	s_mov_b64 s[0:1], -1
	v_xor_b32_e32 v3, v5, v6
	v_xor_b32_e32 v4, v4, v6
	v_sub_co_u32_e32 v3, vcc, v3, v6
	v_subb_co_u32_e32 v4, vcc, v4, v6, vcc
	s_branch .LBB55_59
.LBB55_23:
	s_mov_b64 s[2:3], 0
                                        ; implicit-def: $vgpr3_vgpr4
	s_mov_b64 s[0:1], 0
	s_cbranch_execnz .LBB55_228
.LBB55_24:
	s_andn2_b64 vcc, exec, s[0:1]
	s_cbranch_vccnz .LBB55_275
.LBB55_25:
	s_cmp_lt_i32 s76, 1
	s_mov_b64 s[0:1], 0
	s_cbranch_scc1 .LBB55_30
; %bb.26:
	s_cmp_gt_i32 s76, 1
	s_cbranch_scc0 .LBB55_32
; %bb.27:
	s_cmp_eq_u32 s76, 2
	s_cbranch_scc0 .LBB55_34
; %bb.28:
	s_waitcnt vmcnt(0)
	v_cmp_ge_i64_e64 s[8:9], s[44:45], v[3:4]
	s_mov_b64 s[10:11], 0
	s_branch .LBB55_35
.LBB55_29:
	s_mov_b64 s[2:3], 0
	s_mov_b64 s[0:1], 0
                                        ; implicit-def: $vgpr3_vgpr4
	s_cbranch_execnz .LBB55_197
	s_branch .LBB55_227
.LBB55_30:
                                        ; implicit-def: $sgpr8_sgpr9
	s_mov_b64 s[10:11], 0
	s_cbranch_execnz .LBB55_39
	s_branch .LBB55_40
.LBB55_31:
	s_mov_b64 s[8:9], -1
	s_mov_b64 s[2:3], 0
	s_mov_b64 s[0:1], 0
                                        ; implicit-def: $vgpr3_vgpr4
	s_branch .LBB55_178
.LBB55_32:
	s_mov_b64 s[12:13], -1
	s_mov_b64 s[10:11], 0
                                        ; implicit-def: $sgpr8_sgpr9
	s_branch .LBB55_36
.LBB55_33:
	s_mov_b64 s[8:9], -1
	s_mov_b64 s[2:3], 0
	s_mov_b64 s[0:1], 0
                                        ; implicit-def: $vgpr3_vgpr4
	s_branch .LBB55_173
.LBB55_34:
	s_mov_b64 s[10:11], -1
                                        ; implicit-def: $sgpr8_sgpr9
.LBB55_35:
	s_mov_b64 s[12:13], 0
.LBB55_36:
	s_and_b64 vcc, exec, s[12:13]
	s_cbranch_vccz .LBB55_38
; %bb.37:
	s_waitcnt vmcnt(0)
	v_cmp_lt_i64_e32 vcc, s[44:45], v[3:4]
	s_andn2_b64 s[8:9], s[8:9], exec
	s_and_b64 s[12:13], vcc, exec
	s_or_b64 s[8:9], s[8:9], s[12:13]
.LBB55_38:
	s_branch .LBB55_40
.LBB55_39:
	s_cmp_lg_u32 s76, 0
	s_mov_b64 s[0:1], -1
	s_cselect_b64 s[10:11], -1, 0
.LBB55_40:
	s_andn2_b64 vcc, exec, s[10:11]
	s_cbranch_vccnz .LBB55_42
; %bb.41:
	s_waitcnt vmcnt(0)
	v_cmp_gt_i64_e32 vcc, s[44:45], v[3:4]
	s_andn2_b64 s[8:9], s[8:9], exec
	s_and_b64 s[10:11], vcc, exec
	s_or_b64 s[8:9], s[8:9], s[10:11]
	s_cbranch_execz .LBB55_43
	s_branch .LBB55_44
.LBB55_42:
	s_andn2_b64 vcc, exec, s[0:1]
	s_cbranch_vccnz .LBB55_44
.LBB55_43:
	s_waitcnt vmcnt(0)
	v_cmp_le_i64_e32 vcc, s[44:45], v[3:4]
	s_andn2_b64 s[0:1], s[8:9], exec
	s_and_b64 s[8:9], vcc, exec
	s_or_b64 s[8:9], s[0:1], s[8:9]
.LBB55_44:
	v_mov_b32_e32 v1, s25
	s_and_b32 s16, s75, 0xff
	v_add_co_u32_e32 v0, vcc, s24, v0
	s_cmp_lt_i32 s16, 11
	v_addc_co_u32_e32 v1, vcc, 0, v1, vcc
	s_cbranch_scc1 .LBB55_51
; %bb.45:
	s_and_b32 s17, 0xffff, s16
	s_cmp_gt_i32 s17, 25
	s_cbranch_scc0 .LBB55_53
; %bb.46:
	s_cmp_gt_i32 s17, 28
	s_cbranch_scc0 .LBB55_54
; %bb.47:
	;; [unrolled: 3-line block ×4, first 2 shown]
	s_mov_b64 s[12:13], 0
	s_mov_b64 s[0:1], -1
	s_cmp_eq_u32 s17, 46
	s_mov_b64 s[10:11], 0
	s_cbranch_scc0 .LBB55_63
; %bb.50:
	v_cndmask_b32_e64 v2, 0, 1.0, s[8:9]
	s_waitcnt vmcnt(0)
	v_bfe_u32 v3, v2, 16, 1
	s_movk_i32 s0, 0x7fff
	v_add3_u32 v2, v2, v3, s0
	v_lshrrev_b32_e32 v2, 16, v2
	global_store_dword v[0:1], v2, off
	s_mov_b64 s[10:11], -1
	s_mov_b64 s[0:1], 0
	s_branch .LBB55_63
.LBB55_51:
	s_mov_b64 s[0:1], 0
	s_mov_b64 s[10:11], 0
	s_cbranch_execnz .LBB55_132
.LBB55_52:
	s_andn2_b64 vcc, exec, s[10:11]
	s_cbranch_vccnz .LBB55_276
	s_branch .LBB55_170
.LBB55_53:
	s_mov_b64 s[12:13], -1
	s_mov_b64 s[0:1], 0
	s_mov_b64 s[10:11], 0
	s_branch .LBB55_90
.LBB55_54:
	s_mov_b64 s[12:13], -1
	s_mov_b64 s[0:1], 0
	s_mov_b64 s[10:11], 0
	s_branch .LBB55_73
.LBB55_55:
	s_mov_b64 s[8:9], -1
	s_mov_b64 s[2:3], 0
	s_branch .LBB55_58
.LBB55_56:
	s_mov_b64 s[12:13], -1
	s_mov_b64 s[0:1], 0
	s_mov_b64 s[10:11], 0
	s_branch .LBB55_69
.LBB55_57:
	s_mov_b64 s[2:3], -1
.LBB55_58:
	s_mov_b64 s[0:1], 0
                                        ; implicit-def: $vgpr3_vgpr4
.LBB55_59:
	s_and_b64 vcc, exec, s[8:9]
	s_cbranch_vccz .LBB55_172
; %bb.60:
	s_cmp_eq_u32 s10, 44
	s_cbranch_scc0 .LBB55_171
; %bb.61:
	global_load_ubyte v3, v[1:2], off
	s_mov_b32 s0, 0x2f800000
	s_mov_b32 s1, 0xcf800000
	s_mov_b64 s[2:3], 0
	s_waitcnt vmcnt(0)
	v_lshlrev_b32_e32 v4, 23, v3
	v_trunc_f32_e32 v4, v4
	v_mul_f32_e64 v5, |v4|, s0
	v_floor_f32_e32 v5, v5
	v_fma_f32 v6, v5, s1, |v4|
	v_cvt_u32_f32_e32 v6, v6
	v_cvt_u32_f32_e32 v5, v5
	v_ashrrev_i32_e32 v4, 31, v4
	s_mov_b64 s[0:1], -1
	v_xor_b32_e32 v6, v6, v4
	v_xor_b32_e32 v5, v5, v4
	v_sub_co_u32_e32 v6, vcc, v6, v4
	v_subb_co_u32_e32 v4, vcc, v5, v4, vcc
	v_cmp_ne_u32_e32 vcc, 0, v3
	v_cndmask_b32_e32 v4, 0, v4, vcc
	v_cndmask_b32_e32 v3, 0, v6, vcc
	s_branch .LBB55_172
.LBB55_62:
	s_mov_b64 s[12:13], -1
	s_mov_b64 s[0:1], 0
	s_mov_b64 s[10:11], 0
.LBB55_63:
	s_and_b64 vcc, exec, s[12:13]
	s_cbranch_vccz .LBB55_68
; %bb.64:
	s_cmp_eq_u32 s17, 44
	s_mov_b64 s[0:1], -1
	s_cbranch_scc0 .LBB55_68
; %bb.65:
	s_waitcnt vmcnt(0)
	v_cndmask_b32_e64 v3, 0, 1.0, s[8:9]
	v_lshrrev_b32_e32 v2, 23, v3
	s_movk_i32 s0, 0xff
	v_cmp_ne_u32_e32 vcc, s0, v2
	v_mov_b32_e32 v4, 0xff
	s_and_saveexec_b64 s[10:11], vcc
; %bb.66:
	s_mov_b32 s0, 0x3fffff
	v_and_b32_e32 v4, 0x400000, v3
	v_and_or_b32 v3, v3, s0, v2
	v_cmp_ne_u32_e32 vcc, 0, v4
	v_cmp_ne_u32_e64 s[0:1], 0, v3
	s_and_b64 s[0:1], vcc, s[0:1]
	v_cndmask_b32_e64 v3, 0, 1, s[0:1]
	v_add_u32_e32 v4, v2, v3
; %bb.67:
	s_or_b64 exec, exec, s[10:11]
	s_mov_b64 s[10:11], -1
	s_mov_b64 s[0:1], 0
	global_store_byte v[0:1], v4, off
.LBB55_68:
	s_mov_b64 s[12:13], 0
.LBB55_69:
	s_and_b64 vcc, exec, s[12:13]
	s_cbranch_vccz .LBB55_72
; %bb.70:
	s_cmp_eq_u32 s17, 29
	s_mov_b64 s[0:1], -1
	s_cbranch_scc0 .LBB55_72
; %bb.71:
	s_mov_b32 s0, 0
	v_cndmask_b32_e64 v2, 0, 1, s[8:9]
	s_waitcnt vmcnt(0)
	v_mov_b32_e32 v3, s0
	global_store_dwordx2 v[0:1], v[2:3], off
	s_mov_b64 s[10:11], -1
	s_mov_b64 s[0:1], 0
.LBB55_72:
	s_mov_b64 s[12:13], 0
.LBB55_73:
	s_and_b64 vcc, exec, s[12:13]
	s_cbranch_vccz .LBB55_89
; %bb.74:
	s_cmp_lt_i32 s17, 27
	s_mov_b64 s[10:11], -1
	s_cbranch_scc1 .LBB55_80
; %bb.75:
	s_cmp_gt_i32 s17, 27
	s_cbranch_scc0 .LBB55_77
; %bb.76:
	v_cndmask_b32_e64 v2, 0, 1, s[8:9]
	s_mov_b64 s[10:11], 0
	global_store_dword v[0:1], v2, off
.LBB55_77:
	s_andn2_b64 vcc, exec, s[10:11]
	s_cbranch_vccnz .LBB55_79
; %bb.78:
	v_cndmask_b32_e64 v2, 0, 1, s[8:9]
	global_store_short v[0:1], v2, off
.LBB55_79:
	s_mov_b64 s[10:11], 0
.LBB55_80:
	s_andn2_b64 vcc, exec, s[10:11]
	s_cbranch_vccnz .LBB55_88
; %bb.81:
	s_waitcnt vmcnt(0)
	v_cndmask_b32_e64 v3, 0, 1.0, s[8:9]
	s_mov_b32 s10, 0x43800000
	v_cmp_gt_u32_e32 vcc, s10, v3
	v_mov_b32_e32 v4, 0x80
	s_and_saveexec_b64 s[10:11], vcc
	s_cbranch_execz .LBB55_87
; %bb.82:
	s_mov_b32 s12, 0x3bffffff
	v_cmp_lt_u32_e32 vcc, s12, v3
	s_mov_b64 s[12:13], 0
                                        ; implicit-def: $vgpr2
	s_and_saveexec_b64 s[14:15], vcc
	s_xor_b64 s[14:15], exec, s[14:15]
	s_cbranch_execz .LBB55_335
; %bb.83:
	v_bfe_u32 v2, v3, 20, 1
	s_mov_b32 s18, 0x487ffff
	v_add3_u32 v2, v3, v2, s18
	s_mov_b64 s[12:13], exec
	v_lshrrev_b32_e32 v2, 20, v2
                                        ; implicit-def: $vgpr3
	s_andn2_saveexec_b64 s[14:15], s[14:15]
	s_cbranch_execnz .LBB55_336
.LBB55_84:
	s_or_b64 exec, exec, s[14:15]
	v_mov_b32_e32 v4, 0
	s_and_saveexec_b64 s[14:15], s[12:13]
.LBB55_85:
	v_mov_b32_e32 v4, v2
.LBB55_86:
	s_or_b64 exec, exec, s[14:15]
.LBB55_87:
	s_or_b64 exec, exec, s[10:11]
	global_store_byte v[0:1], v4, off
.LBB55_88:
	s_mov_b64 s[10:11], -1
.LBB55_89:
	s_mov_b64 s[12:13], 0
.LBB55_90:
	s_and_b64 vcc, exec, s[12:13]
	s_cbranch_vccz .LBB55_131
; %bb.91:
	s_cmp_gt_i32 s17, 22
	s_mov_b64 s[12:13], -1
	s_cbranch_scc0 .LBB55_123
; %bb.92:
	s_cmp_lt_i32 s17, 24
	s_mov_b64 s[10:11], -1
	s_cbranch_scc1 .LBB55_112
; %bb.93:
	s_cmp_gt_i32 s17, 24
	s_cbranch_scc0 .LBB55_101
; %bb.94:
	s_waitcnt vmcnt(0)
	v_cndmask_b32_e64 v3, 0, 1.0, s[8:9]
	s_mov_b32 s10, 0x47800000
	v_cmp_gt_u32_e32 vcc, s10, v3
	v_mov_b32_e32 v4, 0x80
	s_and_saveexec_b64 s[10:11], vcc
	s_cbranch_execz .LBB55_100
; %bb.95:
	s_mov_b32 s12, 0x37ffffff
	v_cmp_lt_u32_e32 vcc, s12, v3
	s_mov_b64 s[12:13], 0
                                        ; implicit-def: $vgpr2
	s_and_saveexec_b64 s[14:15], vcc
	s_xor_b64 s[14:15], exec, s[14:15]
	s_cbranch_execz .LBB55_339
; %bb.96:
	v_bfe_u32 v2, v3, 21, 1
	s_mov_b32 s18, 0x88fffff
	v_add3_u32 v2, v3, v2, s18
	s_mov_b64 s[12:13], exec
	v_lshrrev_b32_e32 v2, 21, v2
                                        ; implicit-def: $vgpr3
	s_andn2_saveexec_b64 s[14:15], s[14:15]
	s_cbranch_execnz .LBB55_340
.LBB55_97:
	s_or_b64 exec, exec, s[14:15]
	v_mov_b32_e32 v4, 0
	s_and_saveexec_b64 s[14:15], s[12:13]
.LBB55_98:
	v_mov_b32_e32 v4, v2
.LBB55_99:
	s_or_b64 exec, exec, s[14:15]
.LBB55_100:
	s_or_b64 exec, exec, s[10:11]
	s_mov_b64 s[10:11], 0
	global_store_byte v[0:1], v4, off
.LBB55_101:
	s_and_b64 vcc, exec, s[10:11]
	s_cbranch_vccz .LBB55_111
; %bb.102:
	v_cndmask_b32_e64 v2, 0, 1.0, s[8:9]
	s_mov_b32 s10, 0x43f00000
	v_cmp_gt_u32_e32 vcc, s10, v2
                                        ; implicit-def: $vgpr3
	s_and_saveexec_b64 s[10:11], vcc
	s_xor_b64 s[10:11], exec, s[10:11]
	s_cbranch_execz .LBB55_108
; %bb.103:
	s_mov_b32 s12, 0x3c7fffff
	v_cmp_lt_u32_e32 vcc, s12, v2
                                        ; implicit-def: $vgpr3
	s_and_saveexec_b64 s[12:13], vcc
	s_xor_b64 s[12:13], exec, s[12:13]
	s_cbranch_execz .LBB55_105
; %bb.104:
	s_waitcnt vmcnt(0)
	v_bfe_u32 v3, v2, 20, 1
	s_mov_b32 s14, 0x407ffff
	v_add3_u32 v2, v2, v3, s14
	v_lshrrev_b32_e32 v3, 20, v2
	v_and_b32_e32 v2, 0xff00000, v2
	s_mov_b32 s14, 0x7f00000
	v_mov_b32_e32 v4, 0x7e
	v_cmp_ne_u32_e32 vcc, s14, v2
	v_cndmask_b32_e32 v3, v4, v3, vcc
                                        ; implicit-def: $vgpr2
.LBB55_105:
	s_andn2_saveexec_b64 s[12:13], s[12:13]
	s_cbranch_execz .LBB55_107
; %bb.106:
	s_waitcnt vmcnt(0)
	v_add_f32_e32 v3, 0x46800000, v2
.LBB55_107:
	s_or_b64 exec, exec, s[12:13]
                                        ; implicit-def: $vgpr2
.LBB55_108:
	s_andn2_saveexec_b64 s[10:11], s[10:11]
	s_cbranch_execz .LBB55_110
; %bb.109:
	s_mov_b32 s12, 0x7f800000
	s_waitcnt vmcnt(0)
	v_mov_b32_e32 v3, 0x7e
	v_mov_b32_e32 v4, 0x7f
	v_cmp_lt_u32_e32 vcc, s12, v2
	v_cndmask_b32_e32 v3, v3, v4, vcc
.LBB55_110:
	s_or_b64 exec, exec, s[10:11]
	s_waitcnt vmcnt(0)
	global_store_byte v[0:1], v3, off
.LBB55_111:
	s_mov_b64 s[10:11], 0
.LBB55_112:
	s_andn2_b64 vcc, exec, s[10:11]
	s_cbranch_vccnz .LBB55_122
; %bb.113:
	v_cndmask_b32_e64 v2, 0, 1.0, s[8:9]
	s_mov_b32 s10, 0x47800000
	v_cmp_gt_u32_e32 vcc, s10, v2
                                        ; implicit-def: $vgpr3
	s_and_saveexec_b64 s[10:11], vcc
	s_xor_b64 s[10:11], exec, s[10:11]
	s_cbranch_execz .LBB55_119
; %bb.114:
	s_mov_b32 s12, 0x387fffff
	v_cmp_lt_u32_e32 vcc, s12, v2
                                        ; implicit-def: $vgpr3
	s_and_saveexec_b64 s[12:13], vcc
	s_xor_b64 s[12:13], exec, s[12:13]
	s_cbranch_execz .LBB55_116
; %bb.115:
	s_waitcnt vmcnt(0)
	v_bfe_u32 v3, v2, 21, 1
	s_mov_b32 s14, 0x80fffff
	v_add3_u32 v2, v2, v3, s14
	v_lshrrev_b32_e32 v3, 21, v2
                                        ; implicit-def: $vgpr2
.LBB55_116:
	s_andn2_saveexec_b64 s[12:13], s[12:13]
	s_cbranch_execz .LBB55_118
; %bb.117:
	s_waitcnt vmcnt(0)
	v_add_f32_e32 v3, 0x43000000, v2
.LBB55_118:
	s_or_b64 exec, exec, s[12:13]
                                        ; implicit-def: $vgpr2
.LBB55_119:
	s_andn2_saveexec_b64 s[10:11], s[10:11]
	s_cbranch_execz .LBB55_121
; %bb.120:
	s_mov_b32 s12, 0x7f800000
	s_waitcnt vmcnt(0)
	v_mov_b32_e32 v3, 0x7c
	v_mov_b32_e32 v4, 0x7f
	v_cmp_lt_u32_e32 vcc, s12, v2
	v_cndmask_b32_e32 v3, v3, v4, vcc
.LBB55_121:
	s_or_b64 exec, exec, s[10:11]
	s_waitcnt vmcnt(0)
	global_store_byte v[0:1], v3, off
.LBB55_122:
	s_mov_b64 s[12:13], 0
	s_mov_b64 s[10:11], -1
.LBB55_123:
	s_andn2_b64 vcc, exec, s[12:13]
	s_cbranch_vccnz .LBB55_131
; %bb.124:
	s_cmp_gt_i32 s17, 14
	s_mov_b64 s[12:13], -1
	s_cbranch_scc0 .LBB55_128
; %bb.125:
	s_cmp_eq_u32 s17, 15
	s_mov_b64 s[0:1], -1
	s_cbranch_scc0 .LBB55_127
; %bb.126:
	v_cndmask_b32_e64 v2, 0, 1.0, s[8:9]
	s_waitcnt vmcnt(0)
	v_bfe_u32 v3, v2, 16, 1
	s_movk_i32 s0, 0x7fff
	v_add3_u32 v2, v2, v3, s0
	global_store_short_d16_hi v[0:1], v2, off
	s_mov_b64 s[10:11], -1
	s_mov_b64 s[0:1], 0
.LBB55_127:
	s_mov_b64 s[12:13], 0
.LBB55_128:
	s_and_b64 vcc, exec, s[12:13]
	s_cbranch_vccz .LBB55_131
; %bb.129:
	s_cmp_eq_u32 s17, 11
	s_mov_b64 s[0:1], -1
	s_cbranch_scc0 .LBB55_131
; %bb.130:
	v_cndmask_b32_e64 v2, 0, 1, s[8:9]
	s_mov_b64 s[10:11], -1
	s_mov_b64 s[0:1], 0
	global_store_byte v[0:1], v2, off
.LBB55_131:
	s_branch .LBB55_52
.LBB55_132:
	s_and_b32 s12, 0xffff, s16
	s_cmp_lt_i32 s12, 5
	s_mov_b64 s[10:11], -1
	s_cbranch_scc1 .LBB55_153
; %bb.133:
	s_cmp_lt_i32 s12, 8
	s_cbranch_scc1 .LBB55_143
; %bb.134:
	s_cmp_lt_i32 s12, 9
	s_cbranch_scc1 .LBB55_140
; %bb.135:
	s_cmp_gt_i32 s12, 9
	s_cbranch_scc0 .LBB55_137
; %bb.136:
	v_cndmask_b32_e64 v2, 0, 1, s[8:9]
	s_waitcnt vmcnt(0)
	v_cvt_f64_u32_e32 v[2:3], v2
	v_mov_b32_e32 v4, 0
	v_mov_b32_e32 v5, v4
	s_mov_b64 s[10:11], 0
	global_store_dwordx4 v[0:1], v[2:5], off
.LBB55_137:
	s_andn2_b64 vcc, exec, s[10:11]
	s_cbranch_vccnz .LBB55_139
; %bb.138:
	v_cndmask_b32_e64 v2, 0, 1.0, s[8:9]
	s_waitcnt vmcnt(0)
	v_mov_b32_e32 v3, 0
	global_store_dwordx2 v[0:1], v[2:3], off
.LBB55_139:
	s_mov_b64 s[10:11], 0
.LBB55_140:
	s_andn2_b64 vcc, exec, s[10:11]
	s_cbranch_vccnz .LBB55_142
; %bb.141:
	v_cndmask_b32_e64 v2, 0, 1.0, s[8:9]
	v_cvt_f16_f32_e32 v2, v2
	global_store_dword v[0:1], v2, off
.LBB55_142:
	s_mov_b64 s[10:11], 0
.LBB55_143:
	s_andn2_b64 vcc, exec, s[10:11]
	s_cbranch_vccnz .LBB55_152
; %bb.144:
	s_cmp_lt_i32 s12, 6
	s_mov_b64 s[10:11], -1
	s_cbranch_scc1 .LBB55_150
; %bb.145:
	s_cmp_gt_i32 s12, 6
	s_cbranch_scc0 .LBB55_147
; %bb.146:
	v_cndmask_b32_e64 v2, 0, 1, s[8:9]
	s_waitcnt vmcnt(0)
	v_cvt_f64_u32_e32 v[2:3], v2
	s_mov_b64 s[10:11], 0
	global_store_dwordx2 v[0:1], v[2:3], off
.LBB55_147:
	s_andn2_b64 vcc, exec, s[10:11]
	s_cbranch_vccnz .LBB55_149
; %bb.148:
	v_cndmask_b32_e64 v2, 0, 1.0, s[8:9]
	global_store_dword v[0:1], v2, off
.LBB55_149:
	s_mov_b64 s[10:11], 0
.LBB55_150:
	s_andn2_b64 vcc, exec, s[10:11]
	s_cbranch_vccnz .LBB55_152
; %bb.151:
	v_cndmask_b32_e64 v2, 0, 1.0, s[8:9]
	v_cvt_f16_f32_e32 v2, v2
	global_store_short v[0:1], v2, off
.LBB55_152:
	s_mov_b64 s[10:11], 0
.LBB55_153:
	s_andn2_b64 vcc, exec, s[10:11]
	s_cbranch_vccnz .LBB55_169
; %bb.154:
	s_cmp_lt_i32 s12, 2
	s_mov_b64 s[10:11], -1
	s_cbranch_scc1 .LBB55_164
; %bb.155:
	s_cmp_lt_i32 s12, 3
	s_cbranch_scc1 .LBB55_161
; %bb.156:
	s_cmp_gt_i32 s12, 3
	s_cbranch_scc0 .LBB55_158
; %bb.157:
	s_mov_b32 s10, 0
	v_cndmask_b32_e64 v2, 0, 1, s[8:9]
	s_waitcnt vmcnt(0)
	v_mov_b32_e32 v3, s10
	global_store_dwordx2 v[0:1], v[2:3], off
	s_mov_b64 s[10:11], 0
.LBB55_158:
	s_andn2_b64 vcc, exec, s[10:11]
	s_cbranch_vccnz .LBB55_160
; %bb.159:
	v_cndmask_b32_e64 v2, 0, 1, s[8:9]
	global_store_dword v[0:1], v2, off
.LBB55_160:
	s_mov_b64 s[10:11], 0
.LBB55_161:
	s_andn2_b64 vcc, exec, s[10:11]
	s_cbranch_vccnz .LBB55_163
; %bb.162:
	v_cndmask_b32_e64 v2, 0, 1, s[8:9]
	global_store_short v[0:1], v2, off
.LBB55_163:
	s_mov_b64 s[10:11], 0
.LBB55_164:
	s_andn2_b64 vcc, exec, s[10:11]
	s_cbranch_vccnz .LBB55_169
; %bb.165:
	s_cmp_gt_i32 s12, 0
	s_mov_b64 s[10:11], -1
	s_cbranch_scc0 .LBB55_167
; %bb.166:
	v_cndmask_b32_e64 v2, 0, 1, s[8:9]
	global_store_byte v[0:1], v2, off
	s_mov_b64 s[10:11], 0
.LBB55_167:
	s_andn2_b64 vcc, exec, s[10:11]
	s_cbranch_vccnz .LBB55_169
; %bb.168:
	v_cndmask_b32_e64 v2, 0, 1, s[8:9]
	global_store_byte v[0:1], v2, off
.LBB55_169:
.LBB55_170:
	v_add_u32_e32 v8, 0x80, v8
	s_mov_b64 s[8:9], -1
	s_branch .LBB55_277
.LBB55_171:
	s_mov_b64 s[2:3], -1
                                        ; implicit-def: $vgpr3_vgpr4
.LBB55_172:
	s_mov_b64 s[8:9], 0
.LBB55_173:
	s_and_b64 vcc, exec, s[8:9]
	s_cbranch_vccz .LBB55_177
; %bb.174:
	s_cmp_eq_u32 s10, 29
	s_cbranch_scc0 .LBB55_176
; %bb.175:
	global_load_dwordx2 v[3:4], v[1:2], off
	s_mov_b64 s[0:1], -1
	s_mov_b64 s[2:3], 0
	s_branch .LBB55_177
.LBB55_176:
	s_mov_b64 s[2:3], -1
                                        ; implicit-def: $vgpr3_vgpr4
.LBB55_177:
	s_mov_b64 s[8:9], 0
.LBB55_178:
	s_and_b64 vcc, exec, s[8:9]
	s_cbranch_vccz .LBB55_196
; %bb.179:
	s_cmp_lt_i32 s10, 27
	s_cbranch_scc1 .LBB55_182
; %bb.180:
	s_cmp_gt_i32 s10, 27
	s_cbranch_scc0 .LBB55_183
; %bb.181:
	global_load_dword v3, v[1:2], off
	s_waitcnt vmcnt(1)
	v_mov_b32_e32 v4, 0
	s_mov_b64 s[0:1], 0
	s_branch .LBB55_184
.LBB55_182:
	s_mov_b64 s[0:1], -1
                                        ; implicit-def: $vgpr3_vgpr4
	s_branch .LBB55_187
.LBB55_183:
	s_mov_b64 s[0:1], -1
                                        ; implicit-def: $vgpr3_vgpr4
.LBB55_184:
	s_andn2_b64 vcc, exec, s[0:1]
	s_cbranch_vccnz .LBB55_186
; %bb.185:
	global_load_ushort v3, v[1:2], off
	s_mov_b32 s0, 0
	s_waitcnt vmcnt(1)
	v_mov_b32_e32 v4, s0
	s_waitcnt vmcnt(0)
	v_and_b32_e32 v3, 0xffff, v3
.LBB55_186:
	s_mov_b64 s[0:1], 0
.LBB55_187:
	s_andn2_b64 vcc, exec, s[0:1]
	s_cbranch_vccnz .LBB55_195
; %bb.188:
	global_load_ubyte v5, v[1:2], off
	s_movk_i32 s0, 0x7f
	s_mov_b64 s[8:9], 0
	s_waitcnt vmcnt(0)
	v_cmp_lt_i16_e32 vcc, s0, v5
	s_and_saveexec_b64 s[0:1], vcc
	s_xor_b64 s[0:1], exec, s[0:1]
; %bb.189:
	s_movk_i32 s8, 0x80
	v_cmp_ne_u16_e32 vcc, s8, v5
	s_and_b64 s[8:9], vcc, exec
; %bb.190:
	s_andn2_saveexec_b64 s[0:1], s[0:1]
; %bb.191:
	v_cmp_ne_u16_e32 vcc, 0, v5
	s_andn2_b64 s[8:9], s[8:9], exec
	s_and_b64 s[12:13], vcc, exec
	s_or_b64 s[8:9], s[8:9], s[12:13]
; %bb.192:
	s_or_b64 exec, exec, s[0:1]
	v_mov_b32_e32 v3, 0
	v_mov_b32_e32 v4, 0
	s_and_saveexec_b64 s[0:1], s[8:9]
	s_cbranch_execz .LBB55_194
; %bb.193:
	v_and_b32_e32 v4, 0xffff, v5
	v_lshlrev_b32_e32 v3, 24, v5
	v_and_b32_e32 v5, 7, v4
	v_ffbh_u32_e32 v7, v5
	v_min_u32_e32 v7, 32, v7
	v_subrev_u32_e32 v9, 28, v7
	v_bfe_u32 v6, v4, 3, 4
	v_lshlrev_b32_e32 v4, v9, v4
	v_sub_u32_e32 v7, 29, v7
	v_and_b32_e32 v4, 7, v4
	v_cmp_eq_u32_e32 vcc, 0, v6
	v_cndmask_b32_e32 v6, v6, v7, vcc
	v_cndmask_b32_e32 v4, v5, v4, vcc
	v_mov_b32_e32 v5, 0x3b800000
	v_lshlrev_b32_e32 v4, 20, v4
	v_and_b32_e32 v3, 0x80000000, v3
	v_lshl_add_u32 v5, v6, 23, v5
	v_or3_b32 v3, v3, v5, v4
	v_trunc_f32_e32 v3, v3
	s_mov_b32 s8, 0x2f800000
	v_mul_f32_e64 v4, |v3|, s8
	v_floor_f32_e32 v4, v4
	s_mov_b32 s8, 0xcf800000
	v_fma_f32 v5, v4, s8, |v3|
	v_cvt_u32_f32_e32 v5, v5
	v_cvt_u32_f32_e32 v4, v4
	v_ashrrev_i32_e32 v6, 31, v3
	v_xor_b32_e32 v3, v5, v6
	v_xor_b32_e32 v4, v4, v6
	v_sub_co_u32_e32 v3, vcc, v3, v6
	v_subb_co_u32_e32 v4, vcc, v4, v6, vcc
.LBB55_194:
	s_or_b64 exec, exec, s[0:1]
.LBB55_195:
	s_mov_b64 s[0:1], -1
.LBB55_196:
	s_branch .LBB55_227
.LBB55_197:
	s_cmp_gt_i32 s10, 22
	s_cbranch_scc0 .LBB55_207
; %bb.198:
	s_cmp_lt_i32 s10, 24
	s_cbranch_scc1 .LBB55_208
; %bb.199:
	s_cmp_gt_i32 s10, 24
	s_cbranch_scc0 .LBB55_209
; %bb.200:
	global_load_ubyte v5, v[1:2], off
	s_movk_i32 s0, 0x7f
	s_mov_b64 s[8:9], 0
	s_waitcnt vmcnt(0)
	v_cmp_lt_i16_e32 vcc, s0, v5
	s_and_saveexec_b64 s[0:1], vcc
	s_xor_b64 s[0:1], exec, s[0:1]
; %bb.201:
	s_movk_i32 s8, 0x80
	v_cmp_ne_u16_e32 vcc, s8, v5
	s_and_b64 s[8:9], vcc, exec
; %bb.202:
	s_andn2_saveexec_b64 s[0:1], s[0:1]
; %bb.203:
	v_cmp_ne_u16_e32 vcc, 0, v5
	s_andn2_b64 s[8:9], s[8:9], exec
	s_and_b64 s[12:13], vcc, exec
	s_or_b64 s[8:9], s[8:9], s[12:13]
; %bb.204:
	s_or_b64 exec, exec, s[0:1]
	v_mov_b32_e32 v3, 0
	v_mov_b32_e32 v4, 0
	s_and_saveexec_b64 s[0:1], s[8:9]
	s_cbranch_execz .LBB55_206
; %bb.205:
	v_and_b32_e32 v4, 0xffff, v5
	v_lshlrev_b32_e32 v3, 24, v5
	v_and_b32_e32 v5, 3, v4
	v_ffbh_u32_e32 v7, v5
	v_min_u32_e32 v7, 32, v7
	v_subrev_u32_e32 v9, 29, v7
	v_bfe_u32 v6, v4, 2, 5
	v_lshlrev_b32_e32 v4, v9, v4
	v_sub_u32_e32 v7, 30, v7
	v_and_b32_e32 v4, 3, v4
	v_cmp_eq_u32_e32 vcc, 0, v6
	v_cndmask_b32_e32 v6, v6, v7, vcc
	v_cndmask_b32_e32 v4, v5, v4, vcc
	v_mov_b32_e32 v5, 0x37800000
	v_lshlrev_b32_e32 v4, 21, v4
	v_and_b32_e32 v3, 0x80000000, v3
	v_lshl_add_u32 v5, v6, 23, v5
	v_or3_b32 v3, v3, v5, v4
	v_trunc_f32_e32 v3, v3
	s_mov_b32 s8, 0x2f800000
	v_mul_f32_e64 v4, |v3|, s8
	v_floor_f32_e32 v4, v4
	s_mov_b32 s8, 0xcf800000
	v_fma_f32 v5, v4, s8, |v3|
	v_cvt_u32_f32_e32 v5, v5
	v_cvt_u32_f32_e32 v4, v4
	v_ashrrev_i32_e32 v6, 31, v3
	v_xor_b32_e32 v3, v5, v6
	v_xor_b32_e32 v4, v4, v6
	v_sub_co_u32_e32 v3, vcc, v3, v6
	v_subb_co_u32_e32 v4, vcc, v4, v6, vcc
.LBB55_206:
	s_or_b64 exec, exec, s[0:1]
	s_mov_b64 s[0:1], 0
	s_branch .LBB55_210
.LBB55_207:
	s_mov_b64 s[8:9], -1
                                        ; implicit-def: $vgpr3_vgpr4
	s_branch .LBB55_216
.LBB55_208:
	s_mov_b64 s[0:1], -1
                                        ; implicit-def: $vgpr3_vgpr4
	s_branch .LBB55_213
.LBB55_209:
	s_mov_b64 s[0:1], -1
                                        ; implicit-def: $vgpr3_vgpr4
.LBB55_210:
	s_and_b64 vcc, exec, s[0:1]
	s_cbranch_vccz .LBB55_212
; %bb.211:
	global_load_ubyte v3, v[1:2], off
	s_mov_b32 s0, 0x7f800000
	s_brev_b32 s1, 1
	s_mov_b32 s8, 0x2f800000
	s_mov_b32 s9, 0xcf800000
	s_waitcnt vmcnt(0)
	v_lshlrev_b32_e32 v3, 24, v3
	v_and_b32_e32 v4, 0x7f000000, v3
	v_ffbh_u32_e32 v5, v4
	v_min_u32_e32 v5, 32, v5
	v_sub_u32_e64 v5, v5, 4 clamp
	v_lshlrev_b32_e32 v7, v5, v4
	v_lshlrev_b32_e32 v5, 23, v5
	v_lshrrev_b32_e32 v7, 4, v7
	v_add_u32_e32 v6, 0x1000000, v4
	v_sub_u32_e32 v5, v7, v5
	v_ashrrev_i32_e32 v6, 8, v6
	v_add_u32_e32 v5, 0x3c000000, v5
	v_and_or_b32 v5, v6, s0, v5
	v_cmp_ne_u32_e32 vcc, 0, v4
	v_cndmask_b32_e32 v4, 0, v5, vcc
	v_and_or_b32 v3, v3, s1, v4
	v_trunc_f32_e32 v3, v3
	v_mul_f32_e64 v4, |v3|, s8
	v_floor_f32_e32 v4, v4
	v_fma_f32 v5, v4, s9, |v3|
	v_cvt_u32_f32_e32 v5, v5
	v_cvt_u32_f32_e32 v4, v4
	v_ashrrev_i32_e32 v6, 31, v3
	v_xor_b32_e32 v3, v5, v6
	v_xor_b32_e32 v4, v4, v6
	v_sub_co_u32_e32 v3, vcc, v3, v6
	v_subb_co_u32_e32 v4, vcc, v4, v6, vcc
.LBB55_212:
	s_mov_b64 s[0:1], 0
.LBB55_213:
	s_andn2_b64 vcc, exec, s[0:1]
	s_cbranch_vccnz .LBB55_215
; %bb.214:
	global_load_ubyte v3, v[1:2], off
	s_movk_i32 s0, 0x7f00
	s_brev_b32 s1, 16
	s_brev_b32 s8, 1
	s_mov_b32 s9, 0x2f800000
	s_mov_b32 s11, 0xcf800000
	s_waitcnt vmcnt(0)
	v_lshlrev_b16_e32 v4, 8, v3
	v_lshlrev_b32_e32 v3, 25, v3
	v_lshrrev_b32_e32 v5, 4, v3
	v_and_or_b32 v6, v4, s0, 0.5
	v_or_b32_e32 v5, 0x70000000, v5
	v_add_f32_e32 v6, -0.5, v6
	v_mul_f32_e32 v5, 0x7800000, v5
	v_cmp_gt_u32_e32 vcc, s1, v3
	v_bfe_i32 v4, v4, 0, 16
	v_cndmask_b32_e32 v3, v5, v6, vcc
	v_and_or_b32 v3, v4, s8, v3
	v_trunc_f32_e32 v3, v3
	v_mul_f32_e64 v4, |v3|, s9
	v_floor_f32_e32 v4, v4
	v_fma_f32 v5, v4, s11, |v3|
	v_cvt_u32_f32_e32 v5, v5
	v_cvt_u32_f32_e32 v4, v4
	v_ashrrev_i32_e32 v6, 31, v3
	v_xor_b32_e32 v3, v5, v6
	v_xor_b32_e32 v4, v4, v6
	v_sub_co_u32_e32 v3, vcc, v3, v6
	v_subb_co_u32_e32 v4, vcc, v4, v6, vcc
.LBB55_215:
	s_mov_b64 s[8:9], 0
	s_mov_b64 s[0:1], -1
.LBB55_216:
	s_andn2_b64 vcc, exec, s[8:9]
	s_cbranch_vccnz .LBB55_227
; %bb.217:
	s_cmp_gt_i32 s10, 14
	s_cbranch_scc0 .LBB55_220
; %bb.218:
	s_cmp_eq_u32 s10, 15
	s_cbranch_scc0 .LBB55_221
; %bb.219:
	global_load_ushort v3, v[1:2], off
	s_mov_b32 s0, 0x2f800000
	s_mov_b32 s1, 0xcf800000
	s_mov_b64 s[2:3], 0
	s_waitcnt vmcnt(0)
	v_lshlrev_b32_e32 v3, 16, v3
	v_trunc_f32_e32 v3, v3
	v_mul_f32_e64 v4, |v3|, s0
	v_floor_f32_e32 v4, v4
	v_fma_f32 v5, v4, s1, |v3|
	v_cvt_u32_f32_e32 v5, v5
	v_cvt_u32_f32_e32 v4, v4
	v_ashrrev_i32_e32 v6, 31, v3
	s_mov_b64 s[0:1], -1
	v_xor_b32_e32 v3, v5, v6
	v_xor_b32_e32 v4, v4, v6
	v_sub_co_u32_e32 v3, vcc, v3, v6
	v_subb_co_u32_e32 v4, vcc, v4, v6, vcc
	s_branch .LBB55_222
.LBB55_220:
	s_mov_b64 s[8:9], -1
                                        ; implicit-def: $vgpr3_vgpr4
	s_branch .LBB55_223
.LBB55_221:
	s_mov_b64 s[2:3], -1
                                        ; implicit-def: $vgpr3_vgpr4
.LBB55_222:
	s_mov_b64 s[8:9], 0
.LBB55_223:
	s_and_b64 vcc, exec, s[8:9]
	s_cbranch_vccz .LBB55_227
; %bb.224:
	s_cmp_eq_u32 s10, 11
	s_cbranch_scc0 .LBB55_226
; %bb.225:
	global_load_ubyte v3, v[1:2], off
	s_mov_b32 s2, 0
	s_mov_b64 s[0:1], -1
	s_waitcnt vmcnt(1)
	v_mov_b32_e32 v4, s2
	s_mov_b64 s[2:3], 0
	s_waitcnt vmcnt(0)
	v_cmp_ne_u16_e32 vcc, 0, v3
	v_cndmask_b32_e64 v3, 0, 1, vcc
	s_branch .LBB55_227
.LBB55_226:
	s_mov_b64 s[2:3], -1
                                        ; implicit-def: $vgpr3_vgpr4
.LBB55_227:
	s_branch .LBB55_24
.LBB55_228:
	s_cmp_lt_i32 s10, 5
	s_cbranch_scc1 .LBB55_233
; %bb.229:
	s_cmp_lt_i32 s10, 8
	s_cbranch_scc1 .LBB55_234
; %bb.230:
	;; [unrolled: 3-line block ×3, first 2 shown]
	s_cmp_gt_i32 s10, 9
	s_cbranch_scc0 .LBB55_236
; %bb.232:
	global_load_dwordx2 v[3:4], v[1:2], off
	s_movk_i32 s0, 0xffe0
	s_waitcnt vmcnt(0)
	v_trunc_f64_e32 v[3:4], v[3:4]
	v_ldexp_f64 v[5:6], v[3:4], s0
	s_mov_b32 s0, 0
	s_mov_b32 s1, 0xc1f00000
	v_floor_f64_e32 v[5:6], v[5:6]
	v_fma_f64 v[9:10], v[5:6], s[0:1], v[3:4]
	v_cvt_i32_f64_e32 v4, v[5:6]
	s_mov_b64 s[0:1], 0
	v_cvt_u32_f64_e32 v3, v[9:10]
	s_branch .LBB55_237
.LBB55_233:
                                        ; implicit-def: $vgpr3_vgpr4
	s_branch .LBB55_255
.LBB55_234:
	s_mov_b64 s[0:1], -1
                                        ; implicit-def: $vgpr3_vgpr4
	s_branch .LBB55_243
.LBB55_235:
	s_mov_b64 s[0:1], -1
                                        ; implicit-def: $vgpr3_vgpr4
	s_branch .LBB55_240
.LBB55_236:
	s_mov_b64 s[0:1], -1
                                        ; implicit-def: $vgpr3_vgpr4
.LBB55_237:
	s_andn2_b64 vcc, exec, s[0:1]
	s_cbranch_vccnz .LBB55_239
; %bb.238:
	global_load_dword v3, v[1:2], off
	s_mov_b32 s0, 0x2f800000
	s_mov_b32 s1, 0xcf800000
	s_waitcnt vmcnt(0)
	v_trunc_f32_e32 v3, v3
	v_mul_f32_e64 v4, |v3|, s0
	v_floor_f32_e32 v4, v4
	v_cvt_u32_f32_e32 v5, v4
	v_fma_f32 v4, v4, s1, |v3|
	v_cvt_u32_f32_e32 v4, v4
	v_ashrrev_i32_e32 v6, 31, v3
	v_xor_b32_e32 v5, v5, v6
	v_xor_b32_e32 v3, v4, v6
	v_sub_co_u32_e32 v3, vcc, v3, v6
	v_subb_co_u32_e32 v4, vcc, v5, v6, vcc
.LBB55_239:
	s_mov_b64 s[0:1], 0
.LBB55_240:
	s_andn2_b64 vcc, exec, s[0:1]
	s_cbranch_vccnz .LBB55_242
; %bb.241:
	global_load_dword v3, v[1:2], off
	s_waitcnt vmcnt(0)
	v_cvt_f32_f16_e32 v3, v3
	v_cvt_i32_f32_e32 v3, v3
	v_ashrrev_i32_e32 v4, 31, v3
.LBB55_242:
	s_mov_b64 s[0:1], 0
.LBB55_243:
	s_andn2_b64 vcc, exec, s[0:1]
	s_cbranch_vccnz .LBB55_254
; %bb.244:
	s_cmp_lt_i32 s10, 6
	s_cbranch_scc1 .LBB55_247
; %bb.245:
	s_cmp_gt_i32 s10, 6
	s_cbranch_scc0 .LBB55_248
; %bb.246:
	global_load_dwordx2 v[3:4], v[1:2], off
	s_movk_i32 s0, 0xffe0
	s_waitcnt vmcnt(0)
	v_trunc_f64_e32 v[3:4], v[3:4]
	v_ldexp_f64 v[5:6], v[3:4], s0
	s_mov_b32 s0, 0
	s_mov_b32 s1, 0xc1f00000
	v_floor_f64_e32 v[5:6], v[5:6]
	v_fma_f64 v[9:10], v[5:6], s[0:1], v[3:4]
	v_cvt_i32_f64_e32 v4, v[5:6]
	s_mov_b64 s[0:1], 0
	v_cvt_u32_f64_e32 v3, v[9:10]
	s_branch .LBB55_249
.LBB55_247:
	s_mov_b64 s[0:1], -1
                                        ; implicit-def: $vgpr3_vgpr4
	s_branch .LBB55_252
.LBB55_248:
	s_mov_b64 s[0:1], -1
                                        ; implicit-def: $vgpr3_vgpr4
.LBB55_249:
	s_andn2_b64 vcc, exec, s[0:1]
	s_cbranch_vccnz .LBB55_251
; %bb.250:
	global_load_dword v3, v[1:2], off
	s_mov_b32 s0, 0x2f800000
	s_mov_b32 s1, 0xcf800000
	s_waitcnt vmcnt(0)
	v_trunc_f32_e32 v3, v3
	v_mul_f32_e64 v4, |v3|, s0
	v_floor_f32_e32 v4, v4
	v_cvt_u32_f32_e32 v5, v4
	v_fma_f32 v4, v4, s1, |v3|
	v_cvt_u32_f32_e32 v4, v4
	v_ashrrev_i32_e32 v6, 31, v3
	v_xor_b32_e32 v5, v5, v6
	v_xor_b32_e32 v3, v4, v6
	v_sub_co_u32_e32 v3, vcc, v3, v6
	v_subb_co_u32_e32 v4, vcc, v5, v6, vcc
.LBB55_251:
	s_mov_b64 s[0:1], 0
.LBB55_252:
	s_andn2_b64 vcc, exec, s[0:1]
	s_cbranch_vccnz .LBB55_254
; %bb.253:
	global_load_ushort v3, v[1:2], off
	s_waitcnt vmcnt(0)
	v_cvt_f32_f16_e32 v3, v3
	v_cvt_i32_f32_e32 v3, v3
	v_ashrrev_i32_e32 v4, 31, v3
.LBB55_254:
	s_cbranch_execnz .LBB55_274
.LBB55_255:
	s_cmp_lt_i32 s10, 2
	s_cbranch_scc1 .LBB55_259
; %bb.256:
	s_cmp_lt_i32 s10, 3
	s_cbranch_scc1 .LBB55_260
; %bb.257:
	s_cmp_gt_i32 s10, 3
	s_cbranch_scc0 .LBB55_261
; %bb.258:
	global_load_dwordx2 v[3:4], v[1:2], off
	s_mov_b64 s[0:1], 0
	s_branch .LBB55_262
.LBB55_259:
	s_mov_b64 s[0:1], -1
                                        ; implicit-def: $vgpr3_vgpr4
	s_branch .LBB55_268
.LBB55_260:
	s_mov_b64 s[0:1], -1
                                        ; implicit-def: $vgpr3_vgpr4
	s_branch .LBB55_265
.LBB55_261:
	s_mov_b64 s[0:1], -1
                                        ; implicit-def: $vgpr3_vgpr4
.LBB55_262:
	s_andn2_b64 vcc, exec, s[0:1]
	s_cbranch_vccnz .LBB55_264
; %bb.263:
	global_load_dword v3, v[1:2], off
	s_waitcnt vmcnt(0)
	v_ashrrev_i32_e32 v4, 31, v3
.LBB55_264:
	s_mov_b64 s[0:1], 0
.LBB55_265:
	s_andn2_b64 vcc, exec, s[0:1]
	s_cbranch_vccnz .LBB55_267
; %bb.266:
	global_load_ushort v3, v[1:2], off
	s_waitcnt vmcnt(0)
	v_bfe_i32 v3, v3, 0, 16
	v_ashrrev_i32_e32 v4, 31, v3
.LBB55_267:
	s_mov_b64 s[0:1], 0
.LBB55_268:
	s_andn2_b64 vcc, exec, s[0:1]
	s_cbranch_vccnz .LBB55_274
; %bb.269:
	s_cmp_gt_i32 s10, 0
	s_cbranch_scc0 .LBB55_271
; %bb.270:
	global_load_sbyte v3, v[1:2], off
	s_mov_b64 s[0:1], 0
	s_waitcnt vmcnt(0)
	v_bfe_i32 v3, v3, 0, 16
	v_ashrrev_i32_e32 v4, 31, v3
	s_branch .LBB55_272
.LBB55_271:
	s_mov_b64 s[0:1], -1
                                        ; implicit-def: $vgpr3_vgpr4
.LBB55_272:
	s_andn2_b64 vcc, exec, s[0:1]
	s_cbranch_vccnz .LBB55_274
; %bb.273:
	global_load_ubyte v1, v[1:2], off
	s_mov_b32 s0, 0
	s_waitcnt vmcnt(1)
	v_mov_b32_e32 v4, s0
	s_waitcnt vmcnt(0)
	v_and_b32_e32 v3, 0xffff, v1
.LBB55_274:
	s_branch .LBB55_25
.LBB55_275:
	s_mov_b64 s[0:1], 0
.LBB55_276:
	s_mov_b64 s[8:9], 0
                                        ; implicit-def: $vgpr8
.LBB55_277:
	s_and_b64 s[54:55], s[0:1], exec
	s_and_b64 s[56:57], s[2:3], exec
	s_orn2_b64 s[2:3], s[8:9], exec
.LBB55_278:
	s_or_b64 exec, exec, s[58:59]
	s_mov_b64 s[10:11], 0
	s_mov_b64 s[0:1], 0
                                        ; implicit-def: $vgpr1_vgpr2
                                        ; implicit-def: $vgpr0
                                        ; implicit-def: $vgpr3_vgpr4
	s_and_saveexec_b64 s[58:59], s[2:3]
	s_cbranch_execz .LBB55_285
; %bb.279:
	v_cmp_gt_i32_e32 vcc, s72, v8
	s_mov_b64 s[0:1], -1
	s_mov_b64 s[60:61], s[56:57]
	s_mov_b64 s[62:63], s[54:55]
	s_and_saveexec_b64 s[64:65], vcc
	s_cbranch_execz .LBB55_566
; %bb.280:
	s_andn2_b64 vcc, exec, s[40:41]
	s_cbranch_vccnz .LBB55_288
; %bb.281:
	s_andn2_b64 vcc, exec, s[52:53]
	s_cbranch_vccnz .LBB55_289
; %bb.282:
	s_add_i32 s67, s78, 1
	s_cmp_eq_u32 s74, 2
	s_cbranch_scc1 .LBB55_290
; %bb.283:
	s_and_b32 s66, s67, 28
	v_mov_b32_e32 v2, 0
	s_mov_b32 s68, 0
	s_mov_b64 s[60:61], s[34:35]
	s_mov_b64 s[62:63], s[50:51]
	v_mov_b32_e32 v0, 0
	v_mov_b32_e32 v1, v8
.LBB55_284:                             ; =>This Inner Loop Header: Depth=1
	s_load_dwordx8 s[16:23], s[60:61], 0x4
	s_load_dwordx4 s[0:3], s[60:61], 0x24
	s_load_dwordx8 s[8:15], s[62:63], 0x0
	s_add_u32 s60, s60, 48
	s_addc_u32 s61, s61, 0
	s_waitcnt vmcnt(0) lgkmcnt(0)
	v_mul_hi_u32 v3, s17, v1
	s_add_i32 s68, s68, 4
	s_add_u32 s62, s62, 32
	s_addc_u32 s63, s63, 0
	v_add_u32_e32 v3, v1, v3
	v_lshrrev_b32_e32 v3, s18, v3
	v_mul_lo_u32 v4, v3, s16
	v_mul_hi_u32 v5, s20, v3
	s_cmp_eq_u32 s66, s68
	v_sub_u32_e32 v1, v1, v4
	v_add_u32_e32 v4, v3, v5
	v_mul_lo_u32 v5, v1, s8
	v_mul_lo_u32 v6, v1, s9
	v_lshrrev_b32_e32 v1, s21, v4
	v_mul_lo_u32 v4, v1, s19
	v_mul_hi_u32 v7, s23, v1
	v_sub_u32_e32 v3, v3, v4
	v_add_u32_e32 v4, v1, v7
	v_lshrrev_b32_e32 v4, s0, v4
	v_mul_hi_u32 v9, s2, v4
	v_mul_lo_u32 v10, v4, s22
	v_mul_lo_u32 v7, v3, s10
	;; [unrolled: 1-line block ×3, first 2 shown]
	v_sub_u32_e32 v10, v1, v10
	v_add_u32_e32 v1, v4, v9
	v_lshrrev_b32_e32 v1, s3, v1
	v_mul_lo_u32 v9, v1, s1
	v_mul_lo_u32 v11, v10, s12
	;; [unrolled: 1-line block ×3, first 2 shown]
	v_add3_u32 v0, v5, v0, v7
	v_sub_u32_e32 v4, v4, v9
	v_mul_lo_u32 v9, v4, s14
	v_mul_lo_u32 v4, v4, s15
	v_add3_u32 v2, v6, v2, v3
	v_add3_u32 v0, v11, v0, v9
	;; [unrolled: 1-line block ×3, first 2 shown]
	s_cbranch_scc0 .LBB55_284
	s_branch .LBB55_291
.LBB55_285:
	s_or_b64 exec, exec, s[58:59]
	s_mov_b64 s[2:3], 0
	s_and_saveexec_b64 s[8:9], s[56:57]
	s_cbranch_execnz .LBB55_951
.LBB55_286:
	s_or_b64 exec, exec, s[8:9]
	s_and_saveexec_b64 s[8:9], s[62:63]
	s_xor_b64 s[8:9], exec, s[8:9]
	s_cbranch_execz .LBB55_952
.LBB55_287:
	global_load_ubyte v3, v[1:2], off
	s_mov_b32 s12, 0
	s_waitcnt vmcnt(1)
	v_mov_b32_e32 v4, s12
	s_or_b64 s[0:1], s[0:1], exec
	s_waitcnt vmcnt(0)
	v_cmp_ne_u16_e32 vcc, 0, v3
	v_cndmask_b32_e64 v3, 0, 1, vcc
	s_or_b64 exec, exec, s[8:9]
	s_and_saveexec_b64 s[8:9], s[10:11]
	s_cbranch_execz .LBB55_998
	s_branch .LBB55_953
.LBB55_288:
                                        ; implicit-def: $vgpr0
                                        ; implicit-def: $vgpr2
	s_andn2_b64 vcc, exec, s[0:1]
	s_cbranch_vccz .LBB55_295
	s_branch .LBB55_297
.LBB55_289:
	v_mov_b32_e32 v0, 0
	v_mov_b32_e32 v2, 0
	s_branch .LBB55_294
.LBB55_290:
	s_mov_b32 s66, 0
	v_mov_b32_e32 v0, 0
	v_mov_b32_e32 v2, 0
	;; [unrolled: 1-line block ×3, first 2 shown]
.LBB55_291:
	s_and_b32 s8, s67, 3
	s_cmp_eq_u32 s8, 0
	s_cbranch_scc1 .LBB55_294
; %bb.292:
	s_lshl_b32 s0, s66, 3
	s_add_u32 s0, s34, s0
	s_addc_u32 s1, s35, 0
	s_add_u32 s0, s0, 0xc4
	s_addc_u32 s1, s1, 0
	s_mul_i32 s2, s66, 12
	s_add_u32 s2, s34, s2
	s_addc_u32 s3, s35, 0
.LBB55_293:                             ; =>This Inner Loop Header: Depth=1
	s_load_dwordx2 s[10:11], s[2:3], 0x4
	s_load_dword s9, s[2:3], 0xc
	s_load_dwordx2 s[12:13], s[0:1], 0x0
	s_add_u32 s2, s2, 12
	s_addc_u32 s3, s3, 0
	s_waitcnt vmcnt(0) lgkmcnt(0)
	v_mul_hi_u32 v3, s11, v1
	s_add_u32 s0, s0, 8
	s_addc_u32 s1, s1, 0
	s_add_i32 s8, s8, -1
	v_add_u32_e32 v3, v1, v3
	v_lshrrev_b32_e32 v4, s9, v3
	v_mul_lo_u32 v3, v4, s10
	s_cmp_lg_u32 s8, 0
	v_sub_u32_e32 v3, v1, v3
	v_mad_u64_u32 v[0:1], s[10:11], v3, s12, v[0:1]
	v_mad_u64_u32 v[2:3], s[10:11], v3, s13, v[2:3]
	v_mov_b32_e32 v1, v4
	s_cbranch_scc1 .LBB55_293
.LBB55_294:
	s_cbranch_execnz .LBB55_297
.LBB55_295:
	v_mul_hi_u32 v0, s29, v8
	s_andn2_b64 vcc, exec, s[48:49]
	v_add_u32_e32 v0, v8, v0
	v_lshrrev_b32_e32 v1, s30, v0
	v_mul_lo_u32 v0, v1, s28
	v_sub_u32_e32 v2, v8, v0
	v_mul_lo_u32 v0, v2, s36
	v_mul_lo_u32 v2, v2, s37
	s_cbranch_vccnz .LBB55_297
; %bb.296:
	s_waitcnt vmcnt(0)
	v_mul_hi_u32 v3, s46, v1
	v_add_u32_e32 v3, v1, v3
	v_lshrrev_b32_e32 v3, s47, v3
	v_mul_lo_u32 v3, v3, s31
	v_sub_u32_e32 v3, v1, v3
	v_mad_u64_u32 v[0:1], s[0:1], v3, s38, v[0:1]
	v_mad_u64_u32 v[2:3], s[0:1], v3, s39, v[2:3]
.LBB55_297:
	s_waitcnt vmcnt(0)
	v_mov_b32_e32 v3, s27
	s_and_b32 s10, 0xffff, s77
	v_add_co_u32_e32 v1, vcc, s26, v2
	s_cmp_lt_i32 s10, 11
	v_addc_co_u32_e32 v2, vcc, 0, v3, vcc
	s_cbranch_scc1 .LBB55_304
; %bb.298:
	s_cmp_gt_i32 s10, 25
	s_cbranch_scc0 .LBB55_310
; %bb.299:
	s_cmp_gt_i32 s10, 28
	s_cbranch_scc0 .LBB55_314
	;; [unrolled: 3-line block ×4, first 2 shown]
; %bb.302:
	s_cmp_eq_u32 s10, 46
	s_mov_b64 s[8:9], 0
	s_cbranch_scc0 .LBB55_341
; %bb.303:
	global_load_dword v3, v[1:2], off
	s_mov_b32 s0, 0x2f800000
	s_mov_b32 s1, 0xcf800000
	s_mov_b64 s[2:3], 0
	s_waitcnt vmcnt(0)
	v_lshlrev_b32_e32 v3, 16, v3
	v_trunc_f32_e32 v3, v3
	v_mul_f32_e64 v4, |v3|, s0
	v_floor_f32_e32 v4, v4
	v_fma_f32 v5, v4, s1, |v3|
	v_cvt_u32_f32_e32 v5, v5
	v_cvt_u32_f32_e32 v4, v4
	v_ashrrev_i32_e32 v6, 31, v3
	s_mov_b64 s[0:1], -1
	v_xor_b32_e32 v3, v5, v6
	v_xor_b32_e32 v4, v4, v6
	v_sub_co_u32_e32 v3, vcc, v3, v6
	v_subb_co_u32_e32 v4, vcc, v4, v6, vcc
	s_branch .LBB55_342
.LBB55_304:
	s_mov_b64 s[0:1], 0
                                        ; implicit-def: $vgpr3_vgpr4
	s_mov_b64 s[2:3], s[56:57]
	s_cbranch_execnz .LBB55_515
.LBB55_305:
	s_andn2_b64 vcc, exec, s[0:1]
	s_cbranch_vccnz .LBB55_563
.LBB55_306:
	s_cmp_lt_i32 s76, 1
	s_mov_b64 s[0:1], 0
	s_cbranch_scc1 .LBB55_311
; %bb.307:
	s_cmp_gt_i32 s76, 1
	s_cbranch_scc0 .LBB55_315
; %bb.308:
	s_cmp_eq_u32 s76, 2
	s_cbranch_scc0 .LBB55_317
; %bb.309:
	s_waitcnt vmcnt(0)
	v_cmp_ge_i64_e64 s[8:9], s[44:45], v[3:4]
	s_mov_b64 s[10:11], 0
	s_branch .LBB55_318
.LBB55_310:
	s_mov_b64 s[8:9], -1
	s_mov_b64 s[0:1], 0
	s_mov_b64 s[2:3], s[56:57]
                                        ; implicit-def: $vgpr3_vgpr4
	s_branch .LBB55_483
.LBB55_311:
                                        ; implicit-def: $sgpr8_sgpr9
	s_mov_b64 s[10:11], 0
	s_cbranch_execnz .LBB55_322
.LBB55_312:
	s_andn2_b64 vcc, exec, s[10:11]
	s_cbranch_vccnz .LBB55_323
.LBB55_313:
	s_waitcnt vmcnt(0)
	v_cmp_gt_i64_e32 vcc, s[44:45], v[3:4]
	s_andn2_b64 s[8:9], s[8:9], exec
	s_and_b64 s[10:11], vcc, exec
	s_or_b64 s[8:9], s[8:9], s[10:11]
	s_cbranch_execz .LBB55_324
	s_branch .LBB55_325
.LBB55_314:
	s_mov_b64 s[8:9], -1
	s_mov_b64 s[0:1], 0
	s_mov_b64 s[2:3], s[56:57]
                                        ; implicit-def: $vgpr3_vgpr4
	s_branch .LBB55_464
.LBB55_315:
	s_mov_b64 s[12:13], -1
	s_mov_b64 s[10:11], 0
                                        ; implicit-def: $sgpr8_sgpr9
	s_branch .LBB55_319
.LBB55_316:
	s_mov_b64 s[8:9], -1
	s_mov_b64 s[0:1], 0
	s_mov_b64 s[2:3], s[56:57]
                                        ; implicit-def: $vgpr3_vgpr4
	s_branch .LBB55_459
.LBB55_317:
	s_mov_b64 s[10:11], -1
                                        ; implicit-def: $sgpr8_sgpr9
.LBB55_318:
	s_mov_b64 s[12:13], 0
.LBB55_319:
	s_and_b64 vcc, exec, s[12:13]
	s_cbranch_vccz .LBB55_321
; %bb.320:
	s_waitcnt vmcnt(0)
	v_cmp_lt_i64_e32 vcc, s[44:45], v[3:4]
	s_andn2_b64 s[8:9], s[8:9], exec
	s_and_b64 s[12:13], vcc, exec
	s_or_b64 s[8:9], s[8:9], s[12:13]
.LBB55_321:
	s_branch .LBB55_312
.LBB55_322:
	s_cmp_lg_u32 s76, 0
	s_mov_b64 s[0:1], -1
	s_cselect_b64 s[10:11], -1, 0
	s_andn2_b64 vcc, exec, s[10:11]
	s_cbranch_vccz .LBB55_313
.LBB55_323:
	s_andn2_b64 vcc, exec, s[0:1]
	s_cbranch_vccnz .LBB55_325
.LBB55_324:
	s_waitcnt vmcnt(0)
	v_cmp_le_i64_e32 vcc, s[44:45], v[3:4]
	s_andn2_b64 s[0:1], s[8:9], exec
	s_and_b64 s[8:9], vcc, exec
	s_or_b64 s[8:9], s[0:1], s[8:9]
.LBB55_325:
	v_mov_b32_e32 v1, s25
	s_and_b32 s16, s75, 0xff
	v_add_co_u32_e32 v0, vcc, s24, v0
	s_cmp_lt_i32 s16, 11
	v_addc_co_u32_e32 v1, vcc, 0, v1, vcc
	s_cbranch_scc1 .LBB55_332
; %bb.326:
	s_and_b32 s17, 0xffff, s16
	s_cmp_gt_i32 s17, 25
	s_cbranch_scc0 .LBB55_333
; %bb.327:
	s_cmp_gt_i32 s17, 28
	s_cbranch_scc0 .LBB55_334
; %bb.328:
	;; [unrolled: 3-line block ×4, first 2 shown]
	s_mov_b64 s[12:13], 0
	s_mov_b64 s[0:1], -1
	s_cmp_eq_u32 s17, 46
	s_mov_b64 s[10:11], 0
	s_cbranch_scc0 .LBB55_346
; %bb.331:
	v_cndmask_b32_e64 v2, 0, 1.0, s[8:9]
	s_waitcnt vmcnt(0)
	v_bfe_u32 v3, v2, 16, 1
	s_movk_i32 s0, 0x7fff
	v_add3_u32 v2, v2, v3, s0
	v_lshrrev_b32_e32 v2, 16, v2
	global_store_dword v[0:1], v2, off
	s_mov_b64 s[10:11], -1
	s_mov_b64 s[0:1], 0
	s_branch .LBB55_346
.LBB55_332:
	s_mov_b64 s[12:13], -1
	s_mov_b64 s[10:11], 0
	s_mov_b64 s[0:1], s[54:55]
	s_branch .LBB55_415
.LBB55_333:
	s_mov_b64 s[12:13], -1
	s_mov_b64 s[10:11], 0
	s_mov_b64 s[0:1], s[54:55]
	s_branch .LBB55_373
.LBB55_334:
	s_mov_b64 s[12:13], -1
	s_mov_b64 s[10:11], 0
	s_mov_b64 s[0:1], s[54:55]
	s_branch .LBB55_356
.LBB55_335:
	s_andn2_saveexec_b64 s[14:15], s[14:15]
	s_cbranch_execz .LBB55_84
.LBB55_336:
	v_add_f32_e32 v2, 0x46000000, v3
	v_and_b32_e32 v2, 0xff, v2
	v_cmp_ne_u32_e32 vcc, 0, v2
	s_andn2_b64 s[12:13], s[12:13], exec
	s_and_b64 s[18:19], vcc, exec
	s_or_b64 s[12:13], s[12:13], s[18:19]
	s_or_b64 exec, exec, s[14:15]
	v_mov_b32_e32 v4, 0
	s_and_saveexec_b64 s[14:15], s[12:13]
	s_cbranch_execnz .LBB55_85
	s_branch .LBB55_86
.LBB55_337:
	s_mov_b64 s[8:9], -1
	s_mov_b64 s[0:1], 0
	s_mov_b64 s[2:3], s[56:57]
                                        ; implicit-def: $vgpr3_vgpr4
	s_branch .LBB55_342
.LBB55_338:
	s_mov_b64 s[12:13], -1
	s_mov_b64 s[10:11], 0
	s_mov_b64 s[0:1], s[54:55]
	s_branch .LBB55_352
.LBB55_339:
	s_andn2_saveexec_b64 s[14:15], s[14:15]
	s_cbranch_execz .LBB55_97
.LBB55_340:
	v_add_f32_e32 v2, 0x42800000, v3
	v_and_b32_e32 v2, 0xff, v2
	v_cmp_ne_u32_e32 vcc, 0, v2
	s_andn2_b64 s[12:13], s[12:13], exec
	s_and_b64 s[18:19], vcc, exec
	s_or_b64 s[12:13], s[12:13], s[18:19]
	s_or_b64 exec, exec, s[14:15]
	v_mov_b32_e32 v4, 0
	s_and_saveexec_b64 s[14:15], s[12:13]
	s_cbranch_execnz .LBB55_98
	s_branch .LBB55_99
.LBB55_341:
	s_mov_b64 s[2:3], -1
                                        ; implicit-def: $vgpr3_vgpr4
	s_mov_b64 s[0:1], 0
.LBB55_342:
	s_and_b64 vcc, exec, s[8:9]
	s_cbranch_vccz .LBB55_458
; %bb.343:
	s_cmp_eq_u32 s10, 44
	s_cbranch_scc0 .LBB55_457
; %bb.344:
	global_load_ubyte v3, v[1:2], off
	s_mov_b32 s0, 0x2f800000
	s_mov_b32 s1, 0xcf800000
	s_mov_b64 s[2:3], 0
	s_waitcnt vmcnt(0)
	v_lshlrev_b32_e32 v4, 23, v3
	v_trunc_f32_e32 v4, v4
	v_mul_f32_e64 v5, |v4|, s0
	v_floor_f32_e32 v5, v5
	v_fma_f32 v6, v5, s1, |v4|
	v_cvt_u32_f32_e32 v6, v6
	v_cvt_u32_f32_e32 v5, v5
	v_ashrrev_i32_e32 v4, 31, v4
	s_mov_b64 s[0:1], -1
	v_xor_b32_e32 v6, v6, v4
	v_xor_b32_e32 v5, v5, v4
	v_sub_co_u32_e32 v6, vcc, v6, v4
	v_subb_co_u32_e32 v4, vcc, v5, v4, vcc
	v_cmp_ne_u32_e32 vcc, 0, v3
	v_cndmask_b32_e32 v4, 0, v4, vcc
	v_cndmask_b32_e32 v3, 0, v6, vcc
	s_branch .LBB55_458
.LBB55_345:
	s_mov_b64 s[12:13], -1
	s_mov_b64 s[10:11], 0
	s_mov_b64 s[0:1], s[54:55]
.LBB55_346:
	s_and_b64 vcc, exec, s[12:13]
	s_cbranch_vccz .LBB55_351
; %bb.347:
	s_cmp_eq_u32 s17, 44
	s_mov_b64 s[0:1], -1
	s_cbranch_scc0 .LBB55_351
; %bb.348:
	s_waitcnt vmcnt(0)
	v_cndmask_b32_e64 v3, 0, 1.0, s[8:9]
	v_lshrrev_b32_e32 v2, 23, v3
	s_movk_i32 s0, 0xff
	v_cmp_ne_u32_e32 vcc, s0, v2
	v_mov_b32_e32 v4, 0xff
	s_and_saveexec_b64 s[10:11], vcc
; %bb.349:
	s_mov_b32 s0, 0x3fffff
	v_and_b32_e32 v4, 0x400000, v3
	v_and_or_b32 v3, v3, s0, v2
	v_cmp_ne_u32_e32 vcc, 0, v4
	v_cmp_ne_u32_e64 s[0:1], 0, v3
	s_and_b64 s[0:1], vcc, s[0:1]
	v_cndmask_b32_e64 v3, 0, 1, s[0:1]
	v_add_u32_e32 v4, v2, v3
; %bb.350:
	s_or_b64 exec, exec, s[10:11]
	s_mov_b64 s[10:11], -1
	s_mov_b64 s[0:1], 0
	global_store_byte v[0:1], v4, off
.LBB55_351:
	s_mov_b64 s[12:13], 0
.LBB55_352:
	s_and_b64 vcc, exec, s[12:13]
	s_cbranch_vccz .LBB55_355
; %bb.353:
	s_cmp_eq_u32 s17, 29
	s_mov_b64 s[0:1], -1
	s_cbranch_scc0 .LBB55_355
; %bb.354:
	s_mov_b32 s0, 0
	v_cndmask_b32_e64 v2, 0, 1, s[8:9]
	s_waitcnt vmcnt(0)
	v_mov_b32_e32 v3, s0
	global_store_dwordx2 v[0:1], v[2:3], off
	s_mov_b64 s[10:11], -1
	s_mov_b64 s[0:1], 0
.LBB55_355:
	s_mov_b64 s[12:13], 0
.LBB55_356:
	s_and_b64 vcc, exec, s[12:13]
	s_cbranch_vccz .LBB55_372
; %bb.357:
	s_cmp_lt_i32 s17, 27
	s_mov_b64 s[10:11], -1
	s_cbranch_scc1 .LBB55_363
; %bb.358:
	s_cmp_gt_i32 s17, 27
	s_cbranch_scc0 .LBB55_360
; %bb.359:
	v_cndmask_b32_e64 v2, 0, 1, s[8:9]
	s_mov_b64 s[10:11], 0
	global_store_dword v[0:1], v2, off
.LBB55_360:
	s_andn2_b64 vcc, exec, s[10:11]
	s_cbranch_vccnz .LBB55_362
; %bb.361:
	v_cndmask_b32_e64 v2, 0, 1, s[8:9]
	global_store_short v[0:1], v2, off
.LBB55_362:
	s_mov_b64 s[10:11], 0
.LBB55_363:
	s_andn2_b64 vcc, exec, s[10:11]
	s_cbranch_vccnz .LBB55_371
; %bb.364:
	s_waitcnt vmcnt(0)
	v_cndmask_b32_e64 v3, 0, 1.0, s[8:9]
	s_mov_b32 s10, 0x43800000
	v_cmp_gt_u32_e32 vcc, s10, v3
	v_mov_b32_e32 v4, 0x80
	s_and_saveexec_b64 s[10:11], vcc
	s_cbranch_execz .LBB55_370
; %bb.365:
	s_mov_b32 s12, 0x3bffffff
	v_cmp_lt_u32_e32 vcc, s12, v3
	s_mov_b64 s[12:13], 0
                                        ; implicit-def: $vgpr2
	s_and_saveexec_b64 s[14:15], vcc
	s_xor_b64 s[14:15], exec, s[14:15]
	s_cbranch_execz .LBB55_594
; %bb.366:
	v_bfe_u32 v2, v3, 20, 1
	s_mov_b32 s18, 0x487ffff
	v_add3_u32 v2, v3, v2, s18
	s_mov_b64 s[12:13], exec
	v_lshrrev_b32_e32 v2, 20, v2
                                        ; implicit-def: $vgpr3
	s_andn2_saveexec_b64 s[14:15], s[14:15]
	s_cbranch_execnz .LBB55_595
.LBB55_367:
	s_or_b64 exec, exec, s[14:15]
	v_mov_b32_e32 v4, 0
	s_and_saveexec_b64 s[14:15], s[12:13]
.LBB55_368:
	v_mov_b32_e32 v4, v2
.LBB55_369:
	s_or_b64 exec, exec, s[14:15]
.LBB55_370:
	s_or_b64 exec, exec, s[10:11]
	global_store_byte v[0:1], v4, off
.LBB55_371:
	s_mov_b64 s[10:11], -1
.LBB55_372:
	s_mov_b64 s[12:13], 0
.LBB55_373:
	s_and_b64 vcc, exec, s[12:13]
	s_cbranch_vccz .LBB55_414
; %bb.374:
	s_cmp_gt_i32 s17, 22
	s_mov_b64 s[12:13], -1
	s_cbranch_scc0 .LBB55_406
; %bb.375:
	s_cmp_lt_i32 s17, 24
	s_mov_b64 s[10:11], -1
	s_cbranch_scc1 .LBB55_395
; %bb.376:
	s_cmp_gt_i32 s17, 24
	s_cbranch_scc0 .LBB55_384
; %bb.377:
	s_waitcnt vmcnt(0)
	v_cndmask_b32_e64 v3, 0, 1.0, s[8:9]
	s_mov_b32 s10, 0x47800000
	v_cmp_gt_u32_e32 vcc, s10, v3
	v_mov_b32_e32 v4, 0x80
	s_and_saveexec_b64 s[10:11], vcc
	s_cbranch_execz .LBB55_383
; %bb.378:
	s_mov_b32 s12, 0x37ffffff
	v_cmp_lt_u32_e32 vcc, s12, v3
	s_mov_b64 s[12:13], 0
                                        ; implicit-def: $vgpr2
	s_and_saveexec_b64 s[14:15], vcc
	s_xor_b64 s[14:15], exec, s[14:15]
	s_cbranch_execz .LBB55_597
; %bb.379:
	v_bfe_u32 v2, v3, 21, 1
	s_mov_b32 s18, 0x88fffff
	v_add3_u32 v2, v3, v2, s18
	s_mov_b64 s[12:13], exec
	v_lshrrev_b32_e32 v2, 21, v2
                                        ; implicit-def: $vgpr3
	s_andn2_saveexec_b64 s[14:15], s[14:15]
	s_cbranch_execnz .LBB55_598
.LBB55_380:
	s_or_b64 exec, exec, s[14:15]
	v_mov_b32_e32 v4, 0
	s_and_saveexec_b64 s[14:15], s[12:13]
.LBB55_381:
	v_mov_b32_e32 v4, v2
.LBB55_382:
	s_or_b64 exec, exec, s[14:15]
.LBB55_383:
	s_or_b64 exec, exec, s[10:11]
	s_mov_b64 s[10:11], 0
	global_store_byte v[0:1], v4, off
.LBB55_384:
	s_and_b64 vcc, exec, s[10:11]
	s_cbranch_vccz .LBB55_394
; %bb.385:
	v_cndmask_b32_e64 v2, 0, 1.0, s[8:9]
	s_mov_b32 s10, 0x43f00000
	v_cmp_gt_u32_e32 vcc, s10, v2
                                        ; implicit-def: $vgpr3
	s_and_saveexec_b64 s[10:11], vcc
	s_xor_b64 s[10:11], exec, s[10:11]
	s_cbranch_execz .LBB55_391
; %bb.386:
	s_mov_b32 s12, 0x3c7fffff
	v_cmp_lt_u32_e32 vcc, s12, v2
                                        ; implicit-def: $vgpr3
	s_and_saveexec_b64 s[12:13], vcc
	s_xor_b64 s[12:13], exec, s[12:13]
	s_cbranch_execz .LBB55_388
; %bb.387:
	s_waitcnt vmcnt(0)
	v_bfe_u32 v3, v2, 20, 1
	s_mov_b32 s14, 0x407ffff
	v_add3_u32 v2, v2, v3, s14
	v_lshrrev_b32_e32 v3, 20, v2
	v_and_b32_e32 v2, 0xff00000, v2
	s_mov_b32 s14, 0x7f00000
	v_mov_b32_e32 v4, 0x7e
	v_cmp_ne_u32_e32 vcc, s14, v2
	v_cndmask_b32_e32 v3, v4, v3, vcc
                                        ; implicit-def: $vgpr2
.LBB55_388:
	s_andn2_saveexec_b64 s[12:13], s[12:13]
	s_cbranch_execz .LBB55_390
; %bb.389:
	s_waitcnt vmcnt(0)
	v_add_f32_e32 v3, 0x46800000, v2
.LBB55_390:
	s_or_b64 exec, exec, s[12:13]
                                        ; implicit-def: $vgpr2
.LBB55_391:
	s_andn2_saveexec_b64 s[10:11], s[10:11]
	s_cbranch_execz .LBB55_393
; %bb.392:
	s_mov_b32 s12, 0x7f800000
	s_waitcnt vmcnt(0)
	v_mov_b32_e32 v3, 0x7e
	v_mov_b32_e32 v4, 0x7f
	v_cmp_lt_u32_e32 vcc, s12, v2
	v_cndmask_b32_e32 v3, v3, v4, vcc
.LBB55_393:
	s_or_b64 exec, exec, s[10:11]
	s_waitcnt vmcnt(0)
	global_store_byte v[0:1], v3, off
.LBB55_394:
	s_mov_b64 s[10:11], 0
.LBB55_395:
	s_andn2_b64 vcc, exec, s[10:11]
	s_cbranch_vccnz .LBB55_405
; %bb.396:
	v_cndmask_b32_e64 v2, 0, 1.0, s[8:9]
	s_mov_b32 s10, 0x47800000
	v_cmp_gt_u32_e32 vcc, s10, v2
                                        ; implicit-def: $vgpr3
	s_and_saveexec_b64 s[10:11], vcc
	s_xor_b64 s[10:11], exec, s[10:11]
	s_cbranch_execz .LBB55_402
; %bb.397:
	s_mov_b32 s12, 0x387fffff
	v_cmp_lt_u32_e32 vcc, s12, v2
                                        ; implicit-def: $vgpr3
	s_and_saveexec_b64 s[12:13], vcc
	s_xor_b64 s[12:13], exec, s[12:13]
	s_cbranch_execz .LBB55_399
; %bb.398:
	s_waitcnt vmcnt(0)
	v_bfe_u32 v3, v2, 21, 1
	s_mov_b32 s14, 0x80fffff
	v_add3_u32 v2, v2, v3, s14
	v_lshrrev_b32_e32 v3, 21, v2
                                        ; implicit-def: $vgpr2
.LBB55_399:
	s_andn2_saveexec_b64 s[12:13], s[12:13]
	s_cbranch_execz .LBB55_401
; %bb.400:
	s_waitcnt vmcnt(0)
	v_add_f32_e32 v3, 0x43000000, v2
.LBB55_401:
	s_or_b64 exec, exec, s[12:13]
                                        ; implicit-def: $vgpr2
.LBB55_402:
	s_andn2_saveexec_b64 s[10:11], s[10:11]
	s_cbranch_execz .LBB55_404
; %bb.403:
	s_mov_b32 s12, 0x7f800000
	s_waitcnt vmcnt(0)
	v_mov_b32_e32 v3, 0x7c
	v_mov_b32_e32 v4, 0x7f
	v_cmp_lt_u32_e32 vcc, s12, v2
	v_cndmask_b32_e32 v3, v3, v4, vcc
.LBB55_404:
	s_or_b64 exec, exec, s[10:11]
	s_waitcnt vmcnt(0)
	global_store_byte v[0:1], v3, off
.LBB55_405:
	s_mov_b64 s[12:13], 0
	s_mov_b64 s[10:11], -1
.LBB55_406:
	s_andn2_b64 vcc, exec, s[12:13]
	s_cbranch_vccnz .LBB55_414
; %bb.407:
	s_cmp_gt_i32 s17, 14
	s_mov_b64 s[12:13], -1
	s_cbranch_scc0 .LBB55_411
; %bb.408:
	s_cmp_eq_u32 s17, 15
	s_mov_b64 s[0:1], -1
	s_cbranch_scc0 .LBB55_410
; %bb.409:
	v_cndmask_b32_e64 v2, 0, 1.0, s[8:9]
	s_waitcnt vmcnt(0)
	v_bfe_u32 v3, v2, 16, 1
	s_movk_i32 s0, 0x7fff
	v_add3_u32 v2, v2, v3, s0
	global_store_short_d16_hi v[0:1], v2, off
	s_mov_b64 s[10:11], -1
	s_mov_b64 s[0:1], 0
.LBB55_410:
	s_mov_b64 s[12:13], 0
.LBB55_411:
	s_and_b64 vcc, exec, s[12:13]
	s_cbranch_vccz .LBB55_414
; %bb.412:
	s_cmp_eq_u32 s17, 11
	s_mov_b64 s[0:1], -1
	s_cbranch_scc0 .LBB55_414
; %bb.413:
	v_cndmask_b32_e64 v2, 0, 1, s[8:9]
	s_mov_b64 s[10:11], -1
	s_mov_b64 s[0:1], 0
	global_store_byte v[0:1], v2, off
.LBB55_414:
	s_mov_b64 s[12:13], 0
.LBB55_415:
	s_and_b64 vcc, exec, s[12:13]
	s_cbranch_vccz .LBB55_454
; %bb.416:
	s_and_b32 s12, 0xffff, s16
	s_cmp_lt_i32 s12, 5
	s_mov_b64 s[10:11], -1
	s_cbranch_scc1 .LBB55_437
; %bb.417:
	s_cmp_lt_i32 s12, 8
	s_cbranch_scc1 .LBB55_427
; %bb.418:
	s_cmp_lt_i32 s12, 9
	s_cbranch_scc1 .LBB55_424
; %bb.419:
	s_cmp_gt_i32 s12, 9
	s_cbranch_scc0 .LBB55_421
; %bb.420:
	v_cndmask_b32_e64 v2, 0, 1, s[8:9]
	s_waitcnt vmcnt(0)
	v_cvt_f64_u32_e32 v[2:3], v2
	v_mov_b32_e32 v4, 0
	v_mov_b32_e32 v5, v4
	s_mov_b64 s[10:11], 0
	global_store_dwordx4 v[0:1], v[2:5], off
.LBB55_421:
	s_andn2_b64 vcc, exec, s[10:11]
	s_cbranch_vccnz .LBB55_423
; %bb.422:
	v_cndmask_b32_e64 v2, 0, 1.0, s[8:9]
	s_waitcnt vmcnt(0)
	v_mov_b32_e32 v3, 0
	global_store_dwordx2 v[0:1], v[2:3], off
.LBB55_423:
	s_mov_b64 s[10:11], 0
.LBB55_424:
	s_andn2_b64 vcc, exec, s[10:11]
	s_cbranch_vccnz .LBB55_426
; %bb.425:
	v_cndmask_b32_e64 v2, 0, 1.0, s[8:9]
	v_cvt_f16_f32_e32 v2, v2
	global_store_dword v[0:1], v2, off
.LBB55_426:
	s_mov_b64 s[10:11], 0
.LBB55_427:
	s_andn2_b64 vcc, exec, s[10:11]
	s_cbranch_vccnz .LBB55_436
; %bb.428:
	s_cmp_lt_i32 s12, 6
	s_mov_b64 s[10:11], -1
	s_cbranch_scc1 .LBB55_434
; %bb.429:
	s_cmp_gt_i32 s12, 6
	s_cbranch_scc0 .LBB55_431
; %bb.430:
	v_cndmask_b32_e64 v2, 0, 1, s[8:9]
	s_waitcnt vmcnt(0)
	v_cvt_f64_u32_e32 v[2:3], v2
	s_mov_b64 s[10:11], 0
	global_store_dwordx2 v[0:1], v[2:3], off
.LBB55_431:
	s_andn2_b64 vcc, exec, s[10:11]
	s_cbranch_vccnz .LBB55_433
; %bb.432:
	v_cndmask_b32_e64 v2, 0, 1.0, s[8:9]
	global_store_dword v[0:1], v2, off
.LBB55_433:
	s_mov_b64 s[10:11], 0
.LBB55_434:
	s_andn2_b64 vcc, exec, s[10:11]
	s_cbranch_vccnz .LBB55_436
; %bb.435:
	v_cndmask_b32_e64 v2, 0, 1.0, s[8:9]
	v_cvt_f16_f32_e32 v2, v2
	global_store_short v[0:1], v2, off
.LBB55_436:
	s_mov_b64 s[10:11], 0
.LBB55_437:
	s_andn2_b64 vcc, exec, s[10:11]
	s_cbranch_vccnz .LBB55_453
; %bb.438:
	s_cmp_lt_i32 s12, 2
	s_mov_b64 s[10:11], -1
	s_cbranch_scc1 .LBB55_448
; %bb.439:
	s_cmp_lt_i32 s12, 3
	s_cbranch_scc1 .LBB55_445
; %bb.440:
	s_cmp_gt_i32 s12, 3
	s_cbranch_scc0 .LBB55_442
; %bb.441:
	s_mov_b32 s10, 0
	v_cndmask_b32_e64 v2, 0, 1, s[8:9]
	s_waitcnt vmcnt(0)
	v_mov_b32_e32 v3, s10
	s_mov_b64 s[10:11], 0
	global_store_dwordx2 v[0:1], v[2:3], off
.LBB55_442:
	s_andn2_b64 vcc, exec, s[10:11]
	s_cbranch_vccnz .LBB55_444
; %bb.443:
	v_cndmask_b32_e64 v2, 0, 1, s[8:9]
	global_store_dword v[0:1], v2, off
.LBB55_444:
	s_mov_b64 s[10:11], 0
.LBB55_445:
	s_andn2_b64 vcc, exec, s[10:11]
	s_cbranch_vccnz .LBB55_447
; %bb.446:
	v_cndmask_b32_e64 v2, 0, 1, s[8:9]
	global_store_short v[0:1], v2, off
.LBB55_447:
	s_mov_b64 s[10:11], 0
.LBB55_448:
	s_andn2_b64 vcc, exec, s[10:11]
	s_cbranch_vccnz .LBB55_453
; %bb.449:
	s_mov_b64 s[10:11], -1
	s_cmp_gt_i32 s12, 0
	v_cndmask_b32_e64 v2, 0, 1, s[8:9]
	s_cbranch_scc0 .LBB55_451
; %bb.450:
	s_mov_b64 s[10:11], 0
	global_store_byte v[0:1], v2, off
.LBB55_451:
	s_andn2_b64 vcc, exec, s[10:11]
	s_cbranch_vccnz .LBB55_453
; %bb.452:
	global_store_byte v[0:1], v2, off
.LBB55_453:
	s_mov_b64 s[10:11], -1
.LBB55_454:
	s_andn2_b64 vcc, exec, s[10:11]
	s_cbranch_vccnz .LBB55_456
; %bb.455:
	v_add_u32_e32 v8, 0x80, v8
	s_mov_b64 s[8:9], -1
	s_branch .LBB55_565
.LBB55_456:
	s_mov_b64 s[8:9], 0
	s_branch .LBB55_564
.LBB55_457:
	s_mov_b64 s[2:3], -1
                                        ; implicit-def: $vgpr3_vgpr4
.LBB55_458:
	s_mov_b64 s[8:9], 0
.LBB55_459:
	s_and_b64 vcc, exec, s[8:9]
	s_cbranch_vccz .LBB55_463
; %bb.460:
	s_cmp_eq_u32 s10, 29
	s_cbranch_scc0 .LBB55_462
; %bb.461:
	global_load_dwordx2 v[3:4], v[1:2], off
	s_mov_b64 s[0:1], -1
	s_mov_b64 s[2:3], 0
	s_branch .LBB55_463
.LBB55_462:
	s_mov_b64 s[2:3], -1
                                        ; implicit-def: $vgpr3_vgpr4
.LBB55_463:
	s_mov_b64 s[8:9], 0
.LBB55_464:
	s_and_b64 vcc, exec, s[8:9]
	s_cbranch_vccz .LBB55_482
; %bb.465:
	s_cmp_lt_i32 s10, 27
	s_cbranch_scc1 .LBB55_468
; %bb.466:
	s_cmp_gt_i32 s10, 27
	s_cbranch_scc0 .LBB55_469
; %bb.467:
	global_load_dword v3, v[1:2], off
	s_waitcnt vmcnt(1)
	v_mov_b32_e32 v4, 0
	s_mov_b64 s[0:1], 0
	s_branch .LBB55_470
.LBB55_468:
	s_mov_b64 s[0:1], -1
                                        ; implicit-def: $vgpr3_vgpr4
	s_branch .LBB55_473
.LBB55_469:
	s_mov_b64 s[0:1], -1
                                        ; implicit-def: $vgpr3_vgpr4
.LBB55_470:
	s_andn2_b64 vcc, exec, s[0:1]
	s_cbranch_vccnz .LBB55_472
; %bb.471:
	global_load_ushort v3, v[1:2], off
	s_mov_b32 s0, 0
	s_waitcnt vmcnt(1)
	v_mov_b32_e32 v4, s0
	s_waitcnt vmcnt(0)
	v_and_b32_e32 v3, 0xffff, v3
.LBB55_472:
	s_mov_b64 s[0:1], 0
.LBB55_473:
	s_andn2_b64 vcc, exec, s[0:1]
	s_cbranch_vccnz .LBB55_481
; %bb.474:
	global_load_ubyte v5, v[1:2], off
	s_movk_i32 s0, 0x7f
	s_mov_b64 s[8:9], 0
	s_waitcnt vmcnt(0)
	v_cmp_lt_i16_e32 vcc, s0, v5
	s_and_saveexec_b64 s[0:1], vcc
	s_xor_b64 s[0:1], exec, s[0:1]
; %bb.475:
	s_movk_i32 s8, 0x80
	v_cmp_ne_u16_e32 vcc, s8, v5
	s_and_b64 s[8:9], vcc, exec
; %bb.476:
	s_andn2_saveexec_b64 s[0:1], s[0:1]
; %bb.477:
	v_cmp_ne_u16_e32 vcc, 0, v5
	s_andn2_b64 s[8:9], s[8:9], exec
	s_and_b64 s[12:13], vcc, exec
	s_or_b64 s[8:9], s[8:9], s[12:13]
; %bb.478:
	s_or_b64 exec, exec, s[0:1]
	v_mov_b32_e32 v3, 0
	v_mov_b32_e32 v4, 0
	s_and_saveexec_b64 s[0:1], s[8:9]
	s_cbranch_execz .LBB55_480
; %bb.479:
	v_and_b32_e32 v4, 0xffff, v5
	v_lshlrev_b32_e32 v3, 24, v5
	v_and_b32_e32 v5, 7, v4
	v_ffbh_u32_e32 v7, v5
	v_min_u32_e32 v7, 32, v7
	v_subrev_u32_e32 v9, 28, v7
	v_bfe_u32 v6, v4, 3, 4
	v_lshlrev_b32_e32 v4, v9, v4
	v_sub_u32_e32 v7, 29, v7
	v_and_b32_e32 v4, 7, v4
	v_cmp_eq_u32_e32 vcc, 0, v6
	v_cndmask_b32_e32 v6, v6, v7, vcc
	v_cndmask_b32_e32 v4, v5, v4, vcc
	v_mov_b32_e32 v5, 0x3b800000
	v_lshlrev_b32_e32 v4, 20, v4
	v_and_b32_e32 v3, 0x80000000, v3
	v_lshl_add_u32 v5, v6, 23, v5
	v_or3_b32 v3, v3, v5, v4
	v_trunc_f32_e32 v3, v3
	s_mov_b32 s8, 0x2f800000
	v_mul_f32_e64 v4, |v3|, s8
	v_floor_f32_e32 v4, v4
	s_mov_b32 s8, 0xcf800000
	v_fma_f32 v5, v4, s8, |v3|
	v_cvt_u32_f32_e32 v5, v5
	v_cvt_u32_f32_e32 v4, v4
	v_ashrrev_i32_e32 v6, 31, v3
	v_xor_b32_e32 v3, v5, v6
	v_xor_b32_e32 v4, v4, v6
	v_sub_co_u32_e32 v3, vcc, v3, v6
	v_subb_co_u32_e32 v4, vcc, v4, v6, vcc
.LBB55_480:
	s_or_b64 exec, exec, s[0:1]
.LBB55_481:
	s_mov_b64 s[0:1], -1
.LBB55_482:
	s_mov_b64 s[8:9], 0
.LBB55_483:
	s_and_b64 vcc, exec, s[8:9]
	s_cbranch_vccz .LBB55_514
; %bb.484:
	s_cmp_gt_i32 s10, 22
	s_cbranch_scc0 .LBB55_494
; %bb.485:
	s_cmp_lt_i32 s10, 24
	s_cbranch_scc1 .LBB55_495
; %bb.486:
	s_cmp_gt_i32 s10, 24
	s_cbranch_scc0 .LBB55_496
; %bb.487:
	global_load_ubyte v5, v[1:2], off
	s_movk_i32 s0, 0x7f
	s_mov_b64 s[8:9], 0
	s_waitcnt vmcnt(0)
	v_cmp_lt_i16_e32 vcc, s0, v5
	s_and_saveexec_b64 s[0:1], vcc
	s_xor_b64 s[0:1], exec, s[0:1]
; %bb.488:
	s_movk_i32 s8, 0x80
	v_cmp_ne_u16_e32 vcc, s8, v5
	s_and_b64 s[8:9], vcc, exec
; %bb.489:
	s_andn2_saveexec_b64 s[0:1], s[0:1]
; %bb.490:
	v_cmp_ne_u16_e32 vcc, 0, v5
	s_andn2_b64 s[8:9], s[8:9], exec
	s_and_b64 s[12:13], vcc, exec
	s_or_b64 s[8:9], s[8:9], s[12:13]
; %bb.491:
	s_or_b64 exec, exec, s[0:1]
	v_mov_b32_e32 v3, 0
	v_mov_b32_e32 v4, 0
	s_and_saveexec_b64 s[0:1], s[8:9]
	s_cbranch_execz .LBB55_493
; %bb.492:
	v_and_b32_e32 v4, 0xffff, v5
	v_lshlrev_b32_e32 v3, 24, v5
	v_and_b32_e32 v5, 3, v4
	v_ffbh_u32_e32 v7, v5
	v_min_u32_e32 v7, 32, v7
	v_subrev_u32_e32 v9, 29, v7
	v_bfe_u32 v6, v4, 2, 5
	v_lshlrev_b32_e32 v4, v9, v4
	v_sub_u32_e32 v7, 30, v7
	v_and_b32_e32 v4, 3, v4
	v_cmp_eq_u32_e32 vcc, 0, v6
	v_cndmask_b32_e32 v6, v6, v7, vcc
	v_cndmask_b32_e32 v4, v5, v4, vcc
	v_mov_b32_e32 v5, 0x37800000
	v_lshlrev_b32_e32 v4, 21, v4
	v_and_b32_e32 v3, 0x80000000, v3
	v_lshl_add_u32 v5, v6, 23, v5
	v_or3_b32 v3, v3, v5, v4
	v_trunc_f32_e32 v3, v3
	s_mov_b32 s8, 0x2f800000
	v_mul_f32_e64 v4, |v3|, s8
	v_floor_f32_e32 v4, v4
	s_mov_b32 s8, 0xcf800000
	v_fma_f32 v5, v4, s8, |v3|
	v_cvt_u32_f32_e32 v5, v5
	v_cvt_u32_f32_e32 v4, v4
	v_ashrrev_i32_e32 v6, 31, v3
	v_xor_b32_e32 v3, v5, v6
	v_xor_b32_e32 v4, v4, v6
	v_sub_co_u32_e32 v3, vcc, v3, v6
	v_subb_co_u32_e32 v4, vcc, v4, v6, vcc
.LBB55_493:
	s_or_b64 exec, exec, s[0:1]
	s_mov_b64 s[0:1], 0
	s_branch .LBB55_497
.LBB55_494:
	s_mov_b64 s[8:9], -1
                                        ; implicit-def: $vgpr3_vgpr4
	s_branch .LBB55_503
.LBB55_495:
	s_mov_b64 s[0:1], -1
                                        ; implicit-def: $vgpr3_vgpr4
	s_branch .LBB55_500
.LBB55_496:
	s_mov_b64 s[0:1], -1
                                        ; implicit-def: $vgpr3_vgpr4
.LBB55_497:
	s_and_b64 vcc, exec, s[0:1]
	s_cbranch_vccz .LBB55_499
; %bb.498:
	global_load_ubyte v3, v[1:2], off
	s_mov_b32 s0, 0x7f800000
	s_brev_b32 s1, 1
	s_mov_b32 s8, 0x2f800000
	s_mov_b32 s9, 0xcf800000
	s_waitcnt vmcnt(0)
	v_lshlrev_b32_e32 v3, 24, v3
	v_and_b32_e32 v4, 0x7f000000, v3
	v_ffbh_u32_e32 v5, v4
	v_min_u32_e32 v5, 32, v5
	v_sub_u32_e64 v5, v5, 4 clamp
	v_lshlrev_b32_e32 v7, v5, v4
	v_lshlrev_b32_e32 v5, 23, v5
	v_lshrrev_b32_e32 v7, 4, v7
	v_add_u32_e32 v6, 0x1000000, v4
	v_sub_u32_e32 v5, v7, v5
	v_ashrrev_i32_e32 v6, 8, v6
	v_add_u32_e32 v5, 0x3c000000, v5
	v_and_or_b32 v5, v6, s0, v5
	v_cmp_ne_u32_e32 vcc, 0, v4
	v_cndmask_b32_e32 v4, 0, v5, vcc
	v_and_or_b32 v3, v3, s1, v4
	v_trunc_f32_e32 v3, v3
	v_mul_f32_e64 v4, |v3|, s8
	v_floor_f32_e32 v4, v4
	v_fma_f32 v5, v4, s9, |v3|
	v_cvt_u32_f32_e32 v5, v5
	v_cvt_u32_f32_e32 v4, v4
	v_ashrrev_i32_e32 v6, 31, v3
	v_xor_b32_e32 v3, v5, v6
	v_xor_b32_e32 v4, v4, v6
	v_sub_co_u32_e32 v3, vcc, v3, v6
	v_subb_co_u32_e32 v4, vcc, v4, v6, vcc
.LBB55_499:
	s_mov_b64 s[0:1], 0
.LBB55_500:
	s_andn2_b64 vcc, exec, s[0:1]
	s_cbranch_vccnz .LBB55_502
; %bb.501:
	global_load_ubyte v3, v[1:2], off
	s_movk_i32 s0, 0x7f00
	s_brev_b32 s1, 16
	s_brev_b32 s8, 1
	s_mov_b32 s9, 0x2f800000
	s_mov_b32 s11, 0xcf800000
	s_waitcnt vmcnt(0)
	v_lshlrev_b16_e32 v4, 8, v3
	v_lshlrev_b32_e32 v3, 25, v3
	v_lshrrev_b32_e32 v5, 4, v3
	v_and_or_b32 v6, v4, s0, 0.5
	v_or_b32_e32 v5, 0x70000000, v5
	v_add_f32_e32 v6, -0.5, v6
	v_mul_f32_e32 v5, 0x7800000, v5
	v_cmp_gt_u32_e32 vcc, s1, v3
	v_bfe_i32 v4, v4, 0, 16
	v_cndmask_b32_e32 v3, v5, v6, vcc
	v_and_or_b32 v3, v4, s8, v3
	v_trunc_f32_e32 v3, v3
	v_mul_f32_e64 v4, |v3|, s9
	v_floor_f32_e32 v4, v4
	v_fma_f32 v5, v4, s11, |v3|
	v_cvt_u32_f32_e32 v5, v5
	v_cvt_u32_f32_e32 v4, v4
	v_ashrrev_i32_e32 v6, 31, v3
	v_xor_b32_e32 v3, v5, v6
	v_xor_b32_e32 v4, v4, v6
	v_sub_co_u32_e32 v3, vcc, v3, v6
	v_subb_co_u32_e32 v4, vcc, v4, v6, vcc
.LBB55_502:
	s_mov_b64 s[8:9], 0
	s_mov_b64 s[0:1], -1
.LBB55_503:
	s_andn2_b64 vcc, exec, s[8:9]
	s_cbranch_vccnz .LBB55_514
; %bb.504:
	s_cmp_gt_i32 s10, 14
	s_cbranch_scc0 .LBB55_507
; %bb.505:
	s_cmp_eq_u32 s10, 15
	s_cbranch_scc0 .LBB55_508
; %bb.506:
	global_load_ushort v3, v[1:2], off
	s_mov_b32 s0, 0x2f800000
	s_mov_b32 s1, 0xcf800000
	s_mov_b64 s[2:3], 0
	s_waitcnt vmcnt(0)
	v_lshlrev_b32_e32 v3, 16, v3
	v_trunc_f32_e32 v3, v3
	v_mul_f32_e64 v4, |v3|, s0
	v_floor_f32_e32 v4, v4
	v_fma_f32 v5, v4, s1, |v3|
	v_cvt_u32_f32_e32 v5, v5
	v_cvt_u32_f32_e32 v4, v4
	v_ashrrev_i32_e32 v6, 31, v3
	s_mov_b64 s[0:1], -1
	v_xor_b32_e32 v3, v5, v6
	v_xor_b32_e32 v4, v4, v6
	v_sub_co_u32_e32 v3, vcc, v3, v6
	v_subb_co_u32_e32 v4, vcc, v4, v6, vcc
	s_branch .LBB55_509
.LBB55_507:
	s_mov_b64 s[8:9], -1
                                        ; implicit-def: $vgpr3_vgpr4
	s_branch .LBB55_510
.LBB55_508:
	s_mov_b64 s[2:3], -1
                                        ; implicit-def: $vgpr3_vgpr4
.LBB55_509:
	s_mov_b64 s[8:9], 0
.LBB55_510:
	s_and_b64 vcc, exec, s[8:9]
	s_cbranch_vccz .LBB55_514
; %bb.511:
	s_cmp_eq_u32 s10, 11
	s_cbranch_scc0 .LBB55_513
; %bb.512:
	global_load_ubyte v3, v[1:2], off
	s_mov_b32 s2, 0
	s_mov_b64 s[0:1], -1
	s_waitcnt vmcnt(1)
	v_mov_b32_e32 v4, s2
	s_mov_b64 s[2:3], 0
	s_waitcnt vmcnt(0)
	v_cmp_ne_u16_e32 vcc, 0, v3
	v_cndmask_b32_e64 v3, 0, 1, vcc
	s_branch .LBB55_514
.LBB55_513:
	s_mov_b64 s[2:3], -1
                                        ; implicit-def: $vgpr3_vgpr4
.LBB55_514:
	s_branch .LBB55_305
.LBB55_515:
	s_cmp_lt_i32 s10, 5
	s_cbranch_scc1 .LBB55_520
; %bb.516:
	s_cmp_lt_i32 s10, 8
	s_cbranch_scc1 .LBB55_521
; %bb.517:
	;; [unrolled: 3-line block ×3, first 2 shown]
	s_cmp_gt_i32 s10, 9
	s_cbranch_scc0 .LBB55_523
; %bb.519:
	global_load_dwordx2 v[3:4], v[1:2], off
	s_movk_i32 s0, 0xffe0
	s_waitcnt vmcnt(0)
	v_trunc_f64_e32 v[3:4], v[3:4]
	v_ldexp_f64 v[5:6], v[3:4], s0
	s_mov_b32 s0, 0
	s_mov_b32 s1, 0xc1f00000
	v_floor_f64_e32 v[5:6], v[5:6]
	v_fma_f64 v[9:10], v[5:6], s[0:1], v[3:4]
	v_cvt_i32_f64_e32 v4, v[5:6]
	s_mov_b64 s[0:1], 0
	v_cvt_u32_f64_e32 v3, v[9:10]
	s_branch .LBB55_524
.LBB55_520:
	s_mov_b64 s[0:1], -1
                                        ; implicit-def: $vgpr3_vgpr4
	s_branch .LBB55_542
.LBB55_521:
	s_mov_b64 s[0:1], -1
                                        ; implicit-def: $vgpr3_vgpr4
	s_branch .LBB55_530
.LBB55_522:
	s_mov_b64 s[0:1], -1
                                        ; implicit-def: $vgpr3_vgpr4
	s_branch .LBB55_527
.LBB55_523:
	s_mov_b64 s[0:1], -1
                                        ; implicit-def: $vgpr3_vgpr4
.LBB55_524:
	s_andn2_b64 vcc, exec, s[0:1]
	s_cbranch_vccnz .LBB55_526
; %bb.525:
	global_load_dword v3, v[1:2], off
	s_mov_b32 s0, 0x2f800000
	s_mov_b32 s1, 0xcf800000
	s_waitcnt vmcnt(0)
	v_trunc_f32_e32 v3, v3
	v_mul_f32_e64 v4, |v3|, s0
	v_floor_f32_e32 v4, v4
	v_cvt_u32_f32_e32 v5, v4
	v_fma_f32 v4, v4, s1, |v3|
	v_cvt_u32_f32_e32 v4, v4
	v_ashrrev_i32_e32 v6, 31, v3
	v_xor_b32_e32 v5, v5, v6
	v_xor_b32_e32 v3, v4, v6
	v_sub_co_u32_e32 v3, vcc, v3, v6
	v_subb_co_u32_e32 v4, vcc, v5, v6, vcc
.LBB55_526:
	s_mov_b64 s[0:1], 0
.LBB55_527:
	s_andn2_b64 vcc, exec, s[0:1]
	s_cbranch_vccnz .LBB55_529
; %bb.528:
	global_load_dword v3, v[1:2], off
	s_waitcnt vmcnt(0)
	v_cvt_f32_f16_e32 v3, v3
	v_cvt_i32_f32_e32 v3, v3
	v_ashrrev_i32_e32 v4, 31, v3
.LBB55_529:
	s_mov_b64 s[0:1], 0
.LBB55_530:
	s_andn2_b64 vcc, exec, s[0:1]
	s_cbranch_vccnz .LBB55_541
; %bb.531:
	s_cmp_lt_i32 s10, 6
	s_cbranch_scc1 .LBB55_534
; %bb.532:
	s_cmp_gt_i32 s10, 6
	s_cbranch_scc0 .LBB55_535
; %bb.533:
	global_load_dwordx2 v[3:4], v[1:2], off
	s_movk_i32 s0, 0xffe0
	s_waitcnt vmcnt(0)
	v_trunc_f64_e32 v[3:4], v[3:4]
	v_ldexp_f64 v[5:6], v[3:4], s0
	s_mov_b32 s0, 0
	s_mov_b32 s1, 0xc1f00000
	v_floor_f64_e32 v[5:6], v[5:6]
	v_fma_f64 v[9:10], v[5:6], s[0:1], v[3:4]
	v_cvt_i32_f64_e32 v4, v[5:6]
	s_mov_b64 s[0:1], 0
	v_cvt_u32_f64_e32 v3, v[9:10]
	s_branch .LBB55_536
.LBB55_534:
	s_mov_b64 s[0:1], -1
                                        ; implicit-def: $vgpr3_vgpr4
	s_branch .LBB55_539
.LBB55_535:
	s_mov_b64 s[0:1], -1
                                        ; implicit-def: $vgpr3_vgpr4
.LBB55_536:
	s_andn2_b64 vcc, exec, s[0:1]
	s_cbranch_vccnz .LBB55_538
; %bb.537:
	global_load_dword v3, v[1:2], off
	s_mov_b32 s0, 0x2f800000
	s_mov_b32 s1, 0xcf800000
	s_waitcnt vmcnt(0)
	v_trunc_f32_e32 v3, v3
	v_mul_f32_e64 v4, |v3|, s0
	v_floor_f32_e32 v4, v4
	v_cvt_u32_f32_e32 v5, v4
	v_fma_f32 v4, v4, s1, |v3|
	v_cvt_u32_f32_e32 v4, v4
	v_ashrrev_i32_e32 v6, 31, v3
	v_xor_b32_e32 v5, v5, v6
	v_xor_b32_e32 v3, v4, v6
	v_sub_co_u32_e32 v3, vcc, v3, v6
	v_subb_co_u32_e32 v4, vcc, v5, v6, vcc
.LBB55_538:
	s_mov_b64 s[0:1], 0
.LBB55_539:
	s_andn2_b64 vcc, exec, s[0:1]
	s_cbranch_vccnz .LBB55_541
; %bb.540:
	global_load_ushort v3, v[1:2], off
	s_waitcnt vmcnt(0)
	v_cvt_f32_f16_e32 v3, v3
	v_cvt_i32_f32_e32 v3, v3
	v_ashrrev_i32_e32 v4, 31, v3
.LBB55_541:
	s_mov_b64 s[0:1], 0
.LBB55_542:
	s_andn2_b64 vcc, exec, s[0:1]
	s_cbranch_vccnz .LBB55_562
; %bb.543:
	s_cmp_lt_i32 s10, 2
	s_cbranch_scc1 .LBB55_547
; %bb.544:
	s_cmp_lt_i32 s10, 3
	s_cbranch_scc1 .LBB55_548
; %bb.545:
	s_cmp_gt_i32 s10, 3
	s_cbranch_scc0 .LBB55_549
; %bb.546:
	global_load_dwordx2 v[3:4], v[1:2], off
	s_mov_b64 s[0:1], 0
	s_branch .LBB55_550
.LBB55_547:
	s_mov_b64 s[0:1], -1
                                        ; implicit-def: $vgpr3_vgpr4
	s_branch .LBB55_556
.LBB55_548:
	s_mov_b64 s[0:1], -1
                                        ; implicit-def: $vgpr3_vgpr4
	s_branch .LBB55_553
.LBB55_549:
	s_mov_b64 s[0:1], -1
                                        ; implicit-def: $vgpr3_vgpr4
.LBB55_550:
	s_andn2_b64 vcc, exec, s[0:1]
	s_cbranch_vccnz .LBB55_552
; %bb.551:
	global_load_dword v3, v[1:2], off
	s_waitcnt vmcnt(0)
	v_ashrrev_i32_e32 v4, 31, v3
.LBB55_552:
	s_mov_b64 s[0:1], 0
.LBB55_553:
	s_andn2_b64 vcc, exec, s[0:1]
	s_cbranch_vccnz .LBB55_555
; %bb.554:
	global_load_ushort v3, v[1:2], off
	s_waitcnt vmcnt(0)
	v_bfe_i32 v3, v3, 0, 16
	v_ashrrev_i32_e32 v4, 31, v3
.LBB55_555:
	s_mov_b64 s[0:1], 0
.LBB55_556:
	s_andn2_b64 vcc, exec, s[0:1]
	s_cbranch_vccnz .LBB55_562
; %bb.557:
	s_cmp_gt_i32 s10, 0
	s_cbranch_scc0 .LBB55_559
; %bb.558:
	global_load_sbyte v3, v[1:2], off
	s_mov_b64 s[0:1], 0
	s_waitcnt vmcnt(0)
	v_bfe_i32 v3, v3, 0, 16
	v_ashrrev_i32_e32 v4, 31, v3
	s_branch .LBB55_560
.LBB55_559:
	s_mov_b64 s[0:1], -1
                                        ; implicit-def: $vgpr3_vgpr4
.LBB55_560:
	s_andn2_b64 vcc, exec, s[0:1]
	s_cbranch_vccnz .LBB55_562
; %bb.561:
	global_load_ubyte v1, v[1:2], off
	s_mov_b32 s0, 0
	s_waitcnt vmcnt(1)
	v_mov_b32_e32 v4, s0
	s_waitcnt vmcnt(0)
	v_and_b32_e32 v3, 0xffff, v1
.LBB55_562:
	s_branch .LBB55_306
.LBB55_563:
	s_mov_b64 s[8:9], 0
	s_mov_b64 s[0:1], s[54:55]
.LBB55_564:
                                        ; implicit-def: $vgpr8
.LBB55_565:
	s_andn2_b64 s[10:11], s[54:55], exec
	s_and_b64 s[0:1], s[0:1], exec
	s_or_b64 s[62:63], s[10:11], s[0:1]
	s_andn2_b64 s[0:1], s[56:57], exec
	s_and_b64 s[2:3], s[2:3], exec
	s_or_b64 s[60:61], s[0:1], s[2:3]
	s_orn2_b64 s[0:1], s[8:9], exec
.LBB55_566:
	s_or_b64 exec, exec, s[64:65]
	s_mov_b64 s[2:3], 0
	s_mov_b64 s[8:9], 0
	;; [unrolled: 1-line block ×3, first 2 shown]
                                        ; implicit-def: $vgpr1_vgpr2
                                        ; implicit-def: $vgpr0
                                        ; implicit-def: $vgpr3_vgpr4
	s_and_saveexec_b64 s[64:65], s[0:1]
	s_cbranch_execz .LBB55_950
; %bb.567:
	v_cmp_gt_i32_e32 vcc, s72, v8
	s_mov_b64 s[2:3], -1
	s_mov_b64 s[68:69], s[60:61]
	s_mov_b64 s[70:71], s[62:63]
	s_and_saveexec_b64 s[66:67], vcc
	s_cbranch_execz .LBB55_854
; %bb.568:
	s_andn2_b64 vcc, exec, s[40:41]
	s_cbranch_vccnz .LBB55_573
; %bb.569:
	s_andn2_b64 vcc, exec, s[52:53]
	s_cbranch_vccnz .LBB55_574
; %bb.570:
	s_add_i32 s79, s78, 1
	s_cmp_eq_u32 s74, 2
	s_cbranch_scc1 .LBB55_575
; %bb.571:
	s_and_b32 s73, s79, 28
	v_mov_b32_e32 v2, 0
	s_mov_b32 s80, 0
	s_mov_b64 s[68:69], s[34:35]
	s_mov_b64 s[70:71], s[50:51]
	v_mov_b32_e32 v0, 0
	v_mov_b32_e32 v1, v8
.LBB55_572:                             ; =>This Inner Loop Header: Depth=1
	s_load_dwordx8 s[16:23], s[68:69], 0x4
	s_load_dwordx4 s[0:3], s[68:69], 0x24
	s_load_dwordx8 s[8:15], s[70:71], 0x0
	s_add_u32 s68, s68, 48
	s_addc_u32 s69, s69, 0
	s_waitcnt vmcnt(0) lgkmcnt(0)
	v_mul_hi_u32 v3, s17, v1
	s_add_i32 s80, s80, 4
	s_add_u32 s70, s70, 32
	s_addc_u32 s71, s71, 0
	v_add_u32_e32 v3, v1, v3
	v_lshrrev_b32_e32 v3, s18, v3
	v_mul_lo_u32 v4, v3, s16
	v_mul_hi_u32 v5, s20, v3
	s_cmp_eq_u32 s73, s80
	v_sub_u32_e32 v1, v1, v4
	v_add_u32_e32 v4, v3, v5
	v_mul_lo_u32 v5, v1, s8
	v_mul_lo_u32 v6, v1, s9
	v_lshrrev_b32_e32 v1, s21, v4
	v_mul_lo_u32 v4, v1, s19
	v_mul_hi_u32 v7, s23, v1
	v_sub_u32_e32 v3, v3, v4
	v_add_u32_e32 v4, v1, v7
	v_lshrrev_b32_e32 v4, s0, v4
	v_mul_hi_u32 v9, s2, v4
	v_mul_lo_u32 v10, v4, s22
	v_mul_lo_u32 v7, v3, s10
	;; [unrolled: 1-line block ×3, first 2 shown]
	v_sub_u32_e32 v10, v1, v10
	v_add_u32_e32 v1, v4, v9
	v_lshrrev_b32_e32 v1, s3, v1
	v_mul_lo_u32 v9, v1, s1
	v_mul_lo_u32 v11, v10, s12
	;; [unrolled: 1-line block ×3, first 2 shown]
	v_add3_u32 v0, v5, v0, v7
	v_sub_u32_e32 v4, v4, v9
	v_mul_lo_u32 v9, v4, s14
	v_mul_lo_u32 v4, v4, s15
	v_add3_u32 v2, v6, v2, v3
	v_add3_u32 v0, v11, v0, v9
	;; [unrolled: 1-line block ×3, first 2 shown]
	s_cbranch_scc0 .LBB55_572
	s_branch .LBB55_576
.LBB55_573:
	s_mov_b64 s[0:1], -1
                                        ; implicit-def: $vgpr0
                                        ; implicit-def: $vgpr2
	s_branch .LBB55_580
.LBB55_574:
	v_mov_b32_e32 v0, 0
	v_mov_b32_e32 v2, 0
	s_branch .LBB55_579
.LBB55_575:
	s_mov_b32 s73, 0
	v_mov_b32_e32 v0, 0
	v_mov_b32_e32 v2, 0
	;; [unrolled: 1-line block ×3, first 2 shown]
.LBB55_576:
	s_and_b32 s8, s79, 3
	s_cmp_eq_u32 s8, 0
	s_cbranch_scc1 .LBB55_579
; %bb.577:
	s_lshl_b32 s0, s73, 3
	s_add_u32 s0, s34, s0
	s_addc_u32 s1, s35, 0
	s_add_u32 s0, s0, 0xc4
	s_addc_u32 s1, s1, 0
	s_mul_i32 s2, s73, 12
	s_add_u32 s2, s34, s2
	s_addc_u32 s3, s35, 0
.LBB55_578:                             ; =>This Inner Loop Header: Depth=1
	s_load_dwordx2 s[10:11], s[2:3], 0x4
	s_load_dword s9, s[2:3], 0xc
	s_load_dwordx2 s[12:13], s[0:1], 0x0
	s_add_u32 s2, s2, 12
	s_addc_u32 s3, s3, 0
	s_waitcnt vmcnt(0) lgkmcnt(0)
	v_mul_hi_u32 v3, s11, v1
	s_add_u32 s0, s0, 8
	s_addc_u32 s1, s1, 0
	s_add_i32 s8, s8, -1
	v_add_u32_e32 v3, v1, v3
	v_lshrrev_b32_e32 v4, s9, v3
	v_mul_lo_u32 v3, v4, s10
	s_cmp_lg_u32 s8, 0
	v_sub_u32_e32 v3, v1, v3
	v_mad_u64_u32 v[0:1], s[10:11], v3, s12, v[0:1]
	v_mad_u64_u32 v[2:3], s[10:11], v3, s13, v[2:3]
	v_mov_b32_e32 v1, v4
	s_cbranch_scc1 .LBB55_578
.LBB55_579:
	s_mov_b64 s[0:1], 0
.LBB55_580:
	s_andn2_b64 vcc, exec, s[0:1]
	s_cbranch_vccnz .LBB55_583
; %bb.581:
	v_mul_hi_u32 v0, s29, v8
	s_andn2_b64 vcc, exec, s[48:49]
	v_add_u32_e32 v0, v8, v0
	v_lshrrev_b32_e32 v1, s30, v0
	v_mul_lo_u32 v0, v1, s28
	v_sub_u32_e32 v2, v8, v0
	v_mul_lo_u32 v0, v2, s36
	v_mul_lo_u32 v2, v2, s37
	s_cbranch_vccnz .LBB55_583
; %bb.582:
	s_waitcnt vmcnt(0)
	v_mul_hi_u32 v3, s46, v1
	v_add_u32_e32 v3, v1, v3
	v_lshrrev_b32_e32 v3, s47, v3
	v_mul_lo_u32 v3, v3, s31
	v_sub_u32_e32 v3, v1, v3
	v_mad_u64_u32 v[0:1], s[0:1], v3, s38, v[0:1]
	v_mad_u64_u32 v[2:3], s[0:1], v3, s39, v[2:3]
.LBB55_583:
	s_waitcnt vmcnt(0)
	v_mov_b32_e32 v3, s27
	s_and_b32 s10, 0xffff, s77
	v_add_co_u32_e32 v1, vcc, s26, v2
	s_cmp_lt_i32 s10, 11
	v_addc_co_u32_e32 v2, vcc, 0, v3, vcc
	s_cbranch_scc1 .LBB55_590
; %bb.584:
	s_cmp_gt_i32 s10, 25
	s_cbranch_scc0 .LBB55_591
; %bb.585:
	s_cmp_gt_i32 s10, 28
	s_cbranch_scc0 .LBB55_592
	;; [unrolled: 3-line block ×4, first 2 shown]
; %bb.588:
	s_cmp_eq_u32 s10, 46
	s_mov_b64 s[8:9], 0
	s_cbranch_scc0 .LBB55_599
; %bb.589:
	global_load_dword v3, v[1:2], off
	s_mov_b32 s0, 0x2f800000
	s_mov_b32 s1, 0xcf800000
	s_mov_b64 s[2:3], 0
	s_waitcnt vmcnt(0)
	v_lshlrev_b32_e32 v3, 16, v3
	v_trunc_f32_e32 v3, v3
	v_mul_f32_e64 v4, |v3|, s0
	v_floor_f32_e32 v4, v4
	v_fma_f32 v5, v4, s1, |v3|
	v_cvt_u32_f32_e32 v5, v5
	v_cvt_u32_f32_e32 v4, v4
	v_ashrrev_i32_e32 v6, 31, v3
	s_mov_b64 s[0:1], -1
	v_xor_b32_e32 v3, v5, v6
	v_xor_b32_e32 v4, v4, v6
	v_sub_co_u32_e32 v3, vcc, v3, v6
	v_subb_co_u32_e32 v4, vcc, v4, v6, vcc
	s_branch .LBB55_600
.LBB55_590:
	s_mov_b64 s[8:9], -1
	s_mov_b64 s[0:1], 0
                                        ; implicit-def: $vgpr3_vgpr4
	s_mov_b64 s[2:3], s[60:61]
	s_branch .LBB55_661
.LBB55_591:
	s_mov_b64 s[8:9], -1
	s_mov_b64 s[0:1], 0
	s_mov_b64 s[2:3], s[60:61]
                                        ; implicit-def: $vgpr3_vgpr4
	s_branch .LBB55_629
.LBB55_592:
	s_mov_b64 s[8:9], -1
	s_mov_b64 s[0:1], 0
	s_mov_b64 s[2:3], s[60:61]
                                        ; implicit-def: $vgpr3_vgpr4
	s_branch .LBB55_610
.LBB55_593:
	s_mov_b64 s[8:9], -1
	s_mov_b64 s[0:1], 0
	s_mov_b64 s[2:3], s[60:61]
                                        ; implicit-def: $vgpr3_vgpr4
	s_branch .LBB55_605
.LBB55_594:
	s_andn2_saveexec_b64 s[14:15], s[14:15]
	s_cbranch_execz .LBB55_367
.LBB55_595:
	v_add_f32_e32 v2, 0x46000000, v3
	v_and_b32_e32 v2, 0xff, v2
	v_cmp_ne_u32_e32 vcc, 0, v2
	s_andn2_b64 s[12:13], s[12:13], exec
	s_and_b64 s[18:19], vcc, exec
	s_or_b64 s[12:13], s[12:13], s[18:19]
	s_or_b64 exec, exec, s[14:15]
	v_mov_b32_e32 v4, 0
	s_and_saveexec_b64 s[14:15], s[12:13]
	s_cbranch_execnz .LBB55_368
	s_branch .LBB55_369
.LBB55_596:
	s_mov_b64 s[8:9], -1
	s_mov_b64 s[0:1], 0
	s_mov_b64 s[2:3], s[60:61]
                                        ; implicit-def: $vgpr3_vgpr4
	s_branch .LBB55_600
.LBB55_597:
	s_andn2_saveexec_b64 s[14:15], s[14:15]
	s_cbranch_execz .LBB55_380
.LBB55_598:
	v_add_f32_e32 v2, 0x42800000, v3
	v_and_b32_e32 v2, 0xff, v2
	v_cmp_ne_u32_e32 vcc, 0, v2
	s_andn2_b64 s[12:13], s[12:13], exec
	s_and_b64 s[18:19], vcc, exec
	s_or_b64 s[12:13], s[12:13], s[18:19]
	s_or_b64 exec, exec, s[14:15]
	v_mov_b32_e32 v4, 0
	s_and_saveexec_b64 s[14:15], s[12:13]
	s_cbranch_execnz .LBB55_381
	s_branch .LBB55_382
.LBB55_599:
	s_mov_b64 s[2:3], -1
                                        ; implicit-def: $vgpr3_vgpr4
	s_mov_b64 s[0:1], 0
.LBB55_600:
	s_and_b64 vcc, exec, s[8:9]
	s_cbranch_vccz .LBB55_604
; %bb.601:
	s_cmp_eq_u32 s10, 44
	s_cbranch_scc0 .LBB55_603
; %bb.602:
	global_load_ubyte v3, v[1:2], off
	s_mov_b32 s0, 0x2f800000
	s_mov_b32 s1, 0xcf800000
	s_mov_b64 s[2:3], 0
	s_waitcnt vmcnt(0)
	v_lshlrev_b32_e32 v4, 23, v3
	v_trunc_f32_e32 v4, v4
	v_mul_f32_e64 v5, |v4|, s0
	v_floor_f32_e32 v5, v5
	v_fma_f32 v6, v5, s1, |v4|
	v_cvt_u32_f32_e32 v6, v6
	v_cvt_u32_f32_e32 v5, v5
	v_ashrrev_i32_e32 v4, 31, v4
	s_mov_b64 s[0:1], -1
	v_xor_b32_e32 v6, v6, v4
	v_xor_b32_e32 v5, v5, v4
	v_sub_co_u32_e32 v6, vcc, v6, v4
	v_subb_co_u32_e32 v4, vcc, v5, v4, vcc
	v_cmp_ne_u32_e32 vcc, 0, v3
	v_cndmask_b32_e32 v4, 0, v4, vcc
	v_cndmask_b32_e32 v3, 0, v6, vcc
	s_branch .LBB55_604
.LBB55_603:
	s_mov_b64 s[2:3], -1
                                        ; implicit-def: $vgpr3_vgpr4
.LBB55_604:
	s_mov_b64 s[8:9], 0
.LBB55_605:
	s_and_b64 vcc, exec, s[8:9]
	s_cbranch_vccz .LBB55_609
; %bb.606:
	s_cmp_eq_u32 s10, 29
	s_cbranch_scc0 .LBB55_608
; %bb.607:
	global_load_dwordx2 v[3:4], v[1:2], off
	s_mov_b64 s[0:1], -1
	s_mov_b64 s[2:3], 0
	s_branch .LBB55_609
.LBB55_608:
	s_mov_b64 s[2:3], -1
                                        ; implicit-def: $vgpr3_vgpr4
.LBB55_609:
	s_mov_b64 s[8:9], 0
.LBB55_610:
	s_and_b64 vcc, exec, s[8:9]
	s_cbranch_vccz .LBB55_628
; %bb.611:
	s_cmp_lt_i32 s10, 27
	s_cbranch_scc1 .LBB55_614
; %bb.612:
	s_cmp_gt_i32 s10, 27
	s_cbranch_scc0 .LBB55_615
; %bb.613:
	global_load_dword v3, v[1:2], off
	s_waitcnt vmcnt(1)
	v_mov_b32_e32 v4, 0
	s_mov_b64 s[0:1], 0
	s_branch .LBB55_616
.LBB55_614:
	s_mov_b64 s[0:1], -1
                                        ; implicit-def: $vgpr3_vgpr4
	s_branch .LBB55_619
.LBB55_615:
	s_mov_b64 s[0:1], -1
                                        ; implicit-def: $vgpr3_vgpr4
.LBB55_616:
	s_andn2_b64 vcc, exec, s[0:1]
	s_cbranch_vccnz .LBB55_618
; %bb.617:
	global_load_ushort v3, v[1:2], off
	s_mov_b32 s0, 0
	s_waitcnt vmcnt(1)
	v_mov_b32_e32 v4, s0
	s_waitcnt vmcnt(0)
	v_and_b32_e32 v3, 0xffff, v3
.LBB55_618:
	s_mov_b64 s[0:1], 0
.LBB55_619:
	s_andn2_b64 vcc, exec, s[0:1]
	s_cbranch_vccnz .LBB55_627
; %bb.620:
	global_load_ubyte v5, v[1:2], off
	s_movk_i32 s0, 0x7f
	s_mov_b64 s[8:9], 0
	s_waitcnt vmcnt(0)
	v_cmp_lt_i16_e32 vcc, s0, v5
	s_and_saveexec_b64 s[0:1], vcc
	s_xor_b64 s[0:1], exec, s[0:1]
; %bb.621:
	s_movk_i32 s8, 0x80
	v_cmp_ne_u16_e32 vcc, s8, v5
	s_and_b64 s[8:9], vcc, exec
; %bb.622:
	s_andn2_saveexec_b64 s[0:1], s[0:1]
; %bb.623:
	v_cmp_ne_u16_e32 vcc, 0, v5
	s_andn2_b64 s[8:9], s[8:9], exec
	s_and_b64 s[12:13], vcc, exec
	s_or_b64 s[8:9], s[8:9], s[12:13]
; %bb.624:
	s_or_b64 exec, exec, s[0:1]
	v_mov_b32_e32 v3, 0
	v_mov_b32_e32 v4, 0
	s_and_saveexec_b64 s[0:1], s[8:9]
	s_cbranch_execz .LBB55_626
; %bb.625:
	v_and_b32_e32 v4, 0xffff, v5
	v_lshlrev_b32_e32 v3, 24, v5
	v_and_b32_e32 v5, 7, v4
	v_ffbh_u32_e32 v7, v5
	v_min_u32_e32 v7, 32, v7
	v_subrev_u32_e32 v9, 28, v7
	v_bfe_u32 v6, v4, 3, 4
	v_lshlrev_b32_e32 v4, v9, v4
	v_sub_u32_e32 v7, 29, v7
	v_and_b32_e32 v4, 7, v4
	v_cmp_eq_u32_e32 vcc, 0, v6
	v_cndmask_b32_e32 v6, v6, v7, vcc
	v_cndmask_b32_e32 v4, v5, v4, vcc
	v_mov_b32_e32 v5, 0x3b800000
	v_lshlrev_b32_e32 v4, 20, v4
	v_and_b32_e32 v3, 0x80000000, v3
	v_lshl_add_u32 v5, v6, 23, v5
	v_or3_b32 v3, v3, v5, v4
	v_trunc_f32_e32 v3, v3
	s_mov_b32 s8, 0x2f800000
	v_mul_f32_e64 v4, |v3|, s8
	v_floor_f32_e32 v4, v4
	s_mov_b32 s8, 0xcf800000
	v_fma_f32 v5, v4, s8, |v3|
	v_cvt_u32_f32_e32 v5, v5
	v_cvt_u32_f32_e32 v4, v4
	v_ashrrev_i32_e32 v6, 31, v3
	v_xor_b32_e32 v3, v5, v6
	v_xor_b32_e32 v4, v4, v6
	v_sub_co_u32_e32 v3, vcc, v3, v6
	v_subb_co_u32_e32 v4, vcc, v4, v6, vcc
.LBB55_626:
	s_or_b64 exec, exec, s[0:1]
.LBB55_627:
	s_mov_b64 s[0:1], -1
.LBB55_628:
	s_mov_b64 s[8:9], 0
.LBB55_629:
	s_and_b64 vcc, exec, s[8:9]
	s_cbranch_vccz .LBB55_660
; %bb.630:
	s_cmp_gt_i32 s10, 22
	s_cbranch_scc0 .LBB55_640
; %bb.631:
	s_cmp_lt_i32 s10, 24
	s_cbranch_scc1 .LBB55_641
; %bb.632:
	s_cmp_gt_i32 s10, 24
	s_cbranch_scc0 .LBB55_642
; %bb.633:
	global_load_ubyte v5, v[1:2], off
	s_movk_i32 s0, 0x7f
	s_mov_b64 s[8:9], 0
	s_waitcnt vmcnt(0)
	v_cmp_lt_i16_e32 vcc, s0, v5
	s_and_saveexec_b64 s[0:1], vcc
	s_xor_b64 s[0:1], exec, s[0:1]
; %bb.634:
	s_movk_i32 s8, 0x80
	v_cmp_ne_u16_e32 vcc, s8, v5
	s_and_b64 s[8:9], vcc, exec
; %bb.635:
	s_andn2_saveexec_b64 s[0:1], s[0:1]
; %bb.636:
	v_cmp_ne_u16_e32 vcc, 0, v5
	s_andn2_b64 s[8:9], s[8:9], exec
	s_and_b64 s[12:13], vcc, exec
	s_or_b64 s[8:9], s[8:9], s[12:13]
; %bb.637:
	s_or_b64 exec, exec, s[0:1]
	v_mov_b32_e32 v3, 0
	v_mov_b32_e32 v4, 0
	s_and_saveexec_b64 s[0:1], s[8:9]
	s_cbranch_execz .LBB55_639
; %bb.638:
	v_and_b32_e32 v4, 0xffff, v5
	v_lshlrev_b32_e32 v3, 24, v5
	v_and_b32_e32 v5, 3, v4
	v_ffbh_u32_e32 v7, v5
	v_min_u32_e32 v7, 32, v7
	v_subrev_u32_e32 v9, 29, v7
	v_bfe_u32 v6, v4, 2, 5
	v_lshlrev_b32_e32 v4, v9, v4
	v_sub_u32_e32 v7, 30, v7
	v_and_b32_e32 v4, 3, v4
	v_cmp_eq_u32_e32 vcc, 0, v6
	v_cndmask_b32_e32 v6, v6, v7, vcc
	v_cndmask_b32_e32 v4, v5, v4, vcc
	v_mov_b32_e32 v5, 0x37800000
	v_lshlrev_b32_e32 v4, 21, v4
	v_and_b32_e32 v3, 0x80000000, v3
	v_lshl_add_u32 v5, v6, 23, v5
	v_or3_b32 v3, v3, v5, v4
	v_trunc_f32_e32 v3, v3
	s_mov_b32 s8, 0x2f800000
	v_mul_f32_e64 v4, |v3|, s8
	v_floor_f32_e32 v4, v4
	s_mov_b32 s8, 0xcf800000
	v_fma_f32 v5, v4, s8, |v3|
	v_cvt_u32_f32_e32 v5, v5
	v_cvt_u32_f32_e32 v4, v4
	v_ashrrev_i32_e32 v6, 31, v3
	v_xor_b32_e32 v3, v5, v6
	v_xor_b32_e32 v4, v4, v6
	v_sub_co_u32_e32 v3, vcc, v3, v6
	v_subb_co_u32_e32 v4, vcc, v4, v6, vcc
.LBB55_639:
	s_or_b64 exec, exec, s[0:1]
	s_mov_b64 s[0:1], 0
	s_branch .LBB55_643
.LBB55_640:
	s_mov_b64 s[8:9], -1
                                        ; implicit-def: $vgpr3_vgpr4
	s_branch .LBB55_649
.LBB55_641:
	s_mov_b64 s[0:1], -1
                                        ; implicit-def: $vgpr3_vgpr4
	s_branch .LBB55_646
.LBB55_642:
	s_mov_b64 s[0:1], -1
                                        ; implicit-def: $vgpr3_vgpr4
.LBB55_643:
	s_and_b64 vcc, exec, s[0:1]
	s_cbranch_vccz .LBB55_645
; %bb.644:
	global_load_ubyte v3, v[1:2], off
	s_mov_b32 s0, 0x7f800000
	s_brev_b32 s1, 1
	s_mov_b32 s8, 0x2f800000
	s_mov_b32 s9, 0xcf800000
	s_waitcnt vmcnt(0)
	v_lshlrev_b32_e32 v3, 24, v3
	v_and_b32_e32 v4, 0x7f000000, v3
	v_ffbh_u32_e32 v5, v4
	v_min_u32_e32 v5, 32, v5
	v_sub_u32_e64 v5, v5, 4 clamp
	v_lshlrev_b32_e32 v7, v5, v4
	v_lshlrev_b32_e32 v5, 23, v5
	v_lshrrev_b32_e32 v7, 4, v7
	v_add_u32_e32 v6, 0x1000000, v4
	v_sub_u32_e32 v5, v7, v5
	v_ashrrev_i32_e32 v6, 8, v6
	v_add_u32_e32 v5, 0x3c000000, v5
	v_and_or_b32 v5, v6, s0, v5
	v_cmp_ne_u32_e32 vcc, 0, v4
	v_cndmask_b32_e32 v4, 0, v5, vcc
	v_and_or_b32 v3, v3, s1, v4
	v_trunc_f32_e32 v3, v3
	v_mul_f32_e64 v4, |v3|, s8
	v_floor_f32_e32 v4, v4
	v_fma_f32 v5, v4, s9, |v3|
	v_cvt_u32_f32_e32 v5, v5
	v_cvt_u32_f32_e32 v4, v4
	v_ashrrev_i32_e32 v6, 31, v3
	v_xor_b32_e32 v3, v5, v6
	v_xor_b32_e32 v4, v4, v6
	v_sub_co_u32_e32 v3, vcc, v3, v6
	v_subb_co_u32_e32 v4, vcc, v4, v6, vcc
.LBB55_645:
	s_mov_b64 s[0:1], 0
.LBB55_646:
	s_andn2_b64 vcc, exec, s[0:1]
	s_cbranch_vccnz .LBB55_648
; %bb.647:
	global_load_ubyte v3, v[1:2], off
	s_movk_i32 s0, 0x7f00
	s_brev_b32 s1, 16
	s_brev_b32 s8, 1
	s_mov_b32 s9, 0x2f800000
	s_mov_b32 s11, 0xcf800000
	s_waitcnt vmcnt(0)
	v_lshlrev_b16_e32 v4, 8, v3
	v_lshlrev_b32_e32 v3, 25, v3
	v_lshrrev_b32_e32 v5, 4, v3
	v_and_or_b32 v6, v4, s0, 0.5
	v_or_b32_e32 v5, 0x70000000, v5
	v_add_f32_e32 v6, -0.5, v6
	v_mul_f32_e32 v5, 0x7800000, v5
	v_cmp_gt_u32_e32 vcc, s1, v3
	v_bfe_i32 v4, v4, 0, 16
	v_cndmask_b32_e32 v3, v5, v6, vcc
	v_and_or_b32 v3, v4, s8, v3
	v_trunc_f32_e32 v3, v3
	v_mul_f32_e64 v4, |v3|, s9
	v_floor_f32_e32 v4, v4
	v_fma_f32 v5, v4, s11, |v3|
	v_cvt_u32_f32_e32 v5, v5
	v_cvt_u32_f32_e32 v4, v4
	v_ashrrev_i32_e32 v6, 31, v3
	v_xor_b32_e32 v3, v5, v6
	v_xor_b32_e32 v4, v4, v6
	v_sub_co_u32_e32 v3, vcc, v3, v6
	v_subb_co_u32_e32 v4, vcc, v4, v6, vcc
.LBB55_648:
	s_mov_b64 s[8:9], 0
	s_mov_b64 s[0:1], -1
.LBB55_649:
	s_andn2_b64 vcc, exec, s[8:9]
	s_cbranch_vccnz .LBB55_660
; %bb.650:
	s_cmp_gt_i32 s10, 14
	s_cbranch_scc0 .LBB55_653
; %bb.651:
	s_cmp_eq_u32 s10, 15
	s_cbranch_scc0 .LBB55_654
; %bb.652:
	global_load_ushort v3, v[1:2], off
	s_mov_b32 s0, 0x2f800000
	s_mov_b32 s1, 0xcf800000
	s_mov_b64 s[2:3], 0
	s_waitcnt vmcnt(0)
	v_lshlrev_b32_e32 v3, 16, v3
	v_trunc_f32_e32 v3, v3
	v_mul_f32_e64 v4, |v3|, s0
	v_floor_f32_e32 v4, v4
	v_fma_f32 v5, v4, s1, |v3|
	v_cvt_u32_f32_e32 v5, v5
	v_cvt_u32_f32_e32 v4, v4
	v_ashrrev_i32_e32 v6, 31, v3
	s_mov_b64 s[0:1], -1
	v_xor_b32_e32 v3, v5, v6
	v_xor_b32_e32 v4, v4, v6
	v_sub_co_u32_e32 v3, vcc, v3, v6
	v_subb_co_u32_e32 v4, vcc, v4, v6, vcc
	s_branch .LBB55_655
.LBB55_653:
	s_mov_b64 s[8:9], -1
                                        ; implicit-def: $vgpr3_vgpr4
	s_branch .LBB55_656
.LBB55_654:
	s_mov_b64 s[2:3], -1
                                        ; implicit-def: $vgpr3_vgpr4
.LBB55_655:
	s_mov_b64 s[8:9], 0
.LBB55_656:
	s_and_b64 vcc, exec, s[8:9]
	s_cbranch_vccz .LBB55_660
; %bb.657:
	s_cmp_eq_u32 s10, 11
	s_cbranch_scc0 .LBB55_659
; %bb.658:
	global_load_ubyte v3, v[1:2], off
	s_mov_b32 s2, 0
	s_mov_b64 s[0:1], -1
	s_waitcnt vmcnt(1)
	v_mov_b32_e32 v4, s2
	s_mov_b64 s[2:3], 0
	s_waitcnt vmcnt(0)
	v_cmp_ne_u16_e32 vcc, 0, v3
	v_cndmask_b32_e64 v3, 0, 1, vcc
	s_branch .LBB55_660
.LBB55_659:
	s_mov_b64 s[2:3], -1
                                        ; implicit-def: $vgpr3_vgpr4
.LBB55_660:
	s_mov_b64 s[8:9], 0
.LBB55_661:
	s_and_b64 vcc, exec, s[8:9]
	s_cbranch_vccz .LBB55_710
; %bb.662:
	s_cmp_lt_i32 s10, 5
	s_cbranch_scc1 .LBB55_667
; %bb.663:
	s_cmp_lt_i32 s10, 8
	s_cbranch_scc1 .LBB55_668
	;; [unrolled: 3-line block ×3, first 2 shown]
; %bb.665:
	s_cmp_gt_i32 s10, 9
	s_cbranch_scc0 .LBB55_670
; %bb.666:
	global_load_dwordx2 v[3:4], v[1:2], off
	s_movk_i32 s0, 0xffe0
	s_waitcnt vmcnt(0)
	v_trunc_f64_e32 v[3:4], v[3:4]
	v_ldexp_f64 v[5:6], v[3:4], s0
	s_mov_b32 s0, 0
	s_mov_b32 s1, 0xc1f00000
	v_floor_f64_e32 v[5:6], v[5:6]
	v_fma_f64 v[9:10], v[5:6], s[0:1], v[3:4]
	v_cvt_i32_f64_e32 v4, v[5:6]
	s_mov_b64 s[0:1], 0
	v_cvt_u32_f64_e32 v3, v[9:10]
	s_branch .LBB55_671
.LBB55_667:
	s_mov_b64 s[0:1], -1
                                        ; implicit-def: $vgpr3_vgpr4
	s_branch .LBB55_689
.LBB55_668:
	s_mov_b64 s[0:1], -1
                                        ; implicit-def: $vgpr3_vgpr4
	s_branch .LBB55_677
.LBB55_669:
	s_mov_b64 s[0:1], -1
                                        ; implicit-def: $vgpr3_vgpr4
	s_branch .LBB55_674
.LBB55_670:
	s_mov_b64 s[0:1], -1
                                        ; implicit-def: $vgpr3_vgpr4
.LBB55_671:
	s_andn2_b64 vcc, exec, s[0:1]
	s_cbranch_vccnz .LBB55_673
; %bb.672:
	global_load_dword v3, v[1:2], off
	s_mov_b32 s0, 0x2f800000
	s_mov_b32 s1, 0xcf800000
	s_waitcnt vmcnt(0)
	v_trunc_f32_e32 v3, v3
	v_mul_f32_e64 v4, |v3|, s0
	v_floor_f32_e32 v4, v4
	v_cvt_u32_f32_e32 v5, v4
	v_fma_f32 v4, v4, s1, |v3|
	v_cvt_u32_f32_e32 v4, v4
	v_ashrrev_i32_e32 v6, 31, v3
	v_xor_b32_e32 v5, v5, v6
	v_xor_b32_e32 v3, v4, v6
	v_sub_co_u32_e32 v3, vcc, v3, v6
	v_subb_co_u32_e32 v4, vcc, v5, v6, vcc
.LBB55_673:
	s_mov_b64 s[0:1], 0
.LBB55_674:
	s_andn2_b64 vcc, exec, s[0:1]
	s_cbranch_vccnz .LBB55_676
; %bb.675:
	global_load_dword v3, v[1:2], off
	s_waitcnt vmcnt(0)
	v_cvt_f32_f16_e32 v3, v3
	v_cvt_i32_f32_e32 v3, v3
	v_ashrrev_i32_e32 v4, 31, v3
.LBB55_676:
	s_mov_b64 s[0:1], 0
.LBB55_677:
	s_andn2_b64 vcc, exec, s[0:1]
	s_cbranch_vccnz .LBB55_688
; %bb.678:
	s_cmp_lt_i32 s10, 6
	s_cbranch_scc1 .LBB55_681
; %bb.679:
	s_cmp_gt_i32 s10, 6
	s_cbranch_scc0 .LBB55_682
; %bb.680:
	global_load_dwordx2 v[3:4], v[1:2], off
	s_movk_i32 s0, 0xffe0
	s_waitcnt vmcnt(0)
	v_trunc_f64_e32 v[3:4], v[3:4]
	v_ldexp_f64 v[5:6], v[3:4], s0
	s_mov_b32 s0, 0
	s_mov_b32 s1, 0xc1f00000
	v_floor_f64_e32 v[5:6], v[5:6]
	v_fma_f64 v[9:10], v[5:6], s[0:1], v[3:4]
	v_cvt_i32_f64_e32 v4, v[5:6]
	s_mov_b64 s[0:1], 0
	v_cvt_u32_f64_e32 v3, v[9:10]
	s_branch .LBB55_683
.LBB55_681:
	s_mov_b64 s[0:1], -1
                                        ; implicit-def: $vgpr3_vgpr4
	s_branch .LBB55_686
.LBB55_682:
	s_mov_b64 s[0:1], -1
                                        ; implicit-def: $vgpr3_vgpr4
.LBB55_683:
	s_andn2_b64 vcc, exec, s[0:1]
	s_cbranch_vccnz .LBB55_685
; %bb.684:
	global_load_dword v3, v[1:2], off
	s_mov_b32 s0, 0x2f800000
	s_mov_b32 s1, 0xcf800000
	s_waitcnt vmcnt(0)
	v_trunc_f32_e32 v3, v3
	v_mul_f32_e64 v4, |v3|, s0
	v_floor_f32_e32 v4, v4
	v_cvt_u32_f32_e32 v5, v4
	v_fma_f32 v4, v4, s1, |v3|
	v_cvt_u32_f32_e32 v4, v4
	v_ashrrev_i32_e32 v6, 31, v3
	v_xor_b32_e32 v5, v5, v6
	v_xor_b32_e32 v3, v4, v6
	v_sub_co_u32_e32 v3, vcc, v3, v6
	v_subb_co_u32_e32 v4, vcc, v5, v6, vcc
.LBB55_685:
	s_mov_b64 s[0:1], 0
.LBB55_686:
	s_andn2_b64 vcc, exec, s[0:1]
	s_cbranch_vccnz .LBB55_688
; %bb.687:
	global_load_ushort v3, v[1:2], off
	s_waitcnt vmcnt(0)
	v_cvt_f32_f16_e32 v3, v3
	v_cvt_i32_f32_e32 v3, v3
	v_ashrrev_i32_e32 v4, 31, v3
.LBB55_688:
	s_mov_b64 s[0:1], 0
.LBB55_689:
	s_andn2_b64 vcc, exec, s[0:1]
	s_cbranch_vccnz .LBB55_709
; %bb.690:
	s_cmp_lt_i32 s10, 2
	s_cbranch_scc1 .LBB55_694
; %bb.691:
	s_cmp_lt_i32 s10, 3
	s_cbranch_scc1 .LBB55_695
; %bb.692:
	s_cmp_gt_i32 s10, 3
	s_cbranch_scc0 .LBB55_696
; %bb.693:
	global_load_dwordx2 v[3:4], v[1:2], off
	s_mov_b64 s[0:1], 0
	s_branch .LBB55_697
.LBB55_694:
	s_mov_b64 s[0:1], -1
                                        ; implicit-def: $vgpr3_vgpr4
	s_branch .LBB55_703
.LBB55_695:
	s_mov_b64 s[0:1], -1
                                        ; implicit-def: $vgpr3_vgpr4
	s_branch .LBB55_700
.LBB55_696:
	s_mov_b64 s[0:1], -1
                                        ; implicit-def: $vgpr3_vgpr4
.LBB55_697:
	s_andn2_b64 vcc, exec, s[0:1]
	s_cbranch_vccnz .LBB55_699
; %bb.698:
	global_load_dword v3, v[1:2], off
	s_waitcnt vmcnt(0)
	v_ashrrev_i32_e32 v4, 31, v3
.LBB55_699:
	s_mov_b64 s[0:1], 0
.LBB55_700:
	s_andn2_b64 vcc, exec, s[0:1]
	s_cbranch_vccnz .LBB55_702
; %bb.701:
	global_load_ushort v3, v[1:2], off
	s_waitcnt vmcnt(0)
	v_bfe_i32 v3, v3, 0, 16
	v_ashrrev_i32_e32 v4, 31, v3
.LBB55_702:
	s_mov_b64 s[0:1], 0
.LBB55_703:
	s_andn2_b64 vcc, exec, s[0:1]
	s_cbranch_vccnz .LBB55_709
; %bb.704:
	s_cmp_gt_i32 s10, 0
	s_cbranch_scc0 .LBB55_706
; %bb.705:
	global_load_sbyte v3, v[1:2], off
	s_mov_b64 s[0:1], 0
	s_waitcnt vmcnt(0)
	v_bfe_i32 v3, v3, 0, 16
	v_ashrrev_i32_e32 v4, 31, v3
	s_branch .LBB55_707
.LBB55_706:
	s_mov_b64 s[0:1], -1
                                        ; implicit-def: $vgpr3_vgpr4
.LBB55_707:
	s_andn2_b64 vcc, exec, s[0:1]
	s_cbranch_vccnz .LBB55_709
; %bb.708:
	global_load_ubyte v1, v[1:2], off
	s_mov_b32 s0, 0
	s_waitcnt vmcnt(1)
	v_mov_b32_e32 v4, s0
	s_waitcnt vmcnt(0)
	v_and_b32_e32 v3, 0xffff, v1
.LBB55_709:
	s_mov_b64 s[0:1], -1
.LBB55_710:
	s_andn2_b64 vcc, exec, s[0:1]
	s_cbranch_vccnz .LBB55_715
; %bb.711:
	s_cmp_lt_i32 s76, 1
	s_mov_b64 s[0:1], 0
	s_cbranch_scc1 .LBB55_716
; %bb.712:
	s_cmp_gt_i32 s76, 1
	s_cbranch_scc0 .LBB55_717
; %bb.713:
	s_cmp_eq_u32 s76, 2
	s_cbranch_scc0 .LBB55_718
; %bb.714:
	s_waitcnt vmcnt(0)
	v_cmp_ge_i64_e64 s[8:9], s[44:45], v[3:4]
	s_mov_b64 s[10:11], 0
	s_branch .LBB55_719
.LBB55_715:
	s_mov_b64 s[8:9], 0
	s_mov_b64 s[0:1], s[62:63]
	s_branch .LBB55_852
.LBB55_716:
	s_mov_b64 s[12:13], -1
                                        ; implicit-def: $sgpr8_sgpr9
	s_mov_b64 s[10:11], 0
	s_branch .LBB55_723
.LBB55_717:
	s_mov_b64 s[12:13], -1
	s_mov_b64 s[10:11], 0
                                        ; implicit-def: $sgpr8_sgpr9
	s_branch .LBB55_720
.LBB55_718:
	s_mov_b64 s[10:11], -1
                                        ; implicit-def: $sgpr8_sgpr9
.LBB55_719:
	s_mov_b64 s[12:13], 0
.LBB55_720:
	s_and_b64 vcc, exec, s[12:13]
	s_cbranch_vccz .LBB55_722
; %bb.721:
	s_waitcnt vmcnt(0)
	v_cmp_lt_i64_e32 vcc, s[44:45], v[3:4]
	s_andn2_b64 s[8:9], s[8:9], exec
	s_and_b64 s[12:13], vcc, exec
	s_or_b64 s[8:9], s[8:9], s[12:13]
.LBB55_722:
	s_mov_b64 s[12:13], 0
.LBB55_723:
	s_and_b64 vcc, exec, s[12:13]
	s_cbranch_vccz .LBB55_734
; %bb.724:
	s_cmp_lg_u32 s76, 0
	s_mov_b64 s[0:1], -1
	s_cselect_b64 s[10:11], -1, 0
	s_andn2_b64 vcc, exec, s[10:11]
	s_cbranch_vccz .LBB55_735
.LBB55_725:
	s_andn2_b64 vcc, exec, s[0:1]
	s_cbranch_vccnz .LBB55_727
.LBB55_726:
	s_waitcnt vmcnt(0)
	v_cmp_le_i64_e32 vcc, s[44:45], v[3:4]
	s_andn2_b64 s[0:1], s[8:9], exec
	s_and_b64 s[8:9], vcc, exec
	s_or_b64 s[8:9], s[0:1], s[8:9]
.LBB55_727:
	v_mov_b32_e32 v1, s25
	s_and_b32 s16, s75, 0xff
	v_add_co_u32_e32 v0, vcc, s24, v0
	s_cmp_lt_i32 s16, 11
	v_addc_co_u32_e32 v1, vcc, 0, v1, vcc
	s_cbranch_scc1 .LBB55_736
; %bb.728:
	s_and_b32 s17, 0xffff, s16
	s_cmp_gt_i32 s17, 25
	s_cbranch_scc0 .LBB55_737
; %bb.729:
	s_cmp_gt_i32 s17, 28
	s_cbranch_scc0 .LBB55_738
; %bb.730:
	;; [unrolled: 3-line block ×4, first 2 shown]
	s_mov_b64 s[12:13], 0
	s_mov_b64 s[0:1], -1
	s_cmp_eq_u32 s17, 46
	s_mov_b64 s[10:11], 0
	s_cbranch_scc0 .LBB55_741
; %bb.733:
	v_cndmask_b32_e64 v2, 0, 1.0, s[8:9]
	s_waitcnt vmcnt(0)
	v_bfe_u32 v3, v2, 16, 1
	s_movk_i32 s0, 0x7fff
	v_add3_u32 v2, v2, v3, s0
	v_lshrrev_b32_e32 v2, 16, v2
	global_store_dword v[0:1], v2, off
	s_mov_b64 s[10:11], -1
	s_mov_b64 s[0:1], 0
	s_branch .LBB55_741
.LBB55_734:
	s_andn2_b64 vcc, exec, s[10:11]
	s_cbranch_vccnz .LBB55_725
.LBB55_735:
	s_waitcnt vmcnt(0)
	v_cmp_gt_i64_e32 vcc, s[44:45], v[3:4]
	s_andn2_b64 s[8:9], s[8:9], exec
	s_and_b64 s[10:11], vcc, exec
	s_or_b64 s[8:9], s[8:9], s[10:11]
	s_cbranch_execz .LBB55_726
	s_branch .LBB55_727
.LBB55_736:
	s_mov_b64 s[12:13], -1
	s_mov_b64 s[10:11], 0
	s_mov_b64 s[0:1], s[62:63]
	s_branch .LBB55_810
.LBB55_737:
	s_mov_b64 s[12:13], -1
	s_mov_b64 s[10:11], 0
	s_mov_b64 s[0:1], s[62:63]
	s_branch .LBB55_768
.LBB55_738:
	s_mov_b64 s[12:13], -1
	s_mov_b64 s[10:11], 0
	s_mov_b64 s[0:1], s[62:63]
	s_branch .LBB55_751
.LBB55_739:
	s_mov_b64 s[12:13], -1
	s_mov_b64 s[10:11], 0
	s_mov_b64 s[0:1], s[62:63]
	s_branch .LBB55_747
.LBB55_740:
	s_mov_b64 s[12:13], -1
	s_mov_b64 s[10:11], 0
	s_mov_b64 s[0:1], s[62:63]
.LBB55_741:
	s_and_b64 vcc, exec, s[12:13]
	s_cbranch_vccz .LBB55_746
; %bb.742:
	s_cmp_eq_u32 s17, 44
	s_mov_b64 s[0:1], -1
	s_cbranch_scc0 .LBB55_746
; %bb.743:
	s_waitcnt vmcnt(0)
	v_cndmask_b32_e64 v3, 0, 1.0, s[8:9]
	v_lshrrev_b32_e32 v2, 23, v3
	s_movk_i32 s0, 0xff
	v_cmp_ne_u32_e32 vcc, s0, v2
	v_mov_b32_e32 v4, 0xff
	s_and_saveexec_b64 s[10:11], vcc
; %bb.744:
	s_mov_b32 s0, 0x3fffff
	v_and_b32_e32 v4, 0x400000, v3
	v_and_or_b32 v3, v3, s0, v2
	v_cmp_ne_u32_e32 vcc, 0, v4
	v_cmp_ne_u32_e64 s[0:1], 0, v3
	s_and_b64 s[0:1], vcc, s[0:1]
	v_cndmask_b32_e64 v3, 0, 1, s[0:1]
	v_add_u32_e32 v4, v2, v3
; %bb.745:
	s_or_b64 exec, exec, s[10:11]
	s_mov_b64 s[10:11], -1
	s_mov_b64 s[0:1], 0
	global_store_byte v[0:1], v4, off
.LBB55_746:
	s_mov_b64 s[12:13], 0
.LBB55_747:
	s_and_b64 vcc, exec, s[12:13]
	s_cbranch_vccz .LBB55_750
; %bb.748:
	s_cmp_eq_u32 s17, 29
	s_mov_b64 s[0:1], -1
	s_cbranch_scc0 .LBB55_750
; %bb.749:
	s_mov_b32 s0, 0
	v_cndmask_b32_e64 v2, 0, 1, s[8:9]
	s_waitcnt vmcnt(0)
	v_mov_b32_e32 v3, s0
	global_store_dwordx2 v[0:1], v[2:3], off
	s_mov_b64 s[10:11], -1
	s_mov_b64 s[0:1], 0
.LBB55_750:
	s_mov_b64 s[12:13], 0
.LBB55_751:
	s_and_b64 vcc, exec, s[12:13]
	s_cbranch_vccz .LBB55_767
; %bb.752:
	s_cmp_lt_i32 s17, 27
	s_mov_b64 s[10:11], -1
	s_cbranch_scc1 .LBB55_758
; %bb.753:
	s_cmp_gt_i32 s17, 27
	s_cbranch_scc0 .LBB55_755
; %bb.754:
	v_cndmask_b32_e64 v2, 0, 1, s[8:9]
	s_mov_b64 s[10:11], 0
	global_store_dword v[0:1], v2, off
.LBB55_755:
	s_andn2_b64 vcc, exec, s[10:11]
	s_cbranch_vccnz .LBB55_757
; %bb.756:
	v_cndmask_b32_e64 v2, 0, 1, s[8:9]
	global_store_short v[0:1], v2, off
.LBB55_757:
	s_mov_b64 s[10:11], 0
.LBB55_758:
	s_andn2_b64 vcc, exec, s[10:11]
	s_cbranch_vccnz .LBB55_766
; %bb.759:
	s_waitcnt vmcnt(0)
	v_cndmask_b32_e64 v3, 0, 1.0, s[8:9]
	s_mov_b32 s10, 0x43800000
	v_cmp_gt_u32_e32 vcc, s10, v3
	v_mov_b32_e32 v4, 0x80
	s_and_saveexec_b64 s[10:11], vcc
	s_cbranch_execz .LBB55_765
; %bb.760:
	s_mov_b32 s12, 0x3bffffff
	v_cmp_lt_u32_e32 vcc, s12, v3
	s_mov_b64 s[12:13], 0
                                        ; implicit-def: $vgpr2
	s_and_saveexec_b64 s[14:15], vcc
	s_xor_b64 s[14:15], exec, s[14:15]
	s_cbranch_execz .LBB55_882
; %bb.761:
	v_bfe_u32 v2, v3, 20, 1
	s_mov_b32 s18, 0x487ffff
	v_add3_u32 v2, v3, v2, s18
	s_mov_b64 s[12:13], exec
	v_lshrrev_b32_e32 v2, 20, v2
                                        ; implicit-def: $vgpr3
	s_andn2_saveexec_b64 s[14:15], s[14:15]
	s_cbranch_execnz .LBB55_883
.LBB55_762:
	s_or_b64 exec, exec, s[14:15]
	v_mov_b32_e32 v4, 0
	s_and_saveexec_b64 s[14:15], s[12:13]
.LBB55_763:
	v_mov_b32_e32 v4, v2
.LBB55_764:
	s_or_b64 exec, exec, s[14:15]
.LBB55_765:
	s_or_b64 exec, exec, s[10:11]
	global_store_byte v[0:1], v4, off
.LBB55_766:
	s_mov_b64 s[10:11], -1
.LBB55_767:
	s_mov_b64 s[12:13], 0
.LBB55_768:
	s_and_b64 vcc, exec, s[12:13]
	s_cbranch_vccz .LBB55_809
; %bb.769:
	s_cmp_gt_i32 s17, 22
	s_mov_b64 s[12:13], -1
	s_cbranch_scc0 .LBB55_801
; %bb.770:
	s_cmp_lt_i32 s17, 24
	s_mov_b64 s[10:11], -1
	s_cbranch_scc1 .LBB55_790
; %bb.771:
	s_cmp_gt_i32 s17, 24
	s_cbranch_scc0 .LBB55_779
; %bb.772:
	s_waitcnt vmcnt(0)
	v_cndmask_b32_e64 v3, 0, 1.0, s[8:9]
	s_mov_b32 s10, 0x47800000
	v_cmp_gt_u32_e32 vcc, s10, v3
	v_mov_b32_e32 v4, 0x80
	s_and_saveexec_b64 s[10:11], vcc
	s_cbranch_execz .LBB55_778
; %bb.773:
	s_mov_b32 s12, 0x37ffffff
	v_cmp_lt_u32_e32 vcc, s12, v3
	s_mov_b64 s[12:13], 0
                                        ; implicit-def: $vgpr2
	s_and_saveexec_b64 s[14:15], vcc
	s_xor_b64 s[14:15], exec, s[14:15]
	s_cbranch_execz .LBB55_885
; %bb.774:
	v_bfe_u32 v2, v3, 21, 1
	s_mov_b32 s18, 0x88fffff
	v_add3_u32 v2, v3, v2, s18
	s_mov_b64 s[12:13], exec
	v_lshrrev_b32_e32 v2, 21, v2
                                        ; implicit-def: $vgpr3
	s_andn2_saveexec_b64 s[14:15], s[14:15]
	s_cbranch_execnz .LBB55_886
.LBB55_775:
	s_or_b64 exec, exec, s[14:15]
	v_mov_b32_e32 v4, 0
	s_and_saveexec_b64 s[14:15], s[12:13]
.LBB55_776:
	v_mov_b32_e32 v4, v2
.LBB55_777:
	s_or_b64 exec, exec, s[14:15]
.LBB55_778:
	s_or_b64 exec, exec, s[10:11]
	s_mov_b64 s[10:11], 0
	global_store_byte v[0:1], v4, off
.LBB55_779:
	s_and_b64 vcc, exec, s[10:11]
	s_cbranch_vccz .LBB55_789
; %bb.780:
	v_cndmask_b32_e64 v2, 0, 1.0, s[8:9]
	s_mov_b32 s10, 0x43f00000
	v_cmp_gt_u32_e32 vcc, s10, v2
                                        ; implicit-def: $vgpr3
	s_and_saveexec_b64 s[10:11], vcc
	s_xor_b64 s[10:11], exec, s[10:11]
	s_cbranch_execz .LBB55_786
; %bb.781:
	s_mov_b32 s12, 0x3c7fffff
	v_cmp_lt_u32_e32 vcc, s12, v2
                                        ; implicit-def: $vgpr3
	s_and_saveexec_b64 s[12:13], vcc
	s_xor_b64 s[12:13], exec, s[12:13]
	s_cbranch_execz .LBB55_783
; %bb.782:
	s_waitcnt vmcnt(0)
	v_bfe_u32 v3, v2, 20, 1
	s_mov_b32 s14, 0x407ffff
	v_add3_u32 v2, v2, v3, s14
	v_lshrrev_b32_e32 v3, 20, v2
	v_and_b32_e32 v2, 0xff00000, v2
	s_mov_b32 s14, 0x7f00000
	v_mov_b32_e32 v4, 0x7e
	v_cmp_ne_u32_e32 vcc, s14, v2
	v_cndmask_b32_e32 v3, v4, v3, vcc
                                        ; implicit-def: $vgpr2
.LBB55_783:
	s_andn2_saveexec_b64 s[12:13], s[12:13]
	s_cbranch_execz .LBB55_785
; %bb.784:
	s_waitcnt vmcnt(0)
	v_add_f32_e32 v3, 0x46800000, v2
.LBB55_785:
	s_or_b64 exec, exec, s[12:13]
                                        ; implicit-def: $vgpr2
.LBB55_786:
	s_andn2_saveexec_b64 s[10:11], s[10:11]
	s_cbranch_execz .LBB55_788
; %bb.787:
	s_mov_b32 s12, 0x7f800000
	s_waitcnt vmcnt(0)
	v_mov_b32_e32 v3, 0x7e
	v_mov_b32_e32 v4, 0x7f
	v_cmp_lt_u32_e32 vcc, s12, v2
	v_cndmask_b32_e32 v3, v3, v4, vcc
.LBB55_788:
	s_or_b64 exec, exec, s[10:11]
	s_waitcnt vmcnt(0)
	global_store_byte v[0:1], v3, off
.LBB55_789:
	s_mov_b64 s[10:11], 0
.LBB55_790:
	s_andn2_b64 vcc, exec, s[10:11]
	s_cbranch_vccnz .LBB55_800
; %bb.791:
	v_cndmask_b32_e64 v2, 0, 1.0, s[8:9]
	s_mov_b32 s10, 0x47800000
	v_cmp_gt_u32_e32 vcc, s10, v2
                                        ; implicit-def: $vgpr3
	s_and_saveexec_b64 s[10:11], vcc
	s_xor_b64 s[10:11], exec, s[10:11]
	s_cbranch_execz .LBB55_797
; %bb.792:
	s_mov_b32 s12, 0x387fffff
	v_cmp_lt_u32_e32 vcc, s12, v2
                                        ; implicit-def: $vgpr3
	s_and_saveexec_b64 s[12:13], vcc
	s_xor_b64 s[12:13], exec, s[12:13]
	s_cbranch_execz .LBB55_794
; %bb.793:
	s_waitcnt vmcnt(0)
	v_bfe_u32 v3, v2, 21, 1
	s_mov_b32 s14, 0x80fffff
	v_add3_u32 v2, v2, v3, s14
	v_lshrrev_b32_e32 v3, 21, v2
                                        ; implicit-def: $vgpr2
.LBB55_794:
	s_andn2_saveexec_b64 s[12:13], s[12:13]
	s_cbranch_execz .LBB55_796
; %bb.795:
	s_waitcnt vmcnt(0)
	v_add_f32_e32 v3, 0x43000000, v2
.LBB55_796:
	s_or_b64 exec, exec, s[12:13]
                                        ; implicit-def: $vgpr2
.LBB55_797:
	s_andn2_saveexec_b64 s[10:11], s[10:11]
	s_cbranch_execz .LBB55_799
; %bb.798:
	s_mov_b32 s12, 0x7f800000
	s_waitcnt vmcnt(0)
	v_mov_b32_e32 v3, 0x7c
	v_mov_b32_e32 v4, 0x7f
	v_cmp_lt_u32_e32 vcc, s12, v2
	v_cndmask_b32_e32 v3, v3, v4, vcc
.LBB55_799:
	s_or_b64 exec, exec, s[10:11]
	s_waitcnt vmcnt(0)
	global_store_byte v[0:1], v3, off
.LBB55_800:
	s_mov_b64 s[12:13], 0
	s_mov_b64 s[10:11], -1
.LBB55_801:
	s_andn2_b64 vcc, exec, s[12:13]
	s_cbranch_vccnz .LBB55_809
; %bb.802:
	s_cmp_gt_i32 s17, 14
	s_mov_b64 s[12:13], -1
	s_cbranch_scc0 .LBB55_806
; %bb.803:
	s_cmp_eq_u32 s17, 15
	s_mov_b64 s[0:1], -1
	s_cbranch_scc0 .LBB55_805
; %bb.804:
	v_cndmask_b32_e64 v2, 0, 1.0, s[8:9]
	s_waitcnt vmcnt(0)
	v_bfe_u32 v3, v2, 16, 1
	s_movk_i32 s0, 0x7fff
	v_add3_u32 v2, v2, v3, s0
	global_store_short_d16_hi v[0:1], v2, off
	s_mov_b64 s[10:11], -1
	s_mov_b64 s[0:1], 0
.LBB55_805:
	s_mov_b64 s[12:13], 0
.LBB55_806:
	s_and_b64 vcc, exec, s[12:13]
	s_cbranch_vccz .LBB55_809
; %bb.807:
	s_cmp_eq_u32 s17, 11
	s_mov_b64 s[0:1], -1
	s_cbranch_scc0 .LBB55_809
; %bb.808:
	v_cndmask_b32_e64 v2, 0, 1, s[8:9]
	s_mov_b64 s[10:11], -1
	s_mov_b64 s[0:1], 0
	global_store_byte v[0:1], v2, off
.LBB55_809:
	s_mov_b64 s[12:13], 0
.LBB55_810:
	s_and_b64 vcc, exec, s[12:13]
	s_cbranch_vccz .LBB55_849
; %bb.811:
	s_and_b32 s12, 0xffff, s16
	s_cmp_lt_i32 s12, 5
	s_mov_b64 s[10:11], -1
	s_cbranch_scc1 .LBB55_832
; %bb.812:
	s_cmp_lt_i32 s12, 8
	s_cbranch_scc1 .LBB55_822
; %bb.813:
	s_cmp_lt_i32 s12, 9
	s_cbranch_scc1 .LBB55_819
; %bb.814:
	s_cmp_gt_i32 s12, 9
	s_cbranch_scc0 .LBB55_816
; %bb.815:
	v_cndmask_b32_e64 v2, 0, 1, s[8:9]
	s_waitcnt vmcnt(0)
	v_cvt_f64_u32_e32 v[2:3], v2
	v_mov_b32_e32 v4, 0
	v_mov_b32_e32 v5, v4
	s_mov_b64 s[10:11], 0
	global_store_dwordx4 v[0:1], v[2:5], off
.LBB55_816:
	s_andn2_b64 vcc, exec, s[10:11]
	s_cbranch_vccnz .LBB55_818
; %bb.817:
	v_cndmask_b32_e64 v2, 0, 1.0, s[8:9]
	s_waitcnt vmcnt(0)
	v_mov_b32_e32 v3, 0
	global_store_dwordx2 v[0:1], v[2:3], off
.LBB55_818:
	s_mov_b64 s[10:11], 0
.LBB55_819:
	s_andn2_b64 vcc, exec, s[10:11]
	s_cbranch_vccnz .LBB55_821
; %bb.820:
	v_cndmask_b32_e64 v2, 0, 1.0, s[8:9]
	v_cvt_f16_f32_e32 v2, v2
	global_store_dword v[0:1], v2, off
.LBB55_821:
	s_mov_b64 s[10:11], 0
.LBB55_822:
	s_andn2_b64 vcc, exec, s[10:11]
	s_cbranch_vccnz .LBB55_831
; %bb.823:
	s_cmp_lt_i32 s12, 6
	s_mov_b64 s[10:11], -1
	s_cbranch_scc1 .LBB55_829
; %bb.824:
	s_cmp_gt_i32 s12, 6
	s_cbranch_scc0 .LBB55_826
; %bb.825:
	v_cndmask_b32_e64 v2, 0, 1, s[8:9]
	s_waitcnt vmcnt(0)
	v_cvt_f64_u32_e32 v[2:3], v2
	s_mov_b64 s[10:11], 0
	global_store_dwordx2 v[0:1], v[2:3], off
.LBB55_826:
	s_andn2_b64 vcc, exec, s[10:11]
	s_cbranch_vccnz .LBB55_828
; %bb.827:
	v_cndmask_b32_e64 v2, 0, 1.0, s[8:9]
	global_store_dword v[0:1], v2, off
.LBB55_828:
	s_mov_b64 s[10:11], 0
.LBB55_829:
	s_andn2_b64 vcc, exec, s[10:11]
	s_cbranch_vccnz .LBB55_831
; %bb.830:
	v_cndmask_b32_e64 v2, 0, 1.0, s[8:9]
	v_cvt_f16_f32_e32 v2, v2
	global_store_short v[0:1], v2, off
.LBB55_831:
	s_mov_b64 s[10:11], 0
.LBB55_832:
	s_andn2_b64 vcc, exec, s[10:11]
	s_cbranch_vccnz .LBB55_848
; %bb.833:
	s_cmp_lt_i32 s12, 2
	s_mov_b64 s[10:11], -1
	s_cbranch_scc1 .LBB55_843
; %bb.834:
	s_cmp_lt_i32 s12, 3
	s_cbranch_scc1 .LBB55_840
; %bb.835:
	s_cmp_gt_i32 s12, 3
	s_cbranch_scc0 .LBB55_837
; %bb.836:
	s_mov_b32 s10, 0
	v_cndmask_b32_e64 v2, 0, 1, s[8:9]
	s_waitcnt vmcnt(0)
	v_mov_b32_e32 v3, s10
	s_mov_b64 s[10:11], 0
	global_store_dwordx2 v[0:1], v[2:3], off
.LBB55_837:
	s_andn2_b64 vcc, exec, s[10:11]
	s_cbranch_vccnz .LBB55_839
; %bb.838:
	v_cndmask_b32_e64 v2, 0, 1, s[8:9]
	global_store_dword v[0:1], v2, off
.LBB55_839:
	s_mov_b64 s[10:11], 0
.LBB55_840:
	s_andn2_b64 vcc, exec, s[10:11]
	s_cbranch_vccnz .LBB55_842
; %bb.841:
	v_cndmask_b32_e64 v2, 0, 1, s[8:9]
	global_store_short v[0:1], v2, off
.LBB55_842:
	s_mov_b64 s[10:11], 0
.LBB55_843:
	s_andn2_b64 vcc, exec, s[10:11]
	s_cbranch_vccnz .LBB55_848
; %bb.844:
	s_mov_b64 s[10:11], -1
	s_cmp_gt_i32 s12, 0
	v_cndmask_b32_e64 v2, 0, 1, s[8:9]
	s_cbranch_scc0 .LBB55_846
; %bb.845:
	s_mov_b64 s[10:11], 0
	global_store_byte v[0:1], v2, off
.LBB55_846:
	s_andn2_b64 vcc, exec, s[10:11]
	s_cbranch_vccnz .LBB55_848
; %bb.847:
	global_store_byte v[0:1], v2, off
.LBB55_848:
	s_mov_b64 s[10:11], -1
.LBB55_849:
	s_andn2_b64 vcc, exec, s[10:11]
	s_cbranch_vccnz .LBB55_851
; %bb.850:
	v_add_u32_e32 v8, 0x80, v8
	s_mov_b64 s[8:9], -1
	s_branch .LBB55_853
.LBB55_851:
	s_mov_b64 s[8:9], 0
.LBB55_852:
                                        ; implicit-def: $vgpr8
.LBB55_853:
	s_andn2_b64 s[10:11], s[62:63], exec
	s_and_b64 s[0:1], s[0:1], exec
	s_or_b64 s[70:71], s[10:11], s[0:1]
	s_andn2_b64 s[0:1], s[60:61], exec
	s_and_b64 s[2:3], s[2:3], exec
	s_or_b64 s[68:69], s[0:1], s[2:3]
	s_orn2_b64 s[2:3], s[8:9], exec
.LBB55_854:
	s_or_b64 exec, exec, s[66:67]
	s_mov_b64 s[0:1], 0
	s_mov_b64 s[8:9], 0
	;; [unrolled: 1-line block ×3, first 2 shown]
                                        ; implicit-def: $vgpr1_vgpr2
                                        ; implicit-def: $vgpr0
                                        ; implicit-def: $vgpr3_vgpr4
	s_and_saveexec_b64 s[66:67], s[2:3]
	s_cbranch_execz .LBB55_949
; %bb.855:
	v_cmp_gt_i32_e32 vcc, s72, v8
	s_mov_b64 s[2:3], 0
	s_mov_b64 s[12:13], s[68:69]
                                        ; implicit-def: $vgpr1_vgpr2
                                        ; implicit-def: $vgpr0
                                        ; implicit-def: $vgpr3_vgpr4
	s_and_saveexec_b64 s[72:73], vcc
	s_cbranch_execz .LBB55_948
; %bb.856:
	s_andn2_b64 vcc, exec, s[40:41]
	s_cbranch_vccnz .LBB55_861
; %bb.857:
	s_andn2_b64 vcc, exec, s[52:53]
	s_cbranch_vccnz .LBB55_862
; %bb.858:
	s_add_i32 s79, s78, 1
	s_cmp_eq_u32 s74, 2
	s_cbranch_scc1 .LBB55_863
; %bb.859:
	s_and_b32 s78, s79, 28
	v_mov_b32_e32 v2, 0
	s_mov_b32 s80, 0
	s_mov_b64 s[52:53], s[34:35]
	v_mov_b32_e32 v0, 0
	v_mov_b32_e32 v1, v8
.LBB55_860:                             ; =>This Inner Loop Header: Depth=1
	s_load_dwordx8 s[16:23], s[52:53], 0x4
	s_load_dwordx4 s[0:3], s[52:53], 0x24
	s_load_dwordx8 s[8:15], s[50:51], 0x0
	s_add_u32 s52, s52, 48
	s_addc_u32 s53, s53, 0
	s_waitcnt vmcnt(0) lgkmcnt(0)
	v_mul_hi_u32 v3, s17, v1
	s_add_i32 s80, s80, 4
	s_add_u32 s50, s50, 32
	s_addc_u32 s51, s51, 0
	v_add_u32_e32 v3, v1, v3
	v_lshrrev_b32_e32 v3, s18, v3
	v_mul_lo_u32 v4, v3, s16
	v_mul_hi_u32 v5, s20, v3
	s_cmp_eq_u32 s78, s80
	v_sub_u32_e32 v1, v1, v4
	v_add_u32_e32 v4, v3, v5
	v_mul_lo_u32 v5, v1, s8
	v_mul_lo_u32 v6, v1, s9
	v_lshrrev_b32_e32 v1, s21, v4
	v_mul_lo_u32 v4, v1, s19
	v_mul_hi_u32 v7, s23, v1
	v_sub_u32_e32 v3, v3, v4
	v_add_u32_e32 v4, v1, v7
	v_lshrrev_b32_e32 v4, s0, v4
	v_mul_hi_u32 v9, s2, v4
	v_mul_lo_u32 v10, v4, s22
	v_mul_lo_u32 v7, v3, s10
	;; [unrolled: 1-line block ×3, first 2 shown]
	v_sub_u32_e32 v10, v1, v10
	v_add_u32_e32 v1, v4, v9
	v_lshrrev_b32_e32 v1, s3, v1
	v_mul_lo_u32 v9, v1, s1
	v_mul_lo_u32 v11, v10, s12
	;; [unrolled: 1-line block ×3, first 2 shown]
	v_add3_u32 v0, v5, v0, v7
	v_sub_u32_e32 v4, v4, v9
	v_mul_lo_u32 v9, v4, s14
	v_mul_lo_u32 v4, v4, s15
	v_add3_u32 v2, v6, v2, v3
	v_add3_u32 v0, v11, v0, v9
	;; [unrolled: 1-line block ×3, first 2 shown]
	s_cbranch_scc0 .LBB55_860
	s_branch .LBB55_864
.LBB55_861:
	s_mov_b64 s[0:1], -1
                                        ; implicit-def: $vgpr0
                                        ; implicit-def: $vgpr2
	s_branch .LBB55_868
.LBB55_862:
	v_mov_b32_e32 v0, 0
	v_mov_b32_e32 v2, 0
	s_branch .LBB55_867
.LBB55_863:
	s_mov_b32 s78, 0
	v_mov_b32_e32 v0, 0
	v_mov_b32_e32 v2, 0
	;; [unrolled: 1-line block ×3, first 2 shown]
.LBB55_864:
	s_and_b32 s8, s79, 3
	s_cmp_eq_u32 s8, 0
	s_cbranch_scc1 .LBB55_867
; %bb.865:
	s_lshl_b32 s0, s78, 3
	s_add_u32 s0, s34, s0
	s_addc_u32 s1, s35, 0
	s_add_u32 s0, s0, 0xc4
	s_addc_u32 s1, s1, 0
	s_mul_i32 s2, s78, 12
	s_add_u32 s2, s34, s2
	s_addc_u32 s3, s35, 0
.LBB55_866:                             ; =>This Inner Loop Header: Depth=1
	s_load_dwordx2 s[10:11], s[2:3], 0x4
	s_load_dword s9, s[2:3], 0xc
	s_load_dwordx2 s[12:13], s[0:1], 0x0
	s_add_u32 s2, s2, 12
	s_addc_u32 s3, s3, 0
	s_waitcnt vmcnt(0) lgkmcnt(0)
	v_mul_hi_u32 v3, s11, v1
	s_add_u32 s0, s0, 8
	s_addc_u32 s1, s1, 0
	s_add_i32 s8, s8, -1
	v_add_u32_e32 v3, v1, v3
	v_lshrrev_b32_e32 v4, s9, v3
	v_mul_lo_u32 v3, v4, s10
	s_cmp_lg_u32 s8, 0
	v_sub_u32_e32 v3, v1, v3
	v_mad_u64_u32 v[0:1], s[10:11], v3, s12, v[0:1]
	v_mad_u64_u32 v[2:3], s[10:11], v3, s13, v[2:3]
	v_mov_b32_e32 v1, v4
	s_cbranch_scc1 .LBB55_866
.LBB55_867:
	s_mov_b64 s[0:1], 0
.LBB55_868:
	s_andn2_b64 vcc, exec, s[0:1]
	s_cbranch_vccnz .LBB55_871
; %bb.869:
	v_mul_hi_u32 v0, s29, v8
	s_andn2_b64 vcc, exec, s[48:49]
	v_add_u32_e32 v0, v8, v0
	v_lshrrev_b32_e32 v1, s30, v0
	v_mul_lo_u32 v0, v1, s28
	v_sub_u32_e32 v2, v8, v0
	v_mul_lo_u32 v0, v2, s36
	v_mul_lo_u32 v2, v2, s37
	s_cbranch_vccnz .LBB55_871
; %bb.870:
	s_waitcnt vmcnt(0)
	v_mul_hi_u32 v3, s46, v1
	v_add_u32_e32 v3, v1, v3
	v_lshrrev_b32_e32 v3, s47, v3
	v_mul_lo_u32 v3, v3, s31
	v_sub_u32_e32 v3, v1, v3
	v_mad_u64_u32 v[0:1], s[0:1], v3, s38, v[0:1]
	v_mad_u64_u32 v[2:3], s[0:1], v3, s39, v[2:3]
.LBB55_871:
	s_waitcnt vmcnt(0)
	v_mov_b32_e32 v3, s27
	s_and_b32 s12, 0xffff, s77
	v_add_co_u32_e32 v1, vcc, s26, v2
	s_cmp_lt_i32 s12, 11
	v_addc_co_u32_e32 v2, vcc, 0, v3, vcc
	s_cbranch_scc1 .LBB55_878
; %bb.872:
	s_cmp_gt_i32 s12, 25
	s_mov_b64 s[2:3], 0
	s_cbranch_scc0 .LBB55_879
; %bb.873:
	s_cmp_gt_i32 s12, 28
	s_cbranch_scc0 .LBB55_880
; %bb.874:
	s_cmp_gt_i32 s12, 43
	;; [unrolled: 3-line block ×3, first 2 shown]
	s_cbranch_scc0 .LBB55_884
; %bb.876:
	s_cmp_eq_u32 s12, 46
	s_mov_b64 s[10:11], 0
	s_cbranch_scc0 .LBB55_887
; %bb.877:
	global_load_dword v3, v[1:2], off
	s_mov_b32 s0, 0x2f800000
	s_mov_b32 s1, 0xcf800000
	s_mov_b64 s[8:9], -1
	s_waitcnt vmcnt(0)
	v_lshlrev_b32_e32 v3, 16, v3
	v_trunc_f32_e32 v3, v3
	v_mul_f32_e64 v4, |v3|, s0
	v_floor_f32_e32 v4, v4
	v_fma_f32 v5, v4, s1, |v3|
	v_cvt_u32_f32_e32 v5, v5
	v_cvt_u32_f32_e32 v4, v4
	v_ashrrev_i32_e32 v6, 31, v3
	s_mov_b64 s[0:1], 0
	v_xor_b32_e32 v3, v5, v6
	v_xor_b32_e32 v4, v4, v6
	v_sub_co_u32_e32 v3, vcc, v3, v6
	v_subb_co_u32_e32 v4, vcc, v4, v6, vcc
	s_branch .LBB55_888
.LBB55_878:
	s_mov_b64 s[12:13], -1
	s_mov_b64 s[8:9], 0
	s_mov_b64 s[2:3], 0
	;; [unrolled: 1-line block ×3, first 2 shown]
                                        ; implicit-def: $vgpr3_vgpr4
	s_branch .LBB55_947
.LBB55_879:
	s_mov_b64 s[10:11], -1
	s_mov_b64 s[8:9], 0
	s_mov_b64 s[0:1], s[68:69]
                                        ; implicit-def: $vgpr3_vgpr4
	s_branch .LBB55_917
.LBB55_880:
	s_mov_b64 s[10:11], -1
	s_mov_b64 s[8:9], 0
	s_mov_b64 s[0:1], s[68:69]
                                        ; implicit-def: $vgpr3_vgpr4
	s_branch .LBB55_898
.LBB55_881:
	s_mov_b64 s[10:11], -1
	s_mov_b64 s[8:9], 0
	s_mov_b64 s[0:1], s[68:69]
                                        ; implicit-def: $vgpr3_vgpr4
	s_branch .LBB55_893
.LBB55_882:
	s_andn2_saveexec_b64 s[14:15], s[14:15]
	s_cbranch_execz .LBB55_762
.LBB55_883:
	v_add_f32_e32 v2, 0x46000000, v3
	v_and_b32_e32 v2, 0xff, v2
	v_cmp_ne_u32_e32 vcc, 0, v2
	s_andn2_b64 s[12:13], s[12:13], exec
	s_and_b64 s[18:19], vcc, exec
	s_or_b64 s[12:13], s[12:13], s[18:19]
	s_or_b64 exec, exec, s[14:15]
	v_mov_b32_e32 v4, 0
	s_and_saveexec_b64 s[14:15], s[12:13]
	s_cbranch_execnz .LBB55_763
	s_branch .LBB55_764
.LBB55_884:
	s_mov_b64 s[10:11], -1
	s_mov_b64 s[8:9], 0
	s_mov_b64 s[0:1], s[68:69]
                                        ; implicit-def: $vgpr3_vgpr4
	s_branch .LBB55_888
.LBB55_885:
	s_andn2_saveexec_b64 s[14:15], s[14:15]
	s_cbranch_execz .LBB55_775
.LBB55_886:
	v_add_f32_e32 v2, 0x42800000, v3
	v_and_b32_e32 v2, 0xff, v2
	v_cmp_ne_u32_e32 vcc, 0, v2
	s_andn2_b64 s[12:13], s[12:13], exec
	s_and_b64 s[18:19], vcc, exec
	s_or_b64 s[12:13], s[12:13], s[18:19]
	s_or_b64 exec, exec, s[14:15]
	v_mov_b32_e32 v4, 0
	s_and_saveexec_b64 s[14:15], s[12:13]
	s_cbranch_execnz .LBB55_776
	s_branch .LBB55_777
.LBB55_887:
	s_mov_b64 s[0:1], -1
                                        ; implicit-def: $vgpr3_vgpr4
	s_mov_b64 s[8:9], 0
.LBB55_888:
	s_and_b64 vcc, exec, s[10:11]
	s_cbranch_vccz .LBB55_892
; %bb.889:
	s_cmp_eq_u32 s12, 44
	s_cbranch_scc0 .LBB55_891
; %bb.890:
	global_load_ubyte v3, v[1:2], off
	s_mov_b32 s0, 0x2f800000
	s_mov_b32 s1, 0xcf800000
	s_mov_b64 s[8:9], -1
	s_waitcnt vmcnt(0)
	v_lshlrev_b32_e32 v4, 23, v3
	v_trunc_f32_e32 v4, v4
	v_mul_f32_e64 v5, |v4|, s0
	v_floor_f32_e32 v5, v5
	v_fma_f32 v6, v5, s1, |v4|
	v_cvt_u32_f32_e32 v6, v6
	v_cvt_u32_f32_e32 v5, v5
	v_ashrrev_i32_e32 v4, 31, v4
	s_mov_b64 s[0:1], 0
	v_xor_b32_e32 v6, v6, v4
	v_xor_b32_e32 v5, v5, v4
	v_sub_co_u32_e32 v6, vcc, v6, v4
	v_subb_co_u32_e32 v4, vcc, v5, v4, vcc
	v_cmp_ne_u32_e32 vcc, 0, v3
	v_cndmask_b32_e32 v4, 0, v4, vcc
	v_cndmask_b32_e32 v3, 0, v6, vcc
	s_branch .LBB55_892
.LBB55_891:
	s_mov_b64 s[0:1], -1
                                        ; implicit-def: $vgpr3_vgpr4
.LBB55_892:
	s_mov_b64 s[10:11], 0
.LBB55_893:
	s_and_b64 vcc, exec, s[10:11]
	s_cbranch_vccz .LBB55_897
; %bb.894:
	s_cmp_eq_u32 s12, 29
	s_cbranch_scc0 .LBB55_896
; %bb.895:
	global_load_dwordx2 v[3:4], v[1:2], off
	s_mov_b64 s[0:1], 0
	s_mov_b64 s[8:9], -1
	s_branch .LBB55_897
.LBB55_896:
	s_mov_b64 s[0:1], -1
                                        ; implicit-def: $vgpr3_vgpr4
.LBB55_897:
	s_mov_b64 s[10:11], 0
.LBB55_898:
	s_and_b64 vcc, exec, s[10:11]
	s_cbranch_vccz .LBB55_916
; %bb.899:
	s_cmp_lt_i32 s12, 27
	s_cbranch_scc1 .LBB55_902
; %bb.900:
	s_cmp_gt_i32 s12, 27
	s_cbranch_scc0 .LBB55_903
; %bb.901:
	global_load_dword v3, v[1:2], off
	s_waitcnt vmcnt(1)
	v_mov_b32_e32 v4, 0
	s_mov_b64 s[8:9], 0
	s_branch .LBB55_904
.LBB55_902:
	s_mov_b64 s[8:9], -1
                                        ; implicit-def: $vgpr3_vgpr4
	s_branch .LBB55_907
.LBB55_903:
	s_mov_b64 s[8:9], -1
                                        ; implicit-def: $vgpr3_vgpr4
.LBB55_904:
	s_andn2_b64 vcc, exec, s[8:9]
	s_cbranch_vccnz .LBB55_906
; %bb.905:
	global_load_ushort v3, v[1:2], off
	s_mov_b32 s8, 0
	s_waitcnt vmcnt(1)
	v_mov_b32_e32 v4, s8
	s_waitcnt vmcnt(0)
	v_and_b32_e32 v3, 0xffff, v3
.LBB55_906:
	s_mov_b64 s[8:9], 0
.LBB55_907:
	s_andn2_b64 vcc, exec, s[8:9]
	s_cbranch_vccnz .LBB55_915
; %bb.908:
	global_load_ubyte v5, v[1:2], off
	s_movk_i32 s8, 0x7f
	s_mov_b64 s[10:11], 0
	s_waitcnt vmcnt(0)
	v_cmp_lt_i16_e32 vcc, s8, v5
	s_and_saveexec_b64 s[8:9], vcc
	s_xor_b64 s[8:9], exec, s[8:9]
; %bb.909:
	s_movk_i32 s10, 0x80
	v_cmp_ne_u16_e32 vcc, s10, v5
	s_and_b64 s[10:11], vcc, exec
; %bb.910:
	s_andn2_saveexec_b64 s[8:9], s[8:9]
; %bb.911:
	v_cmp_ne_u16_e32 vcc, 0, v5
	s_andn2_b64 s[10:11], s[10:11], exec
	s_and_b64 s[14:15], vcc, exec
	s_or_b64 s[10:11], s[10:11], s[14:15]
; %bb.912:
	s_or_b64 exec, exec, s[8:9]
	v_mov_b32_e32 v3, 0
	v_mov_b32_e32 v4, 0
	s_and_saveexec_b64 s[8:9], s[10:11]
	s_cbranch_execz .LBB55_914
; %bb.913:
	v_and_b32_e32 v4, 0xffff, v5
	v_lshlrev_b32_e32 v3, 24, v5
	v_and_b32_e32 v5, 7, v4
	v_ffbh_u32_e32 v7, v5
	v_min_u32_e32 v7, 32, v7
	v_subrev_u32_e32 v8, 28, v7
	v_bfe_u32 v6, v4, 3, 4
	v_lshlrev_b32_e32 v4, v8, v4
	v_sub_u32_e32 v7, 29, v7
	v_and_b32_e32 v4, 7, v4
	v_cmp_eq_u32_e32 vcc, 0, v6
	v_cndmask_b32_e32 v6, v6, v7, vcc
	v_cndmask_b32_e32 v4, v5, v4, vcc
	v_mov_b32_e32 v5, 0x3b800000
	v_lshlrev_b32_e32 v4, 20, v4
	v_and_b32_e32 v3, 0x80000000, v3
	v_lshl_add_u32 v5, v6, 23, v5
	v_or3_b32 v3, v3, v5, v4
	v_trunc_f32_e32 v3, v3
	s_mov_b32 s10, 0x2f800000
	v_mul_f32_e64 v4, |v3|, s10
	v_floor_f32_e32 v4, v4
	s_mov_b32 s10, 0xcf800000
	v_fma_f32 v5, v4, s10, |v3|
	v_cvt_u32_f32_e32 v5, v5
	v_cvt_u32_f32_e32 v4, v4
	v_ashrrev_i32_e32 v6, 31, v3
	v_xor_b32_e32 v3, v5, v6
	v_xor_b32_e32 v4, v4, v6
	v_sub_co_u32_e32 v3, vcc, v3, v6
	v_subb_co_u32_e32 v4, vcc, v4, v6, vcc
.LBB55_914:
	s_or_b64 exec, exec, s[8:9]
.LBB55_915:
	s_mov_b64 s[8:9], -1
.LBB55_916:
	s_mov_b64 s[10:11], 0
.LBB55_917:
	s_and_b64 vcc, exec, s[10:11]
	s_cbranch_vccz .LBB55_946
; %bb.918:
	s_cmp_gt_i32 s12, 22
	s_cbranch_scc0 .LBB55_928
; %bb.919:
	s_cmp_lt_i32 s12, 24
	s_cbranch_scc1 .LBB55_929
; %bb.920:
	s_cmp_gt_i32 s12, 24
	s_cbranch_scc0 .LBB55_930
; %bb.921:
	global_load_ubyte v5, v[1:2], off
	s_movk_i32 s2, 0x7f
	s_mov_b64 s[8:9], 0
	s_waitcnt vmcnt(0)
	v_cmp_lt_i16_e32 vcc, s2, v5
	s_and_saveexec_b64 s[2:3], vcc
	s_xor_b64 s[2:3], exec, s[2:3]
; %bb.922:
	s_movk_i32 s8, 0x80
	v_cmp_ne_u16_e32 vcc, s8, v5
	s_and_b64 s[8:9], vcc, exec
; %bb.923:
	s_andn2_saveexec_b64 s[2:3], s[2:3]
; %bb.924:
	v_cmp_ne_u16_e32 vcc, 0, v5
	s_andn2_b64 s[8:9], s[8:9], exec
	s_and_b64 s[10:11], vcc, exec
	s_or_b64 s[8:9], s[8:9], s[10:11]
; %bb.925:
	s_or_b64 exec, exec, s[2:3]
	v_mov_b32_e32 v3, 0
	v_mov_b32_e32 v4, 0
	s_and_saveexec_b64 s[2:3], s[8:9]
	s_cbranch_execz .LBB55_927
; %bb.926:
	v_and_b32_e32 v4, 0xffff, v5
	v_lshlrev_b32_e32 v3, 24, v5
	v_and_b32_e32 v5, 3, v4
	v_ffbh_u32_e32 v7, v5
	v_min_u32_e32 v7, 32, v7
	v_subrev_u32_e32 v8, 29, v7
	v_bfe_u32 v6, v4, 2, 5
	v_lshlrev_b32_e32 v4, v8, v4
	v_sub_u32_e32 v7, 30, v7
	v_and_b32_e32 v4, 3, v4
	v_cmp_eq_u32_e32 vcc, 0, v6
	v_cndmask_b32_e32 v6, v6, v7, vcc
	v_cndmask_b32_e32 v4, v5, v4, vcc
	v_mov_b32_e32 v5, 0x37800000
	v_lshlrev_b32_e32 v4, 21, v4
	v_and_b32_e32 v3, 0x80000000, v3
	v_lshl_add_u32 v5, v6, 23, v5
	v_or3_b32 v3, v3, v5, v4
	v_trunc_f32_e32 v3, v3
	s_mov_b32 s8, 0x2f800000
	v_mul_f32_e64 v4, |v3|, s8
	v_floor_f32_e32 v4, v4
	s_mov_b32 s8, 0xcf800000
	v_fma_f32 v5, v4, s8, |v3|
	v_cvt_u32_f32_e32 v5, v5
	v_cvt_u32_f32_e32 v4, v4
	v_ashrrev_i32_e32 v6, 31, v3
	v_xor_b32_e32 v3, v5, v6
	v_xor_b32_e32 v4, v4, v6
	v_sub_co_u32_e32 v3, vcc, v3, v6
	v_subb_co_u32_e32 v4, vcc, v4, v6, vcc
.LBB55_927:
	s_or_b64 exec, exec, s[2:3]
	s_mov_b64 s[2:3], 0
	s_branch .LBB55_931
.LBB55_928:
	s_mov_b64 s[2:3], -1
                                        ; implicit-def: $vgpr3_vgpr4
	s_branch .LBB55_937
.LBB55_929:
	s_mov_b64 s[2:3], -1
                                        ; implicit-def: $vgpr3_vgpr4
	s_branch .LBB55_934
.LBB55_930:
	s_mov_b64 s[2:3], -1
                                        ; implicit-def: $vgpr3_vgpr4
.LBB55_931:
	s_and_b64 vcc, exec, s[2:3]
	s_cbranch_vccz .LBB55_933
; %bb.932:
	global_load_ubyte v3, v[1:2], off
	s_mov_b32 s2, 0x7f800000
	s_brev_b32 s3, 1
	s_mov_b32 s8, 0x2f800000
	s_mov_b32 s9, 0xcf800000
	s_waitcnt vmcnt(0)
	v_lshlrev_b32_e32 v3, 24, v3
	v_and_b32_e32 v4, 0x7f000000, v3
	v_ffbh_u32_e32 v5, v4
	v_min_u32_e32 v5, 32, v5
	v_sub_u32_e64 v5, v5, 4 clamp
	v_lshlrev_b32_e32 v7, v5, v4
	v_lshlrev_b32_e32 v5, 23, v5
	v_lshrrev_b32_e32 v7, 4, v7
	v_add_u32_e32 v6, 0x1000000, v4
	v_sub_u32_e32 v5, v7, v5
	v_ashrrev_i32_e32 v6, 8, v6
	v_add_u32_e32 v5, 0x3c000000, v5
	v_and_or_b32 v5, v6, s2, v5
	v_cmp_ne_u32_e32 vcc, 0, v4
	v_cndmask_b32_e32 v4, 0, v5, vcc
	v_and_or_b32 v3, v3, s3, v4
	v_trunc_f32_e32 v3, v3
	v_mul_f32_e64 v4, |v3|, s8
	v_floor_f32_e32 v4, v4
	v_fma_f32 v5, v4, s9, |v3|
	v_cvt_u32_f32_e32 v5, v5
	v_cvt_u32_f32_e32 v4, v4
	v_ashrrev_i32_e32 v6, 31, v3
	v_xor_b32_e32 v3, v5, v6
	v_xor_b32_e32 v4, v4, v6
	v_sub_co_u32_e32 v3, vcc, v3, v6
	v_subb_co_u32_e32 v4, vcc, v4, v6, vcc
.LBB55_933:
	s_mov_b64 s[2:3], 0
.LBB55_934:
	s_andn2_b64 vcc, exec, s[2:3]
	s_cbranch_vccnz .LBB55_936
; %bb.935:
	global_load_ubyte v3, v[1:2], off
	s_movk_i32 s2, 0x7f00
	s_brev_b32 s3, 16
	s_brev_b32 s8, 1
	s_mov_b32 s9, 0x2f800000
	s_mov_b32 s10, 0xcf800000
	s_waitcnt vmcnt(0)
	v_lshlrev_b16_e32 v4, 8, v3
	v_lshlrev_b32_e32 v3, 25, v3
	v_lshrrev_b32_e32 v5, 4, v3
	v_and_or_b32 v6, v4, s2, 0.5
	v_or_b32_e32 v5, 0x70000000, v5
	v_add_f32_e32 v6, -0.5, v6
	v_mul_f32_e32 v5, 0x7800000, v5
	v_cmp_gt_u32_e32 vcc, s3, v3
	v_bfe_i32 v4, v4, 0, 16
	v_cndmask_b32_e32 v3, v5, v6, vcc
	v_and_or_b32 v3, v4, s8, v3
	v_trunc_f32_e32 v3, v3
	v_mul_f32_e64 v4, |v3|, s9
	v_floor_f32_e32 v4, v4
	v_fma_f32 v5, v4, s10, |v3|
	v_cvt_u32_f32_e32 v5, v5
	v_cvt_u32_f32_e32 v4, v4
	v_ashrrev_i32_e32 v6, 31, v3
	v_xor_b32_e32 v3, v5, v6
	v_xor_b32_e32 v4, v4, v6
	v_sub_co_u32_e32 v3, vcc, v3, v6
	v_subb_co_u32_e32 v4, vcc, v4, v6, vcc
.LBB55_936:
	s_mov_b64 s[2:3], 0
	s_mov_b64 s[8:9], -1
.LBB55_937:
	s_andn2_b64 vcc, exec, s[2:3]
	s_mov_b64 s[2:3], 0
	s_cbranch_vccnz .LBB55_946
; %bb.938:
	s_cmp_gt_i32 s12, 14
	s_cbranch_scc0 .LBB55_941
; %bb.939:
	s_cmp_eq_u32 s12, 15
	s_cbranch_scc0 .LBB55_942
; %bb.940:
	global_load_ushort v3, v[1:2], off
	s_mov_b32 s0, 0x2f800000
	s_mov_b32 s1, 0xcf800000
	s_mov_b64 s[8:9], -1
	s_waitcnt vmcnt(0)
	v_lshlrev_b32_e32 v3, 16, v3
	v_trunc_f32_e32 v3, v3
	v_mul_f32_e64 v4, |v3|, s0
	v_floor_f32_e32 v4, v4
	v_fma_f32 v5, v4, s1, |v3|
	v_cvt_u32_f32_e32 v5, v5
	v_cvt_u32_f32_e32 v4, v4
	v_ashrrev_i32_e32 v6, 31, v3
	s_mov_b64 s[0:1], 0
	v_xor_b32_e32 v3, v5, v6
	v_xor_b32_e32 v4, v4, v6
	v_sub_co_u32_e32 v3, vcc, v3, v6
	v_subb_co_u32_e32 v4, vcc, v4, v6, vcc
	s_branch .LBB55_943
.LBB55_941:
	s_mov_b64 s[10:11], -1
                                        ; implicit-def: $vgpr3_vgpr4
	s_branch .LBB55_944
.LBB55_942:
	s_mov_b64 s[0:1], -1
                                        ; implicit-def: $vgpr3_vgpr4
.LBB55_943:
	s_mov_b64 s[10:11], 0
.LBB55_944:
	s_and_b64 vcc, exec, s[10:11]
	s_cbranch_vccz .LBB55_946
; %bb.945:
	s_cmp_lg_u32 s12, 11
	s_cselect_b64 s[10:11], -1, 0
	s_andn2_b64 s[0:1], s[0:1], exec
	s_and_b64 s[10:11], s[10:11], exec
	s_mov_b64 s[2:3], -1
	s_or_b64 s[0:1], s[0:1], s[10:11]
.LBB55_946:
	s_mov_b64 s[12:13], 0
.LBB55_947:
	s_and_b64 s[10:11], s[8:9], exec
	s_and_b64 s[8:9], s[12:13], exec
	s_andn2_b64 s[12:13], s[68:69], exec
	s_and_b64 s[0:1], s[0:1], exec
	s_and_b64 s[2:3], s[2:3], exec
	s_or_b64 s[12:13], s[12:13], s[0:1]
.LBB55_948:
	s_or_b64 exec, exec, s[72:73]
	s_and_b64 s[0:1], s[2:3], exec
	s_andn2_b64 s[2:3], s[68:69], exec
	s_and_b64 s[12:13], s[12:13], exec
	s_and_b64 s[10:11], s[10:11], exec
	;; [unrolled: 1-line block ×3, first 2 shown]
	s_or_b64 s[68:69], s[2:3], s[12:13]
.LBB55_949:
	s_or_b64 exec, exec, s[66:67]
	s_andn2_b64 s[2:3], s[62:63], exec
	s_and_b64 s[12:13], s[70:71], exec
	s_or_b64 s[62:63], s[2:3], s[12:13]
	s_and_b64 s[2:3], s[0:1], exec
	s_andn2_b64 s[0:1], s[60:61], exec
	s_and_b64 s[12:13], s[68:69], exec
	s_and_b64 s[10:11], s[10:11], exec
	;; [unrolled: 1-line block ×3, first 2 shown]
	s_or_b64 s[60:61], s[0:1], s[12:13]
.LBB55_950:
	s_or_b64 exec, exec, s[64:65]
	s_andn2_b64 s[0:1], s[54:55], exec
	s_and_b64 s[12:13], s[62:63], exec
	s_or_b64 s[54:55], s[0:1], s[12:13]
	s_and_b64 s[0:1], s[10:11], exec
	s_and_b64 s[10:11], s[8:9], exec
	;; [unrolled: 1-line block ×3, first 2 shown]
	s_andn2_b64 s[2:3], s[56:57], exec
	s_and_b64 s[8:9], s[60:61], exec
	s_or_b64 s[56:57], s[2:3], s[8:9]
	s_or_b64 exec, exec, s[58:59]
	s_mov_b64 s[2:3], 0
	s_and_saveexec_b64 s[8:9], s[56:57]
	s_cbranch_execz .LBB55_286
.LBB55_951:
	s_mov_b64 s[2:3], exec
	s_andn2_b64 s[62:63], s[62:63], exec
	s_trap 2
	s_or_b64 exec, exec, s[8:9]
	s_and_saveexec_b64 s[8:9], s[62:63]
	s_xor_b64 s[8:9], exec, s[8:9]
	s_cbranch_execnz .LBB55_287
.LBB55_952:
	s_or_b64 exec, exec, s[8:9]
	s_and_saveexec_b64 s[8:9], s[10:11]
	s_cbranch_execz .LBB55_998
.LBB55_953:
	s_sext_i32_i16 s10, s77
	s_cmp_lt_i32 s10, 5
	s_cbranch_scc1 .LBB55_958
; %bb.954:
	s_cmp_lt_i32 s10, 8
	s_cbranch_scc1 .LBB55_959
; %bb.955:
	;; [unrolled: 3-line block ×3, first 2 shown]
	s_cmp_gt_i32 s10, 9
	s_cbranch_scc0 .LBB55_961
; %bb.957:
	global_load_dwordx2 v[3:4], v[1:2], off
	s_movk_i32 s10, 0xffe0
	s_waitcnt vmcnt(0)
	v_trunc_f64_e32 v[3:4], v[3:4]
	v_ldexp_f64 v[5:6], v[3:4], s10
	s_mov_b32 s10, 0
	s_mov_b32 s11, 0xc1f00000
	v_floor_f64_e32 v[5:6], v[5:6]
	v_fma_f64 v[7:8], v[5:6], s[10:11], v[3:4]
	v_cvt_i32_f64_e32 v4, v[5:6]
	s_mov_b64 s[10:11], 0
	v_cvt_u32_f64_e32 v3, v[7:8]
	s_branch .LBB55_962
.LBB55_958:
                                        ; implicit-def: $vgpr3_vgpr4
	s_branch .LBB55_979
.LBB55_959:
                                        ; implicit-def: $vgpr3_vgpr4
	s_branch .LBB55_968
.LBB55_960:
	s_mov_b64 s[10:11], -1
                                        ; implicit-def: $vgpr3_vgpr4
	s_branch .LBB55_965
.LBB55_961:
	s_mov_b64 s[10:11], -1
                                        ; implicit-def: $vgpr3_vgpr4
.LBB55_962:
	s_andn2_b64 vcc, exec, s[10:11]
	s_cbranch_vccnz .LBB55_964
; %bb.963:
	global_load_dword v3, v[1:2], off
	s_mov_b32 s10, 0x2f800000
	s_mov_b32 s11, 0xcf800000
	s_waitcnt vmcnt(0)
	v_trunc_f32_e32 v3, v3
	v_mul_f32_e64 v4, |v3|, s10
	v_floor_f32_e32 v4, v4
	v_cvt_u32_f32_e32 v5, v4
	v_fma_f32 v4, v4, s11, |v3|
	v_cvt_u32_f32_e32 v4, v4
	v_ashrrev_i32_e32 v6, 31, v3
	v_xor_b32_e32 v5, v5, v6
	v_xor_b32_e32 v3, v4, v6
	v_sub_co_u32_e32 v3, vcc, v3, v6
	v_subb_co_u32_e32 v4, vcc, v5, v6, vcc
.LBB55_964:
	s_mov_b64 s[10:11], 0
.LBB55_965:
	s_andn2_b64 vcc, exec, s[10:11]
	s_cbranch_vccnz .LBB55_967
; %bb.966:
	global_load_dword v3, v[1:2], off
	s_waitcnt vmcnt(0)
	v_cvt_f32_f16_e32 v3, v3
	v_cvt_i32_f32_e32 v3, v3
	v_ashrrev_i32_e32 v4, 31, v3
.LBB55_967:
	s_cbranch_execnz .LBB55_978
.LBB55_968:
	s_sext_i32_i16 s10, s77
	s_cmp_lt_i32 s10, 6
	s_cbranch_scc1 .LBB55_971
; %bb.969:
	s_cmp_gt_i32 s10, 6
	s_cbranch_scc0 .LBB55_972
; %bb.970:
	global_load_dwordx2 v[3:4], v[1:2], off
	s_movk_i32 s10, 0xffe0
	s_waitcnt vmcnt(0)
	v_trunc_f64_e32 v[3:4], v[3:4]
	v_ldexp_f64 v[5:6], v[3:4], s10
	s_mov_b32 s10, 0
	s_mov_b32 s11, 0xc1f00000
	v_floor_f64_e32 v[5:6], v[5:6]
	v_fma_f64 v[7:8], v[5:6], s[10:11], v[3:4]
	v_cvt_i32_f64_e32 v4, v[5:6]
	s_mov_b64 s[10:11], 0
	v_cvt_u32_f64_e32 v3, v[7:8]
	s_branch .LBB55_973
.LBB55_971:
	s_mov_b64 s[10:11], -1
                                        ; implicit-def: $vgpr3_vgpr4
	s_branch .LBB55_976
.LBB55_972:
	s_mov_b64 s[10:11], -1
                                        ; implicit-def: $vgpr3_vgpr4
.LBB55_973:
	s_andn2_b64 vcc, exec, s[10:11]
	s_cbranch_vccnz .LBB55_975
; %bb.974:
	global_load_dword v3, v[1:2], off
	s_mov_b32 s10, 0x2f800000
	s_mov_b32 s11, 0xcf800000
	s_waitcnt vmcnt(0)
	v_trunc_f32_e32 v3, v3
	v_mul_f32_e64 v4, |v3|, s10
	v_floor_f32_e32 v4, v4
	v_cvt_u32_f32_e32 v5, v4
	v_fma_f32 v4, v4, s11, |v3|
	v_cvt_u32_f32_e32 v4, v4
	v_ashrrev_i32_e32 v6, 31, v3
	v_xor_b32_e32 v5, v5, v6
	v_xor_b32_e32 v3, v4, v6
	v_sub_co_u32_e32 v3, vcc, v3, v6
	v_subb_co_u32_e32 v4, vcc, v5, v6, vcc
.LBB55_975:
	s_mov_b64 s[10:11], 0
.LBB55_976:
	s_andn2_b64 vcc, exec, s[10:11]
	s_cbranch_vccnz .LBB55_978
; %bb.977:
	global_load_ushort v3, v[1:2], off
	s_waitcnt vmcnt(0)
	v_cvt_f32_f16_e32 v3, v3
	v_cvt_i32_f32_e32 v3, v3
	v_ashrrev_i32_e32 v4, 31, v3
.LBB55_978:
	s_cbranch_execnz .LBB55_997
.LBB55_979:
	s_sext_i32_i16 s10, s77
	s_cmp_lt_i32 s10, 2
	s_cbranch_scc1 .LBB55_983
; %bb.980:
	s_cmp_lt_i32 s10, 3
	s_cbranch_scc1 .LBB55_984
; %bb.981:
	s_cmp_gt_i32 s10, 3
	s_cbranch_scc0 .LBB55_985
; %bb.982:
	global_load_dwordx2 v[3:4], v[1:2], off
	s_mov_b64 s[10:11], 0
	s_branch .LBB55_986
.LBB55_983:
                                        ; implicit-def: $vgpr3_vgpr4
	s_branch .LBB55_992
.LBB55_984:
	s_mov_b64 s[10:11], -1
                                        ; implicit-def: $vgpr3_vgpr4
	s_branch .LBB55_989
.LBB55_985:
	s_mov_b64 s[10:11], -1
                                        ; implicit-def: $vgpr3_vgpr4
.LBB55_986:
	s_andn2_b64 vcc, exec, s[10:11]
	s_cbranch_vccnz .LBB55_988
; %bb.987:
	global_load_dword v3, v[1:2], off
	s_waitcnt vmcnt(0)
	v_ashrrev_i32_e32 v4, 31, v3
.LBB55_988:
	s_mov_b64 s[10:11], 0
.LBB55_989:
	s_andn2_b64 vcc, exec, s[10:11]
	s_cbranch_vccnz .LBB55_991
; %bb.990:
	global_load_ushort v3, v[1:2], off
	s_waitcnt vmcnt(0)
	v_bfe_i32 v3, v3, 0, 16
	v_ashrrev_i32_e32 v4, 31, v3
.LBB55_991:
	s_cbranch_execnz .LBB55_997
.LBB55_992:
	s_sext_i32_i16 s10, s77
	s_cmp_gt_i32 s10, 0
	s_cbranch_scc0 .LBB55_994
; %bb.993:
	global_load_sbyte v3, v[1:2], off
	s_mov_b64 s[10:11], 0
	s_waitcnt vmcnt(0)
	v_bfe_i32 v3, v3, 0, 16
	v_ashrrev_i32_e32 v4, 31, v3
	s_branch .LBB55_995
.LBB55_994:
	s_mov_b64 s[10:11], -1
                                        ; implicit-def: $vgpr3_vgpr4
.LBB55_995:
	s_andn2_b64 vcc, exec, s[10:11]
	s_cbranch_vccnz .LBB55_997
; %bb.996:
	global_load_ubyte v1, v[1:2], off
	s_mov_b32 s10, 0
	s_waitcnt vmcnt(1)
	v_mov_b32_e32 v4, s10
	s_waitcnt vmcnt(0)
	v_and_b32_e32 v3, 0xffff, v1
.LBB55_997:
	s_or_b64 s[0:1], s[0:1], exec
.LBB55_998:
	s_or_b64 exec, exec, s[8:9]
	s_mov_b64 s[14:15], 0
	s_mov_b64 s[12:13], 0
                                        ; implicit-def: $sgpr8_sgpr9
                                        ; implicit-def: $sgpr20
                                        ; implicit-def: $vgpr1_vgpr2
	s_and_saveexec_b64 s[10:11], s[0:1]
	s_cbranch_execz .LBB55_1003
; %bb.999:
	s_cmp_lt_i32 s76, 1
	s_mov_b64 s[0:1], 0
	s_cbranch_scc1 .LBB55_1006
; %bb.1000:
	s_cmp_gt_i32 s76, 1
	s_cbranch_scc0 .LBB55_1007
; %bb.1001:
	s_cmp_eq_u32 s76, 2
	s_cbranch_scc0 .LBB55_1008
; %bb.1002:
	s_waitcnt vmcnt(0)
	v_cmp_ge_i64_e64 s[8:9], s[44:45], v[3:4]
	s_branch .LBB55_1010
.LBB55_1003:
	s_or_b64 exec, exec, s[10:11]
	s_and_saveexec_b64 s[0:1], s[54:55]
	s_cbranch_execnz .LBB55_1095
.LBB55_1004:
	s_or_b64 exec, exec, s[0:1]
	s_and_saveexec_b64 s[0:1], s[14:15]
	s_xor_b64 s[0:1], exec, s[0:1]
	s_cbranch_execz .LBB55_1096
.LBB55_1005:
	v_cndmask_b32_e64 v0, 0, 1, s[8:9]
	global_store_byte v[1:2], v0, off
	s_or_b64 exec, exec, s[0:1]
	s_and_saveexec_b64 s[0:1], s[12:13]
	s_xor_b64 s[0:1], exec, s[0:1]
	s_cbranch_execz .LBB55_1134
	s_branch .LBB55_1097
.LBB55_1006:
                                        ; implicit-def: $sgpr8_sgpr9
	s_cbranch_execnz .LBB55_1013
	s_branch .LBB55_1014
.LBB55_1007:
	s_mov_b64 s[14:15], -1
	s_branch .LBB55_1009
.LBB55_1008:
	s_mov_b64 s[12:13], -1
.LBB55_1009:
                                        ; implicit-def: $sgpr8_sgpr9
.LBB55_1010:
	s_and_b64 vcc, exec, s[14:15]
	s_cbranch_vccz .LBB55_1012
; %bb.1011:
	s_waitcnt vmcnt(0)
	v_cmp_lt_i64_e32 vcc, s[44:45], v[3:4]
	s_andn2_b64 s[8:9], s[8:9], exec
	s_and_b64 s[14:15], vcc, exec
	s_or_b64 s[8:9], s[8:9], s[14:15]
.LBB55_1012:
	s_branch .LBB55_1014
.LBB55_1013:
	s_cmp_lg_u32 s76, 0
	s_mov_b64 s[0:1], -1
	s_cselect_b64 s[12:13], -1, 0
.LBB55_1014:
	s_andn2_b64 vcc, exec, s[12:13]
	s_cbranch_vccnz .LBB55_1016
; %bb.1015:
	s_waitcnt vmcnt(0)
	v_cmp_gt_i64_e32 vcc, s[44:45], v[3:4]
	s_andn2_b64 s[8:9], s[8:9], exec
	s_and_b64 s[12:13], vcc, exec
	s_or_b64 s[8:9], s[8:9], s[12:13]
	s_cbranch_execz .LBB55_1017
	s_branch .LBB55_1018
.LBB55_1016:
	s_andn2_b64 vcc, exec, s[0:1]
	s_cbranch_vccnz .LBB55_1018
.LBB55_1017:
	s_waitcnt vmcnt(0)
	v_cmp_le_i64_e32 vcc, s[44:45], v[3:4]
	s_andn2_b64 s[0:1], s[8:9], exec
	s_and_b64 s[8:9], vcc, exec
	s_or_b64 s[8:9], s[0:1], s[8:9]
.LBB55_1018:
	v_mov_b32_e32 v2, s25
	s_and_b32 s20, s75, 0xff
	v_add_co_u32_e32 v1, vcc, s24, v0
	s_cmp_lt_i32 s20, 11
	v_addc_co_u32_e32 v2, vcc, 0, v2, vcc
	s_cbranch_scc1 .LBB55_1092
; %bb.1019:
	s_and_b32 s21, 0xffff, s20
	s_mov_b64 s[14:15], -1
	s_cmp_gt_i32 s21, 25
	s_mov_b64 s[0:1], s[54:55]
	s_cbranch_scc0 .LBB55_1052
; %bb.1020:
	s_mov_b64 s[12:13], -1
	s_cmp_gt_i32 s21, 28
	s_mov_b64 s[0:1], s[54:55]
	s_cbranch_scc0 .LBB55_1036
; %bb.1021:
	s_cmp_gt_i32 s21, 43
	s_mov_b64 s[0:1], s[54:55]
	s_cbranch_scc0 .LBB55_1032
; %bb.1022:
	;; [unrolled: 4-line block ×3, first 2 shown]
	s_cmp_eq_u32 s21, 46
	s_mov_b64 s[0:1], -1
	s_cbranch_scc0 .LBB55_1025
; %bb.1024:
	v_cndmask_b32_e64 v0, 0, 1.0, s[8:9]
	s_waitcnt vmcnt(0)
	v_bfe_u32 v3, v0, 16, 1
	s_movk_i32 s0, 0x7fff
	v_add3_u32 v0, v0, v3, s0
	v_lshrrev_b32_e32 v0, 16, v0
	global_store_dword v[1:2], v0, off
	s_mov_b64 s[0:1], 0
.LBB55_1025:
	s_mov_b64 s[12:13], 0
.LBB55_1026:
	s_and_b64 vcc, exec, s[12:13]
	s_cbranch_vccz .LBB55_1031
; %bb.1027:
	s_cmp_eq_u32 s21, 44
	s_mov_b64 s[0:1], -1
	s_cbranch_scc0 .LBB55_1031
; %bb.1028:
	s_waitcnt vmcnt(0)
	v_cndmask_b32_e64 v3, 0, 1.0, s[8:9]
	v_lshrrev_b32_e32 v0, 23, v3
	s_movk_i32 s0, 0xff
	v_cmp_ne_u32_e32 vcc, s0, v0
	v_mov_b32_e32 v4, 0xff
	s_and_saveexec_b64 s[12:13], vcc
; %bb.1029:
	s_mov_b32 s0, 0x3fffff
	v_and_b32_e32 v4, 0x400000, v3
	v_and_or_b32 v3, v3, s0, v0
	v_cmp_ne_u32_e32 vcc, 0, v4
	v_cmp_ne_u32_e64 s[0:1], 0, v3
	s_and_b64 s[0:1], vcc, s[0:1]
	v_cndmask_b32_e64 v3, 0, 1, s[0:1]
	v_add_u32_e32 v4, v0, v3
; %bb.1030:
	s_or_b64 exec, exec, s[12:13]
	s_mov_b64 s[0:1], 0
	global_store_byte v[1:2], v4, off
.LBB55_1031:
	s_mov_b64 s[12:13], 0
.LBB55_1032:
	s_and_b64 vcc, exec, s[12:13]
	s_cbranch_vccz .LBB55_1035
; %bb.1033:
	s_cmp_eq_u32 s21, 29
	s_mov_b64 s[0:1], -1
	s_cbranch_scc0 .LBB55_1035
; %bb.1034:
	s_mov_b32 s0, 0
	s_waitcnt vmcnt(0)
	v_cndmask_b32_e64 v3, 0, 1, s[8:9]
	v_mov_b32_e32 v4, s0
	global_store_dwordx2 v[1:2], v[3:4], off
	s_mov_b64 s[0:1], 0
.LBB55_1035:
	s_mov_b64 s[12:13], 0
.LBB55_1036:
	s_and_b64 vcc, exec, s[12:13]
	s_cbranch_vccz .LBB55_1051
; %bb.1037:
	s_cmp_lt_i32 s21, 27
	s_mov_b64 s[12:13], -1
	s_cbranch_scc1 .LBB55_1043
; %bb.1038:
	s_cmp_gt_i32 s21, 27
	s_cbranch_scc0 .LBB55_1040
; %bb.1039:
	v_cndmask_b32_e64 v0, 0, 1, s[8:9]
	s_mov_b64 s[12:13], 0
	global_store_dword v[1:2], v0, off
.LBB55_1040:
	s_andn2_b64 vcc, exec, s[12:13]
	s_cbranch_vccnz .LBB55_1042
; %bb.1041:
	v_cndmask_b32_e64 v0, 0, 1, s[8:9]
	global_store_short v[1:2], v0, off
.LBB55_1042:
	s_mov_b64 s[12:13], 0
.LBB55_1043:
	s_andn2_b64 vcc, exec, s[12:13]
	s_cbranch_vccnz .LBB55_1051
; %bb.1044:
	s_waitcnt vmcnt(0)
	v_cndmask_b32_e64 v3, 0, 1.0, s[8:9]
	s_mov_b32 s12, 0x43800000
	v_cmp_gt_u32_e32 vcc, s12, v3
	v_mov_b32_e32 v4, 0x80
	s_and_saveexec_b64 s[12:13], vcc
	s_cbranch_execz .LBB55_1050
; %bb.1045:
	s_mov_b32 s14, 0x3bffffff
	v_cmp_lt_u32_e32 vcc, s14, v3
	s_mov_b64 s[14:15], 0
                                        ; implicit-def: $vgpr0
	s_and_saveexec_b64 s[16:17], vcc
	s_xor_b64 s[16:17], exec, s[16:17]
	s_cbranch_execz .LBB55_1205
; %bb.1046:
	v_bfe_u32 v0, v3, 20, 1
	s_mov_b32 s18, 0x487ffff
	v_add3_u32 v0, v3, v0, s18
	s_mov_b64 s[14:15], exec
	v_lshrrev_b32_e32 v0, 20, v0
                                        ; implicit-def: $vgpr3
	s_andn2_saveexec_b64 s[16:17], s[16:17]
	s_cbranch_execnz .LBB55_1206
.LBB55_1047:
	s_or_b64 exec, exec, s[16:17]
	v_mov_b32_e32 v4, 0
	s_and_saveexec_b64 s[16:17], s[14:15]
.LBB55_1048:
	v_mov_b32_e32 v4, v0
.LBB55_1049:
	s_or_b64 exec, exec, s[16:17]
.LBB55_1050:
	s_or_b64 exec, exec, s[12:13]
	global_store_byte v[1:2], v4, off
.LBB55_1051:
	s_mov_b64 s[14:15], 0
.LBB55_1052:
	s_mov_b64 s[12:13], 0
	s_and_b64 vcc, exec, s[14:15]
	s_cbranch_vccz .LBB55_1093
; %bb.1053:
	s_cmp_gt_i32 s21, 22
	s_mov_b64 s[14:15], -1
	s_cbranch_scc0 .LBB55_1085
; %bb.1054:
	s_cmp_lt_i32 s21, 24
	s_cbranch_scc1 .LBB55_1074
; %bb.1055:
	s_cmp_gt_i32 s21, 24
	s_cbranch_scc0 .LBB55_1063
; %bb.1056:
	s_waitcnt vmcnt(0)
	v_cndmask_b32_e64 v3, 0, 1.0, s[8:9]
	s_mov_b32 s14, 0x47800000
	v_cmp_gt_u32_e32 vcc, s14, v3
	v_mov_b32_e32 v4, 0x80
	s_and_saveexec_b64 s[14:15], vcc
	s_cbranch_execz .LBB55_1062
; %bb.1057:
	s_mov_b32 s16, 0x37ffffff
	v_cmp_lt_u32_e32 vcc, s16, v3
	s_mov_b64 s[16:17], 0
                                        ; implicit-def: $vgpr0
	s_and_saveexec_b64 s[18:19], vcc
	s_xor_b64 s[18:19], exec, s[18:19]
	s_cbranch_execz .LBB55_1340
; %bb.1058:
	v_bfe_u32 v0, v3, 21, 1
	s_mov_b32 s22, 0x88fffff
	v_add3_u32 v0, v3, v0, s22
	s_mov_b64 s[16:17], exec
	v_lshrrev_b32_e32 v0, 21, v0
                                        ; implicit-def: $vgpr3
	s_andn2_saveexec_b64 s[18:19], s[18:19]
	s_cbranch_execnz .LBB55_1341
.LBB55_1059:
	s_or_b64 exec, exec, s[18:19]
	v_mov_b32_e32 v4, 0
	s_and_saveexec_b64 s[18:19], s[16:17]
.LBB55_1060:
	v_mov_b32_e32 v4, v0
.LBB55_1061:
	s_or_b64 exec, exec, s[18:19]
.LBB55_1062:
	s_or_b64 exec, exec, s[14:15]
	s_mov_b64 s[14:15], 0
	global_store_byte v[1:2], v4, off
.LBB55_1063:
	s_and_b64 vcc, exec, s[14:15]
	s_cbranch_vccz .LBB55_1073
; %bb.1064:
	v_cndmask_b32_e64 v0, 0, 1.0, s[8:9]
	s_mov_b32 s14, 0x43f00000
	v_cmp_gt_u32_e32 vcc, s14, v0
                                        ; implicit-def: $vgpr3
	s_and_saveexec_b64 s[14:15], vcc
	s_xor_b64 s[14:15], exec, s[14:15]
	s_cbranch_execz .LBB55_1070
; %bb.1065:
	s_mov_b32 s16, 0x3c7fffff
	v_cmp_lt_u32_e32 vcc, s16, v0
                                        ; implicit-def: $vgpr3
	s_and_saveexec_b64 s[16:17], vcc
	s_xor_b64 s[16:17], exec, s[16:17]
	s_cbranch_execz .LBB55_1067
; %bb.1066:
	s_waitcnt vmcnt(0)
	v_bfe_u32 v3, v0, 20, 1
	s_mov_b32 s18, 0x407ffff
	v_add3_u32 v0, v0, v3, s18
	v_lshrrev_b32_e32 v3, 20, v0
	v_and_b32_e32 v0, 0xff00000, v0
	s_mov_b32 s18, 0x7f00000
	v_mov_b32_e32 v4, 0x7e
	v_cmp_ne_u32_e32 vcc, s18, v0
	v_cndmask_b32_e32 v3, v4, v3, vcc
                                        ; implicit-def: $vgpr0
.LBB55_1067:
	s_andn2_saveexec_b64 s[16:17], s[16:17]
	s_cbranch_execz .LBB55_1069
; %bb.1068:
	s_waitcnt vmcnt(0)
	v_add_f32_e32 v3, 0x46800000, v0
.LBB55_1069:
	s_or_b64 exec, exec, s[16:17]
                                        ; implicit-def: $vgpr0
.LBB55_1070:
	s_andn2_saveexec_b64 s[14:15], s[14:15]
	s_cbranch_execz .LBB55_1072
; %bb.1071:
	s_mov_b32 s16, 0x7f800000
	s_waitcnt vmcnt(0)
	v_mov_b32_e32 v3, 0x7e
	v_mov_b32_e32 v4, 0x7f
	v_cmp_lt_u32_e32 vcc, s16, v0
	v_cndmask_b32_e32 v3, v3, v4, vcc
.LBB55_1072:
	s_or_b64 exec, exec, s[14:15]
	s_waitcnt vmcnt(0)
	global_store_byte v[1:2], v3, off
.LBB55_1073:
	s_mov_b64 s[14:15], 0
.LBB55_1074:
	s_andn2_b64 vcc, exec, s[14:15]
	s_cbranch_vccnz .LBB55_1084
; %bb.1075:
	v_cndmask_b32_e64 v0, 0, 1.0, s[8:9]
	s_mov_b32 s14, 0x47800000
	v_cmp_gt_u32_e32 vcc, s14, v0
                                        ; implicit-def: $vgpr3
	s_and_saveexec_b64 s[14:15], vcc
	s_xor_b64 s[14:15], exec, s[14:15]
	s_cbranch_execz .LBB55_1081
; %bb.1076:
	s_mov_b32 s16, 0x387fffff
	v_cmp_lt_u32_e32 vcc, s16, v0
                                        ; implicit-def: $vgpr3
	s_and_saveexec_b64 s[16:17], vcc
	s_xor_b64 s[16:17], exec, s[16:17]
	s_cbranch_execz .LBB55_1078
; %bb.1077:
	s_waitcnt vmcnt(0)
	v_bfe_u32 v3, v0, 21, 1
	s_mov_b32 s18, 0x80fffff
	v_add3_u32 v0, v0, v3, s18
	v_lshrrev_b32_e32 v3, 21, v0
                                        ; implicit-def: $vgpr0
.LBB55_1078:
	s_andn2_saveexec_b64 s[16:17], s[16:17]
	s_cbranch_execz .LBB55_1080
; %bb.1079:
	s_waitcnt vmcnt(0)
	v_add_f32_e32 v3, 0x43000000, v0
.LBB55_1080:
	s_or_b64 exec, exec, s[16:17]
                                        ; implicit-def: $vgpr0
.LBB55_1081:
	s_andn2_saveexec_b64 s[14:15], s[14:15]
	s_cbranch_execz .LBB55_1083
; %bb.1082:
	s_mov_b32 s16, 0x7f800000
	s_waitcnt vmcnt(0)
	v_mov_b32_e32 v3, 0x7c
	v_mov_b32_e32 v4, 0x7f
	v_cmp_lt_u32_e32 vcc, s16, v0
	v_cndmask_b32_e32 v3, v3, v4, vcc
.LBB55_1083:
	s_or_b64 exec, exec, s[14:15]
	s_waitcnt vmcnt(0)
	global_store_byte v[1:2], v3, off
.LBB55_1084:
	s_mov_b64 s[14:15], 0
.LBB55_1085:
	s_andn2_b64 vcc, exec, s[14:15]
	s_mov_b64 s[14:15], 0
	s_cbranch_vccnz .LBB55_1094
; %bb.1086:
	s_cmp_gt_i32 s21, 14
	s_mov_b64 s[16:17], -1
	s_cbranch_scc0 .LBB55_1090
; %bb.1087:
	s_cmp_eq_u32 s21, 15
	s_mov_b64 s[0:1], -1
	s_cbranch_scc0 .LBB55_1089
; %bb.1088:
	v_cndmask_b32_e64 v0, 0, 1.0, s[8:9]
	s_waitcnt vmcnt(0)
	v_bfe_u32 v3, v0, 16, 1
	s_movk_i32 s0, 0x7fff
	v_add3_u32 v0, v0, v3, s0
	global_store_short_d16_hi v[1:2], v0, off
	s_mov_b64 s[0:1], 0
.LBB55_1089:
	s_mov_b64 s[16:17], 0
.LBB55_1090:
	s_and_b64 vcc, exec, s[16:17]
	s_cbranch_vccz .LBB55_1094
; %bb.1091:
	s_cmp_lg_u32 s21, 11
	s_cselect_b64 s[16:17], -1, 0
	s_andn2_b64 s[0:1], s[0:1], exec
	s_and_b64 s[16:17], s[16:17], exec
	s_mov_b64 s[14:15], -1
	s_or_b64 s[0:1], s[0:1], s[16:17]
	s_branch .LBB55_1094
.LBB55_1092:
	s_mov_b64 s[14:15], 0
	s_mov_b64 s[12:13], -1
	s_mov_b64 s[0:1], s[54:55]
	s_branch .LBB55_1094
.LBB55_1093:
	s_mov_b64 s[14:15], 0
.LBB55_1094:
	s_andn2_b64 s[16:17], s[54:55], exec
	s_and_b64 s[0:1], s[0:1], exec
	s_and_b64 s[12:13], s[12:13], exec
	;; [unrolled: 1-line block ×3, first 2 shown]
	s_or_b64 s[54:55], s[16:17], s[0:1]
	s_or_b64 exec, exec, s[10:11]
	s_and_saveexec_b64 s[0:1], s[54:55]
	s_cbranch_execz .LBB55_1004
.LBB55_1095:
	s_or_b64 s[2:3], s[2:3], exec
	s_andn2_b64 s[14:15], s[14:15], exec
	s_trap 2
	s_or_b64 exec, exec, s[0:1]
	s_and_saveexec_b64 s[0:1], s[14:15]
	s_xor_b64 s[0:1], exec, s[0:1]
	s_cbranch_execnz .LBB55_1005
.LBB55_1096:
	s_or_b64 exec, exec, s[0:1]
	s_and_saveexec_b64 s[0:1], s[12:13]
	s_xor_b64 s[0:1], exec, s[0:1]
	s_cbranch_execz .LBB55_1134
.LBB55_1097:
	s_sext_i32_i16 s12, s20
	s_cmp_lt_i32 s12, 5
	s_mov_b64 s[10:11], -1
	s_cbranch_scc1 .LBB55_1118
; %bb.1098:
	s_cmp_lt_i32 s12, 8
	s_cbranch_scc1 .LBB55_1108
; %bb.1099:
	s_cmp_lt_i32 s12, 9
	s_cbranch_scc1 .LBB55_1105
; %bb.1100:
	s_cmp_gt_i32 s12, 9
	s_cbranch_scc0 .LBB55_1102
; %bb.1101:
	v_cndmask_b32_e64 v0, 0, 1, s[8:9]
	s_waitcnt vmcnt(0)
	v_cvt_f64_u32_e32 v[3:4], v0
	v_mov_b32_e32 v5, 0
	v_mov_b32_e32 v6, v5
	s_mov_b64 s[10:11], 0
	global_store_dwordx4 v[1:2], v[3:6], off
.LBB55_1102:
	s_andn2_b64 vcc, exec, s[10:11]
	s_cbranch_vccnz .LBB55_1104
; %bb.1103:
	s_waitcnt vmcnt(0)
	v_cndmask_b32_e64 v3, 0, 1.0, s[8:9]
	v_mov_b32_e32 v4, 0
	global_store_dwordx2 v[1:2], v[3:4], off
.LBB55_1104:
	s_mov_b64 s[10:11], 0
.LBB55_1105:
	s_andn2_b64 vcc, exec, s[10:11]
	s_cbranch_vccnz .LBB55_1107
; %bb.1106:
	v_cndmask_b32_e64 v0, 0, 1.0, s[8:9]
	v_cvt_f16_f32_e32 v0, v0
	global_store_dword v[1:2], v0, off
.LBB55_1107:
	s_mov_b64 s[10:11], 0
.LBB55_1108:
	s_andn2_b64 vcc, exec, s[10:11]
	s_cbranch_vccnz .LBB55_1117
; %bb.1109:
	s_sext_i32_i16 s12, s20
	s_cmp_lt_i32 s12, 6
	s_mov_b64 s[10:11], -1
	s_cbranch_scc1 .LBB55_1115
; %bb.1110:
	s_cmp_gt_i32 s12, 6
	s_cbranch_scc0 .LBB55_1112
; %bb.1111:
	v_cndmask_b32_e64 v0, 0, 1, s[8:9]
	s_waitcnt vmcnt(0)
	v_cvt_f64_u32_e32 v[3:4], v0
	s_mov_b64 s[10:11], 0
	global_store_dwordx2 v[1:2], v[3:4], off
.LBB55_1112:
	s_andn2_b64 vcc, exec, s[10:11]
	s_cbranch_vccnz .LBB55_1114
; %bb.1113:
	v_cndmask_b32_e64 v0, 0, 1.0, s[8:9]
	global_store_dword v[1:2], v0, off
.LBB55_1114:
	s_mov_b64 s[10:11], 0
.LBB55_1115:
	s_andn2_b64 vcc, exec, s[10:11]
	s_cbranch_vccnz .LBB55_1117
; %bb.1116:
	v_cndmask_b32_e64 v0, 0, 1.0, s[8:9]
	v_cvt_f16_f32_e32 v0, v0
	global_store_short v[1:2], v0, off
.LBB55_1117:
	s_mov_b64 s[10:11], 0
.LBB55_1118:
	s_andn2_b64 vcc, exec, s[10:11]
	s_cbranch_vccnz .LBB55_1134
; %bb.1119:
	s_sext_i32_i16 s12, s20
	s_cmp_lt_i32 s12, 2
	s_mov_b64 s[10:11], -1
	s_cbranch_scc1 .LBB55_1129
; %bb.1120:
	s_cmp_lt_i32 s12, 3
	s_cbranch_scc1 .LBB55_1126
; %bb.1121:
	s_cmp_gt_i32 s12, 3
	s_cbranch_scc0 .LBB55_1123
; %bb.1122:
	s_mov_b32 s10, 0
	s_waitcnt vmcnt(0)
	v_cndmask_b32_e64 v3, 0, 1, s[8:9]
	v_mov_b32_e32 v4, s10
	s_mov_b64 s[10:11], 0
	global_store_dwordx2 v[1:2], v[3:4], off
.LBB55_1123:
	s_andn2_b64 vcc, exec, s[10:11]
	s_cbranch_vccnz .LBB55_1125
; %bb.1124:
	v_cndmask_b32_e64 v0, 0, 1, s[8:9]
	global_store_dword v[1:2], v0, off
.LBB55_1125:
	s_mov_b64 s[10:11], 0
.LBB55_1126:
	s_andn2_b64 vcc, exec, s[10:11]
	s_cbranch_vccnz .LBB55_1128
; %bb.1127:
	v_cndmask_b32_e64 v0, 0, 1, s[8:9]
	global_store_short v[1:2], v0, off
.LBB55_1128:
	s_mov_b64 s[10:11], 0
.LBB55_1129:
	s_andn2_b64 vcc, exec, s[10:11]
	s_cbranch_vccnz .LBB55_1134
; %bb.1130:
	s_sext_i32_i16 s10, s20
	s_cmp_gt_i32 s10, 0
	s_mov_b64 s[10:11], -1
	s_cbranch_scc0 .LBB55_1132
; %bb.1131:
	v_cndmask_b32_e64 v0, 0, 1, s[8:9]
	s_mov_b64 s[10:11], 0
	global_store_byte v[1:2], v0, off
.LBB55_1132:
	s_andn2_b64 vcc, exec, s[10:11]
	s_cbranch_vccnz .LBB55_1134
; %bb.1133:
	v_cndmask_b32_e64 v0, 0, 1, s[8:9]
	global_store_byte v[1:2], v0, off
.LBB55_1134:
	s_or_b64 exec, exec, s[0:1]
	s_and_b64 s[28:29], s[2:3], exec
                                        ; implicit-def: $vgpr15
                                        ; implicit-def: $vgpr8
.LBB55_1135:
	s_or_saveexec_b64 s[30:31], s[42:43]
	s_mov_b64 s[0:1], 0
                                        ; implicit-def: $sgpr10_sgpr11
                                        ; implicit-def: $vgpr0_vgpr1
                                        ; implicit-def: $sgpr22
	s_xor_b64 exec, exec, s[30:31]
	s_cbranch_execz .LBB55_1741
; %bb.1136:
	v_cndmask_b32_e64 v0, 0, 1, s[40:41]
	v_cmp_ne_u32_e64 s[0:1], 1, v0
	s_andn2_b64 vcc, exec, s[40:41]
	s_cbranch_vccnz .LBB55_1142
; %bb.1137:
	s_cmp_lg_u32 s33, 0
	s_mov_b32 s36, 0
	s_cbranch_scc0 .LBB55_1143
; %bb.1138:
	s_min_u32 s37, s74, 15
	s_add_i32 s37, s37, 1
	s_cmp_eq_u32 s74, 2
	s_cbranch_scc1 .LBB55_1144
; %bb.1139:
	s_and_b32 s36, s37, 28
	s_add_u32 s2, s34, 0xc4
	s_addc_u32 s3, s35, 0
	v_mov_b32_e32 v13, 0
	s_mov_b32 s38, 0
	s_mov_b64 s[6:7], s[34:35]
	v_mov_b32_e32 v6, 0
	v_mov_b32_e32 v0, v8
.LBB55_1140:                            ; =>This Inner Loop Header: Depth=1
	s_load_dwordx8 s[16:23], s[6:7], 0x4
	s_load_dwordx4 s[24:27], s[6:7], 0x24
	s_load_dwordx8 s[8:15], s[2:3], 0x0
	s_add_u32 s6, s6, 48
	s_addc_u32 s7, s7, 0
	s_waitcnt lgkmcnt(0)
	v_mul_hi_u32 v1, s17, v0
	s_add_i32 s38, s38, 4
	s_add_u32 s2, s2, 32
	s_addc_u32 s3, s3, 0
	v_add_u32_e32 v1, v0, v1
	v_lshrrev_b32_e32 v1, s18, v1
	v_mul_lo_u32 v2, v1, s16
	s_waitcnt vmcnt(0)
	v_mul_hi_u32 v3, s20, v1
	s_cmp_lg_u32 s36, s38
	v_sub_u32_e32 v0, v0, v2
	v_add_u32_e32 v2, v1, v3
	v_mul_lo_u32 v3, v0, s8
	v_mul_lo_u32 v4, v0, s9
	v_lshrrev_b32_e32 v0, s21, v2
	v_mul_lo_u32 v2, v0, s19
	v_mul_hi_u32 v5, s23, v0
	v_sub_u32_e32 v1, v1, v2
	v_add_u32_e32 v2, v0, v5
	v_lshrrev_b32_e32 v2, s24, v2
	v_mul_hi_u32 v7, s26, v2
	v_mul_lo_u32 v9, v2, s22
	v_mul_lo_u32 v5, v1, s10
	;; [unrolled: 1-line block ×3, first 2 shown]
	v_sub_u32_e32 v9, v0, v9
	v_add_u32_e32 v0, v2, v7
	v_lshrrev_b32_e32 v0, s27, v0
	v_mul_lo_u32 v7, v0, s25
	v_mul_lo_u32 v10, v9, s12
	;; [unrolled: 1-line block ×3, first 2 shown]
	v_add3_u32 v3, v3, v6, v5
	v_sub_u32_e32 v2, v2, v7
	v_mul_lo_u32 v7, v2, s14
	v_mul_lo_u32 v2, v2, s15
	v_add3_u32 v1, v4, v13, v1
	v_add3_u32 v6, v10, v3, v7
	;; [unrolled: 1-line block ×3, first 2 shown]
	s_cbranch_scc1 .LBB55_1140
; %bb.1141:
	s_and_b32 s8, s37, 3
	s_cmp_eq_u32 s8, 0
	s_cbranch_scc0 .LBB55_1145
	s_branch .LBB55_1147
.LBB55_1142:
                                        ; implicit-def: $vgpr6
                                        ; implicit-def: $vgpr13
	s_branch .LBB55_1148
.LBB55_1143:
	v_mov_b32_e32 v6, 0
	v_mov_b32_e32 v13, 0
	s_branch .LBB55_1147
.LBB55_1144:
	v_mov_b32_e32 v6, 0
	v_mov_b32_e32 v13, 0
	;; [unrolled: 1-line block ×3, first 2 shown]
	s_and_b32 s8, s37, 3
	s_cmp_eq_u32 s8, 0
	s_cbranch_scc1 .LBB55_1147
.LBB55_1145:
	s_lshl_b32 s2, s36, 3
	s_add_u32 s2, s34, s2
	s_addc_u32 s3, s35, 0
	s_add_u32 s2, s2, 0xc4
	s_addc_u32 s3, s3, 0
	s_mul_i32 s6, s36, 12
	s_add_u32 s6, s34, s6
	s_addc_u32 s7, s35, 0
.LBB55_1146:                            ; =>This Inner Loop Header: Depth=1
	s_load_dwordx2 s[10:11], s[6:7], 0x4
	s_load_dword s9, s[6:7], 0xc
	s_load_dwordx2 s[12:13], s[2:3], 0x0
	s_add_u32 s6, s6, 12
	s_addc_u32 s7, s7, 0
	s_waitcnt lgkmcnt(0)
	v_mul_hi_u32 v1, s11, v0
	s_add_u32 s2, s2, 8
	s_addc_u32 s3, s3, 0
	s_add_i32 s8, s8, -1
	v_add_u32_e32 v1, v0, v1
	v_lshrrev_b32_e32 v1, s9, v1
	v_mul_lo_u32 v2, v1, s10
	s_cmp_lg_u32 s8, 0
	v_sub_u32_e32 v0, v0, v2
	v_mad_u64_u32 v[6:7], s[10:11], v0, s12, v[6:7]
	v_mad_u64_u32 v[13:14], s[10:11], v0, s13, v[13:14]
	v_mov_b32_e32 v0, v1
	s_cbranch_scc1 .LBB55_1146
.LBB55_1147:
	s_cbranch_execnz .LBB55_1150
.LBB55_1148:
	s_load_dwordx4 s[8:11], s[34:35], 0x4
	s_load_dwordx2 s[2:3], s[34:35], 0xc4
	s_cmp_lt_u32 s33, 2
	s_waitcnt lgkmcnt(0)
	v_mul_hi_u32 v0, s9, v8
	v_add_u32_e32 v0, v8, v0
	v_lshrrev_b32_e32 v0, s10, v0
	v_mul_lo_u32 v1, v0, s8
	v_sub_u32_e32 v1, v8, v1
	v_mul_lo_u32 v6, v1, s2
	v_mul_lo_u32 v13, v1, s3
	s_cbranch_scc1 .LBB55_1150
; %bb.1149:
	s_load_dwordx4 s[8:11], s[34:35], 0x10
	s_load_dwordx2 s[2:3], s[34:35], 0xcc
	s_waitcnt lgkmcnt(0)
	v_mul_hi_u32 v1, s9, v0
	v_add_u32_e32 v1, v0, v1
	v_lshrrev_b32_e32 v1, s10, v1
	v_mul_lo_u32 v1, v1, s8
	v_sub_u32_e32 v0, v0, v1
	v_mad_u64_u32 v[6:7], s[6:7], v0, s2, v[6:7]
	v_mad_u64_u32 v[13:14], s[2:3], v0, s3, v[13:14]
.LBB55_1150:
	s_and_b64 vcc, exec, s[0:1]
	v_add_u32_e32 v0, 0x80, v8
	s_cbranch_vccnz .LBB55_1156
; %bb.1151:
	s_cmp_lg_u32 s33, 0
	s_mov_b32 s36, 0
	s_cbranch_scc0 .LBB55_1157
; %bb.1152:
	s_min_u32 s37, s74, 15
	s_add_i32 s37, s37, 1
	s_cmp_eq_u32 s74, 2
	s_cbranch_scc1 .LBB55_1158
; %bb.1153:
	s_and_b32 s36, s37, 28
	s_add_u32 s2, s34, 0xc4
	s_addc_u32 s3, s35, 0
	v_mov_b32_e32 v11, 0
	s_mov_b32 s38, 0
	s_mov_b64 s[6:7], s[34:35]
	s_waitcnt vmcnt(0)
	v_mov_b32_e32 v4, 0
	v_mov_b32_e32 v1, v0
.LBB55_1154:                            ; =>This Inner Loop Header: Depth=1
	s_load_dwordx8 s[16:23], s[6:7], 0x4
	s_load_dwordx4 s[24:27], s[6:7], 0x24
	s_load_dwordx8 s[8:15], s[2:3], 0x0
	s_add_u32 s6, s6, 48
	s_addc_u32 s7, s7, 0
	s_waitcnt lgkmcnt(0)
	v_mul_hi_u32 v2, s17, v1
	s_add_i32 s38, s38, 4
	s_add_u32 s2, s2, 32
	s_addc_u32 s3, s3, 0
	v_add_u32_e32 v2, v1, v2
	v_lshrrev_b32_e32 v2, s18, v2
	v_mul_lo_u32 v3, v2, s16
	v_mul_hi_u32 v5, s20, v2
	s_cmp_lg_u32 s36, s38
	v_sub_u32_e32 v1, v1, v3
	v_add_u32_e32 v3, v2, v5
	v_mul_lo_u32 v5, v1, s8
	v_mul_lo_u32 v7, v1, s9
	v_lshrrev_b32_e32 v1, s21, v3
	v_mul_lo_u32 v3, v1, s19
	v_mul_hi_u32 v9, s23, v1
	v_sub_u32_e32 v2, v2, v3
	v_add_u32_e32 v3, v1, v9
	v_lshrrev_b32_e32 v3, s24, v3
	v_mul_hi_u32 v10, s26, v3
	v_mul_lo_u32 v12, v3, s22
	v_mul_lo_u32 v9, v2, s10
	;; [unrolled: 1-line block ×3, first 2 shown]
	v_sub_u32_e32 v12, v1, v12
	v_add_u32_e32 v1, v3, v10
	v_lshrrev_b32_e32 v1, s27, v1
	v_mul_lo_u32 v10, v1, s25
	v_mul_lo_u32 v14, v12, s12
	;; [unrolled: 1-line block ×3, first 2 shown]
	v_add3_u32 v4, v5, v4, v9
	v_sub_u32_e32 v3, v3, v10
	v_mul_lo_u32 v10, v3, s14
	v_mul_lo_u32 v3, v3, s15
	v_add3_u32 v2, v7, v11, v2
	v_add3_u32 v4, v14, v4, v10
	;; [unrolled: 1-line block ×3, first 2 shown]
	s_cbranch_scc1 .LBB55_1154
; %bb.1155:
	s_and_b32 s8, s37, 3
	s_cmp_eq_u32 s8, 0
	s_cbranch_scc0 .LBB55_1159
	s_branch .LBB55_1161
.LBB55_1156:
                                        ; implicit-def: $vgpr4
                                        ; implicit-def: $vgpr11
	s_branch .LBB55_1162
.LBB55_1157:
	s_waitcnt vmcnt(0)
	v_mov_b32_e32 v4, 0
	v_mov_b32_e32 v11, 0
	s_branch .LBB55_1161
.LBB55_1158:
	s_waitcnt vmcnt(0)
	v_mov_b32_e32 v4, 0
	v_mov_b32_e32 v11, 0
	v_mov_b32_e32 v1, v0
	s_and_b32 s8, s37, 3
	s_cmp_eq_u32 s8, 0
	s_cbranch_scc1 .LBB55_1161
.LBB55_1159:
	s_lshl_b32 s2, s36, 3
	s_add_u32 s2, s34, s2
	s_addc_u32 s3, s35, 0
	s_add_u32 s2, s2, 0xc4
	s_addc_u32 s3, s3, 0
	s_mul_i32 s6, s36, 12
	s_add_u32 s6, s34, s6
	s_addc_u32 s7, s35, 0
.LBB55_1160:                            ; =>This Inner Loop Header: Depth=1
	s_load_dwordx2 s[10:11], s[6:7], 0x4
	s_load_dword s9, s[6:7], 0xc
	s_load_dwordx2 s[12:13], s[2:3], 0x0
	s_add_u32 s6, s6, 12
	s_addc_u32 s7, s7, 0
	s_waitcnt lgkmcnt(0)
	v_mul_hi_u32 v2, s11, v1
	s_add_u32 s2, s2, 8
	s_addc_u32 s3, s3, 0
	s_add_i32 s8, s8, -1
	v_add_u32_e32 v2, v1, v2
	v_lshrrev_b32_e32 v2, s9, v2
	v_mul_lo_u32 v3, v2, s10
	s_cmp_lg_u32 s8, 0
	v_sub_u32_e32 v1, v1, v3
	v_mad_u64_u32 v[4:5], s[10:11], v1, s12, v[4:5]
	v_mad_u64_u32 v[11:12], s[10:11], v1, s13, v[11:12]
	v_mov_b32_e32 v1, v2
	s_cbranch_scc1 .LBB55_1160
.LBB55_1161:
	s_cbranch_execnz .LBB55_1164
.LBB55_1162:
	s_load_dwordx4 s[8:11], s[34:35], 0x4
	s_load_dwordx2 s[2:3], s[34:35], 0xc4
	s_cmp_lt_u32 s33, 2
	s_waitcnt lgkmcnt(0)
	v_mul_hi_u32 v1, s9, v0
	v_add_u32_e32 v1, v0, v1
	v_lshrrev_b32_e32 v1, s10, v1
	v_mul_lo_u32 v2, v1, s8
	v_sub_u32_e32 v0, v0, v2
	s_waitcnt vmcnt(0)
	v_mul_lo_u32 v4, v0, s2
	v_mul_lo_u32 v11, v0, s3
	s_cbranch_scc1 .LBB55_1164
; %bb.1163:
	s_load_dwordx4 s[8:11], s[34:35], 0x10
	s_load_dwordx2 s[2:3], s[34:35], 0xcc
	s_waitcnt lgkmcnt(0)
	v_mul_hi_u32 v0, s9, v1
	v_add_u32_e32 v0, v1, v0
	v_lshrrev_b32_e32 v0, s10, v0
	v_mul_lo_u32 v0, v0, s8
	v_sub_u32_e32 v0, v1, v0
	v_mad_u64_u32 v[4:5], s[6:7], v0, s2, v[4:5]
	v_mad_u64_u32 v[11:12], s[2:3], v0, s3, v[11:12]
.LBB55_1164:
	s_and_b64 vcc, exec, s[0:1]
	v_add_u32_e32 v0, 0x100, v8
	s_cbranch_vccnz .LBB55_1170
; %bb.1165:
	s_cmp_lg_u32 s33, 0
	s_mov_b32 s36, 0
	s_cbranch_scc0 .LBB55_1171
; %bb.1166:
	s_min_u32 s37, s74, 15
	s_add_i32 s37, s37, 1
	s_cmp_eq_u32 s74, 2
	s_cbranch_scc1 .LBB55_1172
; %bb.1167:
	s_and_b32 s36, s37, 28
	s_add_u32 s2, s34, 0xc4
	s_addc_u32 s3, s35, 0
	v_mov_b32_e32 v9, 0
	s_mov_b32 s38, 0
	s_mov_b64 s[6:7], s[34:35]
	v_mov_b32_e32 v2, 0
	v_mov_b32_e32 v1, v0
.LBB55_1168:                            ; =>This Inner Loop Header: Depth=1
	s_load_dwordx8 s[16:23], s[6:7], 0x4
	s_load_dwordx4 s[24:27], s[6:7], 0x24
	s_load_dwordx8 s[8:15], s[2:3], 0x0
	s_add_u32 s6, s6, 48
	s_addc_u32 s7, s7, 0
	s_waitcnt vmcnt(0) lgkmcnt(0)
	v_mul_hi_u32 v3, s17, v1
	s_add_i32 s38, s38, 4
	s_add_u32 s2, s2, 32
	s_addc_u32 s3, s3, 0
	v_add_u32_e32 v3, v1, v3
	v_lshrrev_b32_e32 v3, s18, v3
	v_mul_lo_u32 v5, v3, s16
	v_mul_hi_u32 v7, s20, v3
	s_cmp_lg_u32 s36, s38
	v_sub_u32_e32 v1, v1, v5
	v_add_u32_e32 v5, v3, v7
	v_mul_lo_u32 v7, v1, s8
	v_mul_lo_u32 v8, v1, s9
	v_lshrrev_b32_e32 v1, s21, v5
	v_mul_lo_u32 v5, v1, s19
	v_mul_hi_u32 v10, s23, v1
	v_sub_u32_e32 v3, v3, v5
	v_add_u32_e32 v5, v1, v10
	v_lshrrev_b32_e32 v5, s24, v5
	v_mul_hi_u32 v12, s26, v5
	v_mul_lo_u32 v14, v5, s22
	v_mul_lo_u32 v10, v3, s10
	;; [unrolled: 1-line block ×3, first 2 shown]
	v_sub_u32_e32 v14, v1, v14
	v_add_u32_e32 v1, v5, v12
	v_lshrrev_b32_e32 v1, s27, v1
	v_mul_lo_u32 v12, v1, s25
	v_mul_lo_u32 v16, v14, s12
	;; [unrolled: 1-line block ×3, first 2 shown]
	v_add3_u32 v2, v7, v2, v10
	v_sub_u32_e32 v5, v5, v12
	v_mul_lo_u32 v12, v5, s14
	v_mul_lo_u32 v5, v5, s15
	v_add3_u32 v3, v8, v9, v3
	v_add3_u32 v2, v16, v2, v12
	;; [unrolled: 1-line block ×3, first 2 shown]
	s_cbranch_scc1 .LBB55_1168
; %bb.1169:
	s_and_b32 s8, s37, 3
	s_cmp_eq_u32 s8, 0
	s_cbranch_scc0 .LBB55_1173
	s_branch .LBB55_1175
.LBB55_1170:
                                        ; implicit-def: $vgpr2
                                        ; implicit-def: $vgpr9
	s_branch .LBB55_1176
.LBB55_1171:
	v_mov_b32_e32 v2, 0
	v_mov_b32_e32 v9, 0
	s_branch .LBB55_1175
.LBB55_1172:
	v_mov_b32_e32 v2, 0
	v_mov_b32_e32 v9, 0
	;; [unrolled: 1-line block ×3, first 2 shown]
	s_and_b32 s8, s37, 3
	s_cmp_eq_u32 s8, 0
	s_cbranch_scc1 .LBB55_1175
.LBB55_1173:
	s_lshl_b32 s2, s36, 3
	s_add_u32 s2, s34, s2
	s_addc_u32 s3, s35, 0
	s_add_u32 s2, s2, 0xc4
	s_addc_u32 s3, s3, 0
	s_mul_i32 s6, s36, 12
	s_add_u32 s6, s34, s6
	s_addc_u32 s7, s35, 0
.LBB55_1174:                            ; =>This Inner Loop Header: Depth=1
	s_load_dwordx2 s[10:11], s[6:7], 0x4
	s_load_dword s9, s[6:7], 0xc
	s_load_dwordx2 s[12:13], s[2:3], 0x0
	s_add_u32 s6, s6, 12
	s_addc_u32 s7, s7, 0
	s_waitcnt vmcnt(0) lgkmcnt(0)
	v_mul_hi_u32 v3, s11, v1
	s_add_u32 s2, s2, 8
	s_addc_u32 s3, s3, 0
	s_add_i32 s8, s8, -1
	v_add_u32_e32 v3, v1, v3
	v_lshrrev_b32_e32 v5, s9, v3
	v_mul_lo_u32 v3, v5, s10
	s_cmp_lg_u32 s8, 0
	v_sub_u32_e32 v1, v1, v3
	v_mad_u64_u32 v[2:3], s[10:11], v1, s12, v[2:3]
	v_mad_u64_u32 v[9:10], s[10:11], v1, s13, v[9:10]
	v_mov_b32_e32 v1, v5
	s_cbranch_scc1 .LBB55_1174
.LBB55_1175:
	s_cbranch_execnz .LBB55_1178
.LBB55_1176:
	s_load_dwordx4 s[8:11], s[34:35], 0x4
	s_load_dwordx2 s[2:3], s[34:35], 0xc4
	s_cmp_lt_u32 s33, 2
	s_waitcnt lgkmcnt(0)
	v_mul_hi_u32 v1, s9, v0
	v_add_u32_e32 v1, v0, v1
	v_lshrrev_b32_e32 v1, s10, v1
	v_mul_lo_u32 v2, v1, s8
	v_sub_u32_e32 v0, v0, v2
	v_mul_lo_u32 v2, v0, s2
	v_mul_lo_u32 v9, v0, s3
	s_cbranch_scc1 .LBB55_1178
; %bb.1177:
	s_load_dwordx4 s[8:11], s[34:35], 0x10
	s_load_dwordx2 s[2:3], s[34:35], 0xcc
	s_waitcnt lgkmcnt(0)
	v_mul_hi_u32 v0, s9, v1
	v_add_u32_e32 v0, v1, v0
	v_lshrrev_b32_e32 v0, s10, v0
	v_mul_lo_u32 v0, v0, s8
	v_sub_u32_e32 v0, v1, v0
	s_waitcnt vmcnt(0)
	v_mad_u64_u32 v[2:3], s[6:7], v0, s2, v[2:3]
	v_mad_u64_u32 v[9:10], s[2:3], v0, s3, v[9:10]
.LBB55_1178:
	s_and_b64 vcc, exec, s[0:1]
	s_cbranch_vccnz .LBB55_1184
; %bb.1179:
	s_cmp_lg_u32 s33, 0
	s_mov_b32 s26, 0
	s_cbranch_scc0 .LBB55_1185
; %bb.1180:
	s_min_u32 s27, s74, 15
	s_add_i32 s27, s27, 1
	s_cmp_eq_u32 s74, 2
	s_cbranch_scc1 .LBB55_1186
; %bb.1181:
	s_and_b32 s26, s27, 28
	s_add_u32 s6, s34, 0xc4
	s_addc_u32 s7, s35, 0
	v_mov_b32_e32 v7, 0
	s_mov_b32 s36, 0
	s_mov_b64 s[24:25], s[34:35]
	v_mov_b32_e32 v0, 0
	v_mov_b32_e32 v1, v15
.LBB55_1182:                            ; =>This Inner Loop Header: Depth=1
	s_load_dwordx8 s[16:23], s[24:25], 0x4
	s_load_dwordx4 s[0:3], s[24:25], 0x24
	s_load_dwordx8 s[8:15], s[6:7], 0x0
	s_add_u32 s24, s24, 48
	s_addc_u32 s25, s25, 0
	s_waitcnt vmcnt(0) lgkmcnt(0)
	v_mul_hi_u32 v3, s17, v1
	s_add_i32 s36, s36, 4
	s_add_u32 s6, s6, 32
	s_addc_u32 s7, s7, 0
	v_add_u32_e32 v3, v1, v3
	v_lshrrev_b32_e32 v3, s18, v3
	v_mul_lo_u32 v5, v3, s16
	v_mul_hi_u32 v8, s20, v3
	s_cmp_lg_u32 s26, s36
	v_sub_u32_e32 v1, v1, v5
	v_add_u32_e32 v5, v3, v8
	v_mul_lo_u32 v8, v1, s8
	v_mul_lo_u32 v10, v1, s9
	v_lshrrev_b32_e32 v1, s21, v5
	v_mul_lo_u32 v5, v1, s19
	v_mul_hi_u32 v12, s23, v1
	v_sub_u32_e32 v3, v3, v5
	v_add_u32_e32 v5, v1, v12
	v_lshrrev_b32_e32 v5, s0, v5
	v_mul_hi_u32 v14, s2, v5
	v_mul_lo_u32 v16, v5, s22
	v_mul_lo_u32 v12, v3, s10
	;; [unrolled: 1-line block ×3, first 2 shown]
	v_sub_u32_e32 v16, v1, v16
	v_add_u32_e32 v1, v5, v14
	v_lshrrev_b32_e32 v1, s3, v1
	v_mul_lo_u32 v14, v1, s1
	v_mul_lo_u32 v17, v16, s12
	;; [unrolled: 1-line block ×3, first 2 shown]
	v_add3_u32 v0, v8, v0, v12
	v_sub_u32_e32 v5, v5, v14
	v_mul_lo_u32 v14, v5, s14
	v_mul_lo_u32 v5, v5, s15
	v_add3_u32 v3, v10, v7, v3
	v_add3_u32 v0, v17, v0, v14
	;; [unrolled: 1-line block ×3, first 2 shown]
	s_cbranch_scc1 .LBB55_1182
; %bb.1183:
	s_and_b32 s6, s27, 3
	s_cmp_eq_u32 s6, 0
	s_cbranch_scc0 .LBB55_1187
	s_branch .LBB55_1189
.LBB55_1184:
                                        ; implicit-def: $vgpr0
                                        ; implicit-def: $vgpr7
	s_branch .LBB55_1190
.LBB55_1185:
	v_mov_b32_e32 v0, 0
	v_mov_b32_e32 v7, 0
	s_branch .LBB55_1189
.LBB55_1186:
	v_mov_b32_e32 v0, 0
	v_mov_b32_e32 v7, 0
	;; [unrolled: 1-line block ×3, first 2 shown]
	s_and_b32 s6, s27, 3
	s_cmp_eq_u32 s6, 0
	s_cbranch_scc1 .LBB55_1189
.LBB55_1187:
	s_lshl_b32 s0, s26, 3
	s_add_u32 s0, s34, s0
	s_addc_u32 s1, s35, 0
	s_add_u32 s0, s0, 0xc4
	s_addc_u32 s1, s1, 0
	s_mul_i32 s2, s26, 12
	s_add_u32 s2, s34, s2
	s_addc_u32 s3, s35, 0
.LBB55_1188:                            ; =>This Inner Loop Header: Depth=1
	s_load_dwordx2 s[8:9], s[2:3], 0x4
	s_load_dword s7, s[2:3], 0xc
	s_load_dwordx2 s[10:11], s[0:1], 0x0
	s_add_u32 s2, s2, 12
	s_addc_u32 s3, s3, 0
	s_waitcnt vmcnt(0) lgkmcnt(0)
	v_mul_hi_u32 v3, s9, v1
	s_add_u32 s0, s0, 8
	s_addc_u32 s1, s1, 0
	s_add_i32 s6, s6, -1
	v_add_u32_e32 v3, v1, v3
	v_lshrrev_b32_e32 v3, s7, v3
	v_mul_lo_u32 v5, v3, s8
	s_cmp_lg_u32 s6, 0
	v_sub_u32_e32 v5, v1, v5
	v_mad_u64_u32 v[0:1], s[8:9], v5, s10, v[0:1]
	v_mad_u64_u32 v[7:8], s[8:9], v5, s11, v[7:8]
	v_mov_b32_e32 v1, v3
	s_cbranch_scc1 .LBB55_1188
.LBB55_1189:
	s_cbranch_execnz .LBB55_1192
.LBB55_1190:
	s_load_dwordx4 s[0:3], s[34:35], 0x4
	s_load_dwordx2 s[6:7], s[34:35], 0xc4
	s_cmp_lt_u32 s33, 2
	s_waitcnt lgkmcnt(0)
	v_mul_hi_u32 v0, s1, v15
	v_add_u32_e32 v0, v15, v0
	v_lshrrev_b32_e32 v1, s2, v0
	v_mul_lo_u32 v0, v1, s0
	s_waitcnt vmcnt(0)
	v_sub_u32_e32 v3, v15, v0
	v_mul_lo_u32 v0, v3, s6
	v_mul_lo_u32 v7, v3, s7
	s_cbranch_scc1 .LBB55_1192
; %bb.1191:
	s_load_dwordx4 s[0:3], s[34:35], 0x10
	s_load_dwordx2 s[6:7], s[34:35], 0xcc
	s_waitcnt lgkmcnt(0)
	v_mul_hi_u32 v3, s1, v1
	v_add_u32_e32 v3, v1, v3
	v_lshrrev_b32_e32 v3, s2, v3
	v_mul_lo_u32 v3, v3, s0
	v_sub_u32_e32 v3, v1, v3
	v_mad_u64_u32 v[0:1], s[0:1], v3, s6, v[0:1]
	v_mad_u64_u32 v[7:8], s[0:1], v3, s7, v[7:8]
.LBB55_1192:
	s_load_dwordx4 s[8:11], s[34:35], 0x148
	s_load_dword s16, s[4:5], 0x170
	s_waitcnt lgkmcnt(0)
	v_mov_b32_e32 v1, s11
	s_bfe_u32 s12, s16, 0x80008
	v_add_co_u32_e32 v12, vcc, s10, v13
	s_cmp_lt_i32 s12, 11
	v_addc_co_u32_e32 v13, vcc, 0, v1, vcc
	s_cbranch_scc1 .LBB55_1199
; %bb.1193:
	s_and_b32 s13, 0xffff, s12
	s_cmp_gt_i32 s13, 25
	s_mov_b64 s[4:5], 0
	s_cbranch_scc0 .LBB55_1201
; %bb.1194:
	s_cmp_gt_i32 s13, 28
	s_cbranch_scc0 .LBB55_1202
; %bb.1195:
	s_cmp_gt_i32 s13, 43
	;; [unrolled: 3-line block ×3, first 2 shown]
	s_cbranch_scc0 .LBB55_1204
; %bb.1197:
	s_cmp_eq_u32 s13, 46
	s_mov_b64 s[2:3], 0
	s_cbranch_scc0 .LBB55_1207
; %bb.1198:
	global_load_dword v1, v[12:13], off
	s_mov_b32 s0, 0x2f800000
	s_mov_b32 s1, 0xcf800000
	s_mov_b64 s[6:7], -1
	s_waitcnt vmcnt(0)
	v_lshlrev_b32_e32 v1, 16, v1
	v_trunc_f32_e32 v1, v1
	v_mul_f32_e64 v3, |v1|, s0
	v_floor_f32_e32 v3, v3
	v_fma_f32 v5, v3, s1, |v1|
	v_cvt_u32_f32_e32 v5, v5
	v_cvt_u32_f32_e32 v3, v3
	v_ashrrev_i32_e32 v1, 31, v1
	s_mov_b64 s[0:1], 0
	v_xor_b32_e32 v5, v5, v1
	v_xor_b32_e32 v3, v3, v1
	v_sub_co_u32_e32 v14, vcc, v5, v1
	v_subb_co_u32_e32 v15, vcc, v3, v1, vcc
	s_branch .LBB55_1208
.LBB55_1199:
	s_mov_b64 s[6:7], 0
                                        ; implicit-def: $vgpr14_vgpr15
	s_mov_b64 s[2:3], s[28:29]
	s_cbranch_execnz .LBB55_1266
.LBB55_1200:
	s_andn2_b64 vcc, exec, s[6:7]
	s_cbranch_vccz .LBB55_1311
	s_branch .LBB55_1738
.LBB55_1201:
	s_mov_b64 s[6:7], 0
	s_mov_b64 s[0:1], 0
                                        ; implicit-def: $vgpr14_vgpr15
	s_cbranch_execnz .LBB55_1235
	s_branch .LBB55_1262
.LBB55_1202:
	s_mov_b64 s[6:7], 0
	s_mov_b64 s[0:1], 0
                                        ; implicit-def: $vgpr14_vgpr15
	s_cbranch_execz .LBB55_1234
	s_branch .LBB55_1217
.LBB55_1203:
	s_mov_b64 s[6:7], 0
	s_mov_b64 s[0:1], 0
                                        ; implicit-def: $vgpr14_vgpr15
	s_cbranch_execnz .LBB55_1213
	s_branch .LBB55_1216
.LBB55_1204:
	s_mov_b64 s[2:3], -1
	s_mov_b64 s[6:7], 0
	s_mov_b64 s[0:1], 0
                                        ; implicit-def: $vgpr14_vgpr15
	s_branch .LBB55_1208
.LBB55_1205:
	s_andn2_saveexec_b64 s[16:17], s[16:17]
	s_cbranch_execz .LBB55_1047
.LBB55_1206:
	v_add_f32_e32 v0, 0x46000000, v3
	v_and_b32_e32 v0, 0xff, v0
	v_cmp_ne_u32_e32 vcc, 0, v0
	s_andn2_b64 s[14:15], s[14:15], exec
	s_and_b64 s[18:19], vcc, exec
	s_or_b64 s[14:15], s[14:15], s[18:19]
	s_or_b64 exec, exec, s[16:17]
	v_mov_b32_e32 v4, 0
	s_and_saveexec_b64 s[16:17], s[14:15]
	s_cbranch_execnz .LBB55_1048
	s_branch .LBB55_1049
.LBB55_1207:
	s_mov_b64 s[0:1], -1
                                        ; implicit-def: $vgpr14_vgpr15
	s_mov_b64 s[6:7], 0
.LBB55_1208:
	s_and_b64 vcc, exec, s[2:3]
	s_cbranch_vccz .LBB55_1211
; %bb.1209:
	s_cmp_eq_u32 s13, 44
	s_cbranch_scc0 .LBB55_1212
; %bb.1210:
	global_load_ubyte v1, v[12:13], off
	s_mov_b32 s0, 0x2f800000
	s_mov_b32 s1, 0xcf800000
	s_mov_b64 s[6:7], -1
	s_waitcnt vmcnt(0)
	v_lshlrev_b32_e32 v3, 23, v1
	v_trunc_f32_e32 v3, v3
	v_mul_f32_e64 v5, |v3|, s0
	v_floor_f32_e32 v5, v5
	v_fma_f32 v8, v5, s1, |v3|
	v_cvt_u32_f32_e32 v8, v8
	v_cvt_u32_f32_e32 v5, v5
	v_ashrrev_i32_e32 v3, 31, v3
	s_mov_b64 s[0:1], 0
	v_xor_b32_e32 v8, v8, v3
	v_xor_b32_e32 v5, v5, v3
	v_sub_co_u32_e32 v8, vcc, v8, v3
	v_subb_co_u32_e32 v3, vcc, v5, v3, vcc
	v_cmp_ne_u32_e32 vcc, 0, v1
	v_cndmask_b32_e32 v15, 0, v3, vcc
	v_cndmask_b32_e32 v14, 0, v8, vcc
.LBB55_1211:
	s_branch .LBB55_1216
.LBB55_1212:
	s_mov_b64 s[0:1], -1
                                        ; implicit-def: $vgpr14_vgpr15
	s_branch .LBB55_1216
.LBB55_1213:
	s_cmp_eq_u32 s13, 29
	s_cbranch_scc0 .LBB55_1215
; %bb.1214:
	global_load_dwordx2 v[14:15], v[12:13], off
	s_mov_b64 s[0:1], 0
	s_mov_b64 s[6:7], -1
	s_branch .LBB55_1216
.LBB55_1215:
	s_mov_b64 s[0:1], -1
                                        ; implicit-def: $vgpr14_vgpr15
.LBB55_1216:
	s_branch .LBB55_1234
.LBB55_1217:
	s_cmp_lt_i32 s13, 27
	s_cbranch_scc1 .LBB55_1220
; %bb.1218:
	s_cmp_gt_i32 s13, 27
	s_cbranch_scc0 .LBB55_1221
; %bb.1219:
	global_load_dword v14, v[12:13], off
	s_waitcnt vmcnt(1)
	v_mov_b32_e32 v15, 0
	s_mov_b64 s[2:3], 0
	s_branch .LBB55_1222
.LBB55_1220:
	s_mov_b64 s[2:3], -1
                                        ; implicit-def: $vgpr14_vgpr15
	s_branch .LBB55_1225
.LBB55_1221:
	s_mov_b64 s[2:3], -1
                                        ; implicit-def: $vgpr14_vgpr15
.LBB55_1222:
	s_andn2_b64 vcc, exec, s[2:3]
	s_cbranch_vccnz .LBB55_1224
; %bb.1223:
	global_load_ushort v1, v[12:13], off
	s_mov_b32 s2, 0
	s_waitcnt vmcnt(1)
	v_mov_b32_e32 v15, s2
	s_waitcnt vmcnt(0)
	v_and_b32_e32 v14, 0xffff, v1
.LBB55_1224:
	s_mov_b64 s[2:3], 0
.LBB55_1225:
	s_andn2_b64 vcc, exec, s[2:3]
	s_cbranch_vccnz .LBB55_1233
; %bb.1226:
	global_load_ubyte v1, v[12:13], off
	s_movk_i32 s2, 0x7f
	s_mov_b64 s[6:7], 0
	s_waitcnt vmcnt(0)
	v_cmp_lt_i16_e32 vcc, s2, v1
	s_and_saveexec_b64 s[2:3], vcc
	s_xor_b64 s[2:3], exec, s[2:3]
; %bb.1227:
	s_movk_i32 s6, 0x80
	v_cmp_ne_u16_e32 vcc, s6, v1
	s_and_b64 s[6:7], vcc, exec
; %bb.1228:
	s_andn2_saveexec_b64 s[2:3], s[2:3]
; %bb.1229:
	v_cmp_ne_u16_e32 vcc, 0, v1
	s_andn2_b64 s[6:7], s[6:7], exec
	s_and_b64 s[14:15], vcc, exec
	s_or_b64 s[6:7], s[6:7], s[14:15]
; %bb.1230:
	s_or_b64 exec, exec, s[2:3]
	v_mov_b32_e32 v14, 0
	v_mov_b32_e32 v15, 0
	s_and_saveexec_b64 s[2:3], s[6:7]
	s_cbranch_execz .LBB55_1232
; %bb.1231:
	v_lshlrev_b32_e32 v3, 24, v1
	v_and_b32_e32 v1, 0xffff, v1
	v_and_b32_e32 v5, 7, v1
	v_ffbh_u32_e32 v10, v5
	v_min_u32_e32 v10, 32, v10
	v_subrev_u32_e32 v14, 28, v10
	v_bfe_u32 v8, v1, 3, 4
	v_lshlrev_b32_e32 v1, v14, v1
	v_sub_u32_e32 v10, 29, v10
	v_and_b32_e32 v1, 7, v1
	v_cmp_eq_u32_e32 vcc, 0, v8
	v_cndmask_b32_e32 v8, v8, v10, vcc
	v_cndmask_b32_e32 v1, v5, v1, vcc
	v_mov_b32_e32 v5, 0x3b800000
	v_lshlrev_b32_e32 v1, 20, v1
	v_and_b32_e32 v3, 0x80000000, v3
	v_lshl_add_u32 v5, v8, 23, v5
	v_or3_b32 v1, v3, v5, v1
	v_trunc_f32_e32 v1, v1
	s_mov_b32 s6, 0x2f800000
	v_mul_f32_e64 v3, |v1|, s6
	v_floor_f32_e32 v3, v3
	s_mov_b32 s6, 0xcf800000
	v_fma_f32 v5, v3, s6, |v1|
	v_cvt_u32_f32_e32 v5, v5
	v_cvt_u32_f32_e32 v3, v3
	v_ashrrev_i32_e32 v1, 31, v1
	v_xor_b32_e32 v5, v5, v1
	v_xor_b32_e32 v3, v3, v1
	v_sub_co_u32_e32 v14, vcc, v5, v1
	v_subb_co_u32_e32 v15, vcc, v3, v1, vcc
.LBB55_1232:
	s_or_b64 exec, exec, s[2:3]
.LBB55_1233:
	s_mov_b64 s[6:7], -1
.LBB55_1234:
	s_branch .LBB55_1262
.LBB55_1235:
	s_cmp_gt_i32 s13, 22
	s_cbranch_scc0 .LBB55_1245
; %bb.1236:
	s_cmp_lt_i32 s13, 24
	s_cbranch_scc1 .LBB55_1246
; %bb.1237:
	s_cmp_gt_i32 s13, 24
	s_cbranch_scc0 .LBB55_1247
; %bb.1238:
	global_load_ubyte v1, v[12:13], off
	s_movk_i32 s2, 0x7f
	s_waitcnt vmcnt(0)
	v_cmp_lt_i16_e32 vcc, s2, v1
	s_and_saveexec_b64 s[2:3], vcc
	s_xor_b64 s[2:3], exec, s[2:3]
; %bb.1239:
	s_movk_i32 s4, 0x80
	v_cmp_ne_u16_e32 vcc, s4, v1
	s_and_b64 s[4:5], vcc, exec
; %bb.1240:
	s_andn2_saveexec_b64 s[2:3], s[2:3]
; %bb.1241:
	v_cmp_ne_u16_e32 vcc, 0, v1
	s_andn2_b64 s[4:5], s[4:5], exec
	s_and_b64 s[6:7], vcc, exec
	s_or_b64 s[4:5], s[4:5], s[6:7]
; %bb.1242:
	s_or_b64 exec, exec, s[2:3]
	v_mov_b32_e32 v14, 0
	v_mov_b32_e32 v15, 0
	s_and_saveexec_b64 s[2:3], s[4:5]
	s_cbranch_execz .LBB55_1244
; %bb.1243:
	v_lshlrev_b32_e32 v3, 24, v1
	v_and_b32_e32 v1, 0xffff, v1
	v_and_b32_e32 v5, 3, v1
	v_ffbh_u32_e32 v10, v5
	v_min_u32_e32 v10, 32, v10
	v_subrev_u32_e32 v14, 29, v10
	v_bfe_u32 v8, v1, 2, 5
	v_lshlrev_b32_e32 v1, v14, v1
	v_sub_u32_e32 v10, 30, v10
	v_and_b32_e32 v1, 3, v1
	v_cmp_eq_u32_e32 vcc, 0, v8
	v_cndmask_b32_e32 v8, v8, v10, vcc
	v_cndmask_b32_e32 v1, v5, v1, vcc
	v_mov_b32_e32 v5, 0x37800000
	v_lshlrev_b32_e32 v1, 21, v1
	v_and_b32_e32 v3, 0x80000000, v3
	v_lshl_add_u32 v5, v8, 23, v5
	v_or3_b32 v1, v3, v5, v1
	v_trunc_f32_e32 v1, v1
	s_mov_b32 s4, 0x2f800000
	v_mul_f32_e64 v3, |v1|, s4
	v_floor_f32_e32 v3, v3
	s_mov_b32 s4, 0xcf800000
	v_fma_f32 v5, v3, s4, |v1|
	v_cvt_u32_f32_e32 v5, v5
	v_cvt_u32_f32_e32 v3, v3
	v_ashrrev_i32_e32 v1, 31, v1
	v_xor_b32_e32 v5, v5, v1
	v_xor_b32_e32 v3, v3, v1
	v_sub_co_u32_e32 v14, vcc, v5, v1
	v_subb_co_u32_e32 v15, vcc, v3, v1, vcc
.LBB55_1244:
	s_or_b64 exec, exec, s[2:3]
	s_mov_b64 s[2:3], 0
	s_branch .LBB55_1248
.LBB55_1245:
                                        ; implicit-def: $vgpr14_vgpr15
	s_mov_b64 s[4:5], 0
	s_branch .LBB55_1254
.LBB55_1246:
	s_mov_b64 s[2:3], -1
                                        ; implicit-def: $vgpr14_vgpr15
	s_branch .LBB55_1251
.LBB55_1247:
	s_mov_b64 s[2:3], -1
                                        ; implicit-def: $vgpr14_vgpr15
.LBB55_1248:
	s_and_b64 vcc, exec, s[2:3]
	s_cbranch_vccz .LBB55_1250
; %bb.1249:
	global_load_ubyte v1, v[12:13], off
	s_mov_b32 s2, 0x7f800000
	s_brev_b32 s3, 1
	s_mov_b32 s4, 0x2f800000
	s_mov_b32 s5, 0xcf800000
	s_waitcnt vmcnt(0)
	v_lshlrev_b32_e32 v1, 24, v1
	v_and_b32_e32 v3, 0x7f000000, v1
	v_ffbh_u32_e32 v5, v3
	v_min_u32_e32 v5, 32, v5
	v_sub_u32_e64 v5, v5, 4 clamp
	v_lshlrev_b32_e32 v10, v5, v3
	v_lshlrev_b32_e32 v5, 23, v5
	v_lshrrev_b32_e32 v10, 4, v10
	v_add_u32_e32 v8, 0x1000000, v3
	v_sub_u32_e32 v5, v10, v5
	v_ashrrev_i32_e32 v8, 8, v8
	v_add_u32_e32 v5, 0x3c000000, v5
	v_and_or_b32 v5, v8, s2, v5
	v_cmp_ne_u32_e32 vcc, 0, v3
	v_cndmask_b32_e32 v3, 0, v5, vcc
	v_and_or_b32 v1, v1, s3, v3
	v_trunc_f32_e32 v1, v1
	v_mul_f32_e64 v3, |v1|, s4
	v_floor_f32_e32 v3, v3
	v_fma_f32 v5, v3, s5, |v1|
	v_cvt_u32_f32_e32 v5, v5
	v_cvt_u32_f32_e32 v3, v3
	v_ashrrev_i32_e32 v1, 31, v1
	v_xor_b32_e32 v5, v5, v1
	v_xor_b32_e32 v3, v3, v1
	v_sub_co_u32_e32 v14, vcc, v5, v1
	v_subb_co_u32_e32 v15, vcc, v3, v1, vcc
.LBB55_1250:
	s_mov_b64 s[2:3], 0
.LBB55_1251:
	s_andn2_b64 vcc, exec, s[2:3]
	s_cbranch_vccnz .LBB55_1253
; %bb.1252:
	global_load_ubyte v1, v[12:13], off
	s_movk_i32 s2, 0x7f00
	s_brev_b32 s3, 16
	s_brev_b32 s4, 1
	s_mov_b32 s5, 0x2f800000
	s_mov_b32 s6, 0xcf800000
	s_waitcnt vmcnt(0)
	v_lshlrev_b16_e32 v3, 8, v1
	v_lshlrev_b32_e32 v1, 25, v1
	v_lshrrev_b32_e32 v5, 4, v1
	v_and_or_b32 v8, v3, s2, 0.5
	v_or_b32_e32 v5, 0x70000000, v5
	v_add_f32_e32 v8, -0.5, v8
	v_mul_f32_e32 v5, 0x7800000, v5
	v_cmp_gt_u32_e32 vcc, s3, v1
	v_bfe_i32 v3, v3, 0, 16
	v_cndmask_b32_e32 v1, v5, v8, vcc
	v_and_or_b32 v1, v3, s4, v1
	v_trunc_f32_e32 v1, v1
	v_mul_f32_e64 v3, |v1|, s5
	v_floor_f32_e32 v3, v3
	v_fma_f32 v5, v3, s6, |v1|
	v_cvt_u32_f32_e32 v5, v5
	v_cvt_u32_f32_e32 v3, v3
	v_ashrrev_i32_e32 v1, 31, v1
	v_xor_b32_e32 v5, v5, v1
	v_xor_b32_e32 v3, v3, v1
	v_sub_co_u32_e32 v14, vcc, v5, v1
	v_subb_co_u32_e32 v15, vcc, v3, v1, vcc
.LBB55_1253:
	s_mov_b64 s[6:7], -1
	s_mov_b64 s[4:5], 0
	s_cbranch_execnz .LBB55_1262
.LBB55_1254:
	s_cmp_gt_i32 s13, 14
	s_cbranch_scc0 .LBB55_1257
; %bb.1255:
	s_cmp_eq_u32 s13, 15
	s_cbranch_scc0 .LBB55_1258
; %bb.1256:
	global_load_ushort v1, v[12:13], off
	s_mov_b32 s0, 0x2f800000
	s_mov_b32 s1, 0xcf800000
	s_mov_b64 s[6:7], -1
	s_waitcnt vmcnt(0)
	v_lshlrev_b32_e32 v1, 16, v1
	v_trunc_f32_e32 v1, v1
	v_mul_f32_e64 v3, |v1|, s0
	v_floor_f32_e32 v3, v3
	v_fma_f32 v5, v3, s1, |v1|
	v_cvt_u32_f32_e32 v5, v5
	v_cvt_u32_f32_e32 v3, v3
	v_ashrrev_i32_e32 v1, 31, v1
	s_mov_b64 s[0:1], 0
	v_xor_b32_e32 v5, v5, v1
	v_xor_b32_e32 v3, v3, v1
	v_sub_co_u32_e32 v14, vcc, v5, v1
	v_subb_co_u32_e32 v15, vcc, v3, v1, vcc
	s_branch .LBB55_1259
.LBB55_1257:
	s_mov_b64 s[2:3], -1
                                        ; implicit-def: $vgpr14_vgpr15
	s_branch .LBB55_1260
.LBB55_1258:
	s_mov_b64 s[0:1], -1
                                        ; implicit-def: $vgpr14_vgpr15
.LBB55_1259:
	s_mov_b64 s[2:3], 0
.LBB55_1260:
	s_and_b64 vcc, exec, s[2:3]
	s_cbranch_vccz .LBB55_1262
; %bb.1261:
	s_cmp_lg_u32 s13, 11
	s_mov_b64 s[4:5], -1
	s_cselect_b64 s[0:1], -1, 0
.LBB55_1262:
	s_and_b64 vcc, exec, s[0:1]
	s_mov_b64 s[2:3], s[28:29]
	s_cbranch_vccnz .LBB55_1338
; %bb.1263:
	s_andn2_b64 vcc, exec, s[4:5]
	s_cbranch_vccnz .LBB55_1265
.LBB55_1264:
	global_load_ubyte v1, v[12:13], off
	s_mov_b32 s0, 0
	s_waitcnt vmcnt(1)
	v_mov_b32_e32 v15, s0
	s_mov_b64 s[6:7], -1
	s_waitcnt vmcnt(0)
	v_cmp_ne_u16_e32 vcc, 0, v1
	v_cndmask_b32_e64 v14, 0, 1, vcc
.LBB55_1265:
	s_branch .LBB55_1200
.LBB55_1266:
	s_and_b32 s4, 0xffff, s12
	s_cmp_lt_i32 s4, 5
	s_cbranch_scc1 .LBB55_1271
; %bb.1267:
	s_cmp_lt_i32 s4, 8
	s_cbranch_scc1 .LBB55_1272
; %bb.1268:
	;; [unrolled: 3-line block ×3, first 2 shown]
	s_cmp_gt_i32 s4, 9
	s_cbranch_scc0 .LBB55_1274
; %bb.1270:
	global_load_dwordx2 v[14:15], v[12:13], off
	s_movk_i32 s0, 0xffe0
	s_waitcnt vmcnt(0)
	v_trunc_f64_e32 v[14:15], v[14:15]
	v_ldexp_f64 v[16:17], v[14:15], s0
	s_mov_b32 s0, 0
	s_mov_b32 s1, 0xc1f00000
	v_floor_f64_e32 v[16:17], v[16:17]
	v_fma_f64 v[18:19], v[16:17], s[0:1], v[14:15]
	v_cvt_i32_f64_e32 v15, v[16:17]
	s_mov_b64 s[0:1], 0
	v_cvt_u32_f64_e32 v14, v[18:19]
	s_branch .LBB55_1275
.LBB55_1271:
                                        ; implicit-def: $vgpr14_vgpr15
	s_branch .LBB55_1292
.LBB55_1272:
                                        ; implicit-def: $vgpr14_vgpr15
	s_branch .LBB55_1281
.LBB55_1273:
	s_mov_b64 s[0:1], -1
                                        ; implicit-def: $vgpr14_vgpr15
	s_branch .LBB55_1278
.LBB55_1274:
	s_mov_b64 s[0:1], -1
                                        ; implicit-def: $vgpr14_vgpr15
.LBB55_1275:
	s_andn2_b64 vcc, exec, s[0:1]
	s_cbranch_vccnz .LBB55_1277
; %bb.1276:
	global_load_dword v1, v[12:13], off
	s_mov_b32 s0, 0x2f800000
	s_mov_b32 s1, 0xcf800000
	s_waitcnt vmcnt(0)
	v_trunc_f32_e32 v1, v1
	v_mul_f32_e64 v3, |v1|, s0
	v_floor_f32_e32 v3, v3
	v_cvt_u32_f32_e32 v5, v3
	v_fma_f32 v3, v3, s1, |v1|
	v_cvt_u32_f32_e32 v3, v3
	v_ashrrev_i32_e32 v1, 31, v1
	v_xor_b32_e32 v5, v5, v1
	v_xor_b32_e32 v3, v3, v1
	v_sub_co_u32_e32 v14, vcc, v3, v1
	v_subb_co_u32_e32 v15, vcc, v5, v1, vcc
.LBB55_1277:
	s_mov_b64 s[0:1], 0
.LBB55_1278:
	s_andn2_b64 vcc, exec, s[0:1]
	s_cbranch_vccnz .LBB55_1280
; %bb.1279:
	global_load_dword v1, v[12:13], off
	s_waitcnt vmcnt(0)
	v_cvt_f32_f16_e32 v1, v1
	v_cvt_i32_f32_e32 v14, v1
	v_ashrrev_i32_e32 v15, 31, v14
.LBB55_1280:
	s_cbranch_execnz .LBB55_1291
.LBB55_1281:
	s_cmp_lt_i32 s4, 6
	s_cbranch_scc1 .LBB55_1284
; %bb.1282:
	s_cmp_gt_i32 s4, 6
	s_cbranch_scc0 .LBB55_1285
; %bb.1283:
	global_load_dwordx2 v[14:15], v[12:13], off
	s_movk_i32 s0, 0xffe0
	s_waitcnt vmcnt(0)
	v_trunc_f64_e32 v[14:15], v[14:15]
	v_ldexp_f64 v[16:17], v[14:15], s0
	s_mov_b32 s0, 0
	s_mov_b32 s1, 0xc1f00000
	v_floor_f64_e32 v[16:17], v[16:17]
	v_fma_f64 v[18:19], v[16:17], s[0:1], v[14:15]
	v_cvt_i32_f64_e32 v15, v[16:17]
	s_mov_b64 s[0:1], 0
	v_cvt_u32_f64_e32 v14, v[18:19]
	s_branch .LBB55_1286
.LBB55_1284:
	s_mov_b64 s[0:1], -1
                                        ; implicit-def: $vgpr14_vgpr15
	s_branch .LBB55_1289
.LBB55_1285:
	s_mov_b64 s[0:1], -1
                                        ; implicit-def: $vgpr14_vgpr15
.LBB55_1286:
	s_andn2_b64 vcc, exec, s[0:1]
	s_cbranch_vccnz .LBB55_1288
; %bb.1287:
	global_load_dword v1, v[12:13], off
	s_mov_b32 s0, 0x2f800000
	s_mov_b32 s1, 0xcf800000
	s_waitcnt vmcnt(0)
	v_trunc_f32_e32 v1, v1
	v_mul_f32_e64 v3, |v1|, s0
	v_floor_f32_e32 v3, v3
	v_cvt_u32_f32_e32 v5, v3
	v_fma_f32 v3, v3, s1, |v1|
	v_cvt_u32_f32_e32 v3, v3
	v_ashrrev_i32_e32 v1, 31, v1
	v_xor_b32_e32 v5, v5, v1
	v_xor_b32_e32 v3, v3, v1
	v_sub_co_u32_e32 v14, vcc, v3, v1
	v_subb_co_u32_e32 v15, vcc, v5, v1, vcc
.LBB55_1288:
	s_mov_b64 s[0:1], 0
.LBB55_1289:
	s_andn2_b64 vcc, exec, s[0:1]
	s_cbranch_vccnz .LBB55_1291
; %bb.1290:
	global_load_ushort v1, v[12:13], off
	s_waitcnt vmcnt(0)
	v_cvt_f32_f16_e32 v1, v1
	v_cvt_i32_f32_e32 v14, v1
	v_ashrrev_i32_e32 v15, 31, v14
.LBB55_1291:
	s_cbranch_execnz .LBB55_1310
.LBB55_1292:
	s_cmp_lt_i32 s4, 2
	s_cbranch_scc1 .LBB55_1296
; %bb.1293:
	s_cmp_lt_i32 s4, 3
	s_cbranch_scc1 .LBB55_1297
; %bb.1294:
	s_cmp_gt_i32 s4, 3
	s_cbranch_scc0 .LBB55_1298
; %bb.1295:
	global_load_dwordx2 v[14:15], v[12:13], off
	s_mov_b64 s[0:1], 0
	s_branch .LBB55_1299
.LBB55_1296:
                                        ; implicit-def: $vgpr14_vgpr15
	s_branch .LBB55_1305
.LBB55_1297:
	s_mov_b64 s[0:1], -1
                                        ; implicit-def: $vgpr14_vgpr15
	s_branch .LBB55_1302
.LBB55_1298:
	s_mov_b64 s[0:1], -1
                                        ; implicit-def: $vgpr14_vgpr15
.LBB55_1299:
	s_andn2_b64 vcc, exec, s[0:1]
	s_cbranch_vccnz .LBB55_1301
; %bb.1300:
	global_load_dword v14, v[12:13], off
	s_waitcnt vmcnt(0)
	v_ashrrev_i32_e32 v15, 31, v14
.LBB55_1301:
	s_mov_b64 s[0:1], 0
.LBB55_1302:
	s_andn2_b64 vcc, exec, s[0:1]
	s_cbranch_vccnz .LBB55_1304
; %bb.1303:
	global_load_ushort v1, v[12:13], off
	s_waitcnt vmcnt(0)
	v_bfe_i32 v14, v1, 0, 16
	v_ashrrev_i32_e32 v15, 31, v14
.LBB55_1304:
	s_cbranch_execnz .LBB55_1310
.LBB55_1305:
	s_cmp_gt_i32 s4, 0
	s_cbranch_scc0 .LBB55_1307
; %bb.1306:
	global_load_sbyte v1, v[12:13], off
	s_mov_b64 s[0:1], 0
	s_waitcnt vmcnt(0)
	v_bfe_i32 v14, v1, 0, 16
	v_ashrrev_i32_e32 v15, 31, v14
	s_branch .LBB55_1308
.LBB55_1307:
	s_mov_b64 s[0:1], -1
                                        ; implicit-def: $vgpr14_vgpr15
.LBB55_1308:
	s_andn2_b64 vcc, exec, s[0:1]
	s_cbranch_vccnz .LBB55_1310
; %bb.1309:
	global_load_ubyte v1, v[12:13], off
	s_mov_b32 s0, 0
	s_waitcnt vmcnt(1)
	v_mov_b32_e32 v15, s0
	s_waitcnt vmcnt(0)
	v_and_b32_e32 v14, 0xffff, v1
.LBB55_1310:
.LBB55_1311:
	s_load_dword s20, s[34:35], 0x158
	s_load_dwordx2 s[0:1], s[34:35], 0x160
	s_mov_b64 s[6:7], 0
	s_waitcnt lgkmcnt(0)
	s_cmp_lt_i32 s20, 1
	s_cbranch_scc1 .LBB55_1315
; %bb.1312:
	s_cmp_gt_i32 s20, 1
	s_cbranch_scc0 .LBB55_1316
; %bb.1313:
	s_cmp_eq_u32 s20, 2
	s_cbranch_scc0 .LBB55_1317
; %bb.1314:
	s_waitcnt vmcnt(0)
	v_cmp_ge_i64_e64 s[4:5], s[0:1], v[14:15]
	s_mov_b64 s[12:13], 0
	s_branch .LBB55_1318
.LBB55_1315:
                                        ; implicit-def: $sgpr4_sgpr5
	s_mov_b64 s[12:13], 0
	s_cbranch_execnz .LBB55_1321
	s_branch .LBB55_1322
.LBB55_1316:
	s_mov_b64 s[12:13], 0
                                        ; implicit-def: $sgpr4_sgpr5
	s_cbranch_execnz .LBB55_1319
	s_branch .LBB55_1320
.LBB55_1317:
	s_mov_b64 s[12:13], -1
                                        ; implicit-def: $sgpr4_sgpr5
.LBB55_1318:
	s_branch .LBB55_1320
.LBB55_1319:
	s_waitcnt vmcnt(0)
	v_cmp_lt_i64_e32 vcc, s[0:1], v[14:15]
	s_andn2_b64 s[4:5], s[4:5], exec
	s_and_b64 s[14:15], vcc, exec
	s_or_b64 s[4:5], s[4:5], s[14:15]
.LBB55_1320:
	s_branch .LBB55_1322
.LBB55_1321:
	s_cmp_lg_u32 s20, 0
	s_mov_b64 s[6:7], -1
	s_cselect_b64 s[12:13], -1, 0
.LBB55_1322:
	s_andn2_b64 vcc, exec, s[12:13]
	s_cbranch_vccnz .LBB55_1324
; %bb.1323:
	s_waitcnt vmcnt(0)
	v_cmp_gt_i64_e32 vcc, s[0:1], v[14:15]
	s_andn2_b64 s[4:5], s[4:5], exec
	s_and_b64 s[12:13], vcc, exec
	s_or_b64 s[4:5], s[4:5], s[12:13]
	s_cbranch_execz .LBB55_1325
	s_branch .LBB55_1326
.LBB55_1324:
	s_andn2_b64 vcc, exec, s[6:7]
	s_cbranch_vccnz .LBB55_1326
.LBB55_1325:
	s_waitcnt vmcnt(0)
	v_cmp_le_i64_e32 vcc, s[0:1], v[14:15]
	s_andn2_b64 s[4:5], s[4:5], exec
	s_and_b64 s[6:7], vcc, exec
	s_or_b64 s[4:5], s[4:5], s[6:7]
.LBB55_1326:
	s_lshr_b32 s6, s16, 8
	v_mov_b32_e32 v1, s11
	s_and_b32 s21, s6, 0xff
	v_add_co_u32_e32 v10, vcc, s10, v11
	s_cmp_lt_i32 s21, 11
	v_addc_co_u32_e32 v11, vcc, 0, v1, vcc
	s_cbranch_scc1 .LBB55_1333
; %bb.1327:
	s_and_b32 s18, 0xffff, s21
	s_cmp_gt_i32 s18, 25
	s_mov_b64 s[12:13], 0
	s_cbranch_scc0 .LBB55_1335
; %bb.1328:
	s_cmp_gt_i32 s18, 28
	s_cbranch_scc0 .LBB55_1336
; %bb.1329:
	s_cmp_gt_i32 s18, 43
	;; [unrolled: 3-line block ×3, first 2 shown]
	s_cbranch_scc0 .LBB55_1339
; %bb.1331:
	s_cmp_eq_u32 s18, 46
	s_mov_b64 s[16:17], 0
	s_cbranch_scc0 .LBB55_1342
; %bb.1332:
	global_load_dword v1, v[10:11], off
	s_mov_b32 s6, 0x2f800000
	s_mov_b32 s7, 0xcf800000
	s_mov_b64 s[14:15], -1
	s_waitcnt vmcnt(0)
	v_lshlrev_b32_e32 v1, 16, v1
	v_trunc_f32_e32 v1, v1
	v_mul_f32_e64 v3, |v1|, s6
	v_floor_f32_e32 v3, v3
	v_fma_f32 v5, v3, s7, |v1|
	v_cvt_u32_f32_e32 v5, v5
	v_cvt_u32_f32_e32 v3, v3
	v_ashrrev_i32_e32 v1, 31, v1
	s_mov_b64 s[6:7], 0
	v_xor_b32_e32 v5, v5, v1
	v_xor_b32_e32 v3, v3, v1
	v_sub_co_u32_e32 v12, vcc, v5, v1
	v_subb_co_u32_e32 v13, vcc, v3, v1, vcc
	s_branch .LBB55_1343
.LBB55_1333:
	s_mov_b64 s[14:15], 0
                                        ; implicit-def: $vgpr12_vgpr13
	s_cbranch_execnz .LBB55_1404
.LBB55_1334:
	s_andn2_b64 vcc, exec, s[14:15]
	s_cbranch_vccnz .LBB55_1738
	s_branch .LBB55_1451
.LBB55_1335:
	s_mov_b64 s[14:15], 0
	s_mov_b64 s[6:7], 0
                                        ; implicit-def: $vgpr12_vgpr13
	s_cbranch_execnz .LBB55_1372
	s_branch .LBB55_1400
.LBB55_1336:
	s_mov_b64 s[16:17], -1
	s_mov_b64 s[14:15], 0
	s_mov_b64 s[6:7], 0
                                        ; implicit-def: $vgpr12_vgpr13
	s_branch .LBB55_1353
.LBB55_1337:
	s_mov_b64 s[16:17], -1
	s_mov_b64 s[14:15], 0
	s_mov_b64 s[6:7], 0
                                        ; implicit-def: $vgpr12_vgpr13
	s_branch .LBB55_1348
.LBB55_1338:
	s_or_b64 s[2:3], s[28:29], exec
	s_trap 2
	s_cbranch_execz .LBB55_1264
	s_branch .LBB55_1265
.LBB55_1339:
	s_mov_b64 s[16:17], -1
	s_mov_b64 s[14:15], 0
	s_mov_b64 s[6:7], 0
                                        ; implicit-def: $vgpr12_vgpr13
	s_branch .LBB55_1343
.LBB55_1340:
	s_andn2_saveexec_b64 s[18:19], s[18:19]
	s_cbranch_execz .LBB55_1059
.LBB55_1341:
	v_add_f32_e32 v0, 0x42800000, v3
	v_and_b32_e32 v0, 0xff, v0
	v_cmp_ne_u32_e32 vcc, 0, v0
	s_andn2_b64 s[16:17], s[16:17], exec
	s_and_b64 s[22:23], vcc, exec
	s_or_b64 s[16:17], s[16:17], s[22:23]
	s_or_b64 exec, exec, s[18:19]
	v_mov_b32_e32 v4, 0
	s_and_saveexec_b64 s[18:19], s[16:17]
	s_cbranch_execnz .LBB55_1060
	s_branch .LBB55_1061
.LBB55_1342:
	s_mov_b64 s[6:7], -1
                                        ; implicit-def: $vgpr12_vgpr13
	s_mov_b64 s[14:15], 0
.LBB55_1343:
	s_and_b64 vcc, exec, s[16:17]
	s_cbranch_vccz .LBB55_1347
; %bb.1344:
	s_cmp_eq_u32 s18, 44
	s_cbranch_scc0 .LBB55_1346
; %bb.1345:
	global_load_ubyte v1, v[10:11], off
	s_mov_b32 s6, 0x2f800000
	s_mov_b32 s7, 0xcf800000
	s_mov_b64 s[14:15], -1
	s_waitcnt vmcnt(0)
	v_lshlrev_b32_e32 v3, 23, v1
	v_trunc_f32_e32 v3, v3
	v_mul_f32_e64 v5, |v3|, s6
	v_floor_f32_e32 v5, v5
	v_fma_f32 v8, v5, s7, |v3|
	v_cvt_u32_f32_e32 v8, v8
	v_cvt_u32_f32_e32 v5, v5
	v_ashrrev_i32_e32 v3, 31, v3
	s_mov_b64 s[6:7], 0
	v_xor_b32_e32 v8, v8, v3
	v_xor_b32_e32 v5, v5, v3
	v_sub_co_u32_e32 v8, vcc, v8, v3
	v_subb_co_u32_e32 v3, vcc, v5, v3, vcc
	v_cmp_ne_u32_e32 vcc, 0, v1
	v_cndmask_b32_e32 v13, 0, v3, vcc
	v_cndmask_b32_e32 v12, 0, v8, vcc
	s_branch .LBB55_1347
.LBB55_1346:
	s_mov_b64 s[6:7], -1
                                        ; implicit-def: $vgpr12_vgpr13
.LBB55_1347:
	s_mov_b64 s[16:17], 0
.LBB55_1348:
	s_and_b64 vcc, exec, s[16:17]
	s_cbranch_vccz .LBB55_1352
; %bb.1349:
	s_cmp_eq_u32 s18, 29
	s_cbranch_scc0 .LBB55_1351
; %bb.1350:
	global_load_dwordx2 v[12:13], v[10:11], off
	s_mov_b64 s[6:7], 0
	s_mov_b64 s[14:15], -1
	s_branch .LBB55_1352
.LBB55_1351:
	s_mov_b64 s[6:7], -1
                                        ; implicit-def: $vgpr12_vgpr13
.LBB55_1352:
	s_mov_b64 s[16:17], 0
.LBB55_1353:
	s_and_b64 vcc, exec, s[16:17]
	s_cbranch_vccz .LBB55_1371
; %bb.1354:
	s_cmp_lt_i32 s18, 27
	s_cbranch_scc1 .LBB55_1357
; %bb.1355:
	s_cmp_gt_i32 s18, 27
	s_cbranch_scc0 .LBB55_1358
; %bb.1356:
	global_load_dword v12, v[10:11], off
	s_waitcnt vmcnt(1)
	v_mov_b32_e32 v13, 0
	s_mov_b64 s[14:15], 0
	s_branch .LBB55_1359
.LBB55_1357:
	s_mov_b64 s[14:15], -1
                                        ; implicit-def: $vgpr12_vgpr13
	s_branch .LBB55_1362
.LBB55_1358:
	s_mov_b64 s[14:15], -1
                                        ; implicit-def: $vgpr12_vgpr13
.LBB55_1359:
	s_andn2_b64 vcc, exec, s[14:15]
	s_cbranch_vccnz .LBB55_1361
; %bb.1360:
	global_load_ushort v1, v[10:11], off
	s_mov_b32 s14, 0
	s_waitcnt vmcnt(1)
	v_mov_b32_e32 v13, s14
	s_waitcnt vmcnt(0)
	v_and_b32_e32 v12, 0xffff, v1
.LBB55_1361:
	s_mov_b64 s[14:15], 0
.LBB55_1362:
	s_andn2_b64 vcc, exec, s[14:15]
	s_cbranch_vccnz .LBB55_1370
; %bb.1363:
	global_load_ubyte v1, v[10:11], off
	s_movk_i32 s14, 0x7f
	s_mov_b64 s[16:17], 0
	s_waitcnt vmcnt(0)
	v_cmp_lt_i16_e32 vcc, s14, v1
	s_and_saveexec_b64 s[14:15], vcc
	s_xor_b64 s[14:15], exec, s[14:15]
; %bb.1364:
	s_movk_i32 s16, 0x80
	v_cmp_ne_u16_e32 vcc, s16, v1
	s_and_b64 s[16:17], vcc, exec
; %bb.1365:
	s_andn2_saveexec_b64 s[14:15], s[14:15]
; %bb.1366:
	v_cmp_ne_u16_e32 vcc, 0, v1
	s_andn2_b64 s[16:17], s[16:17], exec
	s_and_b64 s[22:23], vcc, exec
	s_or_b64 s[16:17], s[16:17], s[22:23]
; %bb.1367:
	s_or_b64 exec, exec, s[14:15]
	v_mov_b32_e32 v12, 0
	v_mov_b32_e32 v13, 0
	s_and_saveexec_b64 s[14:15], s[16:17]
	s_cbranch_execz .LBB55_1369
; %bb.1368:
	v_lshlrev_b32_e32 v3, 24, v1
	v_and_b32_e32 v1, 0xffff, v1
	v_and_b32_e32 v5, 7, v1
	v_ffbh_u32_e32 v12, v5
	v_min_u32_e32 v12, 32, v12
	v_subrev_u32_e32 v13, 28, v12
	v_bfe_u32 v8, v1, 3, 4
	v_lshlrev_b32_e32 v1, v13, v1
	v_sub_u32_e32 v12, 29, v12
	v_and_b32_e32 v1, 7, v1
	v_cmp_eq_u32_e32 vcc, 0, v8
	v_cndmask_b32_e32 v8, v8, v12, vcc
	v_cndmask_b32_e32 v1, v5, v1, vcc
	v_mov_b32_e32 v5, 0x3b800000
	v_lshlrev_b32_e32 v1, 20, v1
	v_and_b32_e32 v3, 0x80000000, v3
	v_lshl_add_u32 v5, v8, 23, v5
	v_or3_b32 v1, v3, v5, v1
	v_trunc_f32_e32 v1, v1
	s_mov_b32 s16, 0x2f800000
	v_mul_f32_e64 v3, |v1|, s16
	v_floor_f32_e32 v3, v3
	s_mov_b32 s16, 0xcf800000
	v_fma_f32 v5, v3, s16, |v1|
	v_cvt_u32_f32_e32 v5, v5
	v_cvt_u32_f32_e32 v3, v3
	v_ashrrev_i32_e32 v1, 31, v1
	v_xor_b32_e32 v5, v5, v1
	v_xor_b32_e32 v3, v3, v1
	v_sub_co_u32_e32 v12, vcc, v5, v1
	v_subb_co_u32_e32 v13, vcc, v3, v1, vcc
.LBB55_1369:
	s_or_b64 exec, exec, s[14:15]
.LBB55_1370:
	s_mov_b64 s[14:15], -1
.LBB55_1371:
	s_branch .LBB55_1400
.LBB55_1372:
	s_cmp_gt_i32 s18, 22
	s_cbranch_scc0 .LBB55_1382
; %bb.1373:
	s_cmp_lt_i32 s18, 24
	s_cbranch_scc1 .LBB55_1383
; %bb.1374:
	s_cmp_gt_i32 s18, 24
	s_cbranch_scc0 .LBB55_1384
; %bb.1375:
	global_load_ubyte v1, v[10:11], off
	s_movk_i32 s12, 0x7f
	s_mov_b64 s[14:15], 0
	s_waitcnt vmcnt(0)
	v_cmp_lt_i16_e32 vcc, s12, v1
	s_and_saveexec_b64 s[12:13], vcc
	s_xor_b64 s[12:13], exec, s[12:13]
; %bb.1376:
	s_movk_i32 s14, 0x80
	v_cmp_ne_u16_e32 vcc, s14, v1
	s_and_b64 s[14:15], vcc, exec
; %bb.1377:
	s_andn2_saveexec_b64 s[12:13], s[12:13]
; %bb.1378:
	v_cmp_ne_u16_e32 vcc, 0, v1
	s_andn2_b64 s[14:15], s[14:15], exec
	s_and_b64 s[16:17], vcc, exec
	s_or_b64 s[14:15], s[14:15], s[16:17]
; %bb.1379:
	s_or_b64 exec, exec, s[12:13]
	v_mov_b32_e32 v12, 0
	v_mov_b32_e32 v13, 0
	s_and_saveexec_b64 s[12:13], s[14:15]
	s_cbranch_execz .LBB55_1381
; %bb.1380:
	v_lshlrev_b32_e32 v3, 24, v1
	v_and_b32_e32 v1, 0xffff, v1
	v_and_b32_e32 v5, 3, v1
	v_ffbh_u32_e32 v12, v5
	v_min_u32_e32 v12, 32, v12
	v_subrev_u32_e32 v13, 29, v12
	v_bfe_u32 v8, v1, 2, 5
	v_lshlrev_b32_e32 v1, v13, v1
	v_sub_u32_e32 v12, 30, v12
	v_and_b32_e32 v1, 3, v1
	v_cmp_eq_u32_e32 vcc, 0, v8
	v_cndmask_b32_e32 v8, v8, v12, vcc
	v_cndmask_b32_e32 v1, v5, v1, vcc
	v_mov_b32_e32 v5, 0x37800000
	v_lshlrev_b32_e32 v1, 21, v1
	v_and_b32_e32 v3, 0x80000000, v3
	v_lshl_add_u32 v5, v8, 23, v5
	v_or3_b32 v1, v3, v5, v1
	v_trunc_f32_e32 v1, v1
	s_mov_b32 s14, 0x2f800000
	v_mul_f32_e64 v3, |v1|, s14
	v_floor_f32_e32 v3, v3
	s_mov_b32 s14, 0xcf800000
	v_fma_f32 v5, v3, s14, |v1|
	v_cvt_u32_f32_e32 v5, v5
	v_cvt_u32_f32_e32 v3, v3
	v_ashrrev_i32_e32 v1, 31, v1
	v_xor_b32_e32 v5, v5, v1
	v_xor_b32_e32 v3, v3, v1
	v_sub_co_u32_e32 v12, vcc, v5, v1
	v_subb_co_u32_e32 v13, vcc, v3, v1, vcc
.LBB55_1381:
	s_or_b64 exec, exec, s[12:13]
	s_mov_b64 s[12:13], 0
	s_branch .LBB55_1385
.LBB55_1382:
	s_mov_b64 s[12:13], -1
                                        ; implicit-def: $vgpr12_vgpr13
	s_branch .LBB55_1391
.LBB55_1383:
	s_mov_b64 s[12:13], -1
                                        ; implicit-def: $vgpr12_vgpr13
	s_branch .LBB55_1388
.LBB55_1384:
	s_mov_b64 s[12:13], -1
                                        ; implicit-def: $vgpr12_vgpr13
.LBB55_1385:
	s_and_b64 vcc, exec, s[12:13]
	s_cbranch_vccz .LBB55_1387
; %bb.1386:
	global_load_ubyte v1, v[10:11], off
	s_mov_b32 s12, 0x7f800000
	s_brev_b32 s13, 1
	s_mov_b32 s14, 0x2f800000
	s_mov_b32 s15, 0xcf800000
	s_waitcnt vmcnt(0)
	v_lshlrev_b32_e32 v1, 24, v1
	v_and_b32_e32 v3, 0x7f000000, v1
	v_ffbh_u32_e32 v5, v3
	v_min_u32_e32 v5, 32, v5
	v_sub_u32_e64 v5, v5, 4 clamp
	v_lshlrev_b32_e32 v12, v5, v3
	v_lshlrev_b32_e32 v5, 23, v5
	v_lshrrev_b32_e32 v12, 4, v12
	v_add_u32_e32 v8, 0x1000000, v3
	v_sub_u32_e32 v5, v12, v5
	v_ashrrev_i32_e32 v8, 8, v8
	v_add_u32_e32 v5, 0x3c000000, v5
	v_and_or_b32 v5, v8, s12, v5
	v_cmp_ne_u32_e32 vcc, 0, v3
	v_cndmask_b32_e32 v3, 0, v5, vcc
	v_and_or_b32 v1, v1, s13, v3
	v_trunc_f32_e32 v1, v1
	v_mul_f32_e64 v3, |v1|, s14
	v_floor_f32_e32 v3, v3
	v_fma_f32 v5, v3, s15, |v1|
	v_cvt_u32_f32_e32 v5, v5
	v_cvt_u32_f32_e32 v3, v3
	v_ashrrev_i32_e32 v1, 31, v1
	v_xor_b32_e32 v5, v5, v1
	v_xor_b32_e32 v3, v3, v1
	v_sub_co_u32_e32 v12, vcc, v5, v1
	v_subb_co_u32_e32 v13, vcc, v3, v1, vcc
.LBB55_1387:
	s_mov_b64 s[12:13], 0
.LBB55_1388:
	s_andn2_b64 vcc, exec, s[12:13]
	s_cbranch_vccnz .LBB55_1390
; %bb.1389:
	global_load_ubyte v1, v[10:11], off
	s_movk_i32 s12, 0x7f00
	s_brev_b32 s13, 16
	s_brev_b32 s14, 1
	s_mov_b32 s15, 0x2f800000
	s_mov_b32 s16, 0xcf800000
	s_waitcnt vmcnt(0)
	v_lshlrev_b16_e32 v3, 8, v1
	v_lshlrev_b32_e32 v1, 25, v1
	v_lshrrev_b32_e32 v5, 4, v1
	v_and_or_b32 v8, v3, s12, 0.5
	v_or_b32_e32 v5, 0x70000000, v5
	v_add_f32_e32 v8, -0.5, v8
	v_mul_f32_e32 v5, 0x7800000, v5
	v_cmp_gt_u32_e32 vcc, s13, v1
	v_bfe_i32 v3, v3, 0, 16
	v_cndmask_b32_e32 v1, v5, v8, vcc
	v_and_or_b32 v1, v3, s14, v1
	v_trunc_f32_e32 v1, v1
	v_mul_f32_e64 v3, |v1|, s15
	v_floor_f32_e32 v3, v3
	v_fma_f32 v5, v3, s16, |v1|
	v_cvt_u32_f32_e32 v5, v5
	v_cvt_u32_f32_e32 v3, v3
	v_ashrrev_i32_e32 v1, 31, v1
	v_xor_b32_e32 v5, v5, v1
	v_xor_b32_e32 v3, v3, v1
	v_sub_co_u32_e32 v12, vcc, v5, v1
	v_subb_co_u32_e32 v13, vcc, v3, v1, vcc
.LBB55_1390:
	s_mov_b64 s[12:13], 0
	s_mov_b64 s[14:15], -1
.LBB55_1391:
	s_andn2_b64 vcc, exec, s[12:13]
	s_mov_b64 s[12:13], 0
	s_cbranch_vccnz .LBB55_1400
; %bb.1392:
	s_cmp_gt_i32 s18, 14
	s_cbranch_scc0 .LBB55_1395
; %bb.1393:
	s_cmp_eq_u32 s18, 15
	s_cbranch_scc0 .LBB55_1396
; %bb.1394:
	global_load_ushort v1, v[10:11], off
	s_mov_b32 s6, 0x2f800000
	s_mov_b32 s7, 0xcf800000
	s_mov_b64 s[14:15], -1
	s_waitcnt vmcnt(0)
	v_lshlrev_b32_e32 v1, 16, v1
	v_trunc_f32_e32 v1, v1
	v_mul_f32_e64 v3, |v1|, s6
	v_floor_f32_e32 v3, v3
	v_fma_f32 v5, v3, s7, |v1|
	v_cvt_u32_f32_e32 v5, v5
	v_cvt_u32_f32_e32 v3, v3
	v_ashrrev_i32_e32 v1, 31, v1
	s_mov_b64 s[6:7], 0
	v_xor_b32_e32 v5, v5, v1
	v_xor_b32_e32 v3, v3, v1
	v_sub_co_u32_e32 v12, vcc, v5, v1
	v_subb_co_u32_e32 v13, vcc, v3, v1, vcc
	s_branch .LBB55_1397
.LBB55_1395:
	s_mov_b64 s[16:17], -1
                                        ; implicit-def: $vgpr12_vgpr13
	s_branch .LBB55_1398
.LBB55_1396:
	s_mov_b64 s[6:7], -1
                                        ; implicit-def: $vgpr12_vgpr13
.LBB55_1397:
	s_mov_b64 s[16:17], 0
.LBB55_1398:
	s_and_b64 vcc, exec, s[16:17]
	s_cbranch_vccz .LBB55_1400
; %bb.1399:
	s_cmp_lg_u32 s18, 11
	s_mov_b64 s[12:13], -1
	s_cselect_b64 s[6:7], -1, 0
.LBB55_1400:
	s_and_b64 vcc, exec, s[6:7]
	s_cbranch_vccnz .LBB55_1479
; %bb.1401:
	s_andn2_b64 vcc, exec, s[12:13]
	s_cbranch_vccnz .LBB55_1403
.LBB55_1402:
	global_load_ubyte v1, v[10:11], off
	s_mov_b32 s6, 0
	s_waitcnt vmcnt(1)
	v_mov_b32_e32 v13, s6
	s_mov_b64 s[14:15], -1
	s_waitcnt vmcnt(0)
	v_cmp_ne_u16_e32 vcc, 0, v1
	v_cndmask_b32_e64 v12, 0, 1, vcc
.LBB55_1403:
	s_branch .LBB55_1334
.LBB55_1404:
	s_and_b32 s12, 0xffff, s21
	s_cmp_lt_i32 s12, 5
	s_cbranch_scc1 .LBB55_1409
; %bb.1405:
	s_cmp_lt_i32 s12, 8
	s_cbranch_scc1 .LBB55_1410
; %bb.1406:
	;; [unrolled: 3-line block ×3, first 2 shown]
	s_cmp_gt_i32 s12, 9
	s_cbranch_scc0 .LBB55_1412
; %bb.1408:
	global_load_dwordx2 v[12:13], v[10:11], off
	s_movk_i32 s6, 0xffe0
	s_waitcnt vmcnt(0)
	v_trunc_f64_e32 v[12:13], v[12:13]
	v_ldexp_f64 v[14:15], v[12:13], s6
	s_mov_b32 s6, 0
	s_mov_b32 s7, 0xc1f00000
	v_floor_f64_e32 v[14:15], v[14:15]
	v_fma_f64 v[16:17], v[14:15], s[6:7], v[12:13]
	v_cvt_i32_f64_e32 v13, v[14:15]
	s_mov_b64 s[6:7], 0
	v_cvt_u32_f64_e32 v12, v[16:17]
	s_branch .LBB55_1413
.LBB55_1409:
                                        ; implicit-def: $vgpr12_vgpr13
	s_branch .LBB55_1431
.LBB55_1410:
	s_mov_b64 s[6:7], -1
                                        ; implicit-def: $vgpr12_vgpr13
	s_branch .LBB55_1419
.LBB55_1411:
	s_mov_b64 s[6:7], -1
                                        ; implicit-def: $vgpr12_vgpr13
	s_branch .LBB55_1416
.LBB55_1412:
	s_mov_b64 s[6:7], -1
                                        ; implicit-def: $vgpr12_vgpr13
.LBB55_1413:
	s_andn2_b64 vcc, exec, s[6:7]
	s_cbranch_vccnz .LBB55_1415
; %bb.1414:
	global_load_dword v1, v[10:11], off
	s_mov_b32 s6, 0x2f800000
	s_mov_b32 s7, 0xcf800000
	s_waitcnt vmcnt(0)
	v_trunc_f32_e32 v1, v1
	v_mul_f32_e64 v3, |v1|, s6
	v_floor_f32_e32 v3, v3
	v_cvt_u32_f32_e32 v5, v3
	v_fma_f32 v3, v3, s7, |v1|
	v_cvt_u32_f32_e32 v3, v3
	v_ashrrev_i32_e32 v1, 31, v1
	v_xor_b32_e32 v5, v5, v1
	v_xor_b32_e32 v3, v3, v1
	v_sub_co_u32_e32 v12, vcc, v3, v1
	v_subb_co_u32_e32 v13, vcc, v5, v1, vcc
.LBB55_1415:
	s_mov_b64 s[6:7], 0
.LBB55_1416:
	s_andn2_b64 vcc, exec, s[6:7]
	s_cbranch_vccnz .LBB55_1418
; %bb.1417:
	global_load_dword v1, v[10:11], off
	s_waitcnt vmcnt(0)
	v_cvt_f32_f16_e32 v1, v1
	v_cvt_i32_f32_e32 v12, v1
	v_ashrrev_i32_e32 v13, 31, v12
.LBB55_1418:
	s_mov_b64 s[6:7], 0
.LBB55_1419:
	s_andn2_b64 vcc, exec, s[6:7]
	s_cbranch_vccnz .LBB55_1430
; %bb.1420:
	s_cmp_lt_i32 s12, 6
	s_cbranch_scc1 .LBB55_1423
; %bb.1421:
	s_cmp_gt_i32 s12, 6
	s_cbranch_scc0 .LBB55_1424
; %bb.1422:
	global_load_dwordx2 v[12:13], v[10:11], off
	s_movk_i32 s6, 0xffe0
	s_waitcnt vmcnt(0)
	v_trunc_f64_e32 v[12:13], v[12:13]
	v_ldexp_f64 v[14:15], v[12:13], s6
	s_mov_b32 s6, 0
	s_mov_b32 s7, 0xc1f00000
	v_floor_f64_e32 v[14:15], v[14:15]
	v_fma_f64 v[16:17], v[14:15], s[6:7], v[12:13]
	v_cvt_i32_f64_e32 v13, v[14:15]
	s_mov_b64 s[6:7], 0
	v_cvt_u32_f64_e32 v12, v[16:17]
	s_branch .LBB55_1425
.LBB55_1423:
	s_mov_b64 s[6:7], -1
                                        ; implicit-def: $vgpr12_vgpr13
	s_branch .LBB55_1428
.LBB55_1424:
	s_mov_b64 s[6:7], -1
                                        ; implicit-def: $vgpr12_vgpr13
.LBB55_1425:
	s_andn2_b64 vcc, exec, s[6:7]
	s_cbranch_vccnz .LBB55_1427
; %bb.1426:
	global_load_dword v1, v[10:11], off
	s_mov_b32 s6, 0x2f800000
	s_mov_b32 s7, 0xcf800000
	s_waitcnt vmcnt(0)
	v_trunc_f32_e32 v1, v1
	v_mul_f32_e64 v3, |v1|, s6
	v_floor_f32_e32 v3, v3
	v_cvt_u32_f32_e32 v5, v3
	v_fma_f32 v3, v3, s7, |v1|
	v_cvt_u32_f32_e32 v3, v3
	v_ashrrev_i32_e32 v1, 31, v1
	v_xor_b32_e32 v5, v5, v1
	v_xor_b32_e32 v3, v3, v1
	v_sub_co_u32_e32 v12, vcc, v3, v1
	v_subb_co_u32_e32 v13, vcc, v5, v1, vcc
.LBB55_1427:
	s_mov_b64 s[6:7], 0
.LBB55_1428:
	s_andn2_b64 vcc, exec, s[6:7]
	s_cbranch_vccnz .LBB55_1430
; %bb.1429:
	global_load_ushort v1, v[10:11], off
	s_waitcnt vmcnt(0)
	v_cvt_f32_f16_e32 v1, v1
	v_cvt_i32_f32_e32 v12, v1
	v_ashrrev_i32_e32 v13, 31, v12
.LBB55_1430:
	s_cbranch_execnz .LBB55_1450
.LBB55_1431:
	s_cmp_lt_i32 s12, 2
	s_cbranch_scc1 .LBB55_1435
; %bb.1432:
	s_cmp_lt_i32 s12, 3
	s_cbranch_scc1 .LBB55_1436
; %bb.1433:
	s_cmp_gt_i32 s12, 3
	s_cbranch_scc0 .LBB55_1437
; %bb.1434:
	global_load_dwordx2 v[12:13], v[10:11], off
	s_mov_b64 s[6:7], 0
	s_branch .LBB55_1438
.LBB55_1435:
	s_mov_b64 s[6:7], -1
                                        ; implicit-def: $vgpr12_vgpr13
	s_branch .LBB55_1444
.LBB55_1436:
	s_mov_b64 s[6:7], -1
                                        ; implicit-def: $vgpr12_vgpr13
	s_branch .LBB55_1441
.LBB55_1437:
	s_mov_b64 s[6:7], -1
                                        ; implicit-def: $vgpr12_vgpr13
.LBB55_1438:
	s_andn2_b64 vcc, exec, s[6:7]
	s_cbranch_vccnz .LBB55_1440
; %bb.1439:
	global_load_dword v12, v[10:11], off
	s_waitcnt vmcnt(0)
	v_ashrrev_i32_e32 v13, 31, v12
.LBB55_1440:
	s_mov_b64 s[6:7], 0
.LBB55_1441:
	s_andn2_b64 vcc, exec, s[6:7]
	s_cbranch_vccnz .LBB55_1443
; %bb.1442:
	global_load_ushort v1, v[10:11], off
	s_waitcnt vmcnt(0)
	v_bfe_i32 v12, v1, 0, 16
	v_ashrrev_i32_e32 v13, 31, v12
.LBB55_1443:
	s_mov_b64 s[6:7], 0
.LBB55_1444:
	s_andn2_b64 vcc, exec, s[6:7]
	s_cbranch_vccnz .LBB55_1450
; %bb.1445:
	s_cmp_gt_i32 s12, 0
	s_cbranch_scc0 .LBB55_1447
; %bb.1446:
	global_load_sbyte v1, v[10:11], off
	s_mov_b64 s[6:7], 0
	s_waitcnt vmcnt(0)
	v_bfe_i32 v12, v1, 0, 16
	v_ashrrev_i32_e32 v13, 31, v12
	s_branch .LBB55_1448
.LBB55_1447:
	s_mov_b64 s[6:7], -1
                                        ; implicit-def: $vgpr12_vgpr13
.LBB55_1448:
	s_andn2_b64 vcc, exec, s[6:7]
	s_cbranch_vccnz .LBB55_1450
; %bb.1449:
	global_load_ubyte v1, v[10:11], off
	s_mov_b32 s6, 0
	s_waitcnt vmcnt(1)
	v_mov_b32_e32 v13, s6
	s_waitcnt vmcnt(0)
	v_and_b32_e32 v12, 0xffff, v1
.LBB55_1450:
.LBB55_1451:
	s_cmp_lt_i32 s20, 1
	s_mov_b64 s[12:13], 0
	s_cbranch_scc1 .LBB55_1455
; %bb.1452:
	s_cmp_gt_i32 s20, 1
	s_cbranch_scc0 .LBB55_1456
; %bb.1453:
	s_cmp_eq_u32 s20, 2
	s_cbranch_scc0 .LBB55_1457
; %bb.1454:
	s_waitcnt vmcnt(0)
	v_cmp_ge_i64_e64 s[6:7], s[0:1], v[12:13]
	s_mov_b64 s[14:15], 0
	s_branch .LBB55_1458
.LBB55_1455:
                                        ; implicit-def: $sgpr6_sgpr7
	s_mov_b64 s[14:15], 0
	s_cbranch_execnz .LBB55_1462
	s_branch .LBB55_1463
.LBB55_1456:
	s_mov_b64 s[16:17], -1
	s_mov_b64 s[14:15], 0
                                        ; implicit-def: $sgpr6_sgpr7
	s_branch .LBB55_1459
.LBB55_1457:
	s_mov_b64 s[14:15], -1
                                        ; implicit-def: $sgpr6_sgpr7
.LBB55_1458:
	s_mov_b64 s[16:17], 0
.LBB55_1459:
	s_and_b64 vcc, exec, s[16:17]
	s_cbranch_vccz .LBB55_1461
; %bb.1460:
	s_waitcnt vmcnt(0)
	v_cmp_lt_i64_e32 vcc, s[0:1], v[12:13]
	s_andn2_b64 s[6:7], s[6:7], exec
	s_and_b64 s[16:17], vcc, exec
	s_or_b64 s[6:7], s[6:7], s[16:17]
.LBB55_1461:
	s_branch .LBB55_1463
.LBB55_1462:
	s_cmp_lg_u32 s20, 0
	s_mov_b64 s[12:13], -1
	s_cselect_b64 s[14:15], -1, 0
.LBB55_1463:
	s_andn2_b64 vcc, exec, s[14:15]
	s_cbranch_vccnz .LBB55_1465
; %bb.1464:
	s_waitcnt vmcnt(0)
	v_cmp_gt_i64_e32 vcc, s[0:1], v[12:13]
	s_andn2_b64 s[6:7], s[6:7], exec
	s_and_b64 s[14:15], vcc, exec
	s_or_b64 s[6:7], s[6:7], s[14:15]
	s_cbranch_execz .LBB55_1466
	s_branch .LBB55_1467
.LBB55_1465:
	s_andn2_b64 vcc, exec, s[12:13]
	s_cbranch_vccnz .LBB55_1467
.LBB55_1466:
	s_waitcnt vmcnt(0)
	v_cmp_le_i64_e32 vcc, s[0:1], v[12:13]
	s_andn2_b64 s[6:7], s[6:7], exec
	s_and_b64 s[12:13], vcc, exec
	s_or_b64 s[6:7], s[6:7], s[12:13]
.LBB55_1467:
	v_mov_b32_e32 v1, s11
	v_add_co_u32_e32 v8, vcc, s10, v9
	s_cmp_lt_i32 s21, 11
	v_addc_co_u32_e32 v9, vcc, 0, v1, vcc
	s_cbranch_scc1 .LBB55_1474
; %bb.1468:
	s_and_b32 s22, 0xffff, s21
	s_cmp_gt_i32 s22, 25
	s_mov_b64 s[14:15], 0
	s_cbranch_scc0 .LBB55_1476
; %bb.1469:
	s_cmp_gt_i32 s22, 28
	s_cbranch_scc0 .LBB55_1477
; %bb.1470:
	s_cmp_gt_i32 s22, 43
	s_cbranch_scc0 .LBB55_1478
; %bb.1471:
	s_cmp_gt_i32 s22, 45
	s_cbranch_scc0 .LBB55_1480
; %bb.1472:
	s_cmp_eq_u32 s22, 46
	s_mov_b64 s[18:19], 0
	s_cbranch_scc0 .LBB55_1481
; %bb.1473:
	global_load_dword v1, v[8:9], off
	s_mov_b32 s12, 0x2f800000
	s_mov_b32 s13, 0xcf800000
	s_mov_b64 s[16:17], -1
	s_waitcnt vmcnt(0)
	v_lshlrev_b32_e32 v1, 16, v1
	v_trunc_f32_e32 v1, v1
	v_mul_f32_e64 v3, |v1|, s12
	v_floor_f32_e32 v3, v3
	v_fma_f32 v5, v3, s13, |v1|
	v_cvt_u32_f32_e32 v5, v5
	v_cvt_u32_f32_e32 v3, v3
	v_ashrrev_i32_e32 v1, 31, v1
	s_mov_b64 s[12:13], 0
	v_xor_b32_e32 v5, v5, v1
	v_xor_b32_e32 v3, v3, v1
	v_sub_co_u32_e32 v10, vcc, v5, v1
	v_subb_co_u32_e32 v11, vcc, v3, v1, vcc
	s_branch .LBB55_1482
.LBB55_1474:
	s_mov_b64 s[16:17], 0
                                        ; implicit-def: $vgpr10_vgpr11
	s_cbranch_execnz .LBB55_1544
.LBB55_1475:
	s_andn2_b64 vcc, exec, s[16:17]
	s_cbranch_vccnz .LBB55_1738
	s_branch .LBB55_1592
.LBB55_1476:
	s_mov_b64 s[18:19], -1
	s_mov_b64 s[16:17], 0
	s_mov_b64 s[12:13], 0
                                        ; implicit-def: $vgpr10_vgpr11
	s_branch .LBB55_1511
.LBB55_1477:
	s_mov_b64 s[18:19], -1
	s_mov_b64 s[16:17], 0
	s_mov_b64 s[12:13], 0
                                        ; implicit-def: $vgpr10_vgpr11
	s_branch .LBB55_1492
.LBB55_1478:
	s_mov_b64 s[18:19], -1
	s_mov_b64 s[16:17], 0
	s_mov_b64 s[12:13], 0
                                        ; implicit-def: $vgpr10_vgpr11
	s_branch .LBB55_1487
.LBB55_1479:
	s_trap 2
	s_or_b64 s[2:3], s[2:3], exec
	s_cbranch_execz .LBB55_1402
	s_branch .LBB55_1403
.LBB55_1480:
	s_mov_b64 s[18:19], -1
	s_mov_b64 s[16:17], 0
	s_mov_b64 s[12:13], 0
                                        ; implicit-def: $vgpr10_vgpr11
	s_branch .LBB55_1482
.LBB55_1481:
	s_mov_b64 s[12:13], -1
                                        ; implicit-def: $vgpr10_vgpr11
	s_mov_b64 s[16:17], 0
.LBB55_1482:
	s_and_b64 vcc, exec, s[18:19]
	s_cbranch_vccz .LBB55_1486
; %bb.1483:
	s_cmp_eq_u32 s22, 44
	s_cbranch_scc0 .LBB55_1485
; %bb.1484:
	global_load_ubyte v1, v[8:9], off
	s_mov_b32 s12, 0x2f800000
	s_mov_b32 s13, 0xcf800000
	s_mov_b64 s[16:17], -1
	s_waitcnt vmcnt(0)
	v_lshlrev_b32_e32 v3, 23, v1
	v_trunc_f32_e32 v3, v3
	v_mul_f32_e64 v5, |v3|, s12
	v_floor_f32_e32 v5, v5
	v_fma_f32 v10, v5, s13, |v3|
	v_cvt_u32_f32_e32 v10, v10
	v_cvt_u32_f32_e32 v5, v5
	v_ashrrev_i32_e32 v3, 31, v3
	s_mov_b64 s[12:13], 0
	v_xor_b32_e32 v10, v10, v3
	v_xor_b32_e32 v5, v5, v3
	v_sub_co_u32_e32 v10, vcc, v10, v3
	v_subb_co_u32_e32 v3, vcc, v5, v3, vcc
	v_cmp_ne_u32_e32 vcc, 0, v1
	v_cndmask_b32_e32 v11, 0, v3, vcc
	v_cndmask_b32_e32 v10, 0, v10, vcc
	s_branch .LBB55_1486
.LBB55_1485:
	s_mov_b64 s[12:13], -1
                                        ; implicit-def: $vgpr10_vgpr11
.LBB55_1486:
	s_mov_b64 s[18:19], 0
.LBB55_1487:
	s_and_b64 vcc, exec, s[18:19]
	s_cbranch_vccz .LBB55_1491
; %bb.1488:
	s_cmp_eq_u32 s22, 29
	s_cbranch_scc0 .LBB55_1490
; %bb.1489:
	global_load_dwordx2 v[10:11], v[8:9], off
	s_mov_b64 s[12:13], 0
	s_mov_b64 s[16:17], -1
	s_branch .LBB55_1491
.LBB55_1490:
	s_mov_b64 s[12:13], -1
                                        ; implicit-def: $vgpr10_vgpr11
.LBB55_1491:
	s_mov_b64 s[18:19], 0
.LBB55_1492:
	s_and_b64 vcc, exec, s[18:19]
	s_cbranch_vccz .LBB55_1510
; %bb.1493:
	s_cmp_lt_i32 s22, 27
	s_cbranch_scc1 .LBB55_1496
; %bb.1494:
	s_cmp_gt_i32 s22, 27
	s_cbranch_scc0 .LBB55_1497
; %bb.1495:
	global_load_dword v10, v[8:9], off
	s_waitcnt vmcnt(1)
	v_mov_b32_e32 v11, 0
	s_mov_b64 s[16:17], 0
	s_branch .LBB55_1498
.LBB55_1496:
	s_mov_b64 s[16:17], -1
                                        ; implicit-def: $vgpr10_vgpr11
	s_branch .LBB55_1501
.LBB55_1497:
	s_mov_b64 s[16:17], -1
                                        ; implicit-def: $vgpr10_vgpr11
.LBB55_1498:
	s_andn2_b64 vcc, exec, s[16:17]
	s_cbranch_vccnz .LBB55_1500
; %bb.1499:
	global_load_ushort v1, v[8:9], off
	s_mov_b32 s16, 0
	s_waitcnt vmcnt(1)
	v_mov_b32_e32 v11, s16
	s_waitcnt vmcnt(0)
	v_and_b32_e32 v10, 0xffff, v1
.LBB55_1500:
	s_mov_b64 s[16:17], 0
.LBB55_1501:
	s_andn2_b64 vcc, exec, s[16:17]
	s_cbranch_vccnz .LBB55_1509
; %bb.1502:
	global_load_ubyte v1, v[8:9], off
	s_movk_i32 s16, 0x7f
	s_mov_b64 s[18:19], 0
	s_waitcnt vmcnt(0)
	v_cmp_lt_i16_e32 vcc, s16, v1
	s_and_saveexec_b64 s[16:17], vcc
	s_xor_b64 s[16:17], exec, s[16:17]
; %bb.1503:
	s_movk_i32 s18, 0x80
	v_cmp_ne_u16_e32 vcc, s18, v1
	s_and_b64 s[18:19], vcc, exec
; %bb.1504:
	s_andn2_saveexec_b64 s[16:17], s[16:17]
; %bb.1505:
	v_cmp_ne_u16_e32 vcc, 0, v1
	s_andn2_b64 s[18:19], s[18:19], exec
	s_and_b64 s[24:25], vcc, exec
	s_or_b64 s[18:19], s[18:19], s[24:25]
; %bb.1506:
	s_or_b64 exec, exec, s[16:17]
	v_mov_b32_e32 v10, 0
	v_mov_b32_e32 v11, 0
	s_and_saveexec_b64 s[16:17], s[18:19]
	s_cbranch_execz .LBB55_1508
; %bb.1507:
	v_lshlrev_b32_e32 v3, 24, v1
	v_and_b32_e32 v1, 0xffff, v1
	v_and_b32_e32 v5, 7, v1
	v_ffbh_u32_e32 v11, v5
	v_min_u32_e32 v11, 32, v11
	v_subrev_u32_e32 v12, 28, v11
	v_bfe_u32 v10, v1, 3, 4
	v_lshlrev_b32_e32 v1, v12, v1
	v_sub_u32_e32 v11, 29, v11
	v_and_b32_e32 v1, 7, v1
	v_cmp_eq_u32_e32 vcc, 0, v10
	v_cndmask_b32_e32 v10, v10, v11, vcc
	v_cndmask_b32_e32 v1, v5, v1, vcc
	v_mov_b32_e32 v5, 0x3b800000
	v_lshlrev_b32_e32 v1, 20, v1
	v_and_b32_e32 v3, 0x80000000, v3
	v_lshl_add_u32 v5, v10, 23, v5
	v_or3_b32 v1, v3, v5, v1
	v_trunc_f32_e32 v1, v1
	s_mov_b32 s18, 0x2f800000
	v_mul_f32_e64 v3, |v1|, s18
	v_floor_f32_e32 v3, v3
	s_mov_b32 s18, 0xcf800000
	v_fma_f32 v5, v3, s18, |v1|
	v_cvt_u32_f32_e32 v5, v5
	v_cvt_u32_f32_e32 v3, v3
	v_ashrrev_i32_e32 v1, 31, v1
	v_xor_b32_e32 v5, v5, v1
	v_xor_b32_e32 v3, v3, v1
	v_sub_co_u32_e32 v10, vcc, v5, v1
	v_subb_co_u32_e32 v11, vcc, v3, v1, vcc
.LBB55_1508:
	s_or_b64 exec, exec, s[16:17]
.LBB55_1509:
	s_mov_b64 s[16:17], -1
.LBB55_1510:
	s_mov_b64 s[18:19], 0
.LBB55_1511:
	s_and_b64 vcc, exec, s[18:19]
	s_cbranch_vccz .LBB55_1540
; %bb.1512:
	s_cmp_gt_i32 s22, 22
	s_cbranch_scc0 .LBB55_1522
; %bb.1513:
	s_cmp_lt_i32 s22, 24
	s_cbranch_scc1 .LBB55_1523
; %bb.1514:
	s_cmp_gt_i32 s22, 24
	s_cbranch_scc0 .LBB55_1524
; %bb.1515:
	global_load_ubyte v1, v[8:9], off
	s_movk_i32 s14, 0x7f
	s_mov_b64 s[16:17], 0
	s_waitcnt vmcnt(0)
	v_cmp_lt_i16_e32 vcc, s14, v1
	s_and_saveexec_b64 s[14:15], vcc
	s_xor_b64 s[14:15], exec, s[14:15]
; %bb.1516:
	s_movk_i32 s16, 0x80
	v_cmp_ne_u16_e32 vcc, s16, v1
	s_and_b64 s[16:17], vcc, exec
; %bb.1517:
	s_andn2_saveexec_b64 s[14:15], s[14:15]
; %bb.1518:
	v_cmp_ne_u16_e32 vcc, 0, v1
	s_andn2_b64 s[16:17], s[16:17], exec
	s_and_b64 s[18:19], vcc, exec
	s_or_b64 s[16:17], s[16:17], s[18:19]
; %bb.1519:
	s_or_b64 exec, exec, s[14:15]
	v_mov_b32_e32 v10, 0
	v_mov_b32_e32 v11, 0
	s_and_saveexec_b64 s[14:15], s[16:17]
	s_cbranch_execz .LBB55_1521
; %bb.1520:
	v_lshlrev_b32_e32 v3, 24, v1
	v_and_b32_e32 v1, 0xffff, v1
	v_and_b32_e32 v5, 3, v1
	v_ffbh_u32_e32 v11, v5
	v_min_u32_e32 v11, 32, v11
	v_subrev_u32_e32 v12, 29, v11
	v_bfe_u32 v10, v1, 2, 5
	v_lshlrev_b32_e32 v1, v12, v1
	v_sub_u32_e32 v11, 30, v11
	v_and_b32_e32 v1, 3, v1
	v_cmp_eq_u32_e32 vcc, 0, v10
	v_cndmask_b32_e32 v10, v10, v11, vcc
	v_cndmask_b32_e32 v1, v5, v1, vcc
	v_mov_b32_e32 v5, 0x37800000
	v_lshlrev_b32_e32 v1, 21, v1
	v_and_b32_e32 v3, 0x80000000, v3
	v_lshl_add_u32 v5, v10, 23, v5
	v_or3_b32 v1, v3, v5, v1
	v_trunc_f32_e32 v1, v1
	s_mov_b32 s16, 0x2f800000
	v_mul_f32_e64 v3, |v1|, s16
	v_floor_f32_e32 v3, v3
	s_mov_b32 s16, 0xcf800000
	v_fma_f32 v5, v3, s16, |v1|
	v_cvt_u32_f32_e32 v5, v5
	v_cvt_u32_f32_e32 v3, v3
	v_ashrrev_i32_e32 v1, 31, v1
	v_xor_b32_e32 v5, v5, v1
	v_xor_b32_e32 v3, v3, v1
	v_sub_co_u32_e32 v10, vcc, v5, v1
	v_subb_co_u32_e32 v11, vcc, v3, v1, vcc
.LBB55_1521:
	s_or_b64 exec, exec, s[14:15]
	s_mov_b64 s[14:15], 0
	s_branch .LBB55_1525
.LBB55_1522:
	s_mov_b64 s[14:15], -1
                                        ; implicit-def: $vgpr10_vgpr11
	s_branch .LBB55_1531
.LBB55_1523:
	s_mov_b64 s[14:15], -1
                                        ; implicit-def: $vgpr10_vgpr11
	s_branch .LBB55_1528
.LBB55_1524:
	s_mov_b64 s[14:15], -1
                                        ; implicit-def: $vgpr10_vgpr11
.LBB55_1525:
	s_and_b64 vcc, exec, s[14:15]
	s_cbranch_vccz .LBB55_1527
; %bb.1526:
	global_load_ubyte v1, v[8:9], off
	s_mov_b32 s14, 0x7f800000
	s_brev_b32 s15, 1
	s_mov_b32 s16, 0x2f800000
	s_mov_b32 s17, 0xcf800000
	s_waitcnt vmcnt(0)
	v_lshlrev_b32_e32 v1, 24, v1
	v_and_b32_e32 v3, 0x7f000000, v1
	v_ffbh_u32_e32 v5, v3
	v_min_u32_e32 v5, 32, v5
	v_sub_u32_e64 v5, v5, 4 clamp
	v_lshlrev_b32_e32 v11, v5, v3
	v_lshlrev_b32_e32 v5, 23, v5
	v_lshrrev_b32_e32 v11, 4, v11
	v_add_u32_e32 v10, 0x1000000, v3
	v_sub_u32_e32 v5, v11, v5
	v_ashrrev_i32_e32 v10, 8, v10
	v_add_u32_e32 v5, 0x3c000000, v5
	v_and_or_b32 v5, v10, s14, v5
	v_cmp_ne_u32_e32 vcc, 0, v3
	v_cndmask_b32_e32 v3, 0, v5, vcc
	v_and_or_b32 v1, v1, s15, v3
	v_trunc_f32_e32 v1, v1
	v_mul_f32_e64 v3, |v1|, s16
	v_floor_f32_e32 v3, v3
	v_fma_f32 v5, v3, s17, |v1|
	v_cvt_u32_f32_e32 v5, v5
	v_cvt_u32_f32_e32 v3, v3
	v_ashrrev_i32_e32 v1, 31, v1
	v_xor_b32_e32 v5, v5, v1
	v_xor_b32_e32 v3, v3, v1
	v_sub_co_u32_e32 v10, vcc, v5, v1
	v_subb_co_u32_e32 v11, vcc, v3, v1, vcc
.LBB55_1527:
	s_mov_b64 s[14:15], 0
.LBB55_1528:
	s_andn2_b64 vcc, exec, s[14:15]
	s_cbranch_vccnz .LBB55_1530
; %bb.1529:
	global_load_ubyte v1, v[8:9], off
	s_movk_i32 s14, 0x7f00
	s_brev_b32 s15, 16
	s_brev_b32 s16, 1
	s_mov_b32 s17, 0x2f800000
	s_mov_b32 s18, 0xcf800000
	s_waitcnt vmcnt(0)
	v_lshlrev_b16_e32 v3, 8, v1
	v_lshlrev_b32_e32 v1, 25, v1
	v_lshrrev_b32_e32 v5, 4, v1
	v_and_or_b32 v10, v3, s14, 0.5
	v_or_b32_e32 v5, 0x70000000, v5
	v_add_f32_e32 v10, -0.5, v10
	v_mul_f32_e32 v5, 0x7800000, v5
	v_cmp_gt_u32_e32 vcc, s15, v1
	v_bfe_i32 v3, v3, 0, 16
	v_cndmask_b32_e32 v1, v5, v10, vcc
	v_and_or_b32 v1, v3, s16, v1
	v_trunc_f32_e32 v1, v1
	v_mul_f32_e64 v3, |v1|, s17
	v_floor_f32_e32 v3, v3
	v_fma_f32 v5, v3, s18, |v1|
	v_cvt_u32_f32_e32 v5, v5
	v_cvt_u32_f32_e32 v3, v3
	v_ashrrev_i32_e32 v1, 31, v1
	v_xor_b32_e32 v5, v5, v1
	v_xor_b32_e32 v3, v3, v1
	v_sub_co_u32_e32 v10, vcc, v5, v1
	v_subb_co_u32_e32 v11, vcc, v3, v1, vcc
.LBB55_1530:
	s_mov_b64 s[14:15], 0
	s_mov_b64 s[16:17], -1
.LBB55_1531:
	s_andn2_b64 vcc, exec, s[14:15]
	s_mov_b64 s[14:15], 0
	s_cbranch_vccnz .LBB55_1540
; %bb.1532:
	s_cmp_gt_i32 s22, 14
	s_cbranch_scc0 .LBB55_1535
; %bb.1533:
	s_cmp_eq_u32 s22, 15
	s_cbranch_scc0 .LBB55_1536
; %bb.1534:
	global_load_ushort v1, v[8:9], off
	s_mov_b32 s12, 0x2f800000
	s_mov_b32 s13, 0xcf800000
	s_mov_b64 s[16:17], -1
	s_waitcnt vmcnt(0)
	v_lshlrev_b32_e32 v1, 16, v1
	v_trunc_f32_e32 v1, v1
	v_mul_f32_e64 v3, |v1|, s12
	v_floor_f32_e32 v3, v3
	v_fma_f32 v5, v3, s13, |v1|
	v_cvt_u32_f32_e32 v5, v5
	v_cvt_u32_f32_e32 v3, v3
	v_ashrrev_i32_e32 v1, 31, v1
	s_mov_b64 s[12:13], 0
	v_xor_b32_e32 v5, v5, v1
	v_xor_b32_e32 v3, v3, v1
	v_sub_co_u32_e32 v10, vcc, v5, v1
	v_subb_co_u32_e32 v11, vcc, v3, v1, vcc
	s_branch .LBB55_1537
.LBB55_1535:
	s_mov_b64 s[18:19], -1
                                        ; implicit-def: $vgpr10_vgpr11
	s_branch .LBB55_1538
.LBB55_1536:
	s_mov_b64 s[12:13], -1
                                        ; implicit-def: $vgpr10_vgpr11
.LBB55_1537:
	s_mov_b64 s[18:19], 0
.LBB55_1538:
	s_and_b64 vcc, exec, s[18:19]
	s_cbranch_vccz .LBB55_1540
; %bb.1539:
	s_cmp_lg_u32 s22, 11
	s_mov_b64 s[14:15], -1
	s_cselect_b64 s[12:13], -1, 0
.LBB55_1540:
	s_and_b64 vcc, exec, s[12:13]
	s_cbranch_vccnz .LBB55_1619
; %bb.1541:
	s_andn2_b64 vcc, exec, s[14:15]
	s_cbranch_vccnz .LBB55_1543
.LBB55_1542:
	global_load_ubyte v1, v[8:9], off
	s_mov_b32 s12, 0
	s_waitcnt vmcnt(1)
	v_mov_b32_e32 v11, s12
	s_mov_b64 s[16:17], -1
	s_waitcnt vmcnt(0)
	v_cmp_ne_u16_e32 vcc, 0, v1
	v_cndmask_b32_e64 v10, 0, 1, vcc
.LBB55_1543:
	s_branch .LBB55_1475
.LBB55_1544:
	s_and_b32 s14, 0xffff, s21
	s_cmp_lt_i32 s14, 5
	s_cbranch_scc1 .LBB55_1549
; %bb.1545:
	s_cmp_lt_i32 s14, 8
	s_cbranch_scc1 .LBB55_1550
; %bb.1546:
	;; [unrolled: 3-line block ×3, first 2 shown]
	s_cmp_gt_i32 s14, 9
	s_cbranch_scc0 .LBB55_1552
; %bb.1548:
	global_load_dwordx2 v[10:11], v[8:9], off
	s_movk_i32 s12, 0xffe0
	s_waitcnt vmcnt(0)
	v_trunc_f64_e32 v[10:11], v[10:11]
	v_ldexp_f64 v[12:13], v[10:11], s12
	s_mov_b32 s12, 0
	s_mov_b32 s13, 0xc1f00000
	v_floor_f64_e32 v[12:13], v[12:13]
	v_fma_f64 v[14:15], v[12:13], s[12:13], v[10:11]
	v_cvt_i32_f64_e32 v11, v[12:13]
	s_mov_b64 s[12:13], 0
	v_cvt_u32_f64_e32 v10, v[14:15]
	s_branch .LBB55_1553
.LBB55_1549:
	s_mov_b64 s[12:13], -1
                                        ; implicit-def: $vgpr10_vgpr11
	s_branch .LBB55_1571
.LBB55_1550:
	s_mov_b64 s[12:13], -1
                                        ; implicit-def: $vgpr10_vgpr11
	s_branch .LBB55_1559
.LBB55_1551:
	s_mov_b64 s[12:13], -1
                                        ; implicit-def: $vgpr10_vgpr11
	s_branch .LBB55_1556
.LBB55_1552:
	s_mov_b64 s[12:13], -1
                                        ; implicit-def: $vgpr10_vgpr11
.LBB55_1553:
	s_andn2_b64 vcc, exec, s[12:13]
	s_cbranch_vccnz .LBB55_1555
; %bb.1554:
	global_load_dword v1, v[8:9], off
	s_mov_b32 s12, 0x2f800000
	s_mov_b32 s13, 0xcf800000
	s_waitcnt vmcnt(0)
	v_trunc_f32_e32 v1, v1
	v_mul_f32_e64 v3, |v1|, s12
	v_floor_f32_e32 v3, v3
	v_cvt_u32_f32_e32 v5, v3
	v_fma_f32 v3, v3, s13, |v1|
	v_cvt_u32_f32_e32 v3, v3
	v_ashrrev_i32_e32 v1, 31, v1
	v_xor_b32_e32 v5, v5, v1
	v_xor_b32_e32 v3, v3, v1
	v_sub_co_u32_e32 v10, vcc, v3, v1
	v_subb_co_u32_e32 v11, vcc, v5, v1, vcc
.LBB55_1555:
	s_mov_b64 s[12:13], 0
.LBB55_1556:
	s_andn2_b64 vcc, exec, s[12:13]
	s_cbranch_vccnz .LBB55_1558
; %bb.1557:
	global_load_dword v1, v[8:9], off
	s_waitcnt vmcnt(0)
	v_cvt_f32_f16_e32 v1, v1
	v_cvt_i32_f32_e32 v10, v1
	v_ashrrev_i32_e32 v11, 31, v10
.LBB55_1558:
	s_mov_b64 s[12:13], 0
.LBB55_1559:
	s_andn2_b64 vcc, exec, s[12:13]
	s_cbranch_vccnz .LBB55_1570
; %bb.1560:
	s_cmp_lt_i32 s14, 6
	s_cbranch_scc1 .LBB55_1563
; %bb.1561:
	s_cmp_gt_i32 s14, 6
	s_cbranch_scc0 .LBB55_1564
; %bb.1562:
	global_load_dwordx2 v[10:11], v[8:9], off
	s_movk_i32 s12, 0xffe0
	s_waitcnt vmcnt(0)
	v_trunc_f64_e32 v[10:11], v[10:11]
	v_ldexp_f64 v[12:13], v[10:11], s12
	s_mov_b32 s12, 0
	s_mov_b32 s13, 0xc1f00000
	v_floor_f64_e32 v[12:13], v[12:13]
	v_fma_f64 v[14:15], v[12:13], s[12:13], v[10:11]
	v_cvt_i32_f64_e32 v11, v[12:13]
	s_mov_b64 s[12:13], 0
	v_cvt_u32_f64_e32 v10, v[14:15]
	s_branch .LBB55_1565
.LBB55_1563:
	s_mov_b64 s[12:13], -1
                                        ; implicit-def: $vgpr10_vgpr11
	s_branch .LBB55_1568
.LBB55_1564:
	s_mov_b64 s[12:13], -1
                                        ; implicit-def: $vgpr10_vgpr11
.LBB55_1565:
	s_andn2_b64 vcc, exec, s[12:13]
	s_cbranch_vccnz .LBB55_1567
; %bb.1566:
	global_load_dword v1, v[8:9], off
	s_mov_b32 s12, 0x2f800000
	s_mov_b32 s13, 0xcf800000
	s_waitcnt vmcnt(0)
	v_trunc_f32_e32 v1, v1
	v_mul_f32_e64 v3, |v1|, s12
	v_floor_f32_e32 v3, v3
	v_cvt_u32_f32_e32 v5, v3
	v_fma_f32 v3, v3, s13, |v1|
	v_cvt_u32_f32_e32 v3, v3
	v_ashrrev_i32_e32 v1, 31, v1
	v_xor_b32_e32 v5, v5, v1
	v_xor_b32_e32 v3, v3, v1
	v_sub_co_u32_e32 v10, vcc, v3, v1
	v_subb_co_u32_e32 v11, vcc, v5, v1, vcc
.LBB55_1567:
	s_mov_b64 s[12:13], 0
.LBB55_1568:
	s_andn2_b64 vcc, exec, s[12:13]
	s_cbranch_vccnz .LBB55_1570
; %bb.1569:
	global_load_ushort v1, v[8:9], off
	s_waitcnt vmcnt(0)
	v_cvt_f32_f16_e32 v1, v1
	v_cvt_i32_f32_e32 v10, v1
	v_ashrrev_i32_e32 v11, 31, v10
.LBB55_1570:
	s_mov_b64 s[12:13], 0
.LBB55_1571:
	s_andn2_b64 vcc, exec, s[12:13]
	s_cbranch_vccnz .LBB55_1591
; %bb.1572:
	s_cmp_lt_i32 s14, 2
	s_cbranch_scc1 .LBB55_1576
; %bb.1573:
	s_cmp_lt_i32 s14, 3
	s_cbranch_scc1 .LBB55_1577
; %bb.1574:
	s_cmp_gt_i32 s14, 3
	s_cbranch_scc0 .LBB55_1578
; %bb.1575:
	global_load_dwordx2 v[10:11], v[8:9], off
	s_mov_b64 s[12:13], 0
	s_branch .LBB55_1579
.LBB55_1576:
	s_mov_b64 s[12:13], -1
                                        ; implicit-def: $vgpr10_vgpr11
	s_branch .LBB55_1585
.LBB55_1577:
	s_mov_b64 s[12:13], -1
                                        ; implicit-def: $vgpr10_vgpr11
	s_branch .LBB55_1582
.LBB55_1578:
	s_mov_b64 s[12:13], -1
                                        ; implicit-def: $vgpr10_vgpr11
.LBB55_1579:
	s_andn2_b64 vcc, exec, s[12:13]
	s_cbranch_vccnz .LBB55_1581
; %bb.1580:
	global_load_dword v10, v[8:9], off
	s_waitcnt vmcnt(0)
	v_ashrrev_i32_e32 v11, 31, v10
.LBB55_1581:
	s_mov_b64 s[12:13], 0
.LBB55_1582:
	s_andn2_b64 vcc, exec, s[12:13]
	s_cbranch_vccnz .LBB55_1584
; %bb.1583:
	global_load_ushort v1, v[8:9], off
	s_waitcnt vmcnt(0)
	v_bfe_i32 v10, v1, 0, 16
	v_ashrrev_i32_e32 v11, 31, v10
.LBB55_1584:
	s_mov_b64 s[12:13], 0
.LBB55_1585:
	s_andn2_b64 vcc, exec, s[12:13]
	s_cbranch_vccnz .LBB55_1591
; %bb.1586:
	s_cmp_gt_i32 s14, 0
	s_cbranch_scc0 .LBB55_1588
; %bb.1587:
	global_load_sbyte v1, v[8:9], off
	s_mov_b64 s[12:13], 0
	s_waitcnt vmcnt(0)
	v_bfe_i32 v10, v1, 0, 16
	v_ashrrev_i32_e32 v11, 31, v10
	s_branch .LBB55_1589
.LBB55_1588:
	s_mov_b64 s[12:13], -1
                                        ; implicit-def: $vgpr10_vgpr11
.LBB55_1589:
	s_andn2_b64 vcc, exec, s[12:13]
	s_cbranch_vccnz .LBB55_1591
; %bb.1590:
	global_load_ubyte v1, v[8:9], off
	s_mov_b32 s12, 0
	s_waitcnt vmcnt(1)
	v_mov_b32_e32 v11, s12
	s_waitcnt vmcnt(0)
	v_and_b32_e32 v10, 0xffff, v1
.LBB55_1591:
.LBB55_1592:
	s_cmp_lt_i32 s20, 1
	s_mov_b64 s[14:15], 0
	s_cbranch_scc1 .LBB55_1596
; %bb.1593:
	s_cmp_gt_i32 s20, 1
	s_cbranch_scc0 .LBB55_1599
; %bb.1594:
	s_cmp_eq_u32 s20, 2
	s_cbranch_scc0 .LBB55_1600
; %bb.1595:
	s_waitcnt vmcnt(0)
	v_cmp_ge_i64_e64 s[12:13], s[0:1], v[10:11]
	s_mov_b64 s[16:17], 0
	s_branch .LBB55_1601
.LBB55_1596:
                                        ; implicit-def: $sgpr12_sgpr13
	s_mov_b64 s[16:17], 0
	s_cbranch_execnz .LBB55_1605
.LBB55_1597:
	s_andn2_b64 vcc, exec, s[16:17]
	s_cbranch_vccnz .LBB55_1606
.LBB55_1598:
	s_waitcnt vmcnt(0)
	v_cmp_gt_i64_e32 vcc, s[0:1], v[10:11]
	s_andn2_b64 s[12:13], s[12:13], exec
	s_and_b64 s[16:17], vcc, exec
	s_or_b64 s[12:13], s[12:13], s[16:17]
	s_cbranch_execz .LBB55_1607
	s_branch .LBB55_1608
.LBB55_1599:
	s_mov_b64 s[18:19], -1
	s_mov_b64 s[16:17], 0
                                        ; implicit-def: $sgpr12_sgpr13
	s_branch .LBB55_1602
.LBB55_1600:
	s_mov_b64 s[16:17], -1
                                        ; implicit-def: $sgpr12_sgpr13
.LBB55_1601:
	s_mov_b64 s[18:19], 0
.LBB55_1602:
	s_and_b64 vcc, exec, s[18:19]
	s_cbranch_vccz .LBB55_1604
; %bb.1603:
	s_waitcnt vmcnt(0)
	v_cmp_lt_i64_e32 vcc, s[0:1], v[10:11]
	s_andn2_b64 s[12:13], s[12:13], exec
	s_and_b64 s[18:19], vcc, exec
	s_or_b64 s[12:13], s[12:13], s[18:19]
.LBB55_1604:
	s_branch .LBB55_1597
.LBB55_1605:
	s_cmp_lg_u32 s20, 0
	s_mov_b64 s[14:15], -1
	s_cselect_b64 s[16:17], -1, 0
	s_andn2_b64 vcc, exec, s[16:17]
	s_cbranch_vccz .LBB55_1598
.LBB55_1606:
	s_andn2_b64 vcc, exec, s[14:15]
	s_cbranch_vccnz .LBB55_1608
.LBB55_1607:
	s_waitcnt vmcnt(0)
	v_cmp_le_i64_e32 vcc, s[0:1], v[10:11]
	s_andn2_b64 s[12:13], s[12:13], exec
	s_and_b64 s[14:15], vcc, exec
	s_or_b64 s[12:13], s[12:13], s[14:15]
.LBB55_1608:
	v_mov_b32_e32 v1, s11
	v_add_co_u32_e32 v7, vcc, s10, v7
	s_cmp_lt_i32 s21, 11
	v_addc_co_u32_e32 v8, vcc, 0, v1, vcc
	s_cbranch_scc1 .LBB55_1615
; %bb.1609:
	s_and_b32 s22, 0xffff, s21
	s_cmp_gt_i32 s22, 25
	s_mov_b64 s[14:15], 0
	s_cbranch_scc0 .LBB55_1616
; %bb.1610:
	s_cmp_gt_i32 s22, 28
	s_cbranch_scc0 .LBB55_1617
; %bb.1611:
	s_cmp_gt_i32 s22, 43
	;; [unrolled: 3-line block ×3, first 2 shown]
	s_cbranch_scc0 .LBB55_1620
; %bb.1613:
	s_cmp_eq_u32 s22, 46
	s_mov_b64 s[18:19], 0
	s_cbranch_scc0 .LBB55_1621
; %bb.1614:
	global_load_dword v1, v[7:8], off
	s_mov_b32 s10, 0x2f800000
	s_mov_b32 s11, 0xcf800000
	s_mov_b64 s[16:17], -1
	s_waitcnt vmcnt(0)
	v_lshlrev_b32_e32 v1, 16, v1
	v_trunc_f32_e32 v1, v1
	v_mul_f32_e64 v3, |v1|, s10
	v_floor_f32_e32 v3, v3
	v_fma_f32 v5, v3, s11, |v1|
	v_cvt_u32_f32_e32 v5, v5
	v_cvt_u32_f32_e32 v3, v3
	v_ashrrev_i32_e32 v1, 31, v1
	s_mov_b64 s[10:11], 0
	v_xor_b32_e32 v5, v5, v1
	v_xor_b32_e32 v3, v3, v1
	v_sub_co_u32_e32 v9, vcc, v5, v1
	v_subb_co_u32_e32 v10, vcc, v3, v1, vcc
	s_branch .LBB55_1622
.LBB55_1615:
	s_mov_b64 s[10:11], -1
	s_mov_b64 s[16:17], 0
                                        ; implicit-def: $vgpr9_vgpr10
	s_branch .LBB55_1684
.LBB55_1616:
	s_mov_b64 s[18:19], -1
	s_mov_b64 s[16:17], 0
	s_mov_b64 s[10:11], 0
                                        ; implicit-def: $vgpr9_vgpr10
	s_branch .LBB55_1651
.LBB55_1617:
	s_mov_b64 s[18:19], -1
	s_mov_b64 s[16:17], 0
	s_mov_b64 s[10:11], 0
                                        ; implicit-def: $vgpr9_vgpr10
	s_branch .LBB55_1632
.LBB55_1618:
	s_mov_b64 s[18:19], -1
	s_mov_b64 s[16:17], 0
	s_mov_b64 s[10:11], 0
                                        ; implicit-def: $vgpr9_vgpr10
	s_branch .LBB55_1627
.LBB55_1619:
	s_trap 2
	s_or_b64 s[2:3], s[2:3], exec
	s_cbranch_execz .LBB55_1542
	s_branch .LBB55_1543
.LBB55_1620:
	s_mov_b64 s[18:19], -1
	s_mov_b64 s[16:17], 0
	s_mov_b64 s[10:11], 0
                                        ; implicit-def: $vgpr9_vgpr10
	s_branch .LBB55_1622
.LBB55_1621:
	s_mov_b64 s[10:11], -1
                                        ; implicit-def: $vgpr9_vgpr10
	s_mov_b64 s[16:17], 0
.LBB55_1622:
	s_and_b64 vcc, exec, s[18:19]
	s_cbranch_vccz .LBB55_1626
; %bb.1623:
	s_cmp_eq_u32 s22, 44
	s_cbranch_scc0 .LBB55_1625
; %bb.1624:
	global_load_ubyte v1, v[7:8], off
	s_mov_b32 s10, 0x2f800000
	s_mov_b32 s11, 0xcf800000
	s_mov_b64 s[16:17], -1
	s_waitcnt vmcnt(0)
	v_lshlrev_b32_e32 v3, 23, v1
	v_trunc_f32_e32 v3, v3
	v_mul_f32_e64 v5, |v3|, s10
	v_floor_f32_e32 v5, v5
	v_fma_f32 v9, v5, s11, |v3|
	v_cvt_u32_f32_e32 v9, v9
	v_cvt_u32_f32_e32 v5, v5
	v_ashrrev_i32_e32 v3, 31, v3
	s_mov_b64 s[10:11], 0
	v_xor_b32_e32 v9, v9, v3
	v_xor_b32_e32 v5, v5, v3
	v_sub_co_u32_e32 v9, vcc, v9, v3
	v_subb_co_u32_e32 v3, vcc, v5, v3, vcc
	v_cmp_ne_u32_e32 vcc, 0, v1
	v_cndmask_b32_e32 v10, 0, v3, vcc
	v_cndmask_b32_e32 v9, 0, v9, vcc
	s_branch .LBB55_1626
.LBB55_1625:
	s_mov_b64 s[10:11], -1
                                        ; implicit-def: $vgpr9_vgpr10
.LBB55_1626:
	s_mov_b64 s[18:19], 0
.LBB55_1627:
	s_and_b64 vcc, exec, s[18:19]
	s_cbranch_vccz .LBB55_1631
; %bb.1628:
	s_cmp_eq_u32 s22, 29
	s_cbranch_scc0 .LBB55_1630
; %bb.1629:
	global_load_dwordx2 v[9:10], v[7:8], off
	s_mov_b64 s[10:11], 0
	s_mov_b64 s[16:17], -1
	s_branch .LBB55_1631
.LBB55_1630:
	s_mov_b64 s[10:11], -1
                                        ; implicit-def: $vgpr9_vgpr10
.LBB55_1631:
	s_mov_b64 s[18:19], 0
.LBB55_1632:
	s_and_b64 vcc, exec, s[18:19]
	s_cbranch_vccz .LBB55_1650
; %bb.1633:
	s_cmp_lt_i32 s22, 27
	s_cbranch_scc1 .LBB55_1636
; %bb.1634:
	s_cmp_gt_i32 s22, 27
	s_cbranch_scc0 .LBB55_1637
; %bb.1635:
	global_load_dword v9, v[7:8], off
	s_waitcnt vmcnt(1)
	v_mov_b32_e32 v10, 0
	s_mov_b64 s[16:17], 0
	s_branch .LBB55_1638
.LBB55_1636:
	s_mov_b64 s[16:17], -1
                                        ; implicit-def: $vgpr9_vgpr10
	s_branch .LBB55_1641
.LBB55_1637:
	s_mov_b64 s[16:17], -1
                                        ; implicit-def: $vgpr9_vgpr10
.LBB55_1638:
	s_andn2_b64 vcc, exec, s[16:17]
	s_cbranch_vccnz .LBB55_1640
; %bb.1639:
	global_load_ushort v1, v[7:8], off
	s_mov_b32 s16, 0
	s_waitcnt vmcnt(1)
	v_mov_b32_e32 v10, s16
	s_waitcnt vmcnt(0)
	v_and_b32_e32 v9, 0xffff, v1
.LBB55_1640:
	s_mov_b64 s[16:17], 0
.LBB55_1641:
	s_andn2_b64 vcc, exec, s[16:17]
	s_cbranch_vccnz .LBB55_1649
; %bb.1642:
	global_load_ubyte v1, v[7:8], off
	s_movk_i32 s16, 0x7f
	s_mov_b64 s[18:19], 0
	s_waitcnt vmcnt(0)
	v_cmp_lt_i16_e32 vcc, s16, v1
	s_and_saveexec_b64 s[16:17], vcc
	s_xor_b64 s[16:17], exec, s[16:17]
; %bb.1643:
	s_movk_i32 s18, 0x80
	v_cmp_ne_u16_e32 vcc, s18, v1
	s_and_b64 s[18:19], vcc, exec
; %bb.1644:
	s_andn2_saveexec_b64 s[16:17], s[16:17]
; %bb.1645:
	v_cmp_ne_u16_e32 vcc, 0, v1
	s_andn2_b64 s[18:19], s[18:19], exec
	s_and_b64 s[24:25], vcc, exec
	s_or_b64 s[18:19], s[18:19], s[24:25]
; %bb.1646:
	s_or_b64 exec, exec, s[16:17]
	v_mov_b32_e32 v9, 0
	v_mov_b32_e32 v10, 0
	s_and_saveexec_b64 s[16:17], s[18:19]
	s_cbranch_execz .LBB55_1648
; %bb.1647:
	v_lshlrev_b32_e32 v3, 24, v1
	v_and_b32_e32 v1, 0xffff, v1
	v_and_b32_e32 v5, 7, v1
	v_ffbh_u32_e32 v10, v5
	v_min_u32_e32 v10, 32, v10
	v_subrev_u32_e32 v11, 28, v10
	v_bfe_u32 v9, v1, 3, 4
	v_lshlrev_b32_e32 v1, v11, v1
	v_sub_u32_e32 v10, 29, v10
	v_and_b32_e32 v1, 7, v1
	v_cmp_eq_u32_e32 vcc, 0, v9
	v_cndmask_b32_e32 v9, v9, v10, vcc
	v_cndmask_b32_e32 v1, v5, v1, vcc
	v_mov_b32_e32 v5, 0x3b800000
	v_lshlrev_b32_e32 v1, 20, v1
	v_and_b32_e32 v3, 0x80000000, v3
	v_lshl_add_u32 v5, v9, 23, v5
	v_or3_b32 v1, v3, v5, v1
	v_trunc_f32_e32 v1, v1
	s_mov_b32 s18, 0x2f800000
	v_mul_f32_e64 v3, |v1|, s18
	v_floor_f32_e32 v3, v3
	s_mov_b32 s18, 0xcf800000
	v_fma_f32 v5, v3, s18, |v1|
	v_cvt_u32_f32_e32 v5, v5
	v_cvt_u32_f32_e32 v3, v3
	v_ashrrev_i32_e32 v1, 31, v1
	v_xor_b32_e32 v5, v5, v1
	v_xor_b32_e32 v3, v3, v1
	v_sub_co_u32_e32 v9, vcc, v5, v1
	v_subb_co_u32_e32 v10, vcc, v3, v1, vcc
.LBB55_1648:
	s_or_b64 exec, exec, s[16:17]
.LBB55_1649:
	s_mov_b64 s[16:17], -1
.LBB55_1650:
	s_mov_b64 s[18:19], 0
.LBB55_1651:
	s_and_b64 vcc, exec, s[18:19]
	s_cbranch_vccz .LBB55_1680
; %bb.1652:
	s_cmp_gt_i32 s22, 22
	s_cbranch_scc0 .LBB55_1662
; %bb.1653:
	s_cmp_lt_i32 s22, 24
	s_cbranch_scc1 .LBB55_1663
; %bb.1654:
	s_cmp_gt_i32 s22, 24
	s_cbranch_scc0 .LBB55_1664
; %bb.1655:
	global_load_ubyte v1, v[7:8], off
	s_movk_i32 s14, 0x7f
	s_mov_b64 s[16:17], 0
	s_waitcnt vmcnt(0)
	v_cmp_lt_i16_e32 vcc, s14, v1
	s_and_saveexec_b64 s[14:15], vcc
	s_xor_b64 s[14:15], exec, s[14:15]
; %bb.1656:
	s_movk_i32 s16, 0x80
	v_cmp_ne_u16_e32 vcc, s16, v1
	s_and_b64 s[16:17], vcc, exec
; %bb.1657:
	s_andn2_saveexec_b64 s[14:15], s[14:15]
; %bb.1658:
	v_cmp_ne_u16_e32 vcc, 0, v1
	s_andn2_b64 s[16:17], s[16:17], exec
	s_and_b64 s[18:19], vcc, exec
	s_or_b64 s[16:17], s[16:17], s[18:19]
; %bb.1659:
	s_or_b64 exec, exec, s[14:15]
	v_mov_b32_e32 v9, 0
	v_mov_b32_e32 v10, 0
	s_and_saveexec_b64 s[14:15], s[16:17]
	s_cbranch_execz .LBB55_1661
; %bb.1660:
	v_lshlrev_b32_e32 v3, 24, v1
	v_and_b32_e32 v1, 0xffff, v1
	v_and_b32_e32 v5, 3, v1
	v_ffbh_u32_e32 v10, v5
	v_min_u32_e32 v10, 32, v10
	v_subrev_u32_e32 v11, 29, v10
	v_bfe_u32 v9, v1, 2, 5
	v_lshlrev_b32_e32 v1, v11, v1
	v_sub_u32_e32 v10, 30, v10
	v_and_b32_e32 v1, 3, v1
	v_cmp_eq_u32_e32 vcc, 0, v9
	v_cndmask_b32_e32 v9, v9, v10, vcc
	v_cndmask_b32_e32 v1, v5, v1, vcc
	v_mov_b32_e32 v5, 0x37800000
	v_lshlrev_b32_e32 v1, 21, v1
	v_and_b32_e32 v3, 0x80000000, v3
	v_lshl_add_u32 v5, v9, 23, v5
	v_or3_b32 v1, v3, v5, v1
	v_trunc_f32_e32 v1, v1
	s_mov_b32 s16, 0x2f800000
	v_mul_f32_e64 v3, |v1|, s16
	v_floor_f32_e32 v3, v3
	s_mov_b32 s16, 0xcf800000
	v_fma_f32 v5, v3, s16, |v1|
	v_cvt_u32_f32_e32 v5, v5
	v_cvt_u32_f32_e32 v3, v3
	v_ashrrev_i32_e32 v1, 31, v1
	v_xor_b32_e32 v5, v5, v1
	v_xor_b32_e32 v3, v3, v1
	v_sub_co_u32_e32 v9, vcc, v5, v1
	v_subb_co_u32_e32 v10, vcc, v3, v1, vcc
.LBB55_1661:
	s_or_b64 exec, exec, s[14:15]
	s_mov_b64 s[14:15], 0
	s_branch .LBB55_1665
.LBB55_1662:
	s_mov_b64 s[14:15], -1
                                        ; implicit-def: $vgpr9_vgpr10
	s_branch .LBB55_1671
.LBB55_1663:
	s_mov_b64 s[14:15], -1
                                        ; implicit-def: $vgpr9_vgpr10
	s_branch .LBB55_1668
.LBB55_1664:
	s_mov_b64 s[14:15], -1
                                        ; implicit-def: $vgpr9_vgpr10
.LBB55_1665:
	s_and_b64 vcc, exec, s[14:15]
	s_cbranch_vccz .LBB55_1667
; %bb.1666:
	global_load_ubyte v1, v[7:8], off
	s_mov_b32 s14, 0x7f800000
	s_brev_b32 s15, 1
	s_mov_b32 s16, 0x2f800000
	s_mov_b32 s17, 0xcf800000
	s_waitcnt vmcnt(0)
	v_lshlrev_b32_e32 v1, 24, v1
	v_and_b32_e32 v3, 0x7f000000, v1
	v_ffbh_u32_e32 v5, v3
	v_min_u32_e32 v5, 32, v5
	v_sub_u32_e64 v5, v5, 4 clamp
	v_lshlrev_b32_e32 v10, v5, v3
	v_lshlrev_b32_e32 v5, 23, v5
	v_lshrrev_b32_e32 v10, 4, v10
	v_add_u32_e32 v9, 0x1000000, v3
	v_sub_u32_e32 v5, v10, v5
	v_ashrrev_i32_e32 v9, 8, v9
	v_add_u32_e32 v5, 0x3c000000, v5
	v_and_or_b32 v5, v9, s14, v5
	v_cmp_ne_u32_e32 vcc, 0, v3
	v_cndmask_b32_e32 v3, 0, v5, vcc
	v_and_or_b32 v1, v1, s15, v3
	v_trunc_f32_e32 v1, v1
	v_mul_f32_e64 v3, |v1|, s16
	v_floor_f32_e32 v3, v3
	v_fma_f32 v5, v3, s17, |v1|
	v_cvt_u32_f32_e32 v5, v5
	v_cvt_u32_f32_e32 v3, v3
	v_ashrrev_i32_e32 v1, 31, v1
	v_xor_b32_e32 v5, v5, v1
	v_xor_b32_e32 v3, v3, v1
	v_sub_co_u32_e32 v9, vcc, v5, v1
	v_subb_co_u32_e32 v10, vcc, v3, v1, vcc
.LBB55_1667:
	s_mov_b64 s[14:15], 0
.LBB55_1668:
	s_andn2_b64 vcc, exec, s[14:15]
	s_cbranch_vccnz .LBB55_1670
; %bb.1669:
	global_load_ubyte v1, v[7:8], off
	s_movk_i32 s14, 0x7f00
	s_brev_b32 s15, 16
	s_brev_b32 s16, 1
	s_mov_b32 s17, 0x2f800000
	s_mov_b32 s18, 0xcf800000
	s_waitcnt vmcnt(0)
	v_lshlrev_b16_e32 v3, 8, v1
	v_lshlrev_b32_e32 v1, 25, v1
	v_lshrrev_b32_e32 v5, 4, v1
	v_and_or_b32 v9, v3, s14, 0.5
	v_or_b32_e32 v5, 0x70000000, v5
	v_add_f32_e32 v9, -0.5, v9
	v_mul_f32_e32 v5, 0x7800000, v5
	v_cmp_gt_u32_e32 vcc, s15, v1
	v_bfe_i32 v3, v3, 0, 16
	v_cndmask_b32_e32 v1, v5, v9, vcc
	v_and_or_b32 v1, v3, s16, v1
	v_trunc_f32_e32 v1, v1
	v_mul_f32_e64 v3, |v1|, s17
	v_floor_f32_e32 v3, v3
	v_fma_f32 v5, v3, s18, |v1|
	v_cvt_u32_f32_e32 v5, v5
	v_cvt_u32_f32_e32 v3, v3
	v_ashrrev_i32_e32 v1, 31, v1
	v_xor_b32_e32 v5, v5, v1
	v_xor_b32_e32 v3, v3, v1
	v_sub_co_u32_e32 v9, vcc, v5, v1
	v_subb_co_u32_e32 v10, vcc, v3, v1, vcc
.LBB55_1670:
	s_mov_b64 s[14:15], 0
	s_mov_b64 s[16:17], -1
.LBB55_1671:
	s_andn2_b64 vcc, exec, s[14:15]
	s_mov_b64 s[14:15], 0
	s_cbranch_vccnz .LBB55_1680
; %bb.1672:
	s_cmp_gt_i32 s22, 14
	s_cbranch_scc0 .LBB55_1675
; %bb.1673:
	s_cmp_eq_u32 s22, 15
	s_cbranch_scc0 .LBB55_1676
; %bb.1674:
	global_load_ushort v1, v[7:8], off
	s_mov_b32 s10, 0x2f800000
	s_mov_b32 s11, 0xcf800000
	s_mov_b64 s[16:17], -1
	s_waitcnt vmcnt(0)
	v_lshlrev_b32_e32 v1, 16, v1
	v_trunc_f32_e32 v1, v1
	v_mul_f32_e64 v3, |v1|, s10
	v_floor_f32_e32 v3, v3
	v_fma_f32 v5, v3, s11, |v1|
	v_cvt_u32_f32_e32 v5, v5
	v_cvt_u32_f32_e32 v3, v3
	v_ashrrev_i32_e32 v1, 31, v1
	s_mov_b64 s[10:11], 0
	v_xor_b32_e32 v5, v5, v1
	v_xor_b32_e32 v3, v3, v1
	v_sub_co_u32_e32 v9, vcc, v5, v1
	v_subb_co_u32_e32 v10, vcc, v3, v1, vcc
	s_branch .LBB55_1677
.LBB55_1675:
	s_mov_b64 s[18:19], -1
                                        ; implicit-def: $vgpr9_vgpr10
	s_branch .LBB55_1678
.LBB55_1676:
	s_mov_b64 s[10:11], -1
                                        ; implicit-def: $vgpr9_vgpr10
.LBB55_1677:
	s_mov_b64 s[18:19], 0
.LBB55_1678:
	s_and_b64 vcc, exec, s[18:19]
	s_cbranch_vccz .LBB55_1680
; %bb.1679:
	s_cmp_lg_u32 s22, 11
	s_mov_b64 s[14:15], -1
	s_cselect_b64 s[10:11], -1, 0
.LBB55_1680:
	s_and_b64 vcc, exec, s[10:11]
	s_cbranch_vccnz .LBB55_2232
; %bb.1681:
	s_andn2_b64 vcc, exec, s[14:15]
	s_cbranch_vccnz .LBB55_1683
.LBB55_1682:
	global_load_ubyte v1, v[7:8], off
	s_mov_b32 s10, 0
	s_waitcnt vmcnt(1)
	v_mov_b32_e32 v10, s10
	s_mov_b64 s[16:17], -1
	s_waitcnt vmcnt(0)
	v_cmp_ne_u16_e32 vcc, 0, v1
	v_cndmask_b32_e64 v9, 0, 1, vcc
.LBB55_1683:
	s_mov_b64 s[10:11], 0
.LBB55_1684:
	s_and_b64 vcc, exec, s[10:11]
	s_cbranch_vccz .LBB55_1733
; %bb.1685:
	s_and_b32 s14, 0xffff, s21
	s_cmp_lt_i32 s14, 5
	s_cbranch_scc1 .LBB55_1690
; %bb.1686:
	s_cmp_lt_i32 s14, 8
	s_cbranch_scc1 .LBB55_1691
; %bb.1687:
	;; [unrolled: 3-line block ×3, first 2 shown]
	s_cmp_gt_i32 s14, 9
	s_cbranch_scc0 .LBB55_1693
; %bb.1689:
	global_load_dwordx2 v[9:10], v[7:8], off
	s_movk_i32 s10, 0xffe0
	s_waitcnt vmcnt(0)
	v_trunc_f64_e32 v[9:10], v[9:10]
	v_ldexp_f64 v[11:12], v[9:10], s10
	s_mov_b32 s10, 0
	s_mov_b32 s11, 0xc1f00000
	v_floor_f64_e32 v[11:12], v[11:12]
	v_fma_f64 v[13:14], v[11:12], s[10:11], v[9:10]
	v_cvt_i32_f64_e32 v10, v[11:12]
	s_mov_b64 s[10:11], 0
	v_cvt_u32_f64_e32 v9, v[13:14]
	s_branch .LBB55_1694
.LBB55_1690:
	s_mov_b64 s[10:11], -1
                                        ; implicit-def: $vgpr9_vgpr10
	s_branch .LBB55_1712
.LBB55_1691:
	s_mov_b64 s[10:11], -1
                                        ; implicit-def: $vgpr9_vgpr10
	s_branch .LBB55_1700
.LBB55_1692:
	s_mov_b64 s[10:11], -1
                                        ; implicit-def: $vgpr9_vgpr10
	s_branch .LBB55_1697
.LBB55_1693:
	s_mov_b64 s[10:11], -1
                                        ; implicit-def: $vgpr9_vgpr10
.LBB55_1694:
	s_andn2_b64 vcc, exec, s[10:11]
	s_cbranch_vccnz .LBB55_1696
; %bb.1695:
	global_load_dword v1, v[7:8], off
	s_mov_b32 s10, 0x2f800000
	s_mov_b32 s11, 0xcf800000
	s_waitcnt vmcnt(0)
	v_trunc_f32_e32 v1, v1
	v_mul_f32_e64 v3, |v1|, s10
	v_floor_f32_e32 v3, v3
	v_cvt_u32_f32_e32 v5, v3
	v_fma_f32 v3, v3, s11, |v1|
	v_cvt_u32_f32_e32 v3, v3
	v_ashrrev_i32_e32 v1, 31, v1
	v_xor_b32_e32 v5, v5, v1
	v_xor_b32_e32 v3, v3, v1
	v_sub_co_u32_e32 v9, vcc, v3, v1
	v_subb_co_u32_e32 v10, vcc, v5, v1, vcc
.LBB55_1696:
	s_mov_b64 s[10:11], 0
.LBB55_1697:
	s_andn2_b64 vcc, exec, s[10:11]
	s_cbranch_vccnz .LBB55_1699
; %bb.1698:
	global_load_dword v1, v[7:8], off
	s_waitcnt vmcnt(0)
	v_cvt_f32_f16_e32 v1, v1
	v_cvt_i32_f32_e32 v9, v1
	v_ashrrev_i32_e32 v10, 31, v9
.LBB55_1699:
	s_mov_b64 s[10:11], 0
.LBB55_1700:
	s_andn2_b64 vcc, exec, s[10:11]
	s_cbranch_vccnz .LBB55_1711
; %bb.1701:
	s_cmp_lt_i32 s14, 6
	s_cbranch_scc1 .LBB55_1704
; %bb.1702:
	s_cmp_gt_i32 s14, 6
	s_cbranch_scc0 .LBB55_1705
; %bb.1703:
	global_load_dwordx2 v[9:10], v[7:8], off
	s_movk_i32 s10, 0xffe0
	s_waitcnt vmcnt(0)
	v_trunc_f64_e32 v[9:10], v[9:10]
	v_ldexp_f64 v[11:12], v[9:10], s10
	s_mov_b32 s10, 0
	s_mov_b32 s11, 0xc1f00000
	v_floor_f64_e32 v[11:12], v[11:12]
	v_fma_f64 v[13:14], v[11:12], s[10:11], v[9:10]
	v_cvt_i32_f64_e32 v10, v[11:12]
	s_mov_b64 s[10:11], 0
	v_cvt_u32_f64_e32 v9, v[13:14]
	s_branch .LBB55_1706
.LBB55_1704:
	s_mov_b64 s[10:11], -1
                                        ; implicit-def: $vgpr9_vgpr10
	s_branch .LBB55_1709
.LBB55_1705:
	s_mov_b64 s[10:11], -1
                                        ; implicit-def: $vgpr9_vgpr10
.LBB55_1706:
	s_andn2_b64 vcc, exec, s[10:11]
	s_cbranch_vccnz .LBB55_1708
; %bb.1707:
	global_load_dword v1, v[7:8], off
	s_mov_b32 s10, 0x2f800000
	s_mov_b32 s11, 0xcf800000
	s_waitcnt vmcnt(0)
	v_trunc_f32_e32 v1, v1
	v_mul_f32_e64 v3, |v1|, s10
	v_floor_f32_e32 v3, v3
	v_cvt_u32_f32_e32 v5, v3
	v_fma_f32 v3, v3, s11, |v1|
	v_cvt_u32_f32_e32 v3, v3
	v_ashrrev_i32_e32 v1, 31, v1
	v_xor_b32_e32 v5, v5, v1
	v_xor_b32_e32 v3, v3, v1
	v_sub_co_u32_e32 v9, vcc, v3, v1
	v_subb_co_u32_e32 v10, vcc, v5, v1, vcc
.LBB55_1708:
	s_mov_b64 s[10:11], 0
.LBB55_1709:
	s_andn2_b64 vcc, exec, s[10:11]
	s_cbranch_vccnz .LBB55_1711
; %bb.1710:
	global_load_ushort v1, v[7:8], off
	s_waitcnt vmcnt(0)
	v_cvt_f32_f16_e32 v1, v1
	v_cvt_i32_f32_e32 v9, v1
	v_ashrrev_i32_e32 v10, 31, v9
.LBB55_1711:
	s_mov_b64 s[10:11], 0
.LBB55_1712:
	s_andn2_b64 vcc, exec, s[10:11]
	s_cbranch_vccnz .LBB55_1732
; %bb.1713:
	s_cmp_lt_i32 s14, 2
	s_cbranch_scc1 .LBB55_1717
; %bb.1714:
	s_cmp_lt_i32 s14, 3
	s_cbranch_scc1 .LBB55_1718
; %bb.1715:
	s_cmp_gt_i32 s14, 3
	s_cbranch_scc0 .LBB55_1719
; %bb.1716:
	global_load_dwordx2 v[9:10], v[7:8], off
	s_mov_b64 s[10:11], 0
	s_branch .LBB55_1720
.LBB55_1717:
	s_mov_b64 s[10:11], -1
                                        ; implicit-def: $vgpr9_vgpr10
	s_branch .LBB55_1726
.LBB55_1718:
	s_mov_b64 s[10:11], -1
                                        ; implicit-def: $vgpr9_vgpr10
	s_branch .LBB55_1723
.LBB55_1719:
	s_mov_b64 s[10:11], -1
                                        ; implicit-def: $vgpr9_vgpr10
.LBB55_1720:
	s_andn2_b64 vcc, exec, s[10:11]
	s_cbranch_vccnz .LBB55_1722
; %bb.1721:
	global_load_dword v9, v[7:8], off
	s_waitcnt vmcnt(0)
	v_ashrrev_i32_e32 v10, 31, v9
.LBB55_1722:
	s_mov_b64 s[10:11], 0
.LBB55_1723:
	s_andn2_b64 vcc, exec, s[10:11]
	s_cbranch_vccnz .LBB55_1725
; %bb.1724:
	global_load_ushort v1, v[7:8], off
	s_waitcnt vmcnt(0)
	v_bfe_i32 v9, v1, 0, 16
	v_ashrrev_i32_e32 v10, 31, v9
.LBB55_1725:
	s_mov_b64 s[10:11], 0
.LBB55_1726:
	s_andn2_b64 vcc, exec, s[10:11]
	s_cbranch_vccnz .LBB55_1732
; %bb.1727:
	s_cmp_gt_i32 s14, 0
	s_cbranch_scc0 .LBB55_1729
; %bb.1728:
	global_load_sbyte v1, v[7:8], off
	s_mov_b64 s[10:11], 0
	s_waitcnt vmcnt(0)
	v_bfe_i32 v9, v1, 0, 16
	v_ashrrev_i32_e32 v10, 31, v9
	s_branch .LBB55_1730
.LBB55_1729:
	s_mov_b64 s[10:11], -1
                                        ; implicit-def: $vgpr9_vgpr10
.LBB55_1730:
	s_andn2_b64 vcc, exec, s[10:11]
	s_cbranch_vccnz .LBB55_1732
; %bb.1731:
	global_load_ubyte v1, v[7:8], off
	s_mov_b32 s10, 0
	s_waitcnt vmcnt(1)
	v_mov_b32_e32 v10, s10
	s_waitcnt vmcnt(0)
	v_and_b32_e32 v9, 0xffff, v1
.LBB55_1732:
	s_mov_b64 s[16:17], -1
.LBB55_1733:
	s_andn2_b64 vcc, exec, s[16:17]
	s_cbranch_vccnz .LBB55_1738
; %bb.1734:
	s_cmp_lt_i32 s20, 1
	s_mov_b64 s[14:15], 0
	s_cbranch_scc1 .LBB55_1784
; %bb.1735:
	s_cmp_gt_i32 s20, 1
	s_cbranch_scc0 .LBB55_1785
; %bb.1736:
	s_cmp_eq_u32 s20, 2
	s_cbranch_scc0 .LBB55_1786
; %bb.1737:
	s_waitcnt vmcnt(0)
	v_cmp_ge_i64_e64 s[10:11], s[0:1], v[9:10]
	s_mov_b64 s[16:17], 0
	s_branch .LBB55_1787
.LBB55_1738:
	s_mov_b64 s[0:1], 0
                                        ; implicit-def: $sgpr10_sgpr11
.LBB55_1739:
	s_mov_b64 s[4:5], 0
                                        ; implicit-def: $vgpr0_vgpr1
                                        ; implicit-def: $sgpr22
.LBB55_1740:
	s_and_b64 s[6:7], s[4:5], exec
	s_andn2_b64 s[4:5], s[28:29], exec
	s_and_b64 s[2:3], s[2:3], exec
	s_and_b64 s[0:1], s[0:1], exec
	s_or_b64 s[28:29], s[4:5], s[2:3]
.LBB55_1741:
	s_or_b64 exec, exec, s[30:31]
	s_and_saveexec_b64 s[2:3], s[28:29]
	s_cbranch_execz .LBB55_1744
; %bb.1742:
	; divergent unreachable
	s_or_b64 exec, exec, s[2:3]
	s_and_saveexec_b64 s[2:3], s[6:7]
	s_xor_b64 s[2:3], exec, s[2:3]
	s_cbranch_execnz .LBB55_1745
.LBB55_1743:
	s_or_b64 exec, exec, s[2:3]
	s_and_saveexec_b64 s[2:3], s[0:1]
	s_cbranch_execnz .LBB55_1746
	s_branch .LBB55_1783
.LBB55_1744:
	s_or_b64 exec, exec, s[2:3]
	s_and_saveexec_b64 s[2:3], s[6:7]
	s_xor_b64 s[2:3], exec, s[2:3]
	s_cbranch_execz .LBB55_1743
.LBB55_1745:
	v_cndmask_b32_e64 v2, 0, 1, s[10:11]
	global_store_byte v[0:1], v2, off
	s_or_b64 exec, exec, s[2:3]
	s_and_saveexec_b64 s[2:3], s[0:1]
	s_cbranch_execz .LBB55_1783
.LBB55_1746:
	s_sext_i32_i16 s2, s22
	s_cmp_lt_i32 s2, 5
	s_mov_b64 s[0:1], -1
	s_cbranch_scc1 .LBB55_1767
; %bb.1747:
	s_cmp_lt_i32 s2, 8
	s_cbranch_scc1 .LBB55_1757
; %bb.1748:
	s_cmp_lt_i32 s2, 9
	s_cbranch_scc1 .LBB55_1754
; %bb.1749:
	s_cmp_gt_i32 s2, 9
	s_cbranch_scc0 .LBB55_1751
; %bb.1750:
	v_cndmask_b32_e64 v2, 0, 1, s[10:11]
	s_waitcnt vmcnt(0)
	v_cvt_f64_u32_e32 v[2:3], v2
	v_mov_b32_e32 v4, 0
	v_mov_b32_e32 v5, v4
	s_mov_b64 s[0:1], 0
	global_store_dwordx4 v[0:1], v[2:5], off
.LBB55_1751:
	s_andn2_b64 vcc, exec, s[0:1]
	s_cbranch_vccnz .LBB55_1753
; %bb.1752:
	v_cndmask_b32_e64 v2, 0, 1.0, s[10:11]
	s_waitcnt vmcnt(0)
	v_mov_b32_e32 v3, 0
	global_store_dwordx2 v[0:1], v[2:3], off
.LBB55_1753:
	s_mov_b64 s[0:1], 0
.LBB55_1754:
	s_andn2_b64 vcc, exec, s[0:1]
	s_cbranch_vccnz .LBB55_1756
; %bb.1755:
	v_cndmask_b32_e64 v2, 0, 1.0, s[10:11]
	v_cvt_f16_f32_e32 v2, v2
	global_store_dword v[0:1], v2, off
.LBB55_1756:
	s_mov_b64 s[0:1], 0
.LBB55_1757:
	s_andn2_b64 vcc, exec, s[0:1]
	s_cbranch_vccnz .LBB55_1766
; %bb.1758:
	s_sext_i32_i16 s2, s22
	s_cmp_lt_i32 s2, 6
	s_mov_b64 s[0:1], -1
	s_cbranch_scc1 .LBB55_1764
; %bb.1759:
	s_cmp_gt_i32 s2, 6
	s_cbranch_scc0 .LBB55_1761
; %bb.1760:
	v_cndmask_b32_e64 v2, 0, 1, s[10:11]
	s_waitcnt vmcnt(0)
	v_cvt_f64_u32_e32 v[2:3], v2
	s_mov_b64 s[0:1], 0
	global_store_dwordx2 v[0:1], v[2:3], off
.LBB55_1761:
	s_andn2_b64 vcc, exec, s[0:1]
	s_cbranch_vccnz .LBB55_1763
; %bb.1762:
	v_cndmask_b32_e64 v2, 0, 1.0, s[10:11]
	global_store_dword v[0:1], v2, off
.LBB55_1763:
	s_mov_b64 s[0:1], 0
.LBB55_1764:
	s_andn2_b64 vcc, exec, s[0:1]
	s_cbranch_vccnz .LBB55_1766
; %bb.1765:
	v_cndmask_b32_e64 v2, 0, 1.0, s[10:11]
	v_cvt_f16_f32_e32 v2, v2
	global_store_short v[0:1], v2, off
.LBB55_1766:
	s_mov_b64 s[0:1], 0
.LBB55_1767:
	s_andn2_b64 vcc, exec, s[0:1]
	s_cbranch_vccnz .LBB55_1783
; %bb.1768:
	s_sext_i32_i16 s2, s22
	s_cmp_lt_i32 s2, 2
	s_mov_b64 s[0:1], -1
	s_cbranch_scc1 .LBB55_1778
; %bb.1769:
	s_cmp_lt_i32 s2, 3
	s_cbranch_scc1 .LBB55_1775
; %bb.1770:
	s_cmp_gt_i32 s2, 3
	s_cbranch_scc0 .LBB55_1772
; %bb.1771:
	s_mov_b32 s0, 0
	v_cndmask_b32_e64 v2, 0, 1, s[10:11]
	s_waitcnt vmcnt(0)
	v_mov_b32_e32 v3, s0
	global_store_dwordx2 v[0:1], v[2:3], off
	s_mov_b64 s[0:1], 0
.LBB55_1772:
	s_andn2_b64 vcc, exec, s[0:1]
	s_cbranch_vccnz .LBB55_1774
; %bb.1773:
	v_cndmask_b32_e64 v2, 0, 1, s[10:11]
	global_store_dword v[0:1], v2, off
.LBB55_1774:
	s_mov_b64 s[0:1], 0
.LBB55_1775:
	s_andn2_b64 vcc, exec, s[0:1]
	s_cbranch_vccnz .LBB55_1777
; %bb.1776:
	v_cndmask_b32_e64 v2, 0, 1, s[10:11]
	global_store_short v[0:1], v2, off
.LBB55_1777:
	s_mov_b64 s[0:1], 0
.LBB55_1778:
	s_andn2_b64 vcc, exec, s[0:1]
	s_cbranch_vccnz .LBB55_1783
; %bb.1779:
	s_sext_i32_i16 s0, s22
	s_cmp_gt_i32 s0, 0
	s_mov_b64 s[0:1], -1
	s_cbranch_scc0 .LBB55_1781
; %bb.1780:
	v_cndmask_b32_e64 v2, 0, 1, s[10:11]
	global_store_byte v[0:1], v2, off
	s_mov_b64 s[0:1], 0
.LBB55_1781:
	s_andn2_b64 vcc, exec, s[0:1]
	s_cbranch_vccnz .LBB55_1783
; %bb.1782:
	v_cndmask_b32_e64 v2, 0, 1, s[10:11]
	global_store_byte v[0:1], v2, off
	s_endpgm
.LBB55_1783:
	s_endpgm
.LBB55_1784:
	s_mov_b64 s[18:19], -1
                                        ; implicit-def: $sgpr10_sgpr11
	s_mov_b64 s[16:17], 0
	s_branch .LBB55_1791
.LBB55_1785:
	s_mov_b64 s[18:19], -1
	s_mov_b64 s[16:17], 0
                                        ; implicit-def: $sgpr10_sgpr11
	s_branch .LBB55_1788
.LBB55_1786:
	s_mov_b64 s[16:17], -1
                                        ; implicit-def: $sgpr10_sgpr11
.LBB55_1787:
	s_mov_b64 s[18:19], 0
.LBB55_1788:
	s_and_b64 vcc, exec, s[18:19]
	s_cbranch_vccz .LBB55_1790
; %bb.1789:
	s_waitcnt vmcnt(0)
	v_cmp_lt_i64_e32 vcc, s[0:1], v[9:10]
	s_andn2_b64 s[10:11], s[10:11], exec
	s_and_b64 s[18:19], vcc, exec
	s_or_b64 s[10:11], s[10:11], s[18:19]
.LBB55_1790:
	s_mov_b64 s[18:19], 0
.LBB55_1791:
	s_and_b64 vcc, exec, s[18:19]
	s_cbranch_vccz .LBB55_1873
; %bb.1792:
	s_cmp_lg_u32 s20, 0
	s_mov_b64 s[14:15], -1
	s_cselect_b64 s[16:17], -1, 0
	s_andn2_b64 vcc, exec, s[16:17]
	s_cbranch_vccz .LBB55_1874
.LBB55_1793:
	s_andn2_b64 vcc, exec, s[14:15]
	s_cbranch_vccnz .LBB55_1795
.LBB55_1794:
	s_waitcnt vmcnt(0)
	v_cmp_le_i64_e32 vcc, s[0:1], v[9:10]
	s_andn2_b64 s[0:1], s[10:11], exec
	s_and_b64 s[10:11], vcc, exec
	s_or_b64 s[10:11], s[0:1], s[10:11]
.LBB55_1795:
	s_load_dword s0, s[34:35], 0x168
	v_mov_b32_e32 v1, s9
	v_add_co_u32_e32 v5, vcc, s8, v6
	v_addc_co_u32_e32 v6, vcc, 0, v1, vcc
	s_waitcnt lgkmcnt(0)
	s_and_b32 s22, s0, 0xff
	s_cmp_lt_i32 s22, 11
	s_cbranch_scc1 .LBB55_1875
; %bb.1796:
	s_and_b32 s23, 0xffff, s22
	s_mov_b64 s[18:19], -1
	s_mov_b64 s[14:15], 0
	s_cmp_gt_i32 s23, 25
	s_mov_b64 s[16:17], 0
	s_mov_b64 s[0:1], 0
	s_cbranch_scc0 .LBB55_1829
; %bb.1797:
	s_cmp_gt_i32 s23, 28
	s_cbranch_scc0 .LBB55_1812
; %bb.1798:
	s_cmp_gt_i32 s23, 43
	;; [unrolled: 3-line block ×3, first 2 shown]
	s_cbranch_scc0 .LBB55_1802
; %bb.1800:
	s_mov_b64 s[0:1], -1
	s_mov_b64 s[18:19], 0
	s_cmp_eq_u32 s23, 46
	s_cbranch_scc0 .LBB55_1802
; %bb.1801:
	v_cndmask_b32_e64 v1, 0, 1.0, s[4:5]
	s_waitcnt vmcnt(0)
	v_bfe_u32 v3, v1, 16, 1
	s_movk_i32 s0, 0x7fff
	v_add3_u32 v1, v1, v3, s0
	v_lshrrev_b32_e32 v1, 16, v1
	global_store_dword v[5:6], v1, off
	s_mov_b64 s[0:1], 0
	s_mov_b64 s[16:17], -1
.LBB55_1802:
	s_and_b64 vcc, exec, s[18:19]
	s_cbranch_vccz .LBB55_1807
; %bb.1803:
	s_cmp_eq_u32 s23, 44
	s_mov_b64 s[0:1], -1
	s_cbranch_scc0 .LBB55_1807
; %bb.1804:
	s_waitcnt vmcnt(0)
	v_cndmask_b32_e64 v3, 0, 1.0, s[4:5]
	v_lshrrev_b32_e32 v1, 23, v3
	s_movk_i32 s0, 0xff
	v_cmp_ne_u32_e32 vcc, s0, v1
	v_mov_b32_e32 v7, 0xff
	s_and_saveexec_b64 s[16:17], vcc
; %bb.1805:
	s_mov_b32 s0, 0x3fffff
	v_and_b32_e32 v7, 0x400000, v3
	v_and_or_b32 v3, v3, s0, v1
	v_cmp_ne_u32_e32 vcc, 0, v7
	v_cmp_ne_u32_e64 s[0:1], 0, v3
	s_and_b64 s[0:1], vcc, s[0:1]
	v_cndmask_b32_e64 v3, 0, 1, s[0:1]
	v_add_u32_e32 v7, v1, v3
; %bb.1806:
	s_or_b64 exec, exec, s[16:17]
	s_mov_b64 s[0:1], 0
	s_mov_b64 s[16:17], -1
	global_store_byte v[5:6], v7, off
.LBB55_1807:
	s_mov_b64 s[18:19], 0
.LBB55_1808:
	s_and_b64 vcc, exec, s[18:19]
	s_cbranch_vccz .LBB55_1811
; %bb.1809:
	s_cmp_eq_u32 s23, 29
	s_mov_b64 s[0:1], -1
	s_cbranch_scc0 .LBB55_1811
; %bb.1810:
	s_mov_b32 s0, 0
	v_cndmask_b32_e64 v7, 0, 1, s[4:5]
	v_mov_b32_e32 v8, s0
	global_store_dwordx2 v[5:6], v[7:8], off
	s_mov_b64 s[0:1], 0
	s_mov_b64 s[16:17], -1
.LBB55_1811:
	s_mov_b64 s[18:19], 0
.LBB55_1812:
	s_and_b64 vcc, exec, s[18:19]
	s_cbranch_vccz .LBB55_1828
; %bb.1813:
	s_cmp_lt_i32 s23, 27
	s_mov_b64 s[16:17], -1
	s_cbranch_scc1 .LBB55_1819
; %bb.1814:
	s_cmp_gt_i32 s23, 27
	s_cbranch_scc0 .LBB55_1816
; %bb.1815:
	v_cndmask_b32_e64 v1, 0, 1, s[4:5]
	s_mov_b64 s[16:17], 0
	global_store_dword v[5:6], v1, off
.LBB55_1816:
	s_andn2_b64 vcc, exec, s[16:17]
	s_cbranch_vccnz .LBB55_1818
; %bb.1817:
	v_cndmask_b32_e64 v1, 0, 1, s[4:5]
	global_store_short v[5:6], v1, off
.LBB55_1818:
	s_mov_b64 s[16:17], 0
.LBB55_1819:
	s_andn2_b64 vcc, exec, s[16:17]
	s_cbranch_vccnz .LBB55_1827
; %bb.1820:
	s_waitcnt vmcnt(0)
	v_cndmask_b32_e64 v3, 0, 1.0, s[4:5]
	s_mov_b32 s16, 0x43800000
	v_cmp_gt_u32_e32 vcc, s16, v3
	v_mov_b32_e32 v7, 0x80
	s_and_saveexec_b64 s[16:17], vcc
	s_cbranch_execz .LBB55_1826
; %bb.1821:
	s_mov_b32 s18, 0x3bffffff
	v_cmp_lt_u32_e32 vcc, s18, v3
	s_mov_b64 s[18:19], 0
                                        ; implicit-def: $vgpr1
	s_and_saveexec_b64 s[20:21], vcc
	s_xor_b64 s[20:21], exec, s[20:21]
	s_cbranch_execz .LBB55_2233
; %bb.1822:
	v_bfe_u32 v1, v3, 20, 1
	s_mov_b32 s24, 0x487ffff
	v_add3_u32 v1, v3, v1, s24
	s_mov_b64 s[18:19], exec
	v_lshrrev_b32_e32 v1, 20, v1
                                        ; implicit-def: $vgpr3
	s_andn2_saveexec_b64 s[20:21], s[20:21]
	s_cbranch_execnz .LBB55_2234
.LBB55_1823:
	s_or_b64 exec, exec, s[20:21]
	v_mov_b32_e32 v7, 0
	s_and_saveexec_b64 s[20:21], s[18:19]
.LBB55_1824:
	v_mov_b32_e32 v7, v1
.LBB55_1825:
	s_or_b64 exec, exec, s[20:21]
.LBB55_1826:
	s_or_b64 exec, exec, s[16:17]
	global_store_byte v[5:6], v7, off
.LBB55_1827:
	s_mov_b64 s[16:17], -1
.LBB55_1828:
	s_mov_b64 s[18:19], 0
.LBB55_1829:
	s_and_b64 vcc, exec, s[18:19]
	s_cbranch_vccz .LBB55_1869
; %bb.1830:
	s_cmp_gt_i32 s23, 22
	s_mov_b64 s[14:15], -1
	s_cbranch_scc0 .LBB55_1862
; %bb.1831:
	s_cmp_lt_i32 s23, 24
	s_cbranch_scc1 .LBB55_1851
; %bb.1832:
	s_cmp_gt_i32 s23, 24
	s_cbranch_scc0 .LBB55_1840
; %bb.1833:
	s_waitcnt vmcnt(0)
	v_cndmask_b32_e64 v3, 0, 1.0, s[4:5]
	s_mov_b32 s14, 0x47800000
	v_cmp_gt_u32_e32 vcc, s14, v3
	v_mov_b32_e32 v7, 0x80
	s_and_saveexec_b64 s[14:15], vcc
	s_cbranch_execz .LBB55_1839
; %bb.1834:
	s_mov_b32 s16, 0x37ffffff
	v_cmp_lt_u32_e32 vcc, s16, v3
	s_mov_b64 s[16:17], 0
                                        ; implicit-def: $vgpr1
	s_and_saveexec_b64 s[18:19], vcc
	s_xor_b64 s[18:19], exec, s[18:19]
	s_cbranch_execz .LBB55_2236
; %bb.1835:
	v_bfe_u32 v1, v3, 21, 1
	s_mov_b32 s20, 0x88fffff
	v_add3_u32 v1, v3, v1, s20
	s_mov_b64 s[16:17], exec
	v_lshrrev_b32_e32 v1, 21, v1
                                        ; implicit-def: $vgpr3
	s_andn2_saveexec_b64 s[18:19], s[18:19]
	s_cbranch_execnz .LBB55_2237
.LBB55_1836:
	s_or_b64 exec, exec, s[18:19]
	v_mov_b32_e32 v7, 0
	s_and_saveexec_b64 s[18:19], s[16:17]
.LBB55_1837:
	v_mov_b32_e32 v7, v1
.LBB55_1838:
	s_or_b64 exec, exec, s[18:19]
.LBB55_1839:
	s_or_b64 exec, exec, s[14:15]
	s_mov_b64 s[14:15], 0
	global_store_byte v[5:6], v7, off
.LBB55_1840:
	s_and_b64 vcc, exec, s[14:15]
	s_cbranch_vccz .LBB55_1850
; %bb.1841:
	v_cndmask_b32_e64 v1, 0, 1.0, s[4:5]
	s_mov_b32 s14, 0x43f00000
	v_cmp_gt_u32_e32 vcc, s14, v1
                                        ; implicit-def: $vgpr3
	s_and_saveexec_b64 s[14:15], vcc
	s_xor_b64 s[14:15], exec, s[14:15]
	s_cbranch_execz .LBB55_1847
; %bb.1842:
	s_mov_b32 s16, 0x3c7fffff
	v_cmp_lt_u32_e32 vcc, s16, v1
                                        ; implicit-def: $vgpr3
	s_and_saveexec_b64 s[16:17], vcc
	s_xor_b64 s[16:17], exec, s[16:17]
	s_cbranch_execz .LBB55_1844
; %bb.1843:
	s_waitcnt vmcnt(0)
	v_bfe_u32 v3, v1, 20, 1
	s_mov_b32 s18, 0x407ffff
	v_add3_u32 v1, v1, v3, s18
	v_lshrrev_b32_e32 v3, 20, v1
	v_and_b32_e32 v1, 0xff00000, v1
	s_mov_b32 s18, 0x7f00000
	v_mov_b32_e32 v7, 0x7e
	v_cmp_ne_u32_e32 vcc, s18, v1
	v_cndmask_b32_e32 v3, v7, v3, vcc
                                        ; implicit-def: $vgpr1
.LBB55_1844:
	s_andn2_saveexec_b64 s[16:17], s[16:17]
	s_cbranch_execz .LBB55_1846
; %bb.1845:
	s_waitcnt vmcnt(0)
	v_add_f32_e32 v3, 0x46800000, v1
.LBB55_1846:
	s_or_b64 exec, exec, s[16:17]
                                        ; implicit-def: $vgpr1
.LBB55_1847:
	s_andn2_saveexec_b64 s[14:15], s[14:15]
	s_cbranch_execz .LBB55_1849
; %bb.1848:
	s_mov_b32 s16, 0x7f800000
	s_waitcnt vmcnt(0)
	v_mov_b32_e32 v3, 0x7e
	v_mov_b32_e32 v7, 0x7f
	v_cmp_lt_u32_e32 vcc, s16, v1
	v_cndmask_b32_e32 v3, v3, v7, vcc
.LBB55_1849:
	s_or_b64 exec, exec, s[14:15]
	s_waitcnt vmcnt(0)
	global_store_byte v[5:6], v3, off
.LBB55_1850:
	s_mov_b64 s[14:15], 0
.LBB55_1851:
	s_andn2_b64 vcc, exec, s[14:15]
	s_cbranch_vccnz .LBB55_1861
; %bb.1852:
	v_cndmask_b32_e64 v1, 0, 1.0, s[4:5]
	s_mov_b32 s14, 0x47800000
	v_cmp_gt_u32_e32 vcc, s14, v1
                                        ; implicit-def: $vgpr3
	s_and_saveexec_b64 s[14:15], vcc
	s_xor_b64 s[14:15], exec, s[14:15]
	s_cbranch_execz .LBB55_1858
; %bb.1853:
	s_mov_b32 s16, 0x387fffff
	v_cmp_lt_u32_e32 vcc, s16, v1
                                        ; implicit-def: $vgpr3
	s_and_saveexec_b64 s[16:17], vcc
	s_xor_b64 s[16:17], exec, s[16:17]
	s_cbranch_execz .LBB55_1855
; %bb.1854:
	s_waitcnt vmcnt(0)
	v_bfe_u32 v3, v1, 21, 1
	s_mov_b32 s18, 0x80fffff
	v_add3_u32 v1, v1, v3, s18
	v_lshrrev_b32_e32 v3, 21, v1
                                        ; implicit-def: $vgpr1
.LBB55_1855:
	s_andn2_saveexec_b64 s[16:17], s[16:17]
	s_cbranch_execz .LBB55_1857
; %bb.1856:
	s_waitcnt vmcnt(0)
	v_add_f32_e32 v3, 0x43000000, v1
.LBB55_1857:
	s_or_b64 exec, exec, s[16:17]
                                        ; implicit-def: $vgpr1
.LBB55_1858:
	s_andn2_saveexec_b64 s[14:15], s[14:15]
	s_cbranch_execz .LBB55_1860
; %bb.1859:
	s_mov_b32 s16, 0x7f800000
	s_waitcnt vmcnt(0)
	v_mov_b32_e32 v3, 0x7c
	v_mov_b32_e32 v7, 0x7f
	v_cmp_lt_u32_e32 vcc, s16, v1
	v_cndmask_b32_e32 v3, v3, v7, vcc
.LBB55_1860:
	s_or_b64 exec, exec, s[14:15]
	s_waitcnt vmcnt(0)
	global_store_byte v[5:6], v3, off
.LBB55_1861:
	s_mov_b64 s[14:15], 0
	s_mov_b64 s[16:17], -1
.LBB55_1862:
	s_andn2_b64 vcc, exec, s[14:15]
	s_mov_b64 s[14:15], 0
	s_cbranch_vccnz .LBB55_1869
; %bb.1863:
	s_cmp_gt_i32 s23, 14
	s_mov_b64 s[18:19], -1
	s_cbranch_scc0 .LBB55_1867
; %bb.1864:
	s_cmp_eq_u32 s23, 15
	s_mov_b64 s[0:1], -1
	s_cbranch_scc0 .LBB55_1866
; %bb.1865:
	v_cndmask_b32_e64 v1, 0, 1.0, s[4:5]
	s_waitcnt vmcnt(0)
	v_bfe_u32 v3, v1, 16, 1
	s_movk_i32 s0, 0x7fff
	v_add3_u32 v1, v1, v3, s0
	global_store_short_d16_hi v[5:6], v1, off
	s_mov_b64 s[0:1], 0
	s_mov_b64 s[16:17], -1
.LBB55_1866:
	s_mov_b64 s[18:19], 0
.LBB55_1867:
	s_and_b64 vcc, exec, s[18:19]
	s_cbranch_vccz .LBB55_1869
; %bb.1868:
	s_cmp_lg_u32 s23, 11
	s_mov_b64 s[14:15], -1
	s_cselect_b64 s[0:1], -1, 0
.LBB55_1869:
	s_and_b64 vcc, exec, s[0:1]
	s_cbranch_vccnz .LBB55_2235
; %bb.1870:
	s_andn2_b64 vcc, exec, s[14:15]
	s_cbranch_vccnz .LBB55_1872
.LBB55_1871:
	v_cndmask_b32_e64 v1, 0, 1, s[4:5]
	s_mov_b64 s[16:17], -1
	global_store_byte v[5:6], v1, off
.LBB55_1872:
	s_mov_b64 s[0:1], 0
	s_branch .LBB55_1876
.LBB55_1873:
	s_andn2_b64 vcc, exec, s[16:17]
	s_cbranch_vccnz .LBB55_1793
.LBB55_1874:
	s_waitcnt vmcnt(0)
	v_cmp_gt_i64_e32 vcc, s[0:1], v[9:10]
	s_andn2_b64 s[10:11], s[10:11], exec
	s_and_b64 s[16:17], vcc, exec
	s_or_b64 s[10:11], s[10:11], s[16:17]
	s_cbranch_execz .LBB55_1794
	s_branch .LBB55_1795
.LBB55_1875:
	s_mov_b64 s[0:1], -1
	s_mov_b64 s[16:17], 0
.LBB55_1876:
	s_and_b64 vcc, exec, s[0:1]
	s_cbranch_vccz .LBB55_1915
; %bb.1877:
	s_and_b32 s14, 0xffff, s22
	s_cmp_lt_i32 s14, 5
	s_mov_b64 s[0:1], -1
	s_cbranch_scc1 .LBB55_1898
; %bb.1878:
	s_cmp_lt_i32 s14, 8
	s_cbranch_scc1 .LBB55_1888
; %bb.1879:
	s_cmp_lt_i32 s14, 9
	s_cbranch_scc1 .LBB55_1885
; %bb.1880:
	s_cmp_gt_i32 s14, 9
	s_cbranch_scc0 .LBB55_1882
; %bb.1881:
	v_cndmask_b32_e64 v1, 0, 1, s[4:5]
	v_cvt_f64_u32_e32 v[7:8], v1
	s_waitcnt vmcnt(0)
	v_mov_b32_e32 v9, 0
	v_mov_b32_e32 v10, v9
	s_mov_b64 s[0:1], 0
	global_store_dwordx4 v[5:6], v[7:10], off
.LBB55_1882:
	s_andn2_b64 vcc, exec, s[0:1]
	s_cbranch_vccnz .LBB55_1884
; %bb.1883:
	v_cndmask_b32_e64 v7, 0, 1.0, s[4:5]
	v_mov_b32_e32 v8, 0
	global_store_dwordx2 v[5:6], v[7:8], off
.LBB55_1884:
	s_mov_b64 s[0:1], 0
.LBB55_1885:
	s_andn2_b64 vcc, exec, s[0:1]
	s_cbranch_vccnz .LBB55_1887
; %bb.1886:
	v_cndmask_b32_e64 v1, 0, 1.0, s[4:5]
	v_cvt_f16_f32_e32 v1, v1
	global_store_dword v[5:6], v1, off
.LBB55_1887:
	s_mov_b64 s[0:1], 0
.LBB55_1888:
	s_andn2_b64 vcc, exec, s[0:1]
	s_cbranch_vccnz .LBB55_1897
; %bb.1889:
	s_cmp_lt_i32 s14, 6
	s_mov_b64 s[0:1], -1
	s_cbranch_scc1 .LBB55_1895
; %bb.1890:
	s_cmp_gt_i32 s14, 6
	s_cbranch_scc0 .LBB55_1892
; %bb.1891:
	v_cndmask_b32_e64 v1, 0, 1, s[4:5]
	v_cvt_f64_u32_e32 v[7:8], v1
	s_mov_b64 s[0:1], 0
	global_store_dwordx2 v[5:6], v[7:8], off
.LBB55_1892:
	s_andn2_b64 vcc, exec, s[0:1]
	s_cbranch_vccnz .LBB55_1894
; %bb.1893:
	v_cndmask_b32_e64 v1, 0, 1.0, s[4:5]
	global_store_dword v[5:6], v1, off
.LBB55_1894:
	s_mov_b64 s[0:1], 0
.LBB55_1895:
	s_andn2_b64 vcc, exec, s[0:1]
	s_cbranch_vccnz .LBB55_1897
; %bb.1896:
	v_cndmask_b32_e64 v1, 0, 1.0, s[4:5]
	v_cvt_f16_f32_e32 v1, v1
	global_store_short v[5:6], v1, off
.LBB55_1897:
	s_mov_b64 s[0:1], 0
.LBB55_1898:
	s_andn2_b64 vcc, exec, s[0:1]
	s_cbranch_vccnz .LBB55_1914
; %bb.1899:
	s_cmp_lt_i32 s14, 2
	s_mov_b64 s[0:1], -1
	s_cbranch_scc1 .LBB55_1909
; %bb.1900:
	s_cmp_lt_i32 s14, 3
	s_cbranch_scc1 .LBB55_1906
; %bb.1901:
	s_cmp_gt_i32 s14, 3
	s_cbranch_scc0 .LBB55_1903
; %bb.1902:
	s_mov_b32 s0, 0
	v_cndmask_b32_e64 v7, 0, 1, s[4:5]
	v_mov_b32_e32 v8, s0
	global_store_dwordx2 v[5:6], v[7:8], off
	s_mov_b64 s[0:1], 0
.LBB55_1903:
	s_andn2_b64 vcc, exec, s[0:1]
	s_cbranch_vccnz .LBB55_1905
; %bb.1904:
	v_cndmask_b32_e64 v1, 0, 1, s[4:5]
	global_store_dword v[5:6], v1, off
.LBB55_1905:
	s_mov_b64 s[0:1], 0
.LBB55_1906:
	s_andn2_b64 vcc, exec, s[0:1]
	s_cbranch_vccnz .LBB55_1908
; %bb.1907:
	v_cndmask_b32_e64 v1, 0, 1, s[4:5]
	global_store_short v[5:6], v1, off
.LBB55_1908:
	s_mov_b64 s[0:1], 0
.LBB55_1909:
	s_andn2_b64 vcc, exec, s[0:1]
	s_cbranch_vccnz .LBB55_1914
; %bb.1910:
	s_mov_b64 s[0:1], -1
	s_cmp_gt_i32 s14, 0
	v_cndmask_b32_e64 v1, 0, 1, s[4:5]
	s_cbranch_scc0 .LBB55_1912
; %bb.1911:
	global_store_byte v[5:6], v1, off
	s_mov_b64 s[0:1], 0
.LBB55_1912:
	s_andn2_b64 vcc, exec, s[0:1]
	s_cbranch_vccnz .LBB55_1914
; %bb.1913:
	global_store_byte v[5:6], v1, off
.LBB55_1914:
	s_mov_b64 s[16:17], -1
.LBB55_1915:
	s_andn2_b64 vcc, exec, s[16:17]
	s_cbranch_vccnz .LBB55_2230
; %bb.1916:
	v_mov_b32_e32 v1, s9
	s_and_b32 s20, 0xffff, s22
	s_waitcnt vmcnt(0)
	v_add_co_u32_e32 v3, vcc, s8, v4
	s_cmp_lt_i32 s20, 11
	v_addc_co_u32_e32 v4, vcc, 0, v1, vcc
	s_cbranch_scc1 .LBB55_1994
; %bb.1917:
	s_mov_b64 s[16:17], -1
	s_mov_b64 s[4:5], 0
	s_cmp_gt_i32 s20, 25
	s_mov_b64 s[14:15], 0
	s_mov_b64 s[0:1], 0
	s_cbranch_scc0 .LBB55_1950
; %bb.1918:
	s_cmp_gt_i32 s20, 28
	s_cbranch_scc0 .LBB55_1933
; %bb.1919:
	s_cmp_gt_i32 s20, 43
	s_cbranch_scc0 .LBB55_1929
; %bb.1920:
	s_cmp_gt_i32 s20, 45
	s_cbranch_scc0 .LBB55_1923
; %bb.1921:
	s_mov_b64 s[0:1], -1
	s_mov_b64 s[16:17], 0
	s_cmp_eq_u32 s20, 46
	s_cbranch_scc0 .LBB55_1923
; %bb.1922:
	v_cndmask_b32_e64 v1, 0, 1.0, s[6:7]
	v_bfe_u32 v5, v1, 16, 1
	s_movk_i32 s0, 0x7fff
	v_add3_u32 v1, v1, v5, s0
	v_lshrrev_b32_e32 v1, 16, v1
	global_store_dword v[3:4], v1, off
	s_mov_b64 s[0:1], 0
	s_mov_b64 s[14:15], -1
.LBB55_1923:
	s_and_b64 vcc, exec, s[16:17]
	s_cbranch_vccz .LBB55_1928
; %bb.1924:
	s_cmp_eq_u32 s20, 44
	s_mov_b64 s[0:1], -1
	s_cbranch_scc0 .LBB55_1928
; %bb.1925:
	v_cndmask_b32_e64 v5, 0, 1.0, s[6:7]
	v_lshrrev_b32_e32 v1, 23, v5
	s_movk_i32 s0, 0xff
	v_cmp_ne_u32_e32 vcc, s0, v1
	v_mov_b32_e32 v6, 0xff
	s_and_saveexec_b64 s[14:15], vcc
; %bb.1926:
	s_mov_b32 s0, 0x3fffff
	v_and_b32_e32 v6, 0x400000, v5
	v_and_or_b32 v5, v5, s0, v1
	v_cmp_ne_u32_e32 vcc, 0, v6
	v_cmp_ne_u32_e64 s[0:1], 0, v5
	s_and_b64 s[0:1], vcc, s[0:1]
	v_cndmask_b32_e64 v5, 0, 1, s[0:1]
	v_add_u32_e32 v6, v1, v5
; %bb.1927:
	s_or_b64 exec, exec, s[14:15]
	s_mov_b64 s[0:1], 0
	s_mov_b64 s[14:15], -1
	global_store_byte v[3:4], v6, off
.LBB55_1928:
	s_mov_b64 s[16:17], 0
.LBB55_1929:
	s_and_b64 vcc, exec, s[16:17]
	s_cbranch_vccz .LBB55_1932
; %bb.1930:
	s_cmp_eq_u32 s20, 29
	s_mov_b64 s[0:1], -1
	s_cbranch_scc0 .LBB55_1932
; %bb.1931:
	s_mov_b32 s0, 0
	v_cndmask_b32_e64 v5, 0, 1, s[6:7]
	v_mov_b32_e32 v6, s0
	global_store_dwordx2 v[3:4], v[5:6], off
	s_mov_b64 s[0:1], 0
	s_mov_b64 s[14:15], -1
.LBB55_1932:
	s_mov_b64 s[16:17], 0
.LBB55_1933:
	s_and_b64 vcc, exec, s[16:17]
	s_cbranch_vccz .LBB55_1949
; %bb.1934:
	s_cmp_lt_i32 s20, 27
	s_mov_b64 s[14:15], -1
	s_cbranch_scc1 .LBB55_1940
; %bb.1935:
	s_cmp_gt_i32 s20, 27
	s_cbranch_scc0 .LBB55_1937
; %bb.1936:
	v_cndmask_b32_e64 v1, 0, 1, s[6:7]
	s_mov_b64 s[14:15], 0
	global_store_dword v[3:4], v1, off
.LBB55_1937:
	s_andn2_b64 vcc, exec, s[14:15]
	s_cbranch_vccnz .LBB55_1939
; %bb.1938:
	v_cndmask_b32_e64 v1, 0, 1, s[6:7]
	global_store_short v[3:4], v1, off
.LBB55_1939:
	s_mov_b64 s[14:15], 0
.LBB55_1940:
	s_andn2_b64 vcc, exec, s[14:15]
	s_cbranch_vccnz .LBB55_1948
; %bb.1941:
	v_cndmask_b32_e64 v5, 0, 1.0, s[6:7]
	s_mov_b32 s14, 0x43800000
	v_cmp_gt_u32_e32 vcc, s14, v5
	v_mov_b32_e32 v6, 0x80
	s_and_saveexec_b64 s[14:15], vcc
	s_cbranch_execz .LBB55_1947
; %bb.1942:
	s_mov_b32 s16, 0x3bffffff
	v_cmp_lt_u32_e32 vcc, s16, v5
	s_mov_b64 s[16:17], 0
                                        ; implicit-def: $vgpr1
	s_and_saveexec_b64 s[18:19], vcc
	s_xor_b64 s[18:19], exec, s[18:19]
	s_cbranch_execz .LBB55_2238
; %bb.1943:
	v_bfe_u32 v1, v5, 20, 1
	s_mov_b32 s21, 0x487ffff
	v_add3_u32 v1, v5, v1, s21
	s_mov_b64 s[16:17], exec
	v_lshrrev_b32_e32 v1, 20, v1
                                        ; implicit-def: $vgpr5
	s_andn2_saveexec_b64 s[18:19], s[18:19]
	s_cbranch_execnz .LBB55_2239
.LBB55_1944:
	s_or_b64 exec, exec, s[18:19]
	v_mov_b32_e32 v6, 0
	s_and_saveexec_b64 s[18:19], s[16:17]
.LBB55_1945:
	v_mov_b32_e32 v6, v1
.LBB55_1946:
	s_or_b64 exec, exec, s[18:19]
.LBB55_1947:
	s_or_b64 exec, exec, s[14:15]
	global_store_byte v[3:4], v6, off
.LBB55_1948:
	s_mov_b64 s[14:15], -1
.LBB55_1949:
	s_mov_b64 s[16:17], 0
.LBB55_1950:
	s_and_b64 vcc, exec, s[16:17]
	s_cbranch_vccz .LBB55_1990
; %bb.1951:
	s_cmp_gt_i32 s20, 22
	s_mov_b64 s[4:5], -1
	s_cbranch_scc0 .LBB55_1983
; %bb.1952:
	s_cmp_lt_i32 s20, 24
	s_cbranch_scc1 .LBB55_1972
; %bb.1953:
	s_cmp_gt_i32 s20, 24
	s_cbranch_scc0 .LBB55_1961
; %bb.1954:
	v_cndmask_b32_e64 v5, 0, 1.0, s[6:7]
	s_mov_b32 s4, 0x47800000
	v_cmp_gt_u32_e32 vcc, s4, v5
	v_mov_b32_e32 v6, 0x80
	s_and_saveexec_b64 s[4:5], vcc
	s_cbranch_execz .LBB55_1960
; %bb.1955:
	s_mov_b32 s14, 0x37ffffff
	v_cmp_lt_u32_e32 vcc, s14, v5
	s_mov_b64 s[14:15], 0
                                        ; implicit-def: $vgpr1
	s_and_saveexec_b64 s[16:17], vcc
	s_xor_b64 s[16:17], exec, s[16:17]
	s_cbranch_execz .LBB55_2241
; %bb.1956:
	v_bfe_u32 v1, v5, 21, 1
	s_mov_b32 s18, 0x88fffff
	v_add3_u32 v1, v5, v1, s18
	s_mov_b64 s[14:15], exec
	v_lshrrev_b32_e32 v1, 21, v1
                                        ; implicit-def: $vgpr5
	s_andn2_saveexec_b64 s[16:17], s[16:17]
	s_cbranch_execnz .LBB55_2242
.LBB55_1957:
	s_or_b64 exec, exec, s[16:17]
	v_mov_b32_e32 v6, 0
	s_and_saveexec_b64 s[16:17], s[14:15]
.LBB55_1958:
	v_mov_b32_e32 v6, v1
.LBB55_1959:
	s_or_b64 exec, exec, s[16:17]
.LBB55_1960:
	s_or_b64 exec, exec, s[4:5]
	s_mov_b64 s[4:5], 0
	global_store_byte v[3:4], v6, off
.LBB55_1961:
	s_and_b64 vcc, exec, s[4:5]
	s_cbranch_vccz .LBB55_1971
; %bb.1962:
	v_cndmask_b32_e64 v1, 0, 1.0, s[6:7]
	s_mov_b32 s4, 0x43f00000
	v_cmp_gt_u32_e32 vcc, s4, v1
                                        ; implicit-def: $vgpr5
	s_and_saveexec_b64 s[4:5], vcc
	s_xor_b64 s[4:5], exec, s[4:5]
	s_cbranch_execz .LBB55_1968
; %bb.1963:
	s_mov_b32 s14, 0x3c7fffff
	v_cmp_lt_u32_e32 vcc, s14, v1
                                        ; implicit-def: $vgpr5
	s_and_saveexec_b64 s[14:15], vcc
	s_xor_b64 s[14:15], exec, s[14:15]
; %bb.1964:
	v_bfe_u32 v5, v1, 20, 1
	s_mov_b32 s16, 0x407ffff
	v_add3_u32 v1, v1, v5, s16
	v_lshrrev_b32_e32 v5, 20, v1
	v_and_b32_e32 v1, 0xff00000, v1
	s_mov_b32 s16, 0x7f00000
	v_mov_b32_e32 v6, 0x7e
	v_cmp_ne_u32_e32 vcc, s16, v1
	v_cndmask_b32_e32 v5, v6, v5, vcc
                                        ; implicit-def: $vgpr1
; %bb.1965:
	s_andn2_saveexec_b64 s[14:15], s[14:15]
; %bb.1966:
	v_add_f32_e32 v5, 0x46800000, v1
; %bb.1967:
	s_or_b64 exec, exec, s[14:15]
                                        ; implicit-def: $vgpr1
.LBB55_1968:
	s_andn2_saveexec_b64 s[4:5], s[4:5]
; %bb.1969:
	s_mov_b32 s14, 0x7f800000
	v_mov_b32_e32 v5, 0x7e
	v_mov_b32_e32 v6, 0x7f
	v_cmp_lt_u32_e32 vcc, s14, v1
	v_cndmask_b32_e32 v5, v5, v6, vcc
; %bb.1970:
	s_or_b64 exec, exec, s[4:5]
	global_store_byte v[3:4], v5, off
.LBB55_1971:
	s_mov_b64 s[4:5], 0
.LBB55_1972:
	s_andn2_b64 vcc, exec, s[4:5]
	s_cbranch_vccnz .LBB55_1982
; %bb.1973:
	v_cndmask_b32_e64 v1, 0, 1.0, s[6:7]
	s_mov_b32 s4, 0x47800000
	v_cmp_gt_u32_e32 vcc, s4, v1
                                        ; implicit-def: $vgpr5
	s_and_saveexec_b64 s[4:5], vcc
	s_xor_b64 s[4:5], exec, s[4:5]
	s_cbranch_execz .LBB55_1979
; %bb.1974:
	s_mov_b32 s14, 0x387fffff
	v_cmp_lt_u32_e32 vcc, s14, v1
                                        ; implicit-def: $vgpr5
	s_and_saveexec_b64 s[14:15], vcc
	s_xor_b64 s[14:15], exec, s[14:15]
; %bb.1975:
	v_bfe_u32 v5, v1, 21, 1
	s_mov_b32 s16, 0x80fffff
	v_add3_u32 v1, v1, v5, s16
	v_lshrrev_b32_e32 v5, 21, v1
                                        ; implicit-def: $vgpr1
; %bb.1976:
	s_andn2_saveexec_b64 s[14:15], s[14:15]
; %bb.1977:
	v_add_f32_e32 v5, 0x43000000, v1
; %bb.1978:
	s_or_b64 exec, exec, s[14:15]
                                        ; implicit-def: $vgpr1
.LBB55_1979:
	s_andn2_saveexec_b64 s[4:5], s[4:5]
; %bb.1980:
	s_mov_b32 s14, 0x7f800000
	v_mov_b32_e32 v5, 0x7c
	v_mov_b32_e32 v6, 0x7f
	v_cmp_lt_u32_e32 vcc, s14, v1
	v_cndmask_b32_e32 v5, v5, v6, vcc
; %bb.1981:
	s_or_b64 exec, exec, s[4:5]
	global_store_byte v[3:4], v5, off
.LBB55_1982:
	s_mov_b64 s[4:5], 0
	s_mov_b64 s[14:15], -1
.LBB55_1983:
	s_andn2_b64 vcc, exec, s[4:5]
	s_mov_b64 s[4:5], 0
	s_cbranch_vccnz .LBB55_1990
; %bb.1984:
	s_cmp_gt_i32 s20, 14
	s_mov_b64 s[16:17], -1
	s_cbranch_scc0 .LBB55_1988
; %bb.1985:
	s_cmp_eq_u32 s20, 15
	s_mov_b64 s[0:1], -1
	s_cbranch_scc0 .LBB55_1987
; %bb.1986:
	v_cndmask_b32_e64 v1, 0, 1.0, s[6:7]
	v_bfe_u32 v5, v1, 16, 1
	s_movk_i32 s0, 0x7fff
	v_add3_u32 v1, v1, v5, s0
	global_store_short_d16_hi v[3:4], v1, off
	s_mov_b64 s[0:1], 0
	s_mov_b64 s[14:15], -1
.LBB55_1987:
	s_mov_b64 s[16:17], 0
.LBB55_1988:
	s_and_b64 vcc, exec, s[16:17]
	s_cbranch_vccz .LBB55_1990
; %bb.1989:
	s_cmp_lg_u32 s20, 11
	s_mov_b64 s[4:5], -1
	s_cselect_b64 s[0:1], -1, 0
.LBB55_1990:
	s_and_b64 vcc, exec, s[0:1]
	s_cbranch_vccnz .LBB55_2240
; %bb.1991:
	s_andn2_b64 vcc, exec, s[4:5]
	s_cbranch_vccnz .LBB55_1993
.LBB55_1992:
	v_cndmask_b32_e64 v1, 0, 1, s[6:7]
	s_mov_b64 s[14:15], -1
	global_store_byte v[3:4], v1, off
.LBB55_1993:
	s_mov_b64 s[0:1], 0
	s_branch .LBB55_1995
.LBB55_1994:
	s_mov_b64 s[0:1], -1
	s_mov_b64 s[14:15], 0
.LBB55_1995:
	s_and_b64 vcc, exec, s[0:1]
	s_cbranch_vccz .LBB55_2034
; %bb.1996:
	s_cmp_lt_i32 s20, 5
	s_mov_b64 s[0:1], -1
	s_cbranch_scc1 .LBB55_2017
; %bb.1997:
	s_cmp_lt_i32 s20, 8
	s_cbranch_scc1 .LBB55_2007
; %bb.1998:
	s_cmp_lt_i32 s20, 9
	s_cbranch_scc1 .LBB55_2004
; %bb.1999:
	s_cmp_gt_i32 s20, 9
	s_cbranch_scc0 .LBB55_2001
; %bb.2000:
	v_cndmask_b32_e64 v1, 0, 1, s[6:7]
	v_cvt_f64_u32_e32 v[5:6], v1
	v_mov_b32_e32 v7, 0
	v_mov_b32_e32 v8, v7
	s_mov_b64 s[0:1], 0
	global_store_dwordx4 v[3:4], v[5:8], off
.LBB55_2001:
	s_andn2_b64 vcc, exec, s[0:1]
	s_cbranch_vccnz .LBB55_2003
; %bb.2002:
	v_cndmask_b32_e64 v5, 0, 1.0, s[6:7]
	v_mov_b32_e32 v6, 0
	global_store_dwordx2 v[3:4], v[5:6], off
.LBB55_2003:
	s_mov_b64 s[0:1], 0
.LBB55_2004:
	s_andn2_b64 vcc, exec, s[0:1]
	s_cbranch_vccnz .LBB55_2006
; %bb.2005:
	v_cndmask_b32_e64 v1, 0, 1.0, s[6:7]
	v_cvt_f16_f32_e32 v1, v1
	global_store_dword v[3:4], v1, off
.LBB55_2006:
	s_mov_b64 s[0:1], 0
.LBB55_2007:
	s_andn2_b64 vcc, exec, s[0:1]
	s_cbranch_vccnz .LBB55_2016
; %bb.2008:
	s_cmp_lt_i32 s20, 6
	s_mov_b64 s[0:1], -1
	s_cbranch_scc1 .LBB55_2014
; %bb.2009:
	s_cmp_gt_i32 s20, 6
	s_cbranch_scc0 .LBB55_2011
; %bb.2010:
	v_cndmask_b32_e64 v1, 0, 1, s[6:7]
	v_cvt_f64_u32_e32 v[5:6], v1
	s_mov_b64 s[0:1], 0
	global_store_dwordx2 v[3:4], v[5:6], off
.LBB55_2011:
	s_andn2_b64 vcc, exec, s[0:1]
	s_cbranch_vccnz .LBB55_2013
; %bb.2012:
	v_cndmask_b32_e64 v1, 0, 1.0, s[6:7]
	global_store_dword v[3:4], v1, off
.LBB55_2013:
	s_mov_b64 s[0:1], 0
.LBB55_2014:
	s_andn2_b64 vcc, exec, s[0:1]
	s_cbranch_vccnz .LBB55_2016
; %bb.2015:
	v_cndmask_b32_e64 v1, 0, 1.0, s[6:7]
	v_cvt_f16_f32_e32 v1, v1
	global_store_short v[3:4], v1, off
.LBB55_2016:
	s_mov_b64 s[0:1], 0
.LBB55_2017:
	s_andn2_b64 vcc, exec, s[0:1]
	s_cbranch_vccnz .LBB55_2033
; %bb.2018:
	s_cmp_lt_i32 s20, 2
	s_mov_b64 s[0:1], -1
	s_cbranch_scc1 .LBB55_2028
; %bb.2019:
	s_cmp_lt_i32 s20, 3
	s_cbranch_scc1 .LBB55_2025
; %bb.2020:
	s_cmp_gt_i32 s20, 3
	s_cbranch_scc0 .LBB55_2022
; %bb.2021:
	s_mov_b32 s0, 0
	v_cndmask_b32_e64 v5, 0, 1, s[6:7]
	v_mov_b32_e32 v6, s0
	global_store_dwordx2 v[3:4], v[5:6], off
	s_mov_b64 s[0:1], 0
.LBB55_2022:
	s_andn2_b64 vcc, exec, s[0:1]
	s_cbranch_vccnz .LBB55_2024
; %bb.2023:
	v_cndmask_b32_e64 v1, 0, 1, s[6:7]
	global_store_dword v[3:4], v1, off
.LBB55_2024:
	s_mov_b64 s[0:1], 0
.LBB55_2025:
	s_andn2_b64 vcc, exec, s[0:1]
	s_cbranch_vccnz .LBB55_2027
; %bb.2026:
	v_cndmask_b32_e64 v1, 0, 1, s[6:7]
	global_store_short v[3:4], v1, off
.LBB55_2027:
	s_mov_b64 s[0:1], 0
.LBB55_2028:
	s_andn2_b64 vcc, exec, s[0:1]
	s_cbranch_vccnz .LBB55_2033
; %bb.2029:
	s_mov_b64 s[0:1], -1
	s_cmp_gt_i32 s20, 0
	v_cndmask_b32_e64 v1, 0, 1, s[6:7]
	s_cbranch_scc0 .LBB55_2031
; %bb.2030:
	global_store_byte v[3:4], v1, off
	s_mov_b64 s[0:1], 0
.LBB55_2031:
	s_andn2_b64 vcc, exec, s[0:1]
	s_cbranch_vccnz .LBB55_2033
; %bb.2032:
	global_store_byte v[3:4], v1, off
.LBB55_2033:
	s_mov_b64 s[14:15], -1
.LBB55_2034:
	s_andn2_b64 vcc, exec, s[14:15]
	s_cbranch_vccnz .LBB55_2230
; %bb.2035:
	v_mov_b32_e32 v3, s9
	v_add_co_u32_e32 v1, vcc, s8, v2
	s_cmp_lt_i32 s20, 11
	v_addc_co_u32_e32 v2, vcc, 0, v3, vcc
	s_cbranch_scc1 .LBB55_2113
; %bb.2036:
	s_mov_b64 s[14:15], -1
	s_mov_b64 s[4:5], 0
	s_cmp_gt_i32 s20, 25
	s_mov_b64 s[6:7], 0
	s_mov_b64 s[0:1], 0
	s_cbranch_scc0 .LBB55_2069
; %bb.2037:
	s_cmp_gt_i32 s20, 28
	s_cbranch_scc0 .LBB55_2052
; %bb.2038:
	s_cmp_gt_i32 s20, 43
	;; [unrolled: 3-line block ×3, first 2 shown]
	s_cbranch_scc0 .LBB55_2042
; %bb.2040:
	s_mov_b64 s[0:1], -1
	s_mov_b64 s[14:15], 0
	s_cmp_eq_u32 s20, 46
	s_cbranch_scc0 .LBB55_2042
; %bb.2041:
	v_cndmask_b32_e64 v3, 0, 1.0, s[12:13]
	v_bfe_u32 v4, v3, 16, 1
	s_movk_i32 s0, 0x7fff
	v_add3_u32 v3, v3, v4, s0
	v_lshrrev_b32_e32 v3, 16, v3
	global_store_dword v[1:2], v3, off
	s_mov_b64 s[0:1], 0
	s_mov_b64 s[6:7], -1
.LBB55_2042:
	s_and_b64 vcc, exec, s[14:15]
	s_cbranch_vccz .LBB55_2047
; %bb.2043:
	s_cmp_eq_u32 s20, 44
	s_mov_b64 s[0:1], -1
	s_cbranch_scc0 .LBB55_2047
; %bb.2044:
	v_cndmask_b32_e64 v4, 0, 1.0, s[12:13]
	v_lshrrev_b32_e32 v3, 23, v4
	s_movk_i32 s0, 0xff
	v_cmp_ne_u32_e32 vcc, s0, v3
	v_mov_b32_e32 v5, 0xff
	s_and_saveexec_b64 s[6:7], vcc
; %bb.2045:
	s_mov_b32 s0, 0x3fffff
	v_and_b32_e32 v5, 0x400000, v4
	v_and_or_b32 v4, v4, s0, v3
	v_cmp_ne_u32_e32 vcc, 0, v5
	v_cmp_ne_u32_e64 s[0:1], 0, v4
	s_and_b64 s[0:1], vcc, s[0:1]
	v_cndmask_b32_e64 v4, 0, 1, s[0:1]
	v_add_u32_e32 v5, v3, v4
; %bb.2046:
	s_or_b64 exec, exec, s[6:7]
	s_mov_b64 s[0:1], 0
	s_mov_b64 s[6:7], -1
	global_store_byte v[1:2], v5, off
.LBB55_2047:
	s_mov_b64 s[14:15], 0
.LBB55_2048:
	s_and_b64 vcc, exec, s[14:15]
	s_cbranch_vccz .LBB55_2051
; %bb.2049:
	s_cmp_eq_u32 s20, 29
	s_mov_b64 s[0:1], -1
	s_cbranch_scc0 .LBB55_2051
; %bb.2050:
	s_mov_b32 s0, 0
	v_cndmask_b32_e64 v3, 0, 1, s[12:13]
	v_mov_b32_e32 v4, s0
	global_store_dwordx2 v[1:2], v[3:4], off
	s_mov_b64 s[0:1], 0
	s_mov_b64 s[6:7], -1
.LBB55_2051:
	s_mov_b64 s[14:15], 0
.LBB55_2052:
	s_and_b64 vcc, exec, s[14:15]
	s_cbranch_vccz .LBB55_2068
; %bb.2053:
	s_cmp_lt_i32 s20, 27
	s_mov_b64 s[6:7], -1
	s_cbranch_scc1 .LBB55_2059
; %bb.2054:
	s_cmp_gt_i32 s20, 27
	s_cbranch_scc0 .LBB55_2056
; %bb.2055:
	v_cndmask_b32_e64 v3, 0, 1, s[12:13]
	s_mov_b64 s[6:7], 0
	global_store_dword v[1:2], v3, off
.LBB55_2056:
	s_andn2_b64 vcc, exec, s[6:7]
	s_cbranch_vccnz .LBB55_2058
; %bb.2057:
	v_cndmask_b32_e64 v3, 0, 1, s[12:13]
	global_store_short v[1:2], v3, off
.LBB55_2058:
	s_mov_b64 s[6:7], 0
.LBB55_2059:
	s_andn2_b64 vcc, exec, s[6:7]
	s_cbranch_vccnz .LBB55_2067
; %bb.2060:
	v_cndmask_b32_e64 v4, 0, 1.0, s[12:13]
	s_mov_b32 s6, 0x43800000
	v_cmp_gt_u32_e32 vcc, s6, v4
	v_mov_b32_e32 v5, 0x80
	s_and_saveexec_b64 s[6:7], vcc
	s_cbranch_execz .LBB55_2066
; %bb.2061:
	s_mov_b32 s14, 0x3bffffff
	v_cmp_lt_u32_e32 vcc, s14, v4
	s_mov_b64 s[14:15], 0
                                        ; implicit-def: $vgpr3
	s_and_saveexec_b64 s[16:17], vcc
	s_xor_b64 s[16:17], exec, s[16:17]
	s_cbranch_execz .LBB55_2243
; %bb.2062:
	v_bfe_u32 v3, v4, 20, 1
	s_mov_b32 s18, 0x487ffff
	v_add3_u32 v3, v4, v3, s18
	s_mov_b64 s[14:15], exec
	v_lshrrev_b32_e32 v3, 20, v3
                                        ; implicit-def: $vgpr4
	s_andn2_saveexec_b64 s[16:17], s[16:17]
	s_cbranch_execnz .LBB55_2244
.LBB55_2063:
	s_or_b64 exec, exec, s[16:17]
	v_mov_b32_e32 v5, 0
	s_and_saveexec_b64 s[16:17], s[14:15]
.LBB55_2064:
	v_mov_b32_e32 v5, v3
.LBB55_2065:
	s_or_b64 exec, exec, s[16:17]
.LBB55_2066:
	s_or_b64 exec, exec, s[6:7]
	global_store_byte v[1:2], v5, off
.LBB55_2067:
	s_mov_b64 s[6:7], -1
.LBB55_2068:
	s_mov_b64 s[14:15], 0
.LBB55_2069:
	s_and_b64 vcc, exec, s[14:15]
	s_cbranch_vccz .LBB55_2109
; %bb.2070:
	s_cmp_gt_i32 s20, 22
	s_mov_b64 s[4:5], -1
	s_cbranch_scc0 .LBB55_2102
; %bb.2071:
	s_cmp_lt_i32 s20, 24
	s_cbranch_scc1 .LBB55_2091
; %bb.2072:
	s_cmp_gt_i32 s20, 24
	s_cbranch_scc0 .LBB55_2080
; %bb.2073:
	v_cndmask_b32_e64 v4, 0, 1.0, s[12:13]
	s_mov_b32 s4, 0x47800000
	v_cmp_gt_u32_e32 vcc, s4, v4
	v_mov_b32_e32 v5, 0x80
	s_and_saveexec_b64 s[4:5], vcc
	s_cbranch_execz .LBB55_2079
; %bb.2074:
	s_mov_b32 s6, 0x37ffffff
	v_cmp_lt_u32_e32 vcc, s6, v4
	s_mov_b64 s[6:7], 0
                                        ; implicit-def: $vgpr3
	s_and_saveexec_b64 s[14:15], vcc
	s_xor_b64 s[14:15], exec, s[14:15]
	s_cbranch_execz .LBB55_2246
; %bb.2075:
	v_bfe_u32 v3, v4, 21, 1
	s_mov_b32 s16, 0x88fffff
	v_add3_u32 v3, v4, v3, s16
	s_mov_b64 s[6:7], exec
	v_lshrrev_b32_e32 v3, 21, v3
                                        ; implicit-def: $vgpr4
	s_andn2_saveexec_b64 s[14:15], s[14:15]
	s_cbranch_execnz .LBB55_2247
.LBB55_2076:
	s_or_b64 exec, exec, s[14:15]
	v_mov_b32_e32 v5, 0
	s_and_saveexec_b64 s[14:15], s[6:7]
.LBB55_2077:
	v_mov_b32_e32 v5, v3
.LBB55_2078:
	s_or_b64 exec, exec, s[14:15]
.LBB55_2079:
	s_or_b64 exec, exec, s[4:5]
	s_mov_b64 s[4:5], 0
	global_store_byte v[1:2], v5, off
.LBB55_2080:
	s_and_b64 vcc, exec, s[4:5]
	s_cbranch_vccz .LBB55_2090
; %bb.2081:
	v_cndmask_b32_e64 v3, 0, 1.0, s[12:13]
	s_mov_b32 s4, 0x43f00000
	v_cmp_gt_u32_e32 vcc, s4, v3
                                        ; implicit-def: $vgpr4
	s_and_saveexec_b64 s[4:5], vcc
	s_xor_b64 s[4:5], exec, s[4:5]
	s_cbranch_execz .LBB55_2087
; %bb.2082:
	s_mov_b32 s6, 0x3c7fffff
	v_cmp_lt_u32_e32 vcc, s6, v3
                                        ; implicit-def: $vgpr4
	s_and_saveexec_b64 s[6:7], vcc
	s_xor_b64 s[6:7], exec, s[6:7]
; %bb.2083:
	v_bfe_u32 v4, v3, 20, 1
	s_mov_b32 s14, 0x407ffff
	v_add3_u32 v3, v3, v4, s14
	v_lshrrev_b32_e32 v4, 20, v3
	v_and_b32_e32 v3, 0xff00000, v3
	s_mov_b32 s14, 0x7f00000
	v_mov_b32_e32 v5, 0x7e
	v_cmp_ne_u32_e32 vcc, s14, v3
	v_cndmask_b32_e32 v4, v5, v4, vcc
                                        ; implicit-def: $vgpr3
; %bb.2084:
	s_andn2_saveexec_b64 s[6:7], s[6:7]
; %bb.2085:
	v_add_f32_e32 v4, 0x46800000, v3
; %bb.2086:
	s_or_b64 exec, exec, s[6:7]
                                        ; implicit-def: $vgpr3
.LBB55_2087:
	s_andn2_saveexec_b64 s[4:5], s[4:5]
; %bb.2088:
	s_mov_b32 s6, 0x7f800000
	v_mov_b32_e32 v4, 0x7e
	v_mov_b32_e32 v5, 0x7f
	v_cmp_lt_u32_e32 vcc, s6, v3
	v_cndmask_b32_e32 v4, v4, v5, vcc
; %bb.2089:
	s_or_b64 exec, exec, s[4:5]
	global_store_byte v[1:2], v4, off
.LBB55_2090:
	s_mov_b64 s[4:5], 0
.LBB55_2091:
	s_andn2_b64 vcc, exec, s[4:5]
	s_cbranch_vccnz .LBB55_2101
; %bb.2092:
	v_cndmask_b32_e64 v3, 0, 1.0, s[12:13]
	s_mov_b32 s4, 0x47800000
	v_cmp_gt_u32_e32 vcc, s4, v3
                                        ; implicit-def: $vgpr4
	s_and_saveexec_b64 s[4:5], vcc
	s_xor_b64 s[4:5], exec, s[4:5]
	s_cbranch_execz .LBB55_2098
; %bb.2093:
	s_mov_b32 s6, 0x387fffff
	v_cmp_lt_u32_e32 vcc, s6, v3
                                        ; implicit-def: $vgpr4
	s_and_saveexec_b64 s[6:7], vcc
	s_xor_b64 s[6:7], exec, s[6:7]
; %bb.2094:
	v_bfe_u32 v4, v3, 21, 1
	s_mov_b32 s14, 0x80fffff
	v_add3_u32 v3, v3, v4, s14
	v_lshrrev_b32_e32 v4, 21, v3
                                        ; implicit-def: $vgpr3
; %bb.2095:
	s_andn2_saveexec_b64 s[6:7], s[6:7]
; %bb.2096:
	v_add_f32_e32 v4, 0x43000000, v3
; %bb.2097:
	s_or_b64 exec, exec, s[6:7]
                                        ; implicit-def: $vgpr3
.LBB55_2098:
	s_andn2_saveexec_b64 s[4:5], s[4:5]
; %bb.2099:
	s_mov_b32 s6, 0x7f800000
	v_mov_b32_e32 v4, 0x7c
	v_mov_b32_e32 v5, 0x7f
	v_cmp_lt_u32_e32 vcc, s6, v3
	v_cndmask_b32_e32 v4, v4, v5, vcc
; %bb.2100:
	s_or_b64 exec, exec, s[4:5]
	global_store_byte v[1:2], v4, off
.LBB55_2101:
	s_mov_b64 s[4:5], 0
	s_mov_b64 s[6:7], -1
.LBB55_2102:
	s_andn2_b64 vcc, exec, s[4:5]
	s_mov_b64 s[4:5], 0
	s_cbranch_vccnz .LBB55_2109
; %bb.2103:
	s_cmp_gt_i32 s20, 14
	s_mov_b64 s[14:15], -1
	s_cbranch_scc0 .LBB55_2107
; %bb.2104:
	s_cmp_eq_u32 s20, 15
	s_mov_b64 s[0:1], -1
	s_cbranch_scc0 .LBB55_2106
; %bb.2105:
	v_cndmask_b32_e64 v3, 0, 1.0, s[12:13]
	v_bfe_u32 v4, v3, 16, 1
	s_movk_i32 s0, 0x7fff
	v_add3_u32 v3, v3, v4, s0
	global_store_short_d16_hi v[1:2], v3, off
	s_mov_b64 s[0:1], 0
	s_mov_b64 s[6:7], -1
.LBB55_2106:
	s_mov_b64 s[14:15], 0
.LBB55_2107:
	s_and_b64 vcc, exec, s[14:15]
	s_cbranch_vccz .LBB55_2109
; %bb.2108:
	s_cmp_lg_u32 s20, 11
	s_mov_b64 s[4:5], -1
	s_cselect_b64 s[0:1], -1, 0
.LBB55_2109:
	s_and_b64 vcc, exec, s[0:1]
	s_cbranch_vccnz .LBB55_2245
; %bb.2110:
	s_andn2_b64 vcc, exec, s[4:5]
	s_cbranch_vccnz .LBB55_2112
.LBB55_2111:
	v_cndmask_b32_e64 v3, 0, 1, s[12:13]
	s_mov_b64 s[6:7], -1
	global_store_byte v[1:2], v3, off
.LBB55_2112:
	s_mov_b64 s[0:1], 0
	s_branch .LBB55_2114
.LBB55_2113:
	s_mov_b64 s[0:1], -1
	s_mov_b64 s[6:7], 0
.LBB55_2114:
	s_and_b64 vcc, exec, s[0:1]
	s_cbranch_vccz .LBB55_2153
; %bb.2115:
	s_cmp_lt_i32 s20, 5
	s_mov_b64 s[0:1], -1
	s_cbranch_scc1 .LBB55_2136
; %bb.2116:
	s_cmp_lt_i32 s20, 8
	s_cbranch_scc1 .LBB55_2126
; %bb.2117:
	s_cmp_lt_i32 s20, 9
	s_cbranch_scc1 .LBB55_2123
; %bb.2118:
	s_cmp_gt_i32 s20, 9
	s_cbranch_scc0 .LBB55_2120
; %bb.2119:
	v_cndmask_b32_e64 v3, 0, 1, s[12:13]
	v_cvt_f64_u32_e32 v[3:4], v3
	v_mov_b32_e32 v5, 0
	v_mov_b32_e32 v6, v5
	s_mov_b64 s[0:1], 0
	global_store_dwordx4 v[1:2], v[3:6], off
.LBB55_2120:
	s_andn2_b64 vcc, exec, s[0:1]
	s_cbranch_vccnz .LBB55_2122
; %bb.2121:
	v_cndmask_b32_e64 v3, 0, 1.0, s[12:13]
	v_mov_b32_e32 v4, 0
	global_store_dwordx2 v[1:2], v[3:4], off
.LBB55_2122:
	s_mov_b64 s[0:1], 0
.LBB55_2123:
	s_andn2_b64 vcc, exec, s[0:1]
	s_cbranch_vccnz .LBB55_2125
; %bb.2124:
	v_cndmask_b32_e64 v3, 0, 1.0, s[12:13]
	v_cvt_f16_f32_e32 v3, v3
	global_store_dword v[1:2], v3, off
.LBB55_2125:
	s_mov_b64 s[0:1], 0
.LBB55_2126:
	s_andn2_b64 vcc, exec, s[0:1]
	s_cbranch_vccnz .LBB55_2135
; %bb.2127:
	s_cmp_lt_i32 s20, 6
	s_mov_b64 s[0:1], -1
	s_cbranch_scc1 .LBB55_2133
; %bb.2128:
	s_cmp_gt_i32 s20, 6
	s_cbranch_scc0 .LBB55_2130
; %bb.2129:
	v_cndmask_b32_e64 v3, 0, 1, s[12:13]
	v_cvt_f64_u32_e32 v[3:4], v3
	s_mov_b64 s[0:1], 0
	global_store_dwordx2 v[1:2], v[3:4], off
.LBB55_2130:
	s_andn2_b64 vcc, exec, s[0:1]
	s_cbranch_vccnz .LBB55_2132
; %bb.2131:
	v_cndmask_b32_e64 v3, 0, 1.0, s[12:13]
	global_store_dword v[1:2], v3, off
.LBB55_2132:
	s_mov_b64 s[0:1], 0
.LBB55_2133:
	s_andn2_b64 vcc, exec, s[0:1]
	s_cbranch_vccnz .LBB55_2135
; %bb.2134:
	v_cndmask_b32_e64 v3, 0, 1.0, s[12:13]
	v_cvt_f16_f32_e32 v3, v3
	global_store_short v[1:2], v3, off
.LBB55_2135:
	s_mov_b64 s[0:1], 0
.LBB55_2136:
	s_andn2_b64 vcc, exec, s[0:1]
	s_cbranch_vccnz .LBB55_2152
; %bb.2137:
	s_cmp_lt_i32 s20, 2
	s_mov_b64 s[0:1], -1
	s_cbranch_scc1 .LBB55_2147
; %bb.2138:
	s_cmp_lt_i32 s20, 3
	s_cbranch_scc1 .LBB55_2144
; %bb.2139:
	s_cmp_gt_i32 s20, 3
	s_cbranch_scc0 .LBB55_2141
; %bb.2140:
	s_mov_b32 s0, 0
	v_cndmask_b32_e64 v3, 0, 1, s[12:13]
	v_mov_b32_e32 v4, s0
	global_store_dwordx2 v[1:2], v[3:4], off
	s_mov_b64 s[0:1], 0
.LBB55_2141:
	s_andn2_b64 vcc, exec, s[0:1]
	s_cbranch_vccnz .LBB55_2143
; %bb.2142:
	v_cndmask_b32_e64 v3, 0, 1, s[12:13]
	global_store_dword v[1:2], v3, off
.LBB55_2143:
	s_mov_b64 s[0:1], 0
.LBB55_2144:
	s_andn2_b64 vcc, exec, s[0:1]
	s_cbranch_vccnz .LBB55_2146
; %bb.2145:
	v_cndmask_b32_e64 v3, 0, 1, s[12:13]
	global_store_short v[1:2], v3, off
.LBB55_2146:
	s_mov_b64 s[0:1], 0
.LBB55_2147:
	s_andn2_b64 vcc, exec, s[0:1]
	s_cbranch_vccnz .LBB55_2152
; %bb.2148:
	s_cmp_gt_i32 s20, 0
	s_mov_b64 s[0:1], -1
	s_cbranch_scc0 .LBB55_2150
; %bb.2149:
	v_cndmask_b32_e64 v3, 0, 1, s[12:13]
	global_store_byte v[1:2], v3, off
	s_mov_b64 s[0:1], 0
.LBB55_2150:
	s_andn2_b64 vcc, exec, s[0:1]
	s_cbranch_vccnz .LBB55_2152
; %bb.2151:
	v_cndmask_b32_e64 v3, 0, 1, s[12:13]
	global_store_byte v[1:2], v3, off
.LBB55_2152:
	s_mov_b64 s[6:7], -1
.LBB55_2153:
	s_andn2_b64 vcc, exec, s[6:7]
	s_cbranch_vccnz .LBB55_2230
; %bb.2154:
	v_mov_b32_e32 v1, s9
	v_add_co_u32_e32 v0, vcc, s8, v0
	s_cmp_lt_i32 s20, 11
	v_addc_co_u32_e32 v1, vcc, 0, v1, vcc
	s_cbranch_scc1 .LBB55_2231
; %bb.2155:
	s_mov_b64 s[6:7], -1
	s_mov_b64 s[4:5], 0
	s_cmp_gt_i32 s20, 25
	s_mov_b64 s[0:1], 0
	s_cbranch_scc0 .LBB55_2188
; %bb.2156:
	s_cmp_gt_i32 s20, 28
	s_cbranch_scc0 .LBB55_2172
; %bb.2157:
	s_cmp_gt_i32 s20, 43
	s_cbranch_scc0 .LBB55_2168
; %bb.2158:
	s_cmp_gt_i32 s20, 45
	s_cbranch_scc0 .LBB55_2162
; %bb.2159:
	s_cmp_eq_u32 s20, 46
	s_mov_b64 s[0:1], -1
	s_cbranch_scc0 .LBB55_2161
; %bb.2160:
	v_cndmask_b32_e64 v2, 0, 1.0, s[10:11]
	v_bfe_u32 v3, v2, 16, 1
	s_movk_i32 s0, 0x7fff
	v_add3_u32 v2, v2, v3, s0
	v_lshrrev_b32_e32 v2, 16, v2
	global_store_dword v[0:1], v2, off
	s_mov_b64 s[0:1], 0
.LBB55_2161:
	s_mov_b64 s[6:7], 0
.LBB55_2162:
	s_and_b64 vcc, exec, s[6:7]
	s_cbranch_vccz .LBB55_2167
; %bb.2163:
	s_cmp_eq_u32 s20, 44
	s_mov_b64 s[0:1], -1
	s_cbranch_scc0 .LBB55_2167
; %bb.2164:
	v_cndmask_b32_e64 v3, 0, 1.0, s[10:11]
	v_lshrrev_b32_e32 v2, 23, v3
	s_movk_i32 s0, 0xff
	v_cmp_ne_u32_e32 vcc, s0, v2
	v_mov_b32_e32 v4, 0xff
	s_and_saveexec_b64 s[6:7], vcc
; %bb.2165:
	s_mov_b32 s0, 0x3fffff
	v_and_b32_e32 v4, 0x400000, v3
	v_and_or_b32 v3, v3, s0, v2
	v_cmp_ne_u32_e32 vcc, 0, v4
	v_cmp_ne_u32_e64 s[0:1], 0, v3
	s_and_b64 s[0:1], vcc, s[0:1]
	v_cndmask_b32_e64 v3, 0, 1, s[0:1]
	v_add_u32_e32 v4, v2, v3
; %bb.2166:
	s_or_b64 exec, exec, s[6:7]
	s_mov_b64 s[0:1], 0
	global_store_byte v[0:1], v4, off
.LBB55_2167:
	s_mov_b64 s[6:7], 0
.LBB55_2168:
	s_and_b64 vcc, exec, s[6:7]
	s_cbranch_vccz .LBB55_2171
; %bb.2169:
	s_cmp_eq_u32 s20, 29
	s_mov_b64 s[0:1], -1
	s_cbranch_scc0 .LBB55_2171
; %bb.2170:
	s_mov_b32 s0, 0
	v_cndmask_b32_e64 v2, 0, 1, s[10:11]
	v_mov_b32_e32 v3, s0
	global_store_dwordx2 v[0:1], v[2:3], off
	s_mov_b64 s[0:1], 0
.LBB55_2171:
	s_mov_b64 s[6:7], 0
.LBB55_2172:
	s_and_b64 vcc, exec, s[6:7]
	s_cbranch_vccz .LBB55_2187
; %bb.2173:
	s_cmp_lt_i32 s20, 27
	s_mov_b64 s[6:7], -1
	s_cbranch_scc1 .LBB55_2179
; %bb.2174:
	s_cmp_gt_i32 s20, 27
	s_cbranch_scc0 .LBB55_2176
; %bb.2175:
	v_cndmask_b32_e64 v2, 0, 1, s[10:11]
	global_store_dword v[0:1], v2, off
	s_mov_b64 s[6:7], 0
.LBB55_2176:
	s_andn2_b64 vcc, exec, s[6:7]
	s_cbranch_vccnz .LBB55_2178
; %bb.2177:
	v_cndmask_b32_e64 v2, 0, 1, s[10:11]
	global_store_short v[0:1], v2, off
.LBB55_2178:
	s_mov_b64 s[6:7], 0
.LBB55_2179:
	s_andn2_b64 vcc, exec, s[6:7]
	s_cbranch_vccnz .LBB55_2187
; %bb.2180:
	v_cndmask_b32_e64 v3, 0, 1.0, s[10:11]
	s_mov_b32 s6, 0x43800000
	v_cmp_gt_u32_e32 vcc, s6, v3
	v_mov_b32_e32 v4, 0x80
	s_and_saveexec_b64 s[6:7], vcc
	s_cbranch_execz .LBB55_2186
; %bb.2181:
	s_mov_b32 s8, 0x3bffffff
	v_cmp_lt_u32_e32 vcc, s8, v3
	s_mov_b64 s[8:9], 0
                                        ; implicit-def: $vgpr2
	s_and_saveexec_b64 s[12:13], vcc
	s_xor_b64 s[12:13], exec, s[12:13]
	s_cbranch_execz .LBB55_2248
; %bb.2182:
	v_bfe_u32 v2, v3, 20, 1
	s_mov_b32 s14, 0x487ffff
	v_add3_u32 v2, v3, v2, s14
	s_mov_b64 s[8:9], exec
	v_lshrrev_b32_e32 v2, 20, v2
                                        ; implicit-def: $vgpr3
	s_andn2_saveexec_b64 s[12:13], s[12:13]
	s_cbranch_execnz .LBB55_2249
.LBB55_2183:
	s_or_b64 exec, exec, s[12:13]
	v_mov_b32_e32 v4, 0
	s_and_saveexec_b64 s[12:13], s[8:9]
.LBB55_2184:
	v_mov_b32_e32 v4, v2
.LBB55_2185:
	s_or_b64 exec, exec, s[12:13]
.LBB55_2186:
	s_or_b64 exec, exec, s[6:7]
	global_store_byte v[0:1], v4, off
.LBB55_2187:
	s_mov_b64 s[6:7], 0
.LBB55_2188:
	s_and_b64 vcc, exec, s[6:7]
	s_cbranch_vccz .LBB55_2228
; %bb.2189:
	s_cmp_gt_i32 s20, 22
	s_mov_b64 s[4:5], -1
	s_cbranch_scc0 .LBB55_2221
; %bb.2190:
	s_cmp_lt_i32 s20, 24
	s_cbranch_scc1 .LBB55_2210
; %bb.2191:
	s_cmp_gt_i32 s20, 24
	s_cbranch_scc0 .LBB55_2199
; %bb.2192:
	v_cndmask_b32_e64 v3, 0, 1.0, s[10:11]
	s_mov_b32 s4, 0x47800000
	v_cmp_gt_u32_e32 vcc, s4, v3
	v_mov_b32_e32 v4, 0x80
	s_and_saveexec_b64 s[4:5], vcc
	s_cbranch_execz .LBB55_2198
; %bb.2193:
	s_mov_b32 s6, 0x37ffffff
	v_cmp_lt_u32_e32 vcc, s6, v3
	s_mov_b64 s[6:7], 0
                                        ; implicit-def: $vgpr2
	s_and_saveexec_b64 s[8:9], vcc
	s_xor_b64 s[8:9], exec, s[8:9]
	s_cbranch_execz .LBB55_2251
; %bb.2194:
	v_bfe_u32 v2, v3, 21, 1
	s_mov_b32 s12, 0x88fffff
	v_add3_u32 v2, v3, v2, s12
	s_mov_b64 s[6:7], exec
	v_lshrrev_b32_e32 v2, 21, v2
                                        ; implicit-def: $vgpr3
	s_andn2_saveexec_b64 s[8:9], s[8:9]
	s_cbranch_execnz .LBB55_2252
.LBB55_2195:
	s_or_b64 exec, exec, s[8:9]
	v_mov_b32_e32 v4, 0
	s_and_saveexec_b64 s[8:9], s[6:7]
.LBB55_2196:
	v_mov_b32_e32 v4, v2
.LBB55_2197:
	s_or_b64 exec, exec, s[8:9]
.LBB55_2198:
	s_or_b64 exec, exec, s[4:5]
	s_mov_b64 s[4:5], 0
	global_store_byte v[0:1], v4, off
.LBB55_2199:
	s_and_b64 vcc, exec, s[4:5]
	s_cbranch_vccz .LBB55_2209
; %bb.2200:
	v_cndmask_b32_e64 v2, 0, 1.0, s[10:11]
	s_mov_b32 s4, 0x43f00000
	v_cmp_gt_u32_e32 vcc, s4, v2
                                        ; implicit-def: $vgpr3
	s_and_saveexec_b64 s[4:5], vcc
	s_xor_b64 s[4:5], exec, s[4:5]
	s_cbranch_execz .LBB55_2206
; %bb.2201:
	s_mov_b32 s6, 0x3c7fffff
	v_cmp_lt_u32_e32 vcc, s6, v2
                                        ; implicit-def: $vgpr3
	s_and_saveexec_b64 s[6:7], vcc
	s_xor_b64 s[6:7], exec, s[6:7]
; %bb.2202:
	v_bfe_u32 v3, v2, 20, 1
	s_mov_b32 s8, 0x407ffff
	v_add3_u32 v2, v2, v3, s8
	v_lshrrev_b32_e32 v3, 20, v2
	v_and_b32_e32 v2, 0xff00000, v2
	s_mov_b32 s8, 0x7f00000
	v_mov_b32_e32 v4, 0x7e
	v_cmp_ne_u32_e32 vcc, s8, v2
	v_cndmask_b32_e32 v3, v4, v3, vcc
                                        ; implicit-def: $vgpr2
; %bb.2203:
	s_andn2_saveexec_b64 s[6:7], s[6:7]
; %bb.2204:
	v_add_f32_e32 v3, 0x46800000, v2
; %bb.2205:
	s_or_b64 exec, exec, s[6:7]
                                        ; implicit-def: $vgpr2
.LBB55_2206:
	s_andn2_saveexec_b64 s[4:5], s[4:5]
; %bb.2207:
	s_mov_b32 s6, 0x7f800000
	v_mov_b32_e32 v3, 0x7e
	v_mov_b32_e32 v4, 0x7f
	v_cmp_lt_u32_e32 vcc, s6, v2
	v_cndmask_b32_e32 v3, v3, v4, vcc
; %bb.2208:
	s_or_b64 exec, exec, s[4:5]
	global_store_byte v[0:1], v3, off
.LBB55_2209:
	s_mov_b64 s[4:5], 0
.LBB55_2210:
	s_andn2_b64 vcc, exec, s[4:5]
	s_cbranch_vccnz .LBB55_2220
; %bb.2211:
	v_cndmask_b32_e64 v2, 0, 1.0, s[10:11]
	s_mov_b32 s4, 0x47800000
	v_cmp_gt_u32_e32 vcc, s4, v2
                                        ; implicit-def: $vgpr3
	s_and_saveexec_b64 s[4:5], vcc
	s_xor_b64 s[4:5], exec, s[4:5]
	s_cbranch_execz .LBB55_2217
; %bb.2212:
	s_mov_b32 s6, 0x387fffff
	v_cmp_lt_u32_e32 vcc, s6, v2
                                        ; implicit-def: $vgpr3
	s_and_saveexec_b64 s[6:7], vcc
	s_xor_b64 s[6:7], exec, s[6:7]
; %bb.2213:
	v_bfe_u32 v3, v2, 21, 1
	s_mov_b32 s8, 0x80fffff
	v_add3_u32 v2, v2, v3, s8
	v_lshrrev_b32_e32 v3, 21, v2
                                        ; implicit-def: $vgpr2
; %bb.2214:
	s_andn2_saveexec_b64 s[6:7], s[6:7]
; %bb.2215:
	v_add_f32_e32 v3, 0x43000000, v2
; %bb.2216:
	s_or_b64 exec, exec, s[6:7]
                                        ; implicit-def: $vgpr2
.LBB55_2217:
	s_andn2_saveexec_b64 s[4:5], s[4:5]
; %bb.2218:
	s_mov_b32 s6, 0x7f800000
	v_mov_b32_e32 v3, 0x7c
	v_mov_b32_e32 v4, 0x7f
	v_cmp_lt_u32_e32 vcc, s6, v2
	v_cndmask_b32_e32 v3, v3, v4, vcc
; %bb.2219:
	s_or_b64 exec, exec, s[4:5]
	global_store_byte v[0:1], v3, off
.LBB55_2220:
	s_mov_b64 s[4:5], 0
.LBB55_2221:
	s_andn2_b64 vcc, exec, s[4:5]
	s_mov_b64 s[4:5], 0
	s_cbranch_vccnz .LBB55_2228
; %bb.2222:
	s_cmp_gt_i32 s20, 14
	s_mov_b64 s[6:7], -1
	s_cbranch_scc0 .LBB55_2226
; %bb.2223:
	s_cmp_eq_u32 s20, 15
	s_mov_b64 s[0:1], -1
	s_cbranch_scc0 .LBB55_2225
; %bb.2224:
	v_cndmask_b32_e64 v2, 0, 1.0, s[10:11]
	v_bfe_u32 v3, v2, 16, 1
	s_movk_i32 s0, 0x7fff
	v_add3_u32 v2, v2, v3, s0
	global_store_short_d16_hi v[0:1], v2, off
	s_mov_b64 s[0:1], 0
.LBB55_2225:
	s_mov_b64 s[6:7], 0
.LBB55_2226:
	s_and_b64 vcc, exec, s[6:7]
	s_cbranch_vccz .LBB55_2228
; %bb.2227:
	s_cmp_lg_u32 s20, 11
	s_mov_b64 s[4:5], -1
	s_cselect_b64 s[0:1], -1, 0
.LBB55_2228:
	s_and_b64 vcc, exec, s[0:1]
	s_cbranch_vccnz .LBB55_2250
.LBB55_2229:
	s_mov_b64 s[0:1], 0
	s_branch .LBB55_1740
.LBB55_2230:
	s_mov_b64 s[0:1], 0
	s_branch .LBB55_1739
.LBB55_2231:
	s_mov_b64 s[4:5], 0
	s_mov_b64 s[0:1], -1
	s_branch .LBB55_1740
.LBB55_2232:
	s_trap 2
	s_or_b64 s[2:3], s[2:3], exec
	s_cbranch_execz .LBB55_1682
	s_branch .LBB55_1683
.LBB55_2233:
	s_andn2_saveexec_b64 s[20:21], s[20:21]
	s_cbranch_execz .LBB55_1823
.LBB55_2234:
	v_add_f32_e32 v1, 0x46000000, v3
	v_and_b32_e32 v1, 0xff, v1
	v_cmp_ne_u32_e32 vcc, 0, v1
	s_andn2_b64 s[18:19], s[18:19], exec
	s_and_b64 s[24:25], vcc, exec
	s_or_b64 s[18:19], s[18:19], s[24:25]
	s_or_b64 exec, exec, s[20:21]
	v_mov_b32_e32 v7, 0
	s_and_saveexec_b64 s[20:21], s[18:19]
	s_cbranch_execnz .LBB55_1824
	s_branch .LBB55_1825
.LBB55_2235:
	s_trap 2
	s_or_b64 s[2:3], s[2:3], exec
	s_cbranch_execz .LBB55_1871
	s_branch .LBB55_1872
.LBB55_2236:
	s_andn2_saveexec_b64 s[18:19], s[18:19]
	s_cbranch_execz .LBB55_1836
.LBB55_2237:
	v_add_f32_e32 v1, 0x42800000, v3
	v_and_b32_e32 v1, 0xff, v1
	v_cmp_ne_u32_e32 vcc, 0, v1
	s_andn2_b64 s[16:17], s[16:17], exec
	s_and_b64 s[20:21], vcc, exec
	s_or_b64 s[16:17], s[16:17], s[20:21]
	s_or_b64 exec, exec, s[18:19]
	v_mov_b32_e32 v7, 0
	s_and_saveexec_b64 s[18:19], s[16:17]
	s_cbranch_execnz .LBB55_1837
	s_branch .LBB55_1838
.LBB55_2238:
	s_andn2_saveexec_b64 s[18:19], s[18:19]
	s_cbranch_execz .LBB55_1944
.LBB55_2239:
	v_add_f32_e32 v1, 0x46000000, v5
	v_and_b32_e32 v1, 0xff, v1
	v_cmp_ne_u32_e32 vcc, 0, v1
	s_andn2_b64 s[16:17], s[16:17], exec
	s_and_b64 s[24:25], vcc, exec
	s_or_b64 s[16:17], s[16:17], s[24:25]
	s_or_b64 exec, exec, s[18:19]
	v_mov_b32_e32 v6, 0
	s_and_saveexec_b64 s[18:19], s[16:17]
	s_cbranch_execnz .LBB55_1945
	s_branch .LBB55_1946
.LBB55_2240:
	s_trap 2
	s_or_b64 s[2:3], s[2:3], exec
	s_cbranch_execz .LBB55_1992
	s_branch .LBB55_1993
.LBB55_2241:
	s_andn2_saveexec_b64 s[16:17], s[16:17]
	s_cbranch_execz .LBB55_1957
.LBB55_2242:
	v_add_f32_e32 v1, 0x42800000, v5
	v_and_b32_e32 v1, 0xff, v1
	v_cmp_ne_u32_e32 vcc, 0, v1
	s_andn2_b64 s[14:15], s[14:15], exec
	s_and_b64 s[18:19], vcc, exec
	s_or_b64 s[14:15], s[14:15], s[18:19]
	s_or_b64 exec, exec, s[16:17]
	v_mov_b32_e32 v6, 0
	s_and_saveexec_b64 s[16:17], s[14:15]
	s_cbranch_execnz .LBB55_1958
	s_branch .LBB55_1959
.LBB55_2243:
	s_andn2_saveexec_b64 s[16:17], s[16:17]
	s_cbranch_execz .LBB55_2063
.LBB55_2244:
	v_add_f32_e32 v3, 0x46000000, v4
	v_and_b32_e32 v3, 0xff, v3
	v_cmp_ne_u32_e32 vcc, 0, v3
	s_andn2_b64 s[14:15], s[14:15], exec
	s_and_b64 s[18:19], vcc, exec
	s_or_b64 s[14:15], s[14:15], s[18:19]
	s_or_b64 exec, exec, s[16:17]
	v_mov_b32_e32 v5, 0
	s_and_saveexec_b64 s[16:17], s[14:15]
	s_cbranch_execnz .LBB55_2064
	s_branch .LBB55_2065
.LBB55_2245:
	s_trap 2
	s_or_b64 s[2:3], s[2:3], exec
	s_cbranch_execz .LBB55_2111
	s_branch .LBB55_2112
.LBB55_2246:
	s_andn2_saveexec_b64 s[14:15], s[14:15]
	s_cbranch_execz .LBB55_2076
.LBB55_2247:
	v_add_f32_e32 v3, 0x42800000, v4
	v_and_b32_e32 v3, 0xff, v3
	v_cmp_ne_u32_e32 vcc, 0, v3
	s_andn2_b64 s[6:7], s[6:7], exec
	s_and_b64 s[16:17], vcc, exec
	s_or_b64 s[6:7], s[6:7], s[16:17]
	s_or_b64 exec, exec, s[14:15]
	v_mov_b32_e32 v5, 0
	s_and_saveexec_b64 s[14:15], s[6:7]
	s_cbranch_execnz .LBB55_2077
	s_branch .LBB55_2078
.LBB55_2248:
	s_andn2_saveexec_b64 s[12:13], s[12:13]
	s_cbranch_execz .LBB55_2183
.LBB55_2249:
	v_add_f32_e32 v2, 0x46000000, v3
	v_and_b32_e32 v2, 0xff, v2
	v_cmp_ne_u32_e32 vcc, 0, v2
	s_andn2_b64 s[8:9], s[8:9], exec
	s_and_b64 s[14:15], vcc, exec
	s_or_b64 s[8:9], s[8:9], s[14:15]
	s_or_b64 exec, exec, s[12:13]
	v_mov_b32_e32 v4, 0
	s_and_saveexec_b64 s[12:13], s[8:9]
	s_cbranch_execnz .LBB55_2184
	s_branch .LBB55_2185
.LBB55_2250:
	s_mov_b64 s[4:5], 0
	s_or_b64 s[2:3], s[2:3], exec
	s_trap 2
	s_branch .LBB55_2229
.LBB55_2251:
	s_andn2_saveexec_b64 s[8:9], s[8:9]
	s_cbranch_execz .LBB55_2195
.LBB55_2252:
	v_add_f32_e32 v2, 0x42800000, v3
	v_and_b32_e32 v2, 0xff, v2
	v_cmp_ne_u32_e32 vcc, 0, v2
	s_andn2_b64 s[6:7], s[6:7], exec
	s_and_b64 s[12:13], vcc, exec
	s_or_b64 s[6:7], s[6:7], s[12:13]
	s_or_b64 exec, exec, s[8:9]
	v_mov_b32_e32 v4, 0
	s_and_saveexec_b64 s[8:9], s[6:7]
	s_cbranch_execnz .LBB55_2196
	s_branch .LBB55_2197
	.section	.rodata,"a",@progbits
	.p2align	6, 0x0
	.amdhsa_kernel _ZN2at6native32elementwise_kernel_manual_unrollILi128ELi4EZNS0_15gpu_kernel_implIZNS0_21compare_scalar_kernelIlEEvRNS_18TensorIteratorBaseENS0_12_GLOBAL__N_16OpTypeET_EUllE_EEvS5_RKS8_EUlibE0_EEviT1_
		.amdhsa_group_segment_fixed_size 0
		.amdhsa_private_segment_fixed_size 0
		.amdhsa_kernarg_size 376
		.amdhsa_user_sgpr_count 6
		.amdhsa_user_sgpr_private_segment_buffer 1
		.amdhsa_user_sgpr_dispatch_ptr 0
		.amdhsa_user_sgpr_queue_ptr 0
		.amdhsa_user_sgpr_kernarg_segment_ptr 1
		.amdhsa_user_sgpr_dispatch_id 0
		.amdhsa_user_sgpr_flat_scratch_init 0
		.amdhsa_user_sgpr_private_segment_size 0
		.amdhsa_uses_dynamic_stack 0
		.amdhsa_system_sgpr_private_segment_wavefront_offset 0
		.amdhsa_system_sgpr_workgroup_id_x 1
		.amdhsa_system_sgpr_workgroup_id_y 0
		.amdhsa_system_sgpr_workgroup_id_z 0
		.amdhsa_system_sgpr_workgroup_info 0
		.amdhsa_system_vgpr_workitem_id 0
		.amdhsa_next_free_vgpr 20
		.amdhsa_next_free_sgpr 81
		.amdhsa_reserve_vcc 1
		.amdhsa_reserve_flat_scratch 0
		.amdhsa_float_round_mode_32 0
		.amdhsa_float_round_mode_16_64 0
		.amdhsa_float_denorm_mode_32 3
		.amdhsa_float_denorm_mode_16_64 3
		.amdhsa_dx10_clamp 1
		.amdhsa_ieee_mode 1
		.amdhsa_fp16_overflow 0
		.amdhsa_exception_fp_ieee_invalid_op 0
		.amdhsa_exception_fp_denorm_src 0
		.amdhsa_exception_fp_ieee_div_zero 0
		.amdhsa_exception_fp_ieee_overflow 0
		.amdhsa_exception_fp_ieee_underflow 0
		.amdhsa_exception_fp_ieee_inexact 0
		.amdhsa_exception_int_div_zero 0
	.end_amdhsa_kernel
	.section	.text._ZN2at6native32elementwise_kernel_manual_unrollILi128ELi4EZNS0_15gpu_kernel_implIZNS0_21compare_scalar_kernelIlEEvRNS_18TensorIteratorBaseENS0_12_GLOBAL__N_16OpTypeET_EUllE_EEvS5_RKS8_EUlibE0_EEviT1_,"axG",@progbits,_ZN2at6native32elementwise_kernel_manual_unrollILi128ELi4EZNS0_15gpu_kernel_implIZNS0_21compare_scalar_kernelIlEEvRNS_18TensorIteratorBaseENS0_12_GLOBAL__N_16OpTypeET_EUllE_EEvS5_RKS8_EUlibE0_EEviT1_,comdat
.Lfunc_end55:
	.size	_ZN2at6native32elementwise_kernel_manual_unrollILi128ELi4EZNS0_15gpu_kernel_implIZNS0_21compare_scalar_kernelIlEEvRNS_18TensorIteratorBaseENS0_12_GLOBAL__N_16OpTypeET_EUllE_EEvS5_RKS8_EUlibE0_EEviT1_, .Lfunc_end55-_ZN2at6native32elementwise_kernel_manual_unrollILi128ELi4EZNS0_15gpu_kernel_implIZNS0_21compare_scalar_kernelIlEEvRNS_18TensorIteratorBaseENS0_12_GLOBAL__N_16OpTypeET_EUllE_EEvS5_RKS8_EUlibE0_EEviT1_
                                        ; -- End function
	.set _ZN2at6native32elementwise_kernel_manual_unrollILi128ELi4EZNS0_15gpu_kernel_implIZNS0_21compare_scalar_kernelIlEEvRNS_18TensorIteratorBaseENS0_12_GLOBAL__N_16OpTypeET_EUllE_EEvS5_RKS8_EUlibE0_EEviT1_.num_vgpr, 20
	.set _ZN2at6native32elementwise_kernel_manual_unrollILi128ELi4EZNS0_15gpu_kernel_implIZNS0_21compare_scalar_kernelIlEEvRNS_18TensorIteratorBaseENS0_12_GLOBAL__N_16OpTypeET_EUllE_EEvS5_RKS8_EUlibE0_EEviT1_.num_agpr, 0
	.set _ZN2at6native32elementwise_kernel_manual_unrollILi128ELi4EZNS0_15gpu_kernel_implIZNS0_21compare_scalar_kernelIlEEvRNS_18TensorIteratorBaseENS0_12_GLOBAL__N_16OpTypeET_EUllE_EEvS5_RKS8_EUlibE0_EEviT1_.numbered_sgpr, 81
	.set _ZN2at6native32elementwise_kernel_manual_unrollILi128ELi4EZNS0_15gpu_kernel_implIZNS0_21compare_scalar_kernelIlEEvRNS_18TensorIteratorBaseENS0_12_GLOBAL__N_16OpTypeET_EUllE_EEvS5_RKS8_EUlibE0_EEviT1_.num_named_barrier, 0
	.set _ZN2at6native32elementwise_kernel_manual_unrollILi128ELi4EZNS0_15gpu_kernel_implIZNS0_21compare_scalar_kernelIlEEvRNS_18TensorIteratorBaseENS0_12_GLOBAL__N_16OpTypeET_EUllE_EEvS5_RKS8_EUlibE0_EEviT1_.private_seg_size, 0
	.set _ZN2at6native32elementwise_kernel_manual_unrollILi128ELi4EZNS0_15gpu_kernel_implIZNS0_21compare_scalar_kernelIlEEvRNS_18TensorIteratorBaseENS0_12_GLOBAL__N_16OpTypeET_EUllE_EEvS5_RKS8_EUlibE0_EEviT1_.uses_vcc, 1
	.set _ZN2at6native32elementwise_kernel_manual_unrollILi128ELi4EZNS0_15gpu_kernel_implIZNS0_21compare_scalar_kernelIlEEvRNS_18TensorIteratorBaseENS0_12_GLOBAL__N_16OpTypeET_EUllE_EEvS5_RKS8_EUlibE0_EEviT1_.uses_flat_scratch, 0
	.set _ZN2at6native32elementwise_kernel_manual_unrollILi128ELi4EZNS0_15gpu_kernel_implIZNS0_21compare_scalar_kernelIlEEvRNS_18TensorIteratorBaseENS0_12_GLOBAL__N_16OpTypeET_EUllE_EEvS5_RKS8_EUlibE0_EEviT1_.has_dyn_sized_stack, 0
	.set _ZN2at6native32elementwise_kernel_manual_unrollILi128ELi4EZNS0_15gpu_kernel_implIZNS0_21compare_scalar_kernelIlEEvRNS_18TensorIteratorBaseENS0_12_GLOBAL__N_16OpTypeET_EUllE_EEvS5_RKS8_EUlibE0_EEviT1_.has_recursion, 0
	.set _ZN2at6native32elementwise_kernel_manual_unrollILi128ELi4EZNS0_15gpu_kernel_implIZNS0_21compare_scalar_kernelIlEEvRNS_18TensorIteratorBaseENS0_12_GLOBAL__N_16OpTypeET_EUllE_EEvS5_RKS8_EUlibE0_EEviT1_.has_indirect_call, 0
	.section	.AMDGPU.csdata,"",@progbits
; Kernel info:
; codeLenInByte = 42196
; TotalNumSgprs: 85
; NumVgprs: 20
; ScratchSize: 0
; MemoryBound: 1
; FloatMode: 240
; IeeeMode: 1
; LDSByteSize: 0 bytes/workgroup (compile time only)
; SGPRBlocks: 10
; VGPRBlocks: 4
; NumSGPRsForWavesPerEU: 85
; NumVGPRsForWavesPerEU: 20
; Occupancy: 9
; WaveLimiterHint : 1
; COMPUTE_PGM_RSRC2:SCRATCH_EN: 0
; COMPUTE_PGM_RSRC2:USER_SGPR: 6
; COMPUTE_PGM_RSRC2:TRAP_HANDLER: 0
; COMPUTE_PGM_RSRC2:TGID_X_EN: 1
; COMPUTE_PGM_RSRC2:TGID_Y_EN: 0
; COMPUTE_PGM_RSRC2:TGID_Z_EN: 0
; COMPUTE_PGM_RSRC2:TIDIG_COMP_CNT: 0
	.section	.text._ZN2at6native29vectorized_elementwise_kernelILi16ENS0_12_GLOBAL__N_114CompareFunctorIlEESt5arrayIPcLm3EEEEviT0_T1_,"axG",@progbits,_ZN2at6native29vectorized_elementwise_kernelILi16ENS0_12_GLOBAL__N_114CompareFunctorIlEESt5arrayIPcLm3EEEEviT0_T1_,comdat
	.globl	_ZN2at6native29vectorized_elementwise_kernelILi16ENS0_12_GLOBAL__N_114CompareFunctorIlEESt5arrayIPcLm3EEEEviT0_T1_ ; -- Begin function _ZN2at6native29vectorized_elementwise_kernelILi16ENS0_12_GLOBAL__N_114CompareFunctorIlEESt5arrayIPcLm3EEEEviT0_T1_
	.p2align	8
	.type	_ZN2at6native29vectorized_elementwise_kernelILi16ENS0_12_GLOBAL__N_114CompareFunctorIlEESt5arrayIPcLm3EEEEviT0_T1_,@function
_ZN2at6native29vectorized_elementwise_kernelILi16ENS0_12_GLOBAL__N_114CompareFunctorIlEESt5arrayIPcLm3EEEEviT0_T1_: ; @_ZN2at6native29vectorized_elementwise_kernelILi16ENS0_12_GLOBAL__N_114CompareFunctorIlEESt5arrayIPcLm3EEEEviT0_T1_
; %bb.0:
	s_load_dwordx2 s[12:13], s[4:5], 0x0
	s_load_dwordx4 s[8:11], s[4:5], 0x8
	s_load_dwordx2 s[14:15], s[4:5], 0x18
	s_lshl_b32 s2, s6, 12
	s_mov_b64 s[0:1], -1
	s_waitcnt lgkmcnt(0)
	s_sub_i32 s12, s12, s2
	s_cmpk_gt_i32 s12, 0xfff
	s_cbranch_scc0 .LBB56_211
; %bb.1:
	s_ashr_i32 s3, s2, 31
	s_lshl_b64 s[0:1], s[2:3], 3
	s_add_u32 s4, s10, s0
	s_addc_u32 s5, s11, s1
	s_add_u32 s0, s14, s0
	v_lshlrev_b32_e32 v65, 7, v0
	s_addc_u32 s1, s15, s1
	global_load_dwordx4 v[33:36], v65, s[4:5] offset:48
	global_load_dwordx4 v[41:44], v65, s[4:5] offset:32
	;; [unrolled: 1-line block ×3, first 2 shown]
	global_load_dwordx4 v[57:60], v65, s[4:5]
	global_load_dwordx4 v[1:4], v65, s[4:5] offset:112
	global_load_dwordx4 v[9:12], v65, s[4:5] offset:96
	;; [unrolled: 1-line block ×7, first 2 shown]
	global_load_dwordx4 v[61:64], v65, s[0:1]
	global_load_dwordx4 v[5:8], v65, s[0:1] offset:112
	global_load_dwordx4 v[13:16], v65, s[0:1] offset:96
	;; [unrolled: 1-line block ×4, first 2 shown]
	s_cmp_lt_i32 s13, 1
	s_mov_b64 s[4:5], 0
	s_cbranch_scc1 .LBB56_5
; %bb.2:
	s_cmp_gt_i32 s13, 1
	s_cbranch_scc0 .LBB56_6
; %bb.3:
	s_cmp_eq_u32 s13, 2
	s_cbranch_scc0 .LBB56_7
; %bb.4:
	s_waitcnt vmcnt(4)
	v_cmp_le_i64_e64 s[0:1], v[57:58], v[61:62]
	s_mov_b64 s[6:7], 0
	s_branch .LBB56_8
.LBB56_5:
                                        ; implicit-def: $sgpr0_sgpr1
	s_mov_b64 s[6:7], 0
	s_cbranch_execnz .LBB56_11
	s_branch .LBB56_12
.LBB56_6:
	s_mov_b64 s[6:7], 0
                                        ; implicit-def: $sgpr0_sgpr1
	s_cbranch_execnz .LBB56_9
	s_branch .LBB56_10
.LBB56_7:
	s_mov_b64 s[6:7], -1
                                        ; implicit-def: $sgpr0_sgpr1
.LBB56_8:
	s_branch .LBB56_10
.LBB56_9:
	s_waitcnt vmcnt(4)
	v_cmp_gt_i64_e32 vcc, v[57:58], v[61:62]
	s_andn2_b64 s[0:1], s[0:1], exec
	s_and_b64 s[16:17], vcc, exec
	s_or_b64 s[0:1], s[0:1], s[16:17]
.LBB56_10:
	s_branch .LBB56_12
.LBB56_11:
	s_cmp_lg_u32 s13, 0
	s_mov_b64 s[4:5], -1
	s_cselect_b64 s[6:7], -1, 0
.LBB56_12:
	s_andn2_b64 vcc, exec, s[6:7]
	s_cbranch_vccz .LBB56_18
; %bb.13:
	s_andn2_b64 vcc, exec, s[4:5]
	s_cbranch_vccz .LBB56_19
.LBB56_14:
	s_cmp_lt_i32 s13, 1
	s_mov_b64 s[6:7], 0
	s_cbranch_scc1 .LBB56_20
.LBB56_15:
	s_cmp_gt_i32 s13, 1
	s_cbranch_scc0 .LBB56_21
; %bb.16:
	s_cmp_eq_u32 s13, 2
	s_cbranch_scc0 .LBB56_251
; %bb.17:
	s_waitcnt vmcnt(4)
	v_cmp_le_i64_e64 s[4:5], v[59:60], v[63:64]
	s_mov_b64 s[16:17], 0
	s_branch .LBB56_23
.LBB56_18:
	s_waitcnt vmcnt(4)
	v_cmp_lt_i64_e32 vcc, v[57:58], v[61:62]
	s_andn2_b64 s[0:1], s[0:1], exec
	s_and_b64 s[6:7], vcc, exec
	s_or_b64 s[0:1], s[0:1], s[6:7]
	s_cbranch_execnz .LBB56_14
.LBB56_19:
	s_waitcnt vmcnt(4)
	v_cmp_ge_i64_e32 vcc, v[57:58], v[61:62]
	s_andn2_b64 s[0:1], s[0:1], exec
	s_and_b64 s[4:5], vcc, exec
	s_or_b64 s[0:1], s[0:1], s[4:5]
	s_cmp_lt_i32 s13, 1
	s_mov_b64 s[6:7], 0
	s_cbranch_scc0 .LBB56_15
.LBB56_20:
                                        ; implicit-def: $sgpr4_sgpr5
	s_mov_b64 s[16:17], 0
	s_cbranch_execnz .LBB56_24
	s_branch .LBB56_25
.LBB56_21:
	s_mov_b64 s[16:17], 0
                                        ; implicit-def: $sgpr4_sgpr5
	s_cbranch_execz .LBB56_23
; %bb.22:
	s_waitcnt vmcnt(4)
	v_cmp_gt_i64_e32 vcc, v[59:60], v[63:64]
	s_andn2_b64 s[4:5], s[4:5], exec
	s_and_b64 s[18:19], vcc, exec
	s_or_b64 s[4:5], s[4:5], s[18:19]
.LBB56_23:
	s_branch .LBB56_25
.LBB56_24:
	s_cmp_lg_u32 s13, 0
	s_mov_b64 s[6:7], -1
	s_cselect_b64 s[16:17], -1, 0
.LBB56_25:
	s_andn2_b64 vcc, exec, s[16:17]
	s_cbranch_vccz .LBB56_31
; %bb.26:
	s_andn2_b64 vcc, exec, s[6:7]
	s_cbranch_vccz .LBB56_32
.LBB56_27:
	s_cmp_lt_i32 s13, 1
	s_mov_b64 s[16:17], 0
	s_cbranch_scc1 .LBB56_33
.LBB56_28:
	s_cmp_gt_i32 s13, 1
	s_cbranch_scc0 .LBB56_34
; %bb.29:
	s_cmp_eq_u32 s13, 2
	s_cbranch_scc0 .LBB56_252
; %bb.30:
	s_waitcnt vmcnt(5)
	v_cmp_le_i64_e64 s[6:7], v[49:50], v[53:54]
	s_mov_b64 s[18:19], 0
	s_branch .LBB56_36
.LBB56_31:
	s_waitcnt vmcnt(4)
	v_cmp_lt_i64_e32 vcc, v[59:60], v[63:64]
	s_andn2_b64 s[4:5], s[4:5], exec
	s_and_b64 s[16:17], vcc, exec
	s_or_b64 s[4:5], s[4:5], s[16:17]
	s_cbranch_execnz .LBB56_27
.LBB56_32:
	s_waitcnt vmcnt(4)
	v_cmp_ge_i64_e32 vcc, v[59:60], v[63:64]
	s_andn2_b64 s[4:5], s[4:5], exec
	s_and_b64 s[6:7], vcc, exec
	s_or_b64 s[4:5], s[4:5], s[6:7]
	s_cmp_lt_i32 s13, 1
	s_mov_b64 s[16:17], 0
	s_cbranch_scc0 .LBB56_28
.LBB56_33:
                                        ; implicit-def: $sgpr6_sgpr7
	s_mov_b64 s[18:19], 0
	s_cbranch_execnz .LBB56_37
	s_branch .LBB56_38
.LBB56_34:
	s_mov_b64 s[18:19], 0
                                        ; implicit-def: $sgpr6_sgpr7
	s_cbranch_execz .LBB56_36
; %bb.35:
	s_waitcnt vmcnt(5)
	v_cmp_gt_i64_e32 vcc, v[49:50], v[53:54]
	s_andn2_b64 s[6:7], s[6:7], exec
	s_and_b64 s[20:21], vcc, exec
	s_or_b64 s[6:7], s[6:7], s[20:21]
.LBB56_36:
	s_branch .LBB56_38
.LBB56_37:
	s_cmp_lg_u32 s13, 0
	s_mov_b64 s[16:17], -1
	s_cselect_b64 s[18:19], -1, 0
.LBB56_38:
	s_andn2_b64 vcc, exec, s[18:19]
	s_cbranch_vccz .LBB56_44
; %bb.39:
	s_andn2_b64 vcc, exec, s[16:17]
	s_cbranch_vccz .LBB56_45
.LBB56_40:
	s_cmp_lt_i32 s13, 1
	s_mov_b64 s[18:19], 0
	s_cbranch_scc1 .LBB56_46
.LBB56_41:
	s_cmp_gt_i32 s13, 1
	s_cbranch_scc0 .LBB56_47
; %bb.42:
	s_cmp_eq_u32 s13, 2
	s_cbranch_scc0 .LBB56_253
; %bb.43:
	s_waitcnt vmcnt(5)
	v_cmp_le_i64_e64 s[16:17], v[51:52], v[55:56]
	s_mov_b64 s[20:21], 0
	s_branch .LBB56_49
.LBB56_44:
	s_waitcnt vmcnt(5)
	v_cmp_lt_i64_e32 vcc, v[49:50], v[53:54]
	s_andn2_b64 s[6:7], s[6:7], exec
	s_and_b64 s[18:19], vcc, exec
	s_or_b64 s[6:7], s[6:7], s[18:19]
	s_cbranch_execnz .LBB56_40
.LBB56_45:
	s_waitcnt vmcnt(5)
	v_cmp_ge_i64_e32 vcc, v[49:50], v[53:54]
	s_andn2_b64 s[6:7], s[6:7], exec
	s_and_b64 s[16:17], vcc, exec
	s_or_b64 s[6:7], s[6:7], s[16:17]
	s_cmp_lt_i32 s13, 1
	s_mov_b64 s[18:19], 0
	s_cbranch_scc0 .LBB56_41
.LBB56_46:
                                        ; implicit-def: $sgpr16_sgpr17
	s_mov_b64 s[20:21], 0
	s_cbranch_execnz .LBB56_50
	s_branch .LBB56_51
.LBB56_47:
	s_mov_b64 s[20:21], 0
                                        ; implicit-def: $sgpr16_sgpr17
	s_cbranch_execz .LBB56_49
; %bb.48:
	s_waitcnt vmcnt(5)
	v_cmp_gt_i64_e32 vcc, v[51:52], v[55:56]
	s_andn2_b64 s[16:17], s[16:17], exec
	s_and_b64 s[22:23], vcc, exec
	s_or_b64 s[16:17], s[16:17], s[22:23]
.LBB56_49:
	s_branch .LBB56_51
.LBB56_50:
	s_cmp_lg_u32 s13, 0
	s_mov_b64 s[18:19], -1
	s_cselect_b64 s[20:21], -1, 0
.LBB56_51:
	s_andn2_b64 vcc, exec, s[20:21]
	s_cbranch_vccz .LBB56_57
; %bb.52:
	s_andn2_b64 vcc, exec, s[18:19]
	s_cbranch_vccz .LBB56_58
.LBB56_53:
	s_cmp_lt_i32 s13, 1
	s_mov_b64 s[20:21], 0
	s_cbranch_scc1 .LBB56_59
.LBB56_54:
	s_cmp_gt_i32 s13, 1
	s_cbranch_scc0 .LBB56_60
; %bb.55:
	s_cmp_eq_u32 s13, 2
	s_cbranch_scc0 .LBB56_254
; %bb.56:
	s_waitcnt vmcnt(6)
	v_cmp_le_i64_e64 s[18:19], v[41:42], v[45:46]
	s_mov_b64 s[22:23], 0
	s_branch .LBB56_62
.LBB56_57:
	s_waitcnt vmcnt(5)
	v_cmp_lt_i64_e32 vcc, v[51:52], v[55:56]
	s_andn2_b64 s[16:17], s[16:17], exec
	s_and_b64 s[20:21], vcc, exec
	s_or_b64 s[16:17], s[16:17], s[20:21]
	s_cbranch_execnz .LBB56_53
.LBB56_58:
	s_waitcnt vmcnt(5)
	v_cmp_ge_i64_e32 vcc, v[51:52], v[55:56]
	s_andn2_b64 s[16:17], s[16:17], exec
	s_and_b64 s[18:19], vcc, exec
	s_or_b64 s[16:17], s[16:17], s[18:19]
	s_cmp_lt_i32 s13, 1
	s_mov_b64 s[20:21], 0
	s_cbranch_scc0 .LBB56_54
.LBB56_59:
                                        ; implicit-def: $sgpr18_sgpr19
	s_mov_b64 s[22:23], 0
	s_cbranch_execnz .LBB56_63
	s_branch .LBB56_64
.LBB56_60:
	s_mov_b64 s[22:23], 0
                                        ; implicit-def: $sgpr18_sgpr19
	s_cbranch_execz .LBB56_62
; %bb.61:
	s_waitcnt vmcnt(6)
	v_cmp_gt_i64_e32 vcc, v[41:42], v[45:46]
	s_andn2_b64 s[18:19], s[18:19], exec
	s_and_b64 s[24:25], vcc, exec
	s_or_b64 s[18:19], s[18:19], s[24:25]
.LBB56_62:
	s_branch .LBB56_64
.LBB56_63:
	s_cmp_lg_u32 s13, 0
	s_mov_b64 s[20:21], -1
	s_cselect_b64 s[22:23], -1, 0
.LBB56_64:
	s_andn2_b64 vcc, exec, s[22:23]
	s_cbranch_vccz .LBB56_70
; %bb.65:
	s_andn2_b64 vcc, exec, s[20:21]
	s_cbranch_vccz .LBB56_71
.LBB56_66:
	s_cmp_lt_i32 s13, 1
	s_mov_b64 s[22:23], 0
	s_cbranch_scc1 .LBB56_72
.LBB56_67:
	s_cmp_gt_i32 s13, 1
	s_cbranch_scc0 .LBB56_73
; %bb.68:
	s_cmp_eq_u32 s13, 2
	s_cbranch_scc0 .LBB56_255
; %bb.69:
	s_waitcnt vmcnt(6)
	v_cmp_le_i64_e64 s[20:21], v[43:44], v[47:48]
	s_mov_b64 s[24:25], 0
	s_branch .LBB56_75
.LBB56_70:
	s_waitcnt vmcnt(6)
	v_cmp_lt_i64_e32 vcc, v[41:42], v[45:46]
	s_andn2_b64 s[18:19], s[18:19], exec
	s_and_b64 s[22:23], vcc, exec
	s_or_b64 s[18:19], s[18:19], s[22:23]
	s_cbranch_execnz .LBB56_66
.LBB56_71:
	s_waitcnt vmcnt(6)
	v_cmp_ge_i64_e32 vcc, v[41:42], v[45:46]
	s_andn2_b64 s[18:19], s[18:19], exec
	s_and_b64 s[20:21], vcc, exec
	s_or_b64 s[18:19], s[18:19], s[20:21]
	s_cmp_lt_i32 s13, 1
	s_mov_b64 s[22:23], 0
	s_cbranch_scc0 .LBB56_67
.LBB56_72:
                                        ; implicit-def: $sgpr20_sgpr21
	s_mov_b64 s[24:25], 0
	s_cbranch_execnz .LBB56_76
	s_branch .LBB56_77
.LBB56_73:
	s_mov_b64 s[24:25], 0
                                        ; implicit-def: $sgpr20_sgpr21
	s_cbranch_execz .LBB56_75
; %bb.74:
	s_waitcnt vmcnt(6)
	v_cmp_gt_i64_e32 vcc, v[43:44], v[47:48]
	s_andn2_b64 s[20:21], s[20:21], exec
	s_and_b64 s[26:27], vcc, exec
	s_or_b64 s[20:21], s[20:21], s[26:27]
.LBB56_75:
	s_branch .LBB56_77
.LBB56_76:
	s_cmp_lg_u32 s13, 0
	s_mov_b64 s[22:23], -1
	s_cselect_b64 s[24:25], -1, 0
.LBB56_77:
	s_andn2_b64 vcc, exec, s[24:25]
	s_cbranch_vccz .LBB56_83
; %bb.78:
	s_andn2_b64 vcc, exec, s[22:23]
	s_cbranch_vccz .LBB56_84
.LBB56_79:
	s_cmp_lt_i32 s13, 1
	s_mov_b64 s[24:25], 0
	s_cbranch_scc1 .LBB56_85
.LBB56_80:
	s_cmp_gt_i32 s13, 1
	s_cbranch_scc0 .LBB56_86
; %bb.81:
	s_cmp_eq_u32 s13, 2
	s_cbranch_scc0 .LBB56_256
; %bb.82:
	s_waitcnt vmcnt(7)
	v_cmp_le_i64_e64 s[22:23], v[33:34], v[37:38]
	s_mov_b64 s[26:27], 0
	s_branch .LBB56_88
.LBB56_83:
	s_waitcnt vmcnt(6)
	v_cmp_lt_i64_e32 vcc, v[43:44], v[47:48]
	s_andn2_b64 s[20:21], s[20:21], exec
	s_and_b64 s[24:25], vcc, exec
	s_or_b64 s[20:21], s[20:21], s[24:25]
	s_cbranch_execnz .LBB56_79
.LBB56_84:
	s_waitcnt vmcnt(6)
	v_cmp_ge_i64_e32 vcc, v[43:44], v[47:48]
	s_andn2_b64 s[20:21], s[20:21], exec
	s_and_b64 s[22:23], vcc, exec
	s_or_b64 s[20:21], s[20:21], s[22:23]
	s_cmp_lt_i32 s13, 1
	s_mov_b64 s[24:25], 0
	s_cbranch_scc0 .LBB56_80
.LBB56_85:
                                        ; implicit-def: $sgpr22_sgpr23
	s_mov_b64 s[26:27], 0
	s_cbranch_execnz .LBB56_89
	s_branch .LBB56_90
.LBB56_86:
	s_mov_b64 s[26:27], 0
                                        ; implicit-def: $sgpr22_sgpr23
	s_cbranch_execz .LBB56_88
; %bb.87:
	s_waitcnt vmcnt(7)
	v_cmp_gt_i64_e32 vcc, v[33:34], v[37:38]
	s_andn2_b64 s[22:23], s[22:23], exec
	s_and_b64 s[28:29], vcc, exec
	s_or_b64 s[22:23], s[22:23], s[28:29]
.LBB56_88:
	s_branch .LBB56_90
.LBB56_89:
	s_cmp_lg_u32 s13, 0
	s_mov_b64 s[24:25], -1
	s_cselect_b64 s[26:27], -1, 0
.LBB56_90:
	s_andn2_b64 vcc, exec, s[26:27]
	s_cbranch_vccz .LBB56_96
; %bb.91:
	s_andn2_b64 vcc, exec, s[24:25]
	s_cbranch_vccz .LBB56_97
.LBB56_92:
	s_cmp_lt_i32 s13, 1
	s_mov_b64 s[26:27], 0
	s_cbranch_scc1 .LBB56_98
.LBB56_93:
	s_cmp_gt_i32 s13, 1
	s_cbranch_scc0 .LBB56_99
; %bb.94:
	s_cmp_eq_u32 s13, 2
	s_cbranch_scc0 .LBB56_257
; %bb.95:
	s_waitcnt vmcnt(7)
	v_cmp_le_i64_e64 s[24:25], v[35:36], v[39:40]
	s_mov_b64 s[28:29], 0
	s_branch .LBB56_101
.LBB56_96:
	s_waitcnt vmcnt(7)
	v_cmp_lt_i64_e32 vcc, v[33:34], v[37:38]
	s_andn2_b64 s[22:23], s[22:23], exec
	s_and_b64 s[26:27], vcc, exec
	s_or_b64 s[22:23], s[22:23], s[26:27]
	s_cbranch_execnz .LBB56_92
.LBB56_97:
	s_waitcnt vmcnt(7)
	v_cmp_ge_i64_e32 vcc, v[33:34], v[37:38]
	s_andn2_b64 s[22:23], s[22:23], exec
	s_and_b64 s[24:25], vcc, exec
	s_or_b64 s[22:23], s[22:23], s[24:25]
	s_cmp_lt_i32 s13, 1
	s_mov_b64 s[26:27], 0
	s_cbranch_scc0 .LBB56_93
.LBB56_98:
                                        ; implicit-def: $sgpr24_sgpr25
	s_mov_b64 s[28:29], 0
	s_cbranch_execnz .LBB56_102
	s_branch .LBB56_103
.LBB56_99:
	s_mov_b64 s[28:29], 0
                                        ; implicit-def: $sgpr24_sgpr25
	s_cbranch_execz .LBB56_101
; %bb.100:
	s_waitcnt vmcnt(7)
	v_cmp_gt_i64_e32 vcc, v[35:36], v[39:40]
	s_andn2_b64 s[24:25], s[24:25], exec
	s_and_b64 s[30:31], vcc, exec
	s_or_b64 s[24:25], s[24:25], s[30:31]
.LBB56_101:
	s_branch .LBB56_103
.LBB56_102:
	s_cmp_lg_u32 s13, 0
	s_mov_b64 s[26:27], -1
	s_cselect_b64 s[28:29], -1, 0
.LBB56_103:
	s_andn2_b64 vcc, exec, s[28:29]
	s_cbranch_vccz .LBB56_109
; %bb.104:
	s_andn2_b64 vcc, exec, s[26:27]
	s_cbranch_vccz .LBB56_110
.LBB56_105:
	s_cmp_lt_i32 s13, 1
	s_mov_b64 s[28:29], 0
	s_cbranch_scc1 .LBB56_111
.LBB56_106:
	s_cmp_gt_i32 s13, 1
	s_cbranch_scc0 .LBB56_112
; %bb.107:
	s_cmp_eq_u32 s13, 2
	s_cbranch_scc0 .LBB56_258
; %bb.108:
	s_waitcnt vmcnt(0)
	v_cmp_le_i64_e64 s[26:27], v[25:26], v[29:30]
	s_mov_b64 s[30:31], 0
	s_branch .LBB56_114
.LBB56_109:
	s_waitcnt vmcnt(7)
	v_cmp_lt_i64_e32 vcc, v[35:36], v[39:40]
	s_andn2_b64 s[24:25], s[24:25], exec
	s_and_b64 s[28:29], vcc, exec
	s_or_b64 s[24:25], s[24:25], s[28:29]
	s_cbranch_execnz .LBB56_105
.LBB56_110:
	s_waitcnt vmcnt(7)
	v_cmp_ge_i64_e32 vcc, v[35:36], v[39:40]
	s_andn2_b64 s[24:25], s[24:25], exec
	s_and_b64 s[26:27], vcc, exec
	s_or_b64 s[24:25], s[24:25], s[26:27]
	s_cmp_lt_i32 s13, 1
	s_mov_b64 s[28:29], 0
	s_cbranch_scc0 .LBB56_106
.LBB56_111:
                                        ; implicit-def: $sgpr26_sgpr27
	s_mov_b64 s[30:31], 0
	s_cbranch_execnz .LBB56_115
	s_branch .LBB56_116
.LBB56_112:
	s_mov_b64 s[30:31], 0
                                        ; implicit-def: $sgpr26_sgpr27
	s_cbranch_execz .LBB56_114
; %bb.113:
	s_waitcnt vmcnt(0)
	v_cmp_gt_i64_e32 vcc, v[25:26], v[29:30]
	s_andn2_b64 s[26:27], s[26:27], exec
	s_and_b64 s[34:35], vcc, exec
	s_or_b64 s[26:27], s[26:27], s[34:35]
.LBB56_114:
	s_branch .LBB56_116
.LBB56_115:
	s_cmp_lg_u32 s13, 0
	s_mov_b64 s[28:29], -1
	s_cselect_b64 s[30:31], -1, 0
.LBB56_116:
	s_andn2_b64 vcc, exec, s[30:31]
	s_cbranch_vccz .LBB56_122
; %bb.117:
	s_andn2_b64 vcc, exec, s[28:29]
	s_cbranch_vccz .LBB56_123
.LBB56_118:
	s_cmp_lt_i32 s13, 1
	s_mov_b64 s[30:31], 0
	s_cbranch_scc1 .LBB56_124
.LBB56_119:
	s_cmp_gt_i32 s13, 1
	s_cbranch_scc0 .LBB56_125
; %bb.120:
	s_cmp_eq_u32 s13, 2
	s_cbranch_scc0 .LBB56_259
; %bb.121:
	s_waitcnt vmcnt(0)
	v_cmp_le_i64_e64 s[28:29], v[27:28], v[31:32]
	s_mov_b64 s[34:35], 0
	s_branch .LBB56_127
.LBB56_122:
	s_waitcnt vmcnt(0)
	v_cmp_lt_i64_e32 vcc, v[25:26], v[29:30]
	s_andn2_b64 s[26:27], s[26:27], exec
	s_and_b64 s[30:31], vcc, exec
	s_or_b64 s[26:27], s[26:27], s[30:31]
	s_cbranch_execnz .LBB56_118
.LBB56_123:
	s_waitcnt vmcnt(0)
	v_cmp_ge_i64_e32 vcc, v[25:26], v[29:30]
	s_andn2_b64 s[26:27], s[26:27], exec
	s_and_b64 s[28:29], vcc, exec
	s_or_b64 s[26:27], s[26:27], s[28:29]
	s_cmp_lt_i32 s13, 1
	s_mov_b64 s[30:31], 0
	s_cbranch_scc0 .LBB56_119
.LBB56_124:
                                        ; implicit-def: $sgpr28_sgpr29
	s_mov_b64 s[34:35], 0
	s_cbranch_execnz .LBB56_128
	s_branch .LBB56_129
.LBB56_125:
	s_mov_b64 s[34:35], 0
                                        ; implicit-def: $sgpr28_sgpr29
	s_cbranch_execz .LBB56_127
; %bb.126:
	s_waitcnt vmcnt(0)
	v_cmp_gt_i64_e32 vcc, v[27:28], v[31:32]
	s_andn2_b64 s[28:29], s[28:29], exec
	s_and_b64 s[36:37], vcc, exec
	s_or_b64 s[28:29], s[28:29], s[36:37]
.LBB56_127:
	s_branch .LBB56_129
.LBB56_128:
	s_cmp_lg_u32 s13, 0
	s_mov_b64 s[30:31], -1
	s_cselect_b64 s[34:35], -1, 0
.LBB56_129:
	s_andn2_b64 vcc, exec, s[34:35]
	s_cbranch_vccz .LBB56_135
; %bb.130:
	s_andn2_b64 vcc, exec, s[30:31]
	s_cbranch_vccz .LBB56_136
.LBB56_131:
	s_cmp_lt_i32 s13, 1
	s_mov_b64 s[34:35], 0
	s_cbranch_scc1 .LBB56_137
.LBB56_132:
	s_cmp_gt_i32 s13, 1
	s_cbranch_scc0 .LBB56_138
; %bb.133:
	s_cmp_eq_u32 s13, 2
	s_cbranch_scc0 .LBB56_260
; %bb.134:
	s_waitcnt vmcnt(1)
	v_cmp_le_i64_e64 s[30:31], v[17:18], v[21:22]
	s_mov_b64 s[36:37], 0
	s_branch .LBB56_140
.LBB56_135:
	s_waitcnt vmcnt(0)
	v_cmp_lt_i64_e32 vcc, v[27:28], v[31:32]
	s_andn2_b64 s[28:29], s[28:29], exec
	s_and_b64 s[34:35], vcc, exec
	s_or_b64 s[28:29], s[28:29], s[34:35]
	s_cbranch_execnz .LBB56_131
.LBB56_136:
	s_waitcnt vmcnt(0)
	v_cmp_ge_i64_e32 vcc, v[27:28], v[31:32]
	s_andn2_b64 s[28:29], s[28:29], exec
	s_and_b64 s[30:31], vcc, exec
	s_or_b64 s[28:29], s[28:29], s[30:31]
	s_cmp_lt_i32 s13, 1
	s_mov_b64 s[34:35], 0
	s_cbranch_scc0 .LBB56_132
.LBB56_137:
                                        ; implicit-def: $sgpr30_sgpr31
	s_mov_b64 s[36:37], 0
	s_cbranch_execnz .LBB56_141
	s_branch .LBB56_142
.LBB56_138:
	s_mov_b64 s[36:37], 0
                                        ; implicit-def: $sgpr30_sgpr31
	s_cbranch_execz .LBB56_140
; %bb.139:
	s_waitcnt vmcnt(1)
	v_cmp_gt_i64_e32 vcc, v[17:18], v[21:22]
	s_andn2_b64 s[30:31], s[30:31], exec
	s_and_b64 s[38:39], vcc, exec
	s_or_b64 s[30:31], s[30:31], s[38:39]
.LBB56_140:
	s_branch .LBB56_142
.LBB56_141:
	s_cmp_lg_u32 s13, 0
	s_mov_b64 s[34:35], -1
	s_cselect_b64 s[36:37], -1, 0
.LBB56_142:
	s_andn2_b64 vcc, exec, s[36:37]
	s_cbranch_vccz .LBB56_148
; %bb.143:
	s_andn2_b64 vcc, exec, s[34:35]
	s_cbranch_vccz .LBB56_149
.LBB56_144:
	s_cmp_lt_i32 s13, 1
	s_mov_b64 s[36:37], 0
	s_cbranch_scc1 .LBB56_150
.LBB56_145:
	s_cmp_gt_i32 s13, 1
	s_cbranch_scc0 .LBB56_151
; %bb.146:
	s_cmp_eq_u32 s13, 2
	s_cbranch_scc0 .LBB56_261
; %bb.147:
	s_waitcnt vmcnt(1)
	v_cmp_le_i64_e64 s[34:35], v[19:20], v[23:24]
	s_mov_b64 s[38:39], 0
	s_branch .LBB56_153
.LBB56_148:
	s_waitcnt vmcnt(1)
	v_cmp_lt_i64_e32 vcc, v[17:18], v[21:22]
	s_andn2_b64 s[30:31], s[30:31], exec
	s_and_b64 s[36:37], vcc, exec
	s_or_b64 s[30:31], s[30:31], s[36:37]
	s_cbranch_execnz .LBB56_144
.LBB56_149:
	s_waitcnt vmcnt(1)
	v_cmp_ge_i64_e32 vcc, v[17:18], v[21:22]
	s_andn2_b64 s[30:31], s[30:31], exec
	s_and_b64 s[34:35], vcc, exec
	s_or_b64 s[30:31], s[30:31], s[34:35]
	s_cmp_lt_i32 s13, 1
	s_mov_b64 s[36:37], 0
	s_cbranch_scc0 .LBB56_145
.LBB56_150:
                                        ; implicit-def: $sgpr34_sgpr35
	s_mov_b64 s[38:39], 0
	s_cbranch_execnz .LBB56_154
	s_branch .LBB56_155
.LBB56_151:
	s_mov_b64 s[38:39], 0
                                        ; implicit-def: $sgpr34_sgpr35
	s_cbranch_execz .LBB56_153
; %bb.152:
	s_waitcnt vmcnt(1)
	v_cmp_gt_i64_e32 vcc, v[19:20], v[23:24]
	s_andn2_b64 s[34:35], s[34:35], exec
	s_and_b64 s[40:41], vcc, exec
	s_or_b64 s[34:35], s[34:35], s[40:41]
.LBB56_153:
	s_branch .LBB56_155
.LBB56_154:
	s_cmp_lg_u32 s13, 0
	s_mov_b64 s[36:37], -1
	s_cselect_b64 s[38:39], -1, 0
.LBB56_155:
	s_andn2_b64 vcc, exec, s[38:39]
	s_cbranch_vccz .LBB56_161
; %bb.156:
	s_andn2_b64 vcc, exec, s[36:37]
	s_cbranch_vccz .LBB56_162
.LBB56_157:
	s_cmp_lt_i32 s13, 1
	s_mov_b64 s[38:39], 0
	s_cbranch_scc1 .LBB56_163
.LBB56_158:
	s_cmp_gt_i32 s13, 1
	s_cbranch_scc0 .LBB56_164
; %bb.159:
	s_cmp_eq_u32 s13, 2
	s_cbranch_scc0 .LBB56_262
; %bb.160:
	s_waitcnt vmcnt(2)
	v_cmp_le_i64_e64 s[36:37], v[9:10], v[13:14]
	s_mov_b64 s[40:41], 0
	s_branch .LBB56_166
.LBB56_161:
	s_waitcnt vmcnt(1)
	v_cmp_lt_i64_e32 vcc, v[19:20], v[23:24]
	s_andn2_b64 s[34:35], s[34:35], exec
	s_and_b64 s[38:39], vcc, exec
	s_or_b64 s[34:35], s[34:35], s[38:39]
	s_cbranch_execnz .LBB56_157
.LBB56_162:
	s_waitcnt vmcnt(1)
	v_cmp_ge_i64_e32 vcc, v[19:20], v[23:24]
	s_andn2_b64 s[34:35], s[34:35], exec
	s_and_b64 s[36:37], vcc, exec
	s_or_b64 s[34:35], s[34:35], s[36:37]
	s_cmp_lt_i32 s13, 1
	s_mov_b64 s[38:39], 0
	s_cbranch_scc0 .LBB56_158
.LBB56_163:
                                        ; implicit-def: $sgpr36_sgpr37
	s_mov_b64 s[40:41], 0
	s_cbranch_execnz .LBB56_167
	s_branch .LBB56_168
.LBB56_164:
	s_mov_b64 s[40:41], 0
                                        ; implicit-def: $sgpr36_sgpr37
	s_cbranch_execz .LBB56_166
; %bb.165:
	s_waitcnt vmcnt(2)
	v_cmp_gt_i64_e32 vcc, v[9:10], v[13:14]
	s_andn2_b64 s[36:37], s[36:37], exec
	s_and_b64 s[42:43], vcc, exec
	s_or_b64 s[36:37], s[36:37], s[42:43]
.LBB56_166:
	s_branch .LBB56_168
.LBB56_167:
	s_cmp_lg_u32 s13, 0
	s_mov_b64 s[38:39], -1
	s_cselect_b64 s[40:41], -1, 0
.LBB56_168:
	s_andn2_b64 vcc, exec, s[40:41]
	s_cbranch_vccz .LBB56_174
; %bb.169:
	s_andn2_b64 vcc, exec, s[38:39]
	s_cbranch_vccz .LBB56_175
.LBB56_170:
	s_cmp_lt_i32 s13, 1
	s_mov_b64 s[40:41], 0
	s_cbranch_scc1 .LBB56_176
.LBB56_171:
	s_cmp_gt_i32 s13, 1
	s_cbranch_scc0 .LBB56_177
; %bb.172:
	s_cmp_eq_u32 s13, 2
	s_cbranch_scc0 .LBB56_263
; %bb.173:
	s_waitcnt vmcnt(2)
	v_cmp_le_i64_e64 s[38:39], v[11:12], v[15:16]
	s_mov_b64 s[42:43], 0
	s_branch .LBB56_179
.LBB56_174:
	s_waitcnt vmcnt(2)
	v_cmp_lt_i64_e32 vcc, v[9:10], v[13:14]
	s_andn2_b64 s[36:37], s[36:37], exec
	s_and_b64 s[40:41], vcc, exec
	s_or_b64 s[36:37], s[36:37], s[40:41]
	s_cbranch_execnz .LBB56_170
.LBB56_175:
	s_waitcnt vmcnt(2)
	v_cmp_ge_i64_e32 vcc, v[9:10], v[13:14]
	s_andn2_b64 s[36:37], s[36:37], exec
	s_and_b64 s[38:39], vcc, exec
	s_or_b64 s[36:37], s[36:37], s[38:39]
	s_cmp_lt_i32 s13, 1
	s_mov_b64 s[40:41], 0
	s_cbranch_scc0 .LBB56_171
.LBB56_176:
                                        ; implicit-def: $sgpr38_sgpr39
	s_mov_b64 s[42:43], 0
	s_cbranch_execnz .LBB56_180
	s_branch .LBB56_181
.LBB56_177:
	s_mov_b64 s[42:43], 0
                                        ; implicit-def: $sgpr38_sgpr39
	s_cbranch_execz .LBB56_179
; %bb.178:
	s_waitcnt vmcnt(2)
	v_cmp_gt_i64_e32 vcc, v[11:12], v[15:16]
	s_andn2_b64 s[38:39], s[38:39], exec
	s_and_b64 s[44:45], vcc, exec
	s_or_b64 s[38:39], s[38:39], s[44:45]
.LBB56_179:
	s_branch .LBB56_181
.LBB56_180:
	s_cmp_lg_u32 s13, 0
	s_mov_b64 s[40:41], -1
	s_cselect_b64 s[42:43], -1, 0
.LBB56_181:
	s_andn2_b64 vcc, exec, s[42:43]
	s_cbranch_vccz .LBB56_187
; %bb.182:
	s_andn2_b64 vcc, exec, s[40:41]
	s_cbranch_vccz .LBB56_188
.LBB56_183:
	s_cmp_lt_i32 s13, 1
	s_mov_b64 s[42:43], 0
	s_cbranch_scc1 .LBB56_189
.LBB56_184:
	s_cmp_gt_i32 s13, 1
	s_cbranch_scc0 .LBB56_190
; %bb.185:
	s_cmp_eq_u32 s13, 2
	s_cbranch_scc0 .LBB56_264
; %bb.186:
	s_waitcnt vmcnt(3)
	v_cmp_le_i64_e64 s[40:41], v[1:2], v[5:6]
	s_mov_b64 s[44:45], 0
	s_branch .LBB56_192
.LBB56_187:
	s_waitcnt vmcnt(2)
	v_cmp_lt_i64_e32 vcc, v[11:12], v[15:16]
	s_andn2_b64 s[38:39], s[38:39], exec
	s_and_b64 s[42:43], vcc, exec
	s_or_b64 s[38:39], s[38:39], s[42:43]
	s_cbranch_execnz .LBB56_183
.LBB56_188:
	s_waitcnt vmcnt(2)
	v_cmp_ge_i64_e32 vcc, v[11:12], v[15:16]
	s_andn2_b64 s[38:39], s[38:39], exec
	s_and_b64 s[40:41], vcc, exec
	s_or_b64 s[38:39], s[38:39], s[40:41]
	s_cmp_lt_i32 s13, 1
	s_mov_b64 s[42:43], 0
	s_cbranch_scc0 .LBB56_184
.LBB56_189:
                                        ; implicit-def: $sgpr40_sgpr41
	s_mov_b64 s[44:45], 0
	s_cbranch_execnz .LBB56_193
	s_branch .LBB56_194
.LBB56_190:
	s_mov_b64 s[44:45], 0
                                        ; implicit-def: $sgpr40_sgpr41
	s_cbranch_execz .LBB56_192
; %bb.191:
	s_waitcnt vmcnt(3)
	v_cmp_gt_i64_e32 vcc, v[1:2], v[5:6]
	s_andn2_b64 s[40:41], s[40:41], exec
	s_and_b64 s[46:47], vcc, exec
	s_or_b64 s[40:41], s[40:41], s[46:47]
.LBB56_192:
	s_branch .LBB56_194
.LBB56_193:
	s_cmp_lg_u32 s13, 0
	s_mov_b64 s[42:43], -1
	s_cselect_b64 s[44:45], -1, 0
.LBB56_194:
	s_andn2_b64 vcc, exec, s[44:45]
	s_cbranch_vccz .LBB56_200
; %bb.195:
	s_andn2_b64 vcc, exec, s[42:43]
	s_cbranch_vccz .LBB56_201
.LBB56_196:
	s_cmp_lt_i32 s13, 1
	s_mov_b64 s[44:45], 0
	s_cbranch_scc1 .LBB56_202
.LBB56_197:
	s_cmp_gt_i32 s13, 1
	s_cbranch_scc0 .LBB56_203
; %bb.198:
	s_cmp_eq_u32 s13, 2
	s_cbranch_scc0 .LBB56_265
; %bb.199:
	s_waitcnt vmcnt(3)
	v_cmp_le_i64_e64 s[42:43], v[3:4], v[7:8]
	s_mov_b64 s[46:47], 0
	s_branch .LBB56_205
.LBB56_200:
	s_waitcnt vmcnt(3)
	v_cmp_lt_i64_e32 vcc, v[1:2], v[5:6]
	s_andn2_b64 s[40:41], s[40:41], exec
	s_and_b64 s[44:45], vcc, exec
	s_or_b64 s[40:41], s[40:41], s[44:45]
	s_cbranch_execnz .LBB56_196
.LBB56_201:
	s_waitcnt vmcnt(3)
	v_cmp_ge_i64_e32 vcc, v[1:2], v[5:6]
	s_andn2_b64 s[40:41], s[40:41], exec
	s_and_b64 s[42:43], vcc, exec
	s_or_b64 s[40:41], s[40:41], s[42:43]
	s_cmp_lt_i32 s13, 1
	s_mov_b64 s[44:45], 0
	s_cbranch_scc0 .LBB56_197
.LBB56_202:
                                        ; implicit-def: $sgpr42_sgpr43
	s_mov_b64 s[46:47], 0
	s_cbranch_execnz .LBB56_206
	s_branch .LBB56_207
.LBB56_203:
	s_mov_b64 s[46:47], 0
                                        ; implicit-def: $sgpr42_sgpr43
	s_cbranch_execz .LBB56_205
; %bb.204:
	s_waitcnt vmcnt(3)
	v_cmp_gt_i64_e32 vcc, v[3:4], v[7:8]
	s_andn2_b64 s[42:43], s[42:43], exec
	s_and_b64 s[48:49], vcc, exec
	s_or_b64 s[42:43], s[42:43], s[48:49]
.LBB56_205:
	s_branch .LBB56_207
.LBB56_206:
	s_cmp_lg_u32 s13, 0
	s_mov_b64 s[44:45], -1
	s_cselect_b64 s[46:47], -1, 0
.LBB56_207:
	s_andn2_b64 vcc, exec, s[46:47]
	s_cbranch_vccz .LBB56_249
; %bb.208:
	s_andn2_b64 vcc, exec, s[44:45]
	s_cbranch_vccnz .LBB56_210
.LBB56_209:
	s_waitcnt vmcnt(3)
	v_cmp_ge_i64_e32 vcc, v[3:4], v[7:8]
	s_andn2_b64 s[42:43], s[42:43], exec
	s_and_b64 s[44:45], vcc, exec
	s_or_b64 s[42:43], s[42:43], s[44:45]
.LBB56_210:
	s_waitcnt vmcnt(11)
	v_cndmask_b32_e64 v1, 0, 1, s[4:5]
	v_lshlrev_b16_e32 v1, 8, v1
	v_cndmask_b32_e64 v2, 0, 1, s[0:1]
	v_or_b32_e32 v1, v2, v1
	v_cndmask_b32_e64 v2, 0, 1, s[16:17]
	v_lshlrev_b16_e32 v2, 8, v2
	v_cndmask_b32_e64 v3, 0, 1, s[6:7]
	v_or_b32_sdwa v2, v3, v2 dst_sel:WORD_1 dst_unused:UNUSED_PAD src0_sel:DWORD src1_sel:DWORD
	v_or_b32_sdwa v1, v1, v2 dst_sel:DWORD dst_unused:UNUSED_PAD src0_sel:WORD_0 src1_sel:DWORD
	v_cndmask_b32_e64 v2, 0, 1, s[20:21]
	v_lshlrev_b16_e32 v2, 8, v2
	v_cndmask_b32_e64 v3, 0, 1, s[18:19]
	v_or_b32_e32 v2, v3, v2
	v_cndmask_b32_e64 v3, 0, 1, s[24:25]
	v_lshlrev_b16_e32 v3, 8, v3
	v_cndmask_b32_e64 v4, 0, 1, s[22:23]
	v_or_b32_sdwa v3, v4, v3 dst_sel:WORD_1 dst_unused:UNUSED_PAD src0_sel:DWORD src1_sel:DWORD
	v_or_b32_sdwa v2, v2, v3 dst_sel:DWORD dst_unused:UNUSED_PAD src0_sel:WORD_0 src1_sel:DWORD
	v_cndmask_b32_e64 v3, 0, 1, s[28:29]
	v_lshlrev_b16_e32 v3, 8, v3
	v_cndmask_b32_e64 v4, 0, 1, s[26:27]
	v_or_b32_e32 v3, v4, v3
	v_cndmask_b32_e64 v4, 0, 1, s[34:35]
	v_lshlrev_b16_e32 v4, 8, v4
	s_waitcnt vmcnt(3)
	v_cndmask_b32_e64 v6, 0, 1, s[30:31]
	v_or_b32_sdwa v4, v6, v4 dst_sel:WORD_1 dst_unused:UNUSED_PAD src0_sel:DWORD src1_sel:DWORD
	v_or_b32_sdwa v3, v3, v4 dst_sel:DWORD dst_unused:UNUSED_PAD src0_sel:WORD_0 src1_sel:DWORD
	v_cndmask_b32_e64 v4, 0, 1, s[38:39]
	v_lshlrev_b16_e32 v4, 8, v4
	v_cndmask_b32_e64 v6, 0, 1, s[36:37]
	v_or_b32_e32 v4, v6, v4
	v_cndmask_b32_e64 v6, 0, 1, s[42:43]
	v_lshlrev_b16_e32 v6, 8, v6
	v_cndmask_b32_e64 v7, 0, 1, s[40:41]
	s_add_u32 s44, s8, s2
	v_or_b32_sdwa v6, v7, v6 dst_sel:WORD_1 dst_unused:UNUSED_PAD src0_sel:DWORD src1_sel:DWORD
	s_addc_u32 s45, s9, s3
	v_lshlrev_b32_e32 v5, 4, v0
	v_or_b32_sdwa v4, v4, v6 dst_sel:DWORD dst_unused:UNUSED_PAD src0_sel:WORD_0 src1_sel:DWORD
	global_store_dwordx4 v5, v[1:4], s[44:45]
	s_mov_b64 s[0:1], 0
.LBB56_211:
	s_and_b64 vcc, exec, s[0:1]
	s_cbranch_vccz .LBB56_519
; %bb.212:
	v_mov_b32_e32 v58, 0
	v_mov_b32_e32 v62, 0
	v_mov_b32_e32 v64, 0
	v_cmp_gt_i32_e64 s[0:1], s12, v0
	v_mov_b32_e32 v59, 0
	v_or_b32_e32 v1, s2, v0
	v_mov_b32_e32 v63, 0
	v_mov_b32_e32 v65, 0
	;; [unrolled: 1-line block ×3, first 2 shown]
	s_and_saveexec_b64 s[4:5], s[0:1]
	s_cbranch_execz .LBB56_214
; %bb.213:
	v_mov_b32_e32 v2, 0
	v_lshlrev_b64 v[2:3], 3, v[1:2]
	v_mov_b32_e32 v5, s15
	v_add_co_u32_e32 v4, vcc, s14, v2
	v_addc_co_u32_e32 v5, vcc, v5, v3, vcc
	v_mov_b32_e32 v6, s11
	v_add_co_u32_e32 v2, vcc, s10, v2
	v_addc_co_u32_e32 v3, vcc, v6, v3, vcc
	global_load_dwordx2 v[62:63], v[2:3], off
	global_load_dwordx2 v[64:65], v[4:5], off
	v_or_b32_e32 v66, 0x100, v0
.LBB56_214:
	s_or_b64 exec, exec, s[4:5]
	v_mov_b32_e32 v60, 0
	v_mov_b32_e32 v61, 0
	v_cmp_gt_i32_e32 vcc, s12, v66
	s_and_saveexec_b64 s[4:5], vcc
	s_cbranch_execz .LBB56_216
; %bb.215:
	v_add_u32_e32 v2, s2, v66
	v_mov_b32_e32 v3, 0
	v_lshlrev_b64 v[2:3], 3, v[2:3]
	v_mov_b32_e32 v5, s15
	v_add_co_u32_e32 v4, vcc, s14, v2
	v_addc_co_u32_e32 v5, vcc, v5, v3, vcc
	v_mov_b32_e32 v6, s11
	v_add_co_u32_e32 v2, vcc, s10, v2
	v_addc_co_u32_e32 v3, vcc, v6, v3, vcc
	global_load_dwordx2 v[58:59], v[2:3], off
	global_load_dwordx2 v[60:61], v[4:5], off
	v_add_u32_e32 v66, 0x100, v66
.LBB56_216:
	s_or_b64 exec, exec, s[4:5]
	v_mov_b32_e32 v50, 0
	v_mov_b32_e32 v54, 0
	v_mov_b32_e32 v56, 0
	v_mov_b32_e32 v51, 0
	v_mov_b32_e32 v55, 0
	v_mov_b32_e32 v57, 0
	v_cmp_gt_i32_e32 vcc, s12, v66
	s_and_saveexec_b64 s[4:5], vcc
	s_cbranch_execz .LBB56_218
; %bb.217:
	v_add_u32_e32 v2, s2, v66
	v_mov_b32_e32 v3, 0
	v_lshlrev_b64 v[2:3], 3, v[2:3]
	v_mov_b32_e32 v5, s15
	v_add_co_u32_e32 v4, vcc, s14, v2
	v_addc_co_u32_e32 v5, vcc, v5, v3, vcc
	v_mov_b32_e32 v6, s11
	v_add_co_u32_e32 v2, vcc, s10, v2
	v_addc_co_u32_e32 v3, vcc, v6, v3, vcc
	global_load_dwordx2 v[54:55], v[2:3], off
	global_load_dwordx2 v[56:57], v[4:5], off
	v_add_u32_e32 v66, 0x100, v66
.LBB56_218:
	s_or_b64 exec, exec, s[4:5]
	v_mov_b32_e32 v52, 0
	v_mov_b32_e32 v53, 0
	v_cmp_gt_i32_e32 vcc, s12, v66
	s_and_saveexec_b64 s[4:5], vcc
	s_cbranch_execz .LBB56_220
; %bb.219:
	v_add_u32_e32 v2, s2, v66
	v_mov_b32_e32 v3, 0
	v_lshlrev_b64 v[2:3], 3, v[2:3]
	v_mov_b32_e32 v5, s15
	v_add_co_u32_e32 v4, vcc, s14, v2
	v_addc_co_u32_e32 v5, vcc, v5, v3, vcc
	v_mov_b32_e32 v6, s11
	v_add_co_u32_e32 v2, vcc, s10, v2
	v_addc_co_u32_e32 v3, vcc, v6, v3, vcc
	global_load_dwordx2 v[50:51], v[2:3], off
	global_load_dwordx2 v[52:53], v[4:5], off
	v_add_u32_e32 v66, 0x100, v66
.LBB56_220:
	s_or_b64 exec, exec, s[4:5]
	v_mov_b32_e32 v42, 0
	v_mov_b32_e32 v46, 0
	v_mov_b32_e32 v48, 0
	v_mov_b32_e32 v43, 0
	v_mov_b32_e32 v47, 0
	v_mov_b32_e32 v49, 0
	v_cmp_gt_i32_e32 vcc, s12, v66
	s_and_saveexec_b64 s[4:5], vcc
	s_cbranch_execz .LBB56_222
; %bb.221:
	v_add_u32_e32 v2, s2, v66
	v_mov_b32_e32 v3, 0
	v_lshlrev_b64 v[2:3], 3, v[2:3]
	v_mov_b32_e32 v5, s15
	v_add_co_u32_e32 v4, vcc, s14, v2
	v_addc_co_u32_e32 v5, vcc, v5, v3, vcc
	v_mov_b32_e32 v6, s11
	v_add_co_u32_e32 v2, vcc, s10, v2
	v_addc_co_u32_e32 v3, vcc, v6, v3, vcc
	global_load_dwordx2 v[46:47], v[2:3], off
	global_load_dwordx2 v[48:49], v[4:5], off
	v_add_u32_e32 v66, 0x100, v66
.LBB56_222:
	;; [unrolled: 44-line block ×3, first 2 shown]
	s_or_b64 exec, exec, s[4:5]
	v_mov_b32_e32 v36, 0
	v_mov_b32_e32 v37, 0
	v_cmp_gt_i32_e32 vcc, s12, v66
	s_and_saveexec_b64 s[4:5], vcc
	s_cbranch_execz .LBB56_228
; %bb.227:
	v_add_u32_e32 v2, s2, v66
	v_mov_b32_e32 v3, 0
	v_lshlrev_b64 v[2:3], 3, v[2:3]
	v_mov_b32_e32 v5, s15
	v_add_co_u32_e32 v4, vcc, s14, v2
	v_addc_co_u32_e32 v5, vcc, v5, v3, vcc
	v_mov_b32_e32 v6, s11
	v_add_co_u32_e32 v2, vcc, s10, v2
	v_addc_co_u32_e32 v3, vcc, v6, v3, vcc
	global_load_dwordx2 v[34:35], v[2:3], off
	global_load_dwordx2 v[36:37], v[4:5], off
	v_add_u32_e32 v66, 0x100, v66
.LBB56_228:
	s_or_b64 exec, exec, s[4:5]
	v_mov_b32_e32 v26, 0
	s_waitcnt vmcnt(1)
	v_mov_b32_e32 v30, 0
	v_mov_b32_e32 v32, 0
	v_mov_b32_e32 v27, 0
	v_mov_b32_e32 v31, 0
	v_mov_b32_e32 v33, 0
	v_cmp_gt_i32_e32 vcc, s12, v66
	s_and_saveexec_b64 s[4:5], vcc
	s_cbranch_execz .LBB56_230
; %bb.229:
	v_add_u32_e32 v2, s2, v66
	v_mov_b32_e32 v3, 0
	v_lshlrev_b64 v[2:3], 3, v[2:3]
	v_mov_b32_e32 v5, s15
	v_add_co_u32_e32 v4, vcc, s14, v2
	v_addc_co_u32_e32 v5, vcc, v5, v3, vcc
	v_mov_b32_e32 v6, s11
	v_add_co_u32_e32 v2, vcc, s10, v2
	v_addc_co_u32_e32 v3, vcc, v6, v3, vcc
	global_load_dwordx2 v[30:31], v[2:3], off
	global_load_dwordx2 v[32:33], v[4:5], off
	v_add_u32_e32 v66, 0x100, v66
.LBB56_230:
	s_or_b64 exec, exec, s[4:5]
	v_mov_b32_e32 v28, 0
	v_mov_b32_e32 v29, 0
	v_cmp_gt_i32_e32 vcc, s12, v66
	s_and_saveexec_b64 s[4:5], vcc
	s_cbranch_execz .LBB56_232
; %bb.231:
	v_add_u32_e32 v2, s2, v66
	v_mov_b32_e32 v3, 0
	v_lshlrev_b64 v[2:3], 3, v[2:3]
	v_mov_b32_e32 v5, s15
	v_add_co_u32_e32 v4, vcc, s14, v2
	v_addc_co_u32_e32 v5, vcc, v5, v3, vcc
	v_mov_b32_e32 v6, s11
	v_add_co_u32_e32 v2, vcc, s10, v2
	v_addc_co_u32_e32 v3, vcc, v6, v3, vcc
	global_load_dwordx2 v[26:27], v[2:3], off
	global_load_dwordx2 v[28:29], v[4:5], off
	v_add_u32_e32 v66, 0x100, v66
.LBB56_232:
	s_or_b64 exec, exec, s[4:5]
	v_mov_b32_e32 v18, 0
	v_mov_b32_e32 v22, 0
	v_mov_b32_e32 v24, 0
	v_mov_b32_e32 v19, 0
	v_mov_b32_e32 v23, 0
	v_mov_b32_e32 v25, 0
	v_cmp_gt_i32_e32 vcc, s12, v66
	s_and_saveexec_b64 s[4:5], vcc
	s_cbranch_execz .LBB56_234
; %bb.233:
	v_add_u32_e32 v2, s2, v66
	v_mov_b32_e32 v3, 0
	v_lshlrev_b64 v[2:3], 3, v[2:3]
	v_mov_b32_e32 v5, s15
	v_add_co_u32_e32 v4, vcc, s14, v2
	v_addc_co_u32_e32 v5, vcc, v5, v3, vcc
	v_mov_b32_e32 v6, s11
	v_add_co_u32_e32 v2, vcc, s10, v2
	v_addc_co_u32_e32 v3, vcc, v6, v3, vcc
	global_load_dwordx2 v[22:23], v[2:3], off
	global_load_dwordx2 v[24:25], v[4:5], off
	v_add_u32_e32 v66, 0x100, v66
.LBB56_234:
	s_or_b64 exec, exec, s[4:5]
	v_mov_b32_e32 v20, 0
	v_mov_b32_e32 v21, 0
	v_cmp_gt_i32_e32 vcc, s12, v66
	s_and_saveexec_b64 s[4:5], vcc
	s_cbranch_execz .LBB56_236
; %bb.235:
	v_add_u32_e32 v2, s2, v66
	v_mov_b32_e32 v3, 0
	v_lshlrev_b64 v[2:3], 3, v[2:3]
	v_mov_b32_e32 v5, s15
	v_add_co_u32_e32 v4, vcc, s14, v2
	v_addc_co_u32_e32 v5, vcc, v5, v3, vcc
	v_mov_b32_e32 v6, s11
	v_add_co_u32_e32 v2, vcc, s10, v2
	v_addc_co_u32_e32 v3, vcc, v6, v3, vcc
	global_load_dwordx2 v[18:19], v[2:3], off
	global_load_dwordx2 v[20:21], v[4:5], off
	v_add_u32_e32 v66, 0x100, v66
.LBB56_236:
	s_or_b64 exec, exec, s[4:5]
	v_mov_b32_e32 v10, 0
	;; [unrolled: 44-line block ×3, first 2 shown]
	v_mov_b32_e32 v6, 0
	v_mov_b32_e32 v8, 0
	;; [unrolled: 1-line block ×5, first 2 shown]
	v_cmp_gt_i32_e32 vcc, s12, v66
	s_and_saveexec_b64 s[4:5], vcc
	s_cbranch_execz .LBB56_242
; %bb.241:
	v_add_u32_e32 v4, s2, v66
	v_mov_b32_e32 v5, 0
	v_lshlrev_b64 v[4:5], 3, v[4:5]
	v_mov_b32_e32 v6, s15
	v_add_co_u32_e32 v67, vcc, s14, v4
	v_addc_co_u32_e32 v68, vcc, v6, v5, vcc
	v_mov_b32_e32 v6, s11
	v_add_co_u32_e32 v4, vcc, s10, v4
	v_addc_co_u32_e32 v5, vcc, v6, v5, vcc
	global_load_dwordx2 v[6:7], v[4:5], off
	global_load_dwordx2 v[8:9], v[67:68], off
	v_add_u32_e32 v66, 0x100, v66
.LBB56_242:
	s_or_b64 exec, exec, s[4:5]
	v_mov_b32_e32 v4, 0
	v_mov_b32_e32 v5, 0
	v_cmp_gt_i32_e32 vcc, s12, v66
	s_and_saveexec_b64 s[4:5], vcc
	s_cbranch_execz .LBB56_244
; %bb.243:
	v_add_u32_e32 v2, s2, v66
	v_mov_b32_e32 v3, 0
	v_lshlrev_b64 v[2:3], 3, v[2:3]
	v_mov_b32_e32 v4, s15
	v_add_co_u32_e32 v66, vcc, s14, v2
	v_addc_co_u32_e32 v67, vcc, v4, v3, vcc
	v_mov_b32_e32 v4, s11
	v_add_co_u32_e32 v68, vcc, s10, v2
	v_addc_co_u32_e32 v69, vcc, v4, v3, vcc
	global_load_dwordx2 v[2:3], v[68:69], off
	global_load_dwordx2 v[4:5], v[66:67], off
.LBB56_244:
	s_or_b64 exec, exec, s[4:5]
                                        ; implicit-def: $vgpr66
	s_and_saveexec_b64 s[4:5], s[0:1]
	s_cbranch_execz .LBB56_276
; %bb.245:
	s_cmp_lt_i32 s13, 1
	s_mov_b64 s[6:7], 0
	s_cbranch_scc1 .LBB56_250
; %bb.246:
	s_cmp_gt_i32 s13, 1
	s_cbranch_scc0 .LBB56_266
; %bb.247:
	s_cmp_eq_u32 s13, 2
	s_cbranch_scc0 .LBB56_267
; %bb.248:
	s_waitcnt vmcnt(0)
	v_cmp_le_i64_e64 s[10:11], v[62:63], v[64:65]
	s_mov_b64 s[14:15], 0
	s_branch .LBB56_268
.LBB56_249:
	s_waitcnt vmcnt(3)
	v_cmp_lt_i64_e32 vcc, v[3:4], v[7:8]
	s_andn2_b64 s[42:43], s[42:43], exec
	s_and_b64 s[46:47], vcc, exec
	s_or_b64 s[42:43], s[42:43], s[46:47]
	s_cbranch_execz .LBB56_209
	s_branch .LBB56_210
.LBB56_250:
                                        ; implicit-def: $sgpr10_sgpr11
	s_mov_b64 s[14:15], 0
	s_cbranch_execnz .LBB56_271
	s_branch .LBB56_272
.LBB56_251:
	s_mov_b64 s[16:17], -1
                                        ; implicit-def: $sgpr4_sgpr5
	s_branch .LBB56_23
.LBB56_252:
	s_mov_b64 s[18:19], -1
                                        ; implicit-def: $sgpr6_sgpr7
	s_branch .LBB56_36
.LBB56_253:
	s_mov_b64 s[20:21], -1
                                        ; implicit-def: $sgpr16_sgpr17
	s_branch .LBB56_49
.LBB56_254:
	s_mov_b64 s[22:23], -1
                                        ; implicit-def: $sgpr18_sgpr19
	s_branch .LBB56_62
.LBB56_255:
	s_mov_b64 s[24:25], -1
                                        ; implicit-def: $sgpr20_sgpr21
	s_branch .LBB56_75
.LBB56_256:
	s_mov_b64 s[26:27], -1
                                        ; implicit-def: $sgpr22_sgpr23
	s_branch .LBB56_88
.LBB56_257:
	s_mov_b64 s[28:29], -1
                                        ; implicit-def: $sgpr24_sgpr25
	s_branch .LBB56_101
.LBB56_258:
	s_mov_b64 s[30:31], -1
                                        ; implicit-def: $sgpr26_sgpr27
	s_branch .LBB56_114
.LBB56_259:
	s_mov_b64 s[34:35], -1
                                        ; implicit-def: $sgpr28_sgpr29
	s_branch .LBB56_127
.LBB56_260:
	s_mov_b64 s[36:37], -1
                                        ; implicit-def: $sgpr30_sgpr31
	s_branch .LBB56_140
.LBB56_261:
	s_mov_b64 s[38:39], -1
                                        ; implicit-def: $sgpr34_sgpr35
	s_branch .LBB56_153
.LBB56_262:
	s_mov_b64 s[40:41], -1
                                        ; implicit-def: $sgpr36_sgpr37
	s_branch .LBB56_166
.LBB56_263:
	s_mov_b64 s[42:43], -1
                                        ; implicit-def: $sgpr38_sgpr39
	s_branch .LBB56_179
.LBB56_264:
	s_mov_b64 s[44:45], -1
                                        ; implicit-def: $sgpr40_sgpr41
	s_branch .LBB56_192
.LBB56_265:
	s_mov_b64 s[46:47], -1
                                        ; implicit-def: $sgpr42_sgpr43
	s_branch .LBB56_205
.LBB56_266:
	s_mov_b64 s[14:15], 0
                                        ; implicit-def: $sgpr10_sgpr11
	s_cbranch_execnz .LBB56_269
	s_branch .LBB56_270
.LBB56_267:
	s_mov_b64 s[14:15], -1
                                        ; implicit-def: $sgpr10_sgpr11
.LBB56_268:
	s_branch .LBB56_270
.LBB56_269:
	s_waitcnt vmcnt(0)
	v_cmp_gt_i64_e32 vcc, v[62:63], v[64:65]
	s_andn2_b64 s[10:11], s[10:11], exec
	s_and_b64 s[16:17], vcc, exec
	s_or_b64 s[10:11], s[10:11], s[16:17]
.LBB56_270:
	s_branch .LBB56_272
.LBB56_271:
	s_cmp_lg_u32 s13, 0
	s_mov_b64 s[6:7], -1
	s_cselect_b64 s[14:15], -1, 0
.LBB56_272:
	s_andn2_b64 vcc, exec, s[14:15]
	s_cbranch_vccz .LBB56_281
; %bb.273:
	s_andn2_b64 vcc, exec, s[6:7]
	s_cbranch_vccnz .LBB56_275
.LBB56_274:
	s_waitcnt vmcnt(0)
	v_cmp_ge_i64_e32 vcc, v[62:63], v[64:65]
	s_andn2_b64 s[6:7], s[10:11], exec
	s_and_b64 s[10:11], vcc, exec
	s_or_b64 s[10:11], s[6:7], s[10:11]
.LBB56_275:
	v_cndmask_b32_e64 v66, 0, 1, s[10:11]
.LBB56_276:
	s_or_b64 exec, exec, s[4:5]
	v_or_b32_e32 v62, 0x100, v0
	v_cmp_gt_i32_e32 vcc, s12, v62
                                        ; implicit-def: $vgpr63
	s_and_saveexec_b64 s[4:5], vcc
	s_cbranch_execz .LBB56_291
; %bb.277:
	s_cmp_lt_i32 s13, 1
	s_mov_b64 s[6:7], 0
	s_cbranch_scc1 .LBB56_282
; %bb.278:
	s_cmp_gt_i32 s13, 1
	s_cbranch_scc0 .LBB56_283
; %bb.279:
	s_cmp_eq_u32 s13, 2
	s_cbranch_scc0 .LBB56_535
; %bb.280:
	s_waitcnt vmcnt(0)
	v_cmp_le_i64_e64 s[10:11], v[58:59], v[60:61]
	s_mov_b64 s[14:15], 0
	s_branch .LBB56_285
.LBB56_281:
	s_waitcnt vmcnt(0)
	v_cmp_lt_i64_e32 vcc, v[62:63], v[64:65]
	s_andn2_b64 s[10:11], s[10:11], exec
	s_and_b64 s[14:15], vcc, exec
	s_or_b64 s[10:11], s[10:11], s[14:15]
	s_cbranch_execz .LBB56_274
	s_branch .LBB56_275
.LBB56_282:
                                        ; implicit-def: $sgpr10_sgpr11
	s_mov_b64 s[14:15], 0
	s_cbranch_execnz .LBB56_286
	s_branch .LBB56_287
.LBB56_283:
	s_mov_b64 s[14:15], 0
                                        ; implicit-def: $sgpr10_sgpr11
	s_cbranch_execz .LBB56_285
; %bb.284:
	s_waitcnt vmcnt(0)
	v_cmp_gt_i64_e32 vcc, v[58:59], v[60:61]
	s_andn2_b64 s[10:11], s[10:11], exec
	s_and_b64 s[16:17], vcc, exec
	s_or_b64 s[10:11], s[10:11], s[16:17]
.LBB56_285:
	s_branch .LBB56_287
.LBB56_286:
	s_cmp_lg_u32 s13, 0
	s_mov_b64 s[6:7], -1
	s_cselect_b64 s[14:15], -1, 0
.LBB56_287:
	s_andn2_b64 vcc, exec, s[14:15]
	s_cbranch_vccz .LBB56_296
; %bb.288:
	s_andn2_b64 vcc, exec, s[6:7]
	s_cbranch_vccnz .LBB56_290
.LBB56_289:
	s_waitcnt vmcnt(0)
	v_cmp_ge_i64_e32 vcc, v[58:59], v[60:61]
	s_andn2_b64 s[6:7], s[10:11], exec
	s_and_b64 s[10:11], vcc, exec
	s_or_b64 s[10:11], s[6:7], s[10:11]
.LBB56_290:
	v_cndmask_b32_e64 v63, 0, 1, s[10:11]
.LBB56_291:
	s_or_b64 exec, exec, s[4:5]
	v_or_b32_e32 v58, 0x200, v0
	v_cmp_gt_i32_e32 vcc, s12, v58
                                        ; implicit-def: $vgpr58
	s_and_saveexec_b64 s[4:5], vcc
	s_cbranch_execz .LBB56_306
; %bb.292:
	s_cmp_lt_i32 s13, 1
	s_mov_b64 s[6:7], 0
	s_cbranch_scc1 .LBB56_297
; %bb.293:
	s_cmp_gt_i32 s13, 1
	s_cbranch_scc0 .LBB56_298
; %bb.294:
	s_cmp_eq_u32 s13, 2
	s_cbranch_scc0 .LBB56_536
; %bb.295:
	s_waitcnt vmcnt(0)
	v_cmp_le_i64_e64 s[10:11], v[54:55], v[56:57]
	s_mov_b64 s[14:15], 0
	s_branch .LBB56_300
.LBB56_296:
	s_waitcnt vmcnt(0)
	v_cmp_lt_i64_e32 vcc, v[58:59], v[60:61]
	s_andn2_b64 s[10:11], s[10:11], exec
	s_and_b64 s[14:15], vcc, exec
	s_or_b64 s[10:11], s[10:11], s[14:15]
	s_cbranch_execz .LBB56_289
	s_branch .LBB56_290
.LBB56_297:
                                        ; implicit-def: $sgpr10_sgpr11
	s_mov_b64 s[14:15], 0
	s_cbranch_execnz .LBB56_301
	s_branch .LBB56_302
.LBB56_298:
	s_mov_b64 s[14:15], 0
                                        ; implicit-def: $sgpr10_sgpr11
	s_cbranch_execz .LBB56_300
; %bb.299:
	s_waitcnt vmcnt(0)
	v_cmp_gt_i64_e32 vcc, v[54:55], v[56:57]
	s_andn2_b64 s[10:11], s[10:11], exec
	s_and_b64 s[16:17], vcc, exec
	s_or_b64 s[10:11], s[10:11], s[16:17]
.LBB56_300:
	s_branch .LBB56_302
.LBB56_301:
	s_cmp_lg_u32 s13, 0
	s_mov_b64 s[6:7], -1
	s_cselect_b64 s[14:15], -1, 0
.LBB56_302:
	s_andn2_b64 vcc, exec, s[14:15]
	s_cbranch_vccz .LBB56_311
; %bb.303:
	s_andn2_b64 vcc, exec, s[6:7]
	s_cbranch_vccnz .LBB56_305
.LBB56_304:
	s_waitcnt vmcnt(0)
	v_cmp_ge_i64_e32 vcc, v[54:55], v[56:57]
	s_andn2_b64 s[6:7], s[10:11], exec
	s_and_b64 s[10:11], vcc, exec
	s_or_b64 s[10:11], s[6:7], s[10:11]
.LBB56_305:
	v_cndmask_b32_e64 v58, 0, 1, s[10:11]
.LBB56_306:
	s_or_b64 exec, exec, s[4:5]
	v_or_b32_e32 v54, 0x300, v0
	v_cmp_gt_i32_e32 vcc, s12, v54
                                        ; implicit-def: $vgpr54
	s_and_saveexec_b64 s[4:5], vcc
	s_cbranch_execz .LBB56_321
; %bb.307:
	s_cmp_lt_i32 s13, 1
	s_mov_b64 s[6:7], 0
	s_cbranch_scc1 .LBB56_312
; %bb.308:
	s_cmp_gt_i32 s13, 1
	s_cbranch_scc0 .LBB56_313
; %bb.309:
	s_cmp_eq_u32 s13, 2
	s_cbranch_scc0 .LBB56_537
; %bb.310:
	s_waitcnt vmcnt(0)
	v_cmp_le_i64_e64 s[10:11], v[50:51], v[52:53]
	s_mov_b64 s[14:15], 0
	s_branch .LBB56_315
.LBB56_311:
	s_waitcnt vmcnt(0)
	v_cmp_lt_i64_e32 vcc, v[54:55], v[56:57]
	s_andn2_b64 s[10:11], s[10:11], exec
	s_and_b64 s[14:15], vcc, exec
	s_or_b64 s[10:11], s[10:11], s[14:15]
	s_cbranch_execz .LBB56_304
	s_branch .LBB56_305
.LBB56_312:
                                        ; implicit-def: $sgpr10_sgpr11
	s_mov_b64 s[14:15], 0
	s_cbranch_execnz .LBB56_316
	s_branch .LBB56_317
.LBB56_313:
	s_mov_b64 s[14:15], 0
                                        ; implicit-def: $sgpr10_sgpr11
	s_cbranch_execz .LBB56_315
; %bb.314:
	s_waitcnt vmcnt(0)
	v_cmp_gt_i64_e32 vcc, v[50:51], v[52:53]
	s_andn2_b64 s[10:11], s[10:11], exec
	s_and_b64 s[16:17], vcc, exec
	s_or_b64 s[10:11], s[10:11], s[16:17]
.LBB56_315:
	s_branch .LBB56_317
.LBB56_316:
	s_cmp_lg_u32 s13, 0
	s_mov_b64 s[6:7], -1
	s_cselect_b64 s[14:15], -1, 0
.LBB56_317:
	s_andn2_b64 vcc, exec, s[14:15]
	s_cbranch_vccz .LBB56_326
; %bb.318:
	s_andn2_b64 vcc, exec, s[6:7]
	s_cbranch_vccnz .LBB56_320
.LBB56_319:
	s_waitcnt vmcnt(0)
	v_cmp_ge_i64_e32 vcc, v[50:51], v[52:53]
	s_andn2_b64 s[6:7], s[10:11], exec
	s_and_b64 s[10:11], vcc, exec
	s_or_b64 s[10:11], s[6:7], s[10:11]
.LBB56_320:
	v_cndmask_b32_e64 v54, 0, 1, s[10:11]
.LBB56_321:
	s_or_b64 exec, exec, s[4:5]
	v_or_b32_e32 v50, 0x400, v0
	v_cmp_gt_i32_e32 vcc, s12, v50
                                        ; implicit-def: $vgpr50
	s_and_saveexec_b64 s[4:5], vcc
	s_cbranch_execz .LBB56_336
; %bb.322:
	s_cmp_lt_i32 s13, 1
	s_mov_b64 s[6:7], 0
	s_cbranch_scc1 .LBB56_327
; %bb.323:
	s_cmp_gt_i32 s13, 1
	s_cbranch_scc0 .LBB56_328
; %bb.324:
	s_cmp_eq_u32 s13, 2
	s_cbranch_scc0 .LBB56_538
; %bb.325:
	s_waitcnt vmcnt(0)
	v_cmp_le_i64_e64 s[10:11], v[46:47], v[48:49]
	s_mov_b64 s[14:15], 0
	s_branch .LBB56_330
.LBB56_326:
	s_waitcnt vmcnt(0)
	v_cmp_lt_i64_e32 vcc, v[50:51], v[52:53]
	s_andn2_b64 s[10:11], s[10:11], exec
	s_and_b64 s[14:15], vcc, exec
	s_or_b64 s[10:11], s[10:11], s[14:15]
	s_cbranch_execz .LBB56_319
	s_branch .LBB56_320
.LBB56_327:
                                        ; implicit-def: $sgpr10_sgpr11
	s_mov_b64 s[14:15], 0
	s_cbranch_execnz .LBB56_331
	s_branch .LBB56_332
.LBB56_328:
	s_mov_b64 s[14:15], 0
                                        ; implicit-def: $sgpr10_sgpr11
	s_cbranch_execz .LBB56_330
; %bb.329:
	s_waitcnt vmcnt(0)
	v_cmp_gt_i64_e32 vcc, v[46:47], v[48:49]
	s_andn2_b64 s[10:11], s[10:11], exec
	s_and_b64 s[16:17], vcc, exec
	s_or_b64 s[10:11], s[10:11], s[16:17]
.LBB56_330:
	s_branch .LBB56_332
.LBB56_331:
	s_cmp_lg_u32 s13, 0
	s_mov_b64 s[6:7], -1
	s_cselect_b64 s[14:15], -1, 0
.LBB56_332:
	s_andn2_b64 vcc, exec, s[14:15]
	s_cbranch_vccz .LBB56_341
; %bb.333:
	s_andn2_b64 vcc, exec, s[6:7]
	s_cbranch_vccnz .LBB56_335
.LBB56_334:
	s_waitcnt vmcnt(0)
	v_cmp_ge_i64_e32 vcc, v[46:47], v[48:49]
	s_andn2_b64 s[6:7], s[10:11], exec
	s_and_b64 s[10:11], vcc, exec
	s_or_b64 s[10:11], s[6:7], s[10:11]
.LBB56_335:
	v_cndmask_b32_e64 v50, 0, 1, s[10:11]
.LBB56_336:
	s_or_b64 exec, exec, s[4:5]
	v_or_b32_e32 v46, 0x500, v0
	v_cmp_gt_i32_e32 vcc, s12, v46
                                        ; implicit-def: $vgpr46
	s_and_saveexec_b64 s[4:5], vcc
	s_cbranch_execz .LBB56_351
; %bb.337:
	s_cmp_lt_i32 s13, 1
	s_mov_b64 s[6:7], 0
	s_cbranch_scc1 .LBB56_342
; %bb.338:
	s_cmp_gt_i32 s13, 1
	s_cbranch_scc0 .LBB56_343
; %bb.339:
	s_cmp_eq_u32 s13, 2
	s_cbranch_scc0 .LBB56_539
; %bb.340:
	s_waitcnt vmcnt(0)
	v_cmp_le_i64_e64 s[10:11], v[42:43], v[44:45]
	s_mov_b64 s[14:15], 0
	s_branch .LBB56_345
.LBB56_341:
	s_waitcnt vmcnt(0)
	v_cmp_lt_i64_e32 vcc, v[46:47], v[48:49]
	s_andn2_b64 s[10:11], s[10:11], exec
	s_and_b64 s[14:15], vcc, exec
	s_or_b64 s[10:11], s[10:11], s[14:15]
	s_cbranch_execz .LBB56_334
	s_branch .LBB56_335
.LBB56_342:
                                        ; implicit-def: $sgpr10_sgpr11
	s_mov_b64 s[14:15], 0
	s_cbranch_execnz .LBB56_346
	s_branch .LBB56_347
.LBB56_343:
	s_mov_b64 s[14:15], 0
                                        ; implicit-def: $sgpr10_sgpr11
	s_cbranch_execz .LBB56_345
; %bb.344:
	s_waitcnt vmcnt(0)
	v_cmp_gt_i64_e32 vcc, v[42:43], v[44:45]
	s_andn2_b64 s[10:11], s[10:11], exec
	s_and_b64 s[16:17], vcc, exec
	s_or_b64 s[10:11], s[10:11], s[16:17]
.LBB56_345:
	s_branch .LBB56_347
.LBB56_346:
	s_cmp_lg_u32 s13, 0
	s_mov_b64 s[6:7], -1
	s_cselect_b64 s[14:15], -1, 0
.LBB56_347:
	s_andn2_b64 vcc, exec, s[14:15]
	s_cbranch_vccz .LBB56_356
; %bb.348:
	s_andn2_b64 vcc, exec, s[6:7]
	s_cbranch_vccnz .LBB56_350
.LBB56_349:
	s_waitcnt vmcnt(0)
	v_cmp_ge_i64_e32 vcc, v[42:43], v[44:45]
	s_andn2_b64 s[6:7], s[10:11], exec
	s_and_b64 s[10:11], vcc, exec
	s_or_b64 s[10:11], s[6:7], s[10:11]
.LBB56_350:
	v_cndmask_b32_e64 v46, 0, 1, s[10:11]
.LBB56_351:
	s_or_b64 exec, exec, s[4:5]
	v_or_b32_e32 v42, 0x600, v0
	v_cmp_gt_i32_e32 vcc, s12, v42
                                        ; implicit-def: $vgpr42
	s_and_saveexec_b64 s[4:5], vcc
	s_cbranch_execz .LBB56_366
; %bb.352:
	s_cmp_lt_i32 s13, 1
	s_mov_b64 s[6:7], 0
	s_cbranch_scc1 .LBB56_357
; %bb.353:
	s_cmp_gt_i32 s13, 1
	s_cbranch_scc0 .LBB56_358
; %bb.354:
	s_cmp_eq_u32 s13, 2
	s_cbranch_scc0 .LBB56_540
; %bb.355:
	s_waitcnt vmcnt(0)
	v_cmp_le_i64_e64 s[10:11], v[38:39], v[40:41]
	s_mov_b64 s[14:15], 0
	s_branch .LBB56_360
.LBB56_356:
	s_waitcnt vmcnt(0)
	v_cmp_lt_i64_e32 vcc, v[42:43], v[44:45]
	s_andn2_b64 s[10:11], s[10:11], exec
	s_and_b64 s[14:15], vcc, exec
	s_or_b64 s[10:11], s[10:11], s[14:15]
	s_cbranch_execz .LBB56_349
	s_branch .LBB56_350
.LBB56_357:
                                        ; implicit-def: $sgpr10_sgpr11
	s_mov_b64 s[14:15], 0
	s_cbranch_execnz .LBB56_361
	s_branch .LBB56_362
.LBB56_358:
	s_mov_b64 s[14:15], 0
                                        ; implicit-def: $sgpr10_sgpr11
	s_cbranch_execz .LBB56_360
; %bb.359:
	s_waitcnt vmcnt(0)
	v_cmp_gt_i64_e32 vcc, v[38:39], v[40:41]
	s_andn2_b64 s[10:11], s[10:11], exec
	s_and_b64 s[16:17], vcc, exec
	s_or_b64 s[10:11], s[10:11], s[16:17]
.LBB56_360:
	s_branch .LBB56_362
.LBB56_361:
	s_cmp_lg_u32 s13, 0
	s_mov_b64 s[6:7], -1
	s_cselect_b64 s[14:15], -1, 0
.LBB56_362:
	s_andn2_b64 vcc, exec, s[14:15]
	s_cbranch_vccz .LBB56_371
; %bb.363:
	s_andn2_b64 vcc, exec, s[6:7]
	s_cbranch_vccnz .LBB56_365
.LBB56_364:
	s_waitcnt vmcnt(0)
	v_cmp_ge_i64_e32 vcc, v[38:39], v[40:41]
	s_andn2_b64 s[6:7], s[10:11], exec
	s_and_b64 s[10:11], vcc, exec
	s_or_b64 s[10:11], s[6:7], s[10:11]
.LBB56_365:
	v_cndmask_b32_e64 v42, 0, 1, s[10:11]
.LBB56_366:
	s_or_b64 exec, exec, s[4:5]
	v_or_b32_e32 v38, 0x700, v0
	v_cmp_gt_i32_e32 vcc, s12, v38
                                        ; implicit-def: $vgpr38
	s_and_saveexec_b64 s[4:5], vcc
	s_cbranch_execz .LBB56_381
; %bb.367:
	s_cmp_lt_i32 s13, 1
	s_mov_b64 s[6:7], 0
	s_cbranch_scc1 .LBB56_372
; %bb.368:
	s_cmp_gt_i32 s13, 1
	s_cbranch_scc0 .LBB56_373
; %bb.369:
	s_cmp_eq_u32 s13, 2
	s_cbranch_scc0 .LBB56_541
; %bb.370:
	s_waitcnt vmcnt(0)
	v_cmp_le_i64_e64 s[10:11], v[34:35], v[36:37]
	s_mov_b64 s[14:15], 0
	s_branch .LBB56_375
.LBB56_371:
	s_waitcnt vmcnt(0)
	v_cmp_lt_i64_e32 vcc, v[38:39], v[40:41]
	s_andn2_b64 s[10:11], s[10:11], exec
	s_and_b64 s[14:15], vcc, exec
	s_or_b64 s[10:11], s[10:11], s[14:15]
	s_cbranch_execz .LBB56_364
	s_branch .LBB56_365
.LBB56_372:
                                        ; implicit-def: $sgpr10_sgpr11
	s_mov_b64 s[14:15], 0
	s_cbranch_execnz .LBB56_376
	s_branch .LBB56_377
.LBB56_373:
	s_mov_b64 s[14:15], 0
                                        ; implicit-def: $sgpr10_sgpr11
	s_cbranch_execz .LBB56_375
; %bb.374:
	s_waitcnt vmcnt(0)
	v_cmp_gt_i64_e32 vcc, v[34:35], v[36:37]
	s_andn2_b64 s[10:11], s[10:11], exec
	s_and_b64 s[16:17], vcc, exec
	s_or_b64 s[10:11], s[10:11], s[16:17]
.LBB56_375:
	s_branch .LBB56_377
.LBB56_376:
	s_cmp_lg_u32 s13, 0
	s_mov_b64 s[6:7], -1
	s_cselect_b64 s[14:15], -1, 0
.LBB56_377:
	s_andn2_b64 vcc, exec, s[14:15]
	s_cbranch_vccz .LBB56_386
; %bb.378:
	s_andn2_b64 vcc, exec, s[6:7]
	s_cbranch_vccnz .LBB56_380
.LBB56_379:
	s_waitcnt vmcnt(0)
	v_cmp_ge_i64_e32 vcc, v[34:35], v[36:37]
	s_andn2_b64 s[6:7], s[10:11], exec
	s_and_b64 s[10:11], vcc, exec
	s_or_b64 s[10:11], s[6:7], s[10:11]
.LBB56_380:
	v_cndmask_b32_e64 v38, 0, 1, s[10:11]
.LBB56_381:
	s_or_b64 exec, exec, s[4:5]
	v_or_b32_e32 v34, 0x800, v0
	v_cmp_gt_i32_e32 vcc, s12, v34
                                        ; implicit-def: $vgpr34
	s_and_saveexec_b64 s[4:5], vcc
	s_cbranch_execz .LBB56_396
; %bb.382:
	s_cmp_lt_i32 s13, 1
	s_mov_b64 s[6:7], 0
	s_cbranch_scc1 .LBB56_387
; %bb.383:
	s_cmp_gt_i32 s13, 1
	s_cbranch_scc0 .LBB56_388
; %bb.384:
	s_cmp_eq_u32 s13, 2
	s_cbranch_scc0 .LBB56_542
; %bb.385:
	s_waitcnt vmcnt(0)
	v_cmp_le_i64_e64 s[10:11], v[30:31], v[32:33]
	s_mov_b64 s[14:15], 0
	s_branch .LBB56_390
.LBB56_386:
	s_waitcnt vmcnt(0)
	v_cmp_lt_i64_e32 vcc, v[34:35], v[36:37]
	s_andn2_b64 s[10:11], s[10:11], exec
	s_and_b64 s[14:15], vcc, exec
	s_or_b64 s[10:11], s[10:11], s[14:15]
	s_cbranch_execz .LBB56_379
	s_branch .LBB56_380
.LBB56_387:
                                        ; implicit-def: $sgpr10_sgpr11
	s_mov_b64 s[14:15], 0
	s_cbranch_execnz .LBB56_391
	s_branch .LBB56_392
.LBB56_388:
	s_mov_b64 s[14:15], 0
                                        ; implicit-def: $sgpr10_sgpr11
	s_cbranch_execz .LBB56_390
; %bb.389:
	s_waitcnt vmcnt(0)
	v_cmp_gt_i64_e32 vcc, v[30:31], v[32:33]
	s_andn2_b64 s[10:11], s[10:11], exec
	s_and_b64 s[16:17], vcc, exec
	s_or_b64 s[10:11], s[10:11], s[16:17]
.LBB56_390:
	s_branch .LBB56_392
.LBB56_391:
	s_cmp_lg_u32 s13, 0
	s_mov_b64 s[6:7], -1
	s_cselect_b64 s[14:15], -1, 0
.LBB56_392:
	s_andn2_b64 vcc, exec, s[14:15]
	s_cbranch_vccz .LBB56_401
; %bb.393:
	s_andn2_b64 vcc, exec, s[6:7]
	s_cbranch_vccnz .LBB56_395
.LBB56_394:
	s_waitcnt vmcnt(0)
	v_cmp_ge_i64_e32 vcc, v[30:31], v[32:33]
	s_andn2_b64 s[6:7], s[10:11], exec
	s_and_b64 s[10:11], vcc, exec
	s_or_b64 s[10:11], s[6:7], s[10:11]
.LBB56_395:
	v_cndmask_b32_e64 v34, 0, 1, s[10:11]
.LBB56_396:
	s_or_b64 exec, exec, s[4:5]
	s_waitcnt vmcnt(1)
	v_or_b32_e32 v30, 0x900, v0
	v_cmp_gt_i32_e32 vcc, s12, v30
                                        ; implicit-def: $vgpr30
	s_and_saveexec_b64 s[4:5], vcc
	s_cbranch_execz .LBB56_411
; %bb.397:
	s_cmp_lt_i32 s13, 1
	s_mov_b64 s[6:7], 0
	s_cbranch_scc1 .LBB56_402
; %bb.398:
	s_cmp_gt_i32 s13, 1
	s_cbranch_scc0 .LBB56_403
; %bb.399:
	s_cmp_eq_u32 s13, 2
	s_cbranch_scc0 .LBB56_543
; %bb.400:
	s_waitcnt vmcnt(0)
	v_cmp_le_i64_e64 s[10:11], v[26:27], v[28:29]
	s_mov_b64 s[14:15], 0
	s_branch .LBB56_405
.LBB56_401:
	s_waitcnt vmcnt(0)
	v_cmp_lt_i64_e32 vcc, v[30:31], v[32:33]
	s_andn2_b64 s[10:11], s[10:11], exec
	s_and_b64 s[14:15], vcc, exec
	s_or_b64 s[10:11], s[10:11], s[14:15]
	s_cbranch_execz .LBB56_394
	s_branch .LBB56_395
.LBB56_402:
                                        ; implicit-def: $sgpr10_sgpr11
	s_mov_b64 s[14:15], 0
	s_cbranch_execnz .LBB56_406
	s_branch .LBB56_407
.LBB56_403:
	s_mov_b64 s[14:15], 0
                                        ; implicit-def: $sgpr10_sgpr11
	s_cbranch_execz .LBB56_405
; %bb.404:
	s_waitcnt vmcnt(0)
	v_cmp_gt_i64_e32 vcc, v[26:27], v[28:29]
	s_andn2_b64 s[10:11], s[10:11], exec
	s_and_b64 s[16:17], vcc, exec
	s_or_b64 s[10:11], s[10:11], s[16:17]
.LBB56_405:
	s_branch .LBB56_407
.LBB56_406:
	s_cmp_lg_u32 s13, 0
	s_mov_b64 s[6:7], -1
	s_cselect_b64 s[14:15], -1, 0
.LBB56_407:
	s_andn2_b64 vcc, exec, s[14:15]
	s_cbranch_vccz .LBB56_416
; %bb.408:
	s_andn2_b64 vcc, exec, s[6:7]
	s_cbranch_vccnz .LBB56_410
.LBB56_409:
	s_waitcnt vmcnt(0)
	v_cmp_ge_i64_e32 vcc, v[26:27], v[28:29]
	s_andn2_b64 s[6:7], s[10:11], exec
	s_and_b64 s[10:11], vcc, exec
	s_or_b64 s[10:11], s[6:7], s[10:11]
.LBB56_410:
	v_cndmask_b32_e64 v30, 0, 1, s[10:11]
.LBB56_411:
	s_or_b64 exec, exec, s[4:5]
	v_or_b32_e32 v26, 0xa00, v0
	v_cmp_gt_i32_e32 vcc, s12, v26
                                        ; implicit-def: $vgpr26
	s_and_saveexec_b64 s[4:5], vcc
	s_cbranch_execz .LBB56_426
; %bb.412:
	s_cmp_lt_i32 s13, 1
	s_mov_b64 s[6:7], 0
	s_cbranch_scc1 .LBB56_417
; %bb.413:
	s_cmp_gt_i32 s13, 1
	s_cbranch_scc0 .LBB56_418
; %bb.414:
	s_cmp_eq_u32 s13, 2
	s_cbranch_scc0 .LBB56_544
; %bb.415:
	s_waitcnt vmcnt(0)
	v_cmp_le_i64_e64 s[10:11], v[22:23], v[24:25]
	s_mov_b64 s[14:15], 0
	s_branch .LBB56_420
.LBB56_416:
	s_waitcnt vmcnt(0)
	v_cmp_lt_i64_e32 vcc, v[26:27], v[28:29]
	s_andn2_b64 s[10:11], s[10:11], exec
	s_and_b64 s[14:15], vcc, exec
	s_or_b64 s[10:11], s[10:11], s[14:15]
	s_cbranch_execz .LBB56_409
	s_branch .LBB56_410
.LBB56_417:
                                        ; implicit-def: $sgpr10_sgpr11
	s_mov_b64 s[14:15], 0
	s_cbranch_execnz .LBB56_421
	s_branch .LBB56_422
.LBB56_418:
	s_mov_b64 s[14:15], 0
                                        ; implicit-def: $sgpr10_sgpr11
	s_cbranch_execz .LBB56_420
; %bb.419:
	s_waitcnt vmcnt(0)
	v_cmp_gt_i64_e32 vcc, v[22:23], v[24:25]
	s_andn2_b64 s[10:11], s[10:11], exec
	s_and_b64 s[16:17], vcc, exec
	s_or_b64 s[10:11], s[10:11], s[16:17]
.LBB56_420:
	s_branch .LBB56_422
.LBB56_421:
	s_cmp_lg_u32 s13, 0
	s_mov_b64 s[6:7], -1
	s_cselect_b64 s[14:15], -1, 0
.LBB56_422:
	s_andn2_b64 vcc, exec, s[14:15]
	s_cbranch_vccz .LBB56_431
; %bb.423:
	s_andn2_b64 vcc, exec, s[6:7]
	s_cbranch_vccnz .LBB56_425
.LBB56_424:
	s_waitcnt vmcnt(0)
	v_cmp_ge_i64_e32 vcc, v[22:23], v[24:25]
	s_andn2_b64 s[6:7], s[10:11], exec
	s_and_b64 s[10:11], vcc, exec
	s_or_b64 s[10:11], s[6:7], s[10:11]
.LBB56_425:
	v_cndmask_b32_e64 v26, 0, 1, s[10:11]
.LBB56_426:
	s_or_b64 exec, exec, s[4:5]
	v_or_b32_e32 v22, 0xb00, v0
	v_cmp_gt_i32_e32 vcc, s12, v22
                                        ; implicit-def: $vgpr22
	s_and_saveexec_b64 s[4:5], vcc
	s_cbranch_execz .LBB56_441
; %bb.427:
	s_cmp_lt_i32 s13, 1
	s_mov_b64 s[6:7], 0
	s_cbranch_scc1 .LBB56_432
; %bb.428:
	s_cmp_gt_i32 s13, 1
	s_cbranch_scc0 .LBB56_433
; %bb.429:
	s_cmp_eq_u32 s13, 2
	s_cbranch_scc0 .LBB56_545
; %bb.430:
	s_waitcnt vmcnt(0)
	v_cmp_le_i64_e64 s[10:11], v[18:19], v[20:21]
	s_mov_b64 s[14:15], 0
	s_branch .LBB56_435
.LBB56_431:
	s_waitcnt vmcnt(0)
	v_cmp_lt_i64_e32 vcc, v[22:23], v[24:25]
	s_andn2_b64 s[10:11], s[10:11], exec
	s_and_b64 s[14:15], vcc, exec
	s_or_b64 s[10:11], s[10:11], s[14:15]
	s_cbranch_execz .LBB56_424
	s_branch .LBB56_425
.LBB56_432:
                                        ; implicit-def: $sgpr10_sgpr11
	s_mov_b64 s[14:15], 0
	s_cbranch_execnz .LBB56_436
	s_branch .LBB56_437
.LBB56_433:
	s_mov_b64 s[14:15], 0
                                        ; implicit-def: $sgpr10_sgpr11
	s_cbranch_execz .LBB56_435
; %bb.434:
	s_waitcnt vmcnt(0)
	v_cmp_gt_i64_e32 vcc, v[18:19], v[20:21]
	s_andn2_b64 s[10:11], s[10:11], exec
	s_and_b64 s[16:17], vcc, exec
	s_or_b64 s[10:11], s[10:11], s[16:17]
.LBB56_435:
	s_branch .LBB56_437
.LBB56_436:
	s_cmp_lg_u32 s13, 0
	s_mov_b64 s[6:7], -1
	s_cselect_b64 s[14:15], -1, 0
.LBB56_437:
	s_andn2_b64 vcc, exec, s[14:15]
	s_cbranch_vccz .LBB56_446
; %bb.438:
	s_andn2_b64 vcc, exec, s[6:7]
	s_cbranch_vccnz .LBB56_440
.LBB56_439:
	s_waitcnt vmcnt(0)
	v_cmp_ge_i64_e32 vcc, v[18:19], v[20:21]
	s_andn2_b64 s[6:7], s[10:11], exec
	s_and_b64 s[10:11], vcc, exec
	s_or_b64 s[10:11], s[6:7], s[10:11]
.LBB56_440:
	v_cndmask_b32_e64 v22, 0, 1, s[10:11]
.LBB56_441:
	s_or_b64 exec, exec, s[4:5]
	v_or_b32_e32 v18, 0xc00, v0
	v_cmp_gt_i32_e32 vcc, s12, v18
                                        ; implicit-def: $vgpr18
	s_and_saveexec_b64 s[4:5], vcc
	s_cbranch_execz .LBB56_456
; %bb.442:
	s_cmp_lt_i32 s13, 1
	s_mov_b64 s[6:7], 0
	s_cbranch_scc1 .LBB56_447
; %bb.443:
	s_cmp_gt_i32 s13, 1
	s_cbranch_scc0 .LBB56_448
; %bb.444:
	s_cmp_eq_u32 s13, 2
	s_cbranch_scc0 .LBB56_546
; %bb.445:
	s_waitcnt vmcnt(0)
	v_cmp_le_i64_e64 s[10:11], v[14:15], v[16:17]
	s_mov_b64 s[14:15], 0
	s_branch .LBB56_450
.LBB56_446:
	s_waitcnt vmcnt(0)
	v_cmp_lt_i64_e32 vcc, v[18:19], v[20:21]
	s_andn2_b64 s[10:11], s[10:11], exec
	s_and_b64 s[14:15], vcc, exec
	s_or_b64 s[10:11], s[10:11], s[14:15]
	s_cbranch_execz .LBB56_439
	s_branch .LBB56_440
.LBB56_447:
                                        ; implicit-def: $sgpr10_sgpr11
	s_mov_b64 s[14:15], 0
	s_cbranch_execnz .LBB56_451
	s_branch .LBB56_452
.LBB56_448:
	s_mov_b64 s[14:15], 0
                                        ; implicit-def: $sgpr10_sgpr11
	s_cbranch_execz .LBB56_450
; %bb.449:
	s_waitcnt vmcnt(0)
	v_cmp_gt_i64_e32 vcc, v[14:15], v[16:17]
	s_andn2_b64 s[10:11], s[10:11], exec
	s_and_b64 s[16:17], vcc, exec
	s_or_b64 s[10:11], s[10:11], s[16:17]
.LBB56_450:
	s_branch .LBB56_452
.LBB56_451:
	s_cmp_lg_u32 s13, 0
	s_mov_b64 s[6:7], -1
	s_cselect_b64 s[14:15], -1, 0
.LBB56_452:
	s_andn2_b64 vcc, exec, s[14:15]
	s_cbranch_vccz .LBB56_461
; %bb.453:
	s_andn2_b64 vcc, exec, s[6:7]
	s_cbranch_vccnz .LBB56_455
.LBB56_454:
	s_waitcnt vmcnt(0)
	v_cmp_ge_i64_e32 vcc, v[14:15], v[16:17]
	s_andn2_b64 s[6:7], s[10:11], exec
	s_and_b64 s[10:11], vcc, exec
	s_or_b64 s[10:11], s[6:7], s[10:11]
.LBB56_455:
	v_cndmask_b32_e64 v18, 0, 1, s[10:11]
.LBB56_456:
	s_or_b64 exec, exec, s[4:5]
	v_or_b32_e32 v14, 0xd00, v0
	v_cmp_gt_i32_e32 vcc, s12, v14
                                        ; implicit-def: $vgpr14
	s_and_saveexec_b64 s[4:5], vcc
	s_cbranch_execz .LBB56_471
; %bb.457:
	s_cmp_lt_i32 s13, 1
	s_mov_b64 s[6:7], 0
	s_cbranch_scc1 .LBB56_462
; %bb.458:
	s_cmp_gt_i32 s13, 1
	s_cbranch_scc0 .LBB56_463
; %bb.459:
	s_cmp_eq_u32 s13, 2
	s_cbranch_scc0 .LBB56_547
; %bb.460:
	s_waitcnt vmcnt(0)
	v_cmp_le_i64_e64 s[10:11], v[10:11], v[12:13]
	s_mov_b64 s[14:15], 0
	s_branch .LBB56_465
.LBB56_461:
	s_waitcnt vmcnt(0)
	v_cmp_lt_i64_e32 vcc, v[14:15], v[16:17]
	s_andn2_b64 s[10:11], s[10:11], exec
	s_and_b64 s[14:15], vcc, exec
	s_or_b64 s[10:11], s[10:11], s[14:15]
	s_cbranch_execz .LBB56_454
	s_branch .LBB56_455
.LBB56_462:
                                        ; implicit-def: $sgpr10_sgpr11
	s_mov_b64 s[14:15], 0
	s_cbranch_execnz .LBB56_466
	s_branch .LBB56_467
.LBB56_463:
	s_mov_b64 s[14:15], 0
                                        ; implicit-def: $sgpr10_sgpr11
	s_cbranch_execz .LBB56_465
; %bb.464:
	s_waitcnt vmcnt(0)
	v_cmp_gt_i64_e32 vcc, v[10:11], v[12:13]
	s_andn2_b64 s[10:11], s[10:11], exec
	s_and_b64 s[16:17], vcc, exec
	s_or_b64 s[10:11], s[10:11], s[16:17]
.LBB56_465:
	s_branch .LBB56_467
.LBB56_466:
	s_cmp_lg_u32 s13, 0
	s_mov_b64 s[6:7], -1
	s_cselect_b64 s[14:15], -1, 0
.LBB56_467:
	s_andn2_b64 vcc, exec, s[14:15]
	s_cbranch_vccz .LBB56_476
; %bb.468:
	s_andn2_b64 vcc, exec, s[6:7]
	s_cbranch_vccnz .LBB56_470
.LBB56_469:
	s_waitcnt vmcnt(0)
	v_cmp_ge_i64_e32 vcc, v[10:11], v[12:13]
	s_andn2_b64 s[6:7], s[10:11], exec
	s_and_b64 s[10:11], vcc, exec
	s_or_b64 s[10:11], s[6:7], s[10:11]
.LBB56_470:
	v_cndmask_b32_e64 v14, 0, 1, s[10:11]
.LBB56_471:
	s_or_b64 exec, exec, s[4:5]
	v_or_b32_e32 v10, 0xe00, v0
	v_cmp_gt_i32_e32 vcc, s12, v10
                                        ; implicit-def: $vgpr10
	s_and_saveexec_b64 s[4:5], vcc
	s_cbranch_execz .LBB56_486
; %bb.472:
	s_cmp_lt_i32 s13, 1
	s_mov_b64 s[6:7], 0
	s_cbranch_scc1 .LBB56_477
; %bb.473:
	s_cmp_gt_i32 s13, 1
	s_cbranch_scc0 .LBB56_478
; %bb.474:
	s_cmp_eq_u32 s13, 2
	s_cbranch_scc0 .LBB56_548
; %bb.475:
	s_waitcnt vmcnt(0)
	v_cmp_le_i64_e64 s[10:11], v[6:7], v[8:9]
	s_mov_b64 s[14:15], 0
	s_branch .LBB56_480
.LBB56_476:
	s_waitcnt vmcnt(0)
	v_cmp_lt_i64_e32 vcc, v[10:11], v[12:13]
	s_andn2_b64 s[10:11], s[10:11], exec
	s_and_b64 s[14:15], vcc, exec
	s_or_b64 s[10:11], s[10:11], s[14:15]
	s_cbranch_execz .LBB56_469
	s_branch .LBB56_470
.LBB56_477:
                                        ; implicit-def: $sgpr10_sgpr11
	s_mov_b64 s[14:15], 0
	s_cbranch_execnz .LBB56_481
	s_branch .LBB56_482
.LBB56_478:
	s_mov_b64 s[14:15], 0
                                        ; implicit-def: $sgpr10_sgpr11
	s_cbranch_execz .LBB56_480
; %bb.479:
	s_waitcnt vmcnt(0)
	v_cmp_gt_i64_e32 vcc, v[6:7], v[8:9]
	s_andn2_b64 s[10:11], s[10:11], exec
	s_and_b64 s[16:17], vcc, exec
	s_or_b64 s[10:11], s[10:11], s[16:17]
.LBB56_480:
	s_branch .LBB56_482
.LBB56_481:
	s_cmp_lg_u32 s13, 0
	s_mov_b64 s[6:7], -1
	s_cselect_b64 s[14:15], -1, 0
.LBB56_482:
	s_andn2_b64 vcc, exec, s[14:15]
	s_cbranch_vccz .LBB56_491
; %bb.483:
	s_andn2_b64 vcc, exec, s[6:7]
	s_cbranch_vccnz .LBB56_485
.LBB56_484:
	s_waitcnt vmcnt(0)
	v_cmp_ge_i64_e32 vcc, v[6:7], v[8:9]
	s_andn2_b64 s[6:7], s[10:11], exec
	s_and_b64 s[10:11], vcc, exec
	s_or_b64 s[10:11], s[6:7], s[10:11]
.LBB56_485:
	v_cndmask_b32_e64 v10, 0, 1, s[10:11]
.LBB56_486:
	s_or_b64 exec, exec, s[4:5]
	v_or_b32_e32 v6, 0xf00, v0
	v_cmp_gt_i32_e32 vcc, s12, v6
                                        ; implicit-def: $vgpr6
	s_and_saveexec_b64 s[4:5], vcc
	s_cbranch_execz .LBB56_501
; %bb.487:
	s_cmp_lt_i32 s13, 1
	s_mov_b64 s[6:7], 0
	s_cbranch_scc1 .LBB56_492
; %bb.488:
	s_cmp_gt_i32 s13, 1
	s_cbranch_scc0 .LBB56_493
; %bb.489:
	s_cmp_eq_u32 s13, 2
	s_cbranch_scc0 .LBB56_549
; %bb.490:
	s_waitcnt vmcnt(0)
	v_cmp_le_i64_e64 s[10:11], v[2:3], v[4:5]
	s_mov_b64 s[14:15], 0
	s_branch .LBB56_495
.LBB56_491:
	s_waitcnt vmcnt(0)
	v_cmp_lt_i64_e32 vcc, v[6:7], v[8:9]
	s_andn2_b64 s[10:11], s[10:11], exec
	s_and_b64 s[14:15], vcc, exec
	s_or_b64 s[10:11], s[10:11], s[14:15]
	s_cbranch_execz .LBB56_484
	s_branch .LBB56_485
.LBB56_492:
                                        ; implicit-def: $sgpr10_sgpr11
	s_mov_b64 s[14:15], 0
	s_cbranch_execnz .LBB56_496
	s_branch .LBB56_497
.LBB56_493:
	s_mov_b64 s[14:15], 0
                                        ; implicit-def: $sgpr10_sgpr11
	s_cbranch_execz .LBB56_495
; %bb.494:
	s_waitcnt vmcnt(0)
	v_cmp_gt_i64_e32 vcc, v[2:3], v[4:5]
	s_andn2_b64 s[10:11], s[10:11], exec
	s_and_b64 s[16:17], vcc, exec
	s_or_b64 s[10:11], s[10:11], s[16:17]
.LBB56_495:
	s_branch .LBB56_497
.LBB56_496:
	s_cmp_lg_u32 s13, 0
	s_mov_b64 s[6:7], -1
	s_cselect_b64 s[14:15], -1, 0
.LBB56_497:
	s_andn2_b64 vcc, exec, s[14:15]
	s_cbranch_vccz .LBB56_534
; %bb.498:
	s_andn2_b64 vcc, exec, s[6:7]
	s_cbranch_vccnz .LBB56_500
.LBB56_499:
	s_waitcnt vmcnt(0)
	v_cmp_ge_i64_e32 vcc, v[2:3], v[4:5]
	s_andn2_b64 s[6:7], s[10:11], exec
	s_and_b64 s[10:11], vcc, exec
	s_or_b64 s[10:11], s[6:7], s[10:11]
.LBB56_500:
	v_cndmask_b32_e64 v6, 0, 1, s[10:11]
.LBB56_501:
	s_or_b64 exec, exec, s[4:5]
	s_and_saveexec_b64 s[4:5], s[0:1]
	s_xor_b64 s[0:1], exec, s[4:5]
	s_cbranch_execz .LBB56_503
; %bb.502:
	v_mov_b32_e32 v0, v62
	global_store_byte v1, v66, s[8:9]
.LBB56_503:
	s_or_b64 exec, exec, s[0:1]
	v_cmp_gt_i32_e32 vcc, s12, v0
	s_and_saveexec_b64 s[0:1], vcc
	s_cbranch_execnz .LBB56_520
; %bb.504:
	s_or_b64 exec, exec, s[0:1]
	v_cmp_gt_i32_e32 vcc, s12, v0
	s_and_saveexec_b64 s[0:1], vcc
	s_cbranch_execnz .LBB56_521
.LBB56_505:
	s_or_b64 exec, exec, s[0:1]
	v_cmp_gt_i32_e32 vcc, s12, v0
	s_and_saveexec_b64 s[0:1], vcc
	s_cbranch_execnz .LBB56_522
.LBB56_506:
	s_or_b64 exec, exec, s[0:1]
	v_cmp_gt_i32_e32 vcc, s12, v0
	s_and_saveexec_b64 s[0:1], vcc
	s_cbranch_execnz .LBB56_523
.LBB56_507:
	s_or_b64 exec, exec, s[0:1]
	v_cmp_gt_i32_e32 vcc, s12, v0
	s_and_saveexec_b64 s[0:1], vcc
	s_cbranch_execnz .LBB56_524
.LBB56_508:
	s_or_b64 exec, exec, s[0:1]
	v_cmp_gt_i32_e32 vcc, s12, v0
	s_and_saveexec_b64 s[0:1], vcc
	s_cbranch_execnz .LBB56_525
.LBB56_509:
	s_or_b64 exec, exec, s[0:1]
	v_cmp_gt_i32_e32 vcc, s12, v0
	s_and_saveexec_b64 s[0:1], vcc
	s_cbranch_execnz .LBB56_526
.LBB56_510:
	s_or_b64 exec, exec, s[0:1]
	v_cmp_gt_i32_e32 vcc, s12, v0
	s_and_saveexec_b64 s[0:1], vcc
	s_cbranch_execnz .LBB56_527
.LBB56_511:
	s_or_b64 exec, exec, s[0:1]
	v_cmp_gt_i32_e32 vcc, s12, v0
	s_and_saveexec_b64 s[0:1], vcc
	s_cbranch_execnz .LBB56_528
.LBB56_512:
	s_or_b64 exec, exec, s[0:1]
	v_cmp_gt_i32_e32 vcc, s12, v0
	s_and_saveexec_b64 s[0:1], vcc
	s_cbranch_execnz .LBB56_529
.LBB56_513:
	s_or_b64 exec, exec, s[0:1]
	v_cmp_gt_i32_e32 vcc, s12, v0
	s_and_saveexec_b64 s[0:1], vcc
	s_cbranch_execnz .LBB56_530
.LBB56_514:
	s_or_b64 exec, exec, s[0:1]
	v_cmp_gt_i32_e32 vcc, s12, v0
	s_and_saveexec_b64 s[0:1], vcc
	s_cbranch_execnz .LBB56_531
.LBB56_515:
	s_or_b64 exec, exec, s[0:1]
	v_cmp_gt_i32_e32 vcc, s12, v0
	s_and_saveexec_b64 s[0:1], vcc
	s_cbranch_execnz .LBB56_532
.LBB56_516:
	s_or_b64 exec, exec, s[0:1]
	v_cmp_gt_i32_e32 vcc, s12, v0
	s_and_saveexec_b64 s[0:1], vcc
	s_cbranch_execnz .LBB56_533
.LBB56_517:
	s_or_b64 exec, exec, s[0:1]
	v_cmp_gt_i32_e32 vcc, s12, v0
	s_and_saveexec_b64 s[0:1], vcc
	s_cbranch_execz .LBB56_519
.LBB56_518:
	v_add_u32_e32 v0, s2, v0
	global_store_byte v0, v6, s[8:9]
.LBB56_519:
	s_endpgm
.LBB56_520:
	v_add_u32_e32 v1, s2, v0
	v_add_u32_e32 v0, 0x100, v0
	global_store_byte v1, v63, s[8:9]
	s_or_b64 exec, exec, s[0:1]
	v_cmp_gt_i32_e32 vcc, s12, v0
	s_and_saveexec_b64 s[0:1], vcc
	s_cbranch_execz .LBB56_505
.LBB56_521:
	v_add_u32_e32 v1, s2, v0
	v_add_u32_e32 v0, 0x100, v0
	global_store_byte v1, v58, s[8:9]
	s_or_b64 exec, exec, s[0:1]
	v_cmp_gt_i32_e32 vcc, s12, v0
	s_and_saveexec_b64 s[0:1], vcc
	s_cbranch_execz .LBB56_506
.LBB56_522:
	v_add_u32_e32 v1, s2, v0
	v_add_u32_e32 v0, 0x100, v0
	global_store_byte v1, v54, s[8:9]
	s_or_b64 exec, exec, s[0:1]
	v_cmp_gt_i32_e32 vcc, s12, v0
	s_and_saveexec_b64 s[0:1], vcc
	s_cbranch_execz .LBB56_507
.LBB56_523:
	v_add_u32_e32 v1, s2, v0
	v_add_u32_e32 v0, 0x100, v0
	global_store_byte v1, v50, s[8:9]
	s_or_b64 exec, exec, s[0:1]
	v_cmp_gt_i32_e32 vcc, s12, v0
	s_and_saveexec_b64 s[0:1], vcc
	s_cbranch_execz .LBB56_508
.LBB56_524:
	v_add_u32_e32 v1, s2, v0
	v_add_u32_e32 v0, 0x100, v0
	global_store_byte v1, v46, s[8:9]
	s_or_b64 exec, exec, s[0:1]
	v_cmp_gt_i32_e32 vcc, s12, v0
	s_and_saveexec_b64 s[0:1], vcc
	s_cbranch_execz .LBB56_509
.LBB56_525:
	v_add_u32_e32 v1, s2, v0
	v_add_u32_e32 v0, 0x100, v0
	global_store_byte v1, v42, s[8:9]
	s_or_b64 exec, exec, s[0:1]
	v_cmp_gt_i32_e32 vcc, s12, v0
	s_and_saveexec_b64 s[0:1], vcc
	s_cbranch_execz .LBB56_510
.LBB56_526:
	v_add_u32_e32 v1, s2, v0
	v_add_u32_e32 v0, 0x100, v0
	global_store_byte v1, v38, s[8:9]
	s_or_b64 exec, exec, s[0:1]
	v_cmp_gt_i32_e32 vcc, s12, v0
	s_and_saveexec_b64 s[0:1], vcc
	s_cbranch_execz .LBB56_511
.LBB56_527:
	v_add_u32_e32 v1, s2, v0
	v_add_u32_e32 v0, 0x100, v0
	global_store_byte v1, v34, s[8:9]
	s_or_b64 exec, exec, s[0:1]
	v_cmp_gt_i32_e32 vcc, s12, v0
	s_and_saveexec_b64 s[0:1], vcc
	s_cbranch_execz .LBB56_512
.LBB56_528:
	v_add_u32_e32 v1, s2, v0
	v_add_u32_e32 v0, 0x100, v0
	global_store_byte v1, v30, s[8:9]
	s_or_b64 exec, exec, s[0:1]
	v_cmp_gt_i32_e32 vcc, s12, v0
	s_and_saveexec_b64 s[0:1], vcc
	s_cbranch_execz .LBB56_513
.LBB56_529:
	v_add_u32_e32 v1, s2, v0
	v_add_u32_e32 v0, 0x100, v0
	global_store_byte v1, v26, s[8:9]
	s_or_b64 exec, exec, s[0:1]
	v_cmp_gt_i32_e32 vcc, s12, v0
	s_and_saveexec_b64 s[0:1], vcc
	s_cbranch_execz .LBB56_514
.LBB56_530:
	v_add_u32_e32 v1, s2, v0
	v_add_u32_e32 v0, 0x100, v0
	global_store_byte v1, v22, s[8:9]
	s_or_b64 exec, exec, s[0:1]
	v_cmp_gt_i32_e32 vcc, s12, v0
	s_and_saveexec_b64 s[0:1], vcc
	s_cbranch_execz .LBB56_515
.LBB56_531:
	v_add_u32_e32 v1, s2, v0
	v_add_u32_e32 v0, 0x100, v0
	global_store_byte v1, v18, s[8:9]
	s_or_b64 exec, exec, s[0:1]
	v_cmp_gt_i32_e32 vcc, s12, v0
	s_and_saveexec_b64 s[0:1], vcc
	s_cbranch_execz .LBB56_516
.LBB56_532:
	v_add_u32_e32 v1, s2, v0
	v_add_u32_e32 v0, 0x100, v0
	global_store_byte v1, v14, s[8:9]
	s_or_b64 exec, exec, s[0:1]
	v_cmp_gt_i32_e32 vcc, s12, v0
	s_and_saveexec_b64 s[0:1], vcc
	s_cbranch_execz .LBB56_517
.LBB56_533:
	v_add_u32_e32 v1, s2, v0
	v_add_u32_e32 v0, 0x100, v0
	global_store_byte v1, v10, s[8:9]
	s_or_b64 exec, exec, s[0:1]
	v_cmp_gt_i32_e32 vcc, s12, v0
	s_and_saveexec_b64 s[0:1], vcc
	s_cbranch_execnz .LBB56_518
	s_branch .LBB56_519
.LBB56_534:
	s_waitcnt vmcnt(0)
	v_cmp_lt_i64_e32 vcc, v[2:3], v[4:5]
	s_andn2_b64 s[10:11], s[10:11], exec
	s_and_b64 s[14:15], vcc, exec
	s_or_b64 s[10:11], s[10:11], s[14:15]
	s_cbranch_execz .LBB56_499
	s_branch .LBB56_500
.LBB56_535:
	s_mov_b64 s[14:15], -1
                                        ; implicit-def: $sgpr10_sgpr11
	s_branch .LBB56_285
.LBB56_536:
	s_mov_b64 s[14:15], -1
                                        ; implicit-def: $sgpr10_sgpr11
	s_branch .LBB56_300
.LBB56_537:
	s_mov_b64 s[14:15], -1
                                        ; implicit-def: $sgpr10_sgpr11
	s_branch .LBB56_315
.LBB56_538:
	s_mov_b64 s[14:15], -1
                                        ; implicit-def: $sgpr10_sgpr11
	s_branch .LBB56_330
.LBB56_539:
	s_mov_b64 s[14:15], -1
                                        ; implicit-def: $sgpr10_sgpr11
	s_branch .LBB56_345
.LBB56_540:
	s_mov_b64 s[14:15], -1
                                        ; implicit-def: $sgpr10_sgpr11
	s_branch .LBB56_360
.LBB56_541:
	s_mov_b64 s[14:15], -1
                                        ; implicit-def: $sgpr10_sgpr11
	s_branch .LBB56_375
.LBB56_542:
	s_mov_b64 s[14:15], -1
                                        ; implicit-def: $sgpr10_sgpr11
	s_branch .LBB56_390
.LBB56_543:
	s_mov_b64 s[14:15], -1
                                        ; implicit-def: $sgpr10_sgpr11
	s_branch .LBB56_405
.LBB56_544:
	s_mov_b64 s[14:15], -1
                                        ; implicit-def: $sgpr10_sgpr11
	s_branch .LBB56_420
.LBB56_545:
	s_mov_b64 s[14:15], -1
                                        ; implicit-def: $sgpr10_sgpr11
	s_branch .LBB56_435
.LBB56_546:
	s_mov_b64 s[14:15], -1
                                        ; implicit-def: $sgpr10_sgpr11
	s_branch .LBB56_450
.LBB56_547:
	s_mov_b64 s[14:15], -1
                                        ; implicit-def: $sgpr10_sgpr11
	s_branch .LBB56_465
.LBB56_548:
	s_mov_b64 s[14:15], -1
                                        ; implicit-def: $sgpr10_sgpr11
	s_branch .LBB56_480
.LBB56_549:
	s_mov_b64 s[14:15], -1
                                        ; implicit-def: $sgpr10_sgpr11
	s_branch .LBB56_495
	.section	.rodata,"a",@progbits
	.p2align	6, 0x0
	.amdhsa_kernel _ZN2at6native29vectorized_elementwise_kernelILi16ENS0_12_GLOBAL__N_114CompareFunctorIlEESt5arrayIPcLm3EEEEviT0_T1_
		.amdhsa_group_segment_fixed_size 0
		.amdhsa_private_segment_fixed_size 0
		.amdhsa_kernarg_size 32
		.amdhsa_user_sgpr_count 6
		.amdhsa_user_sgpr_private_segment_buffer 1
		.amdhsa_user_sgpr_dispatch_ptr 0
		.amdhsa_user_sgpr_queue_ptr 0
		.amdhsa_user_sgpr_kernarg_segment_ptr 1
		.amdhsa_user_sgpr_dispatch_id 0
		.amdhsa_user_sgpr_flat_scratch_init 0
		.amdhsa_user_sgpr_private_segment_size 0
		.amdhsa_uses_dynamic_stack 0
		.amdhsa_system_sgpr_private_segment_wavefront_offset 0
		.amdhsa_system_sgpr_workgroup_id_x 1
		.amdhsa_system_sgpr_workgroup_id_y 0
		.amdhsa_system_sgpr_workgroup_id_z 0
		.amdhsa_system_sgpr_workgroup_info 0
		.amdhsa_system_vgpr_workitem_id 0
		.amdhsa_next_free_vgpr 70
		.amdhsa_next_free_sgpr 50
		.amdhsa_reserve_vcc 1
		.amdhsa_reserve_flat_scratch 0
		.amdhsa_float_round_mode_32 0
		.amdhsa_float_round_mode_16_64 0
		.amdhsa_float_denorm_mode_32 3
		.amdhsa_float_denorm_mode_16_64 3
		.amdhsa_dx10_clamp 1
		.amdhsa_ieee_mode 1
		.amdhsa_fp16_overflow 0
		.amdhsa_exception_fp_ieee_invalid_op 0
		.amdhsa_exception_fp_denorm_src 0
		.amdhsa_exception_fp_ieee_div_zero 0
		.amdhsa_exception_fp_ieee_overflow 0
		.amdhsa_exception_fp_ieee_underflow 0
		.amdhsa_exception_fp_ieee_inexact 0
		.amdhsa_exception_int_div_zero 0
	.end_amdhsa_kernel
	.section	.text._ZN2at6native29vectorized_elementwise_kernelILi16ENS0_12_GLOBAL__N_114CompareFunctorIlEESt5arrayIPcLm3EEEEviT0_T1_,"axG",@progbits,_ZN2at6native29vectorized_elementwise_kernelILi16ENS0_12_GLOBAL__N_114CompareFunctorIlEESt5arrayIPcLm3EEEEviT0_T1_,comdat
.Lfunc_end56:
	.size	_ZN2at6native29vectorized_elementwise_kernelILi16ENS0_12_GLOBAL__N_114CompareFunctorIlEESt5arrayIPcLm3EEEEviT0_T1_, .Lfunc_end56-_ZN2at6native29vectorized_elementwise_kernelILi16ENS0_12_GLOBAL__N_114CompareFunctorIlEESt5arrayIPcLm3EEEEviT0_T1_
                                        ; -- End function
	.set _ZN2at6native29vectorized_elementwise_kernelILi16ENS0_12_GLOBAL__N_114CompareFunctorIlEESt5arrayIPcLm3EEEEviT0_T1_.num_vgpr, 70
	.set _ZN2at6native29vectorized_elementwise_kernelILi16ENS0_12_GLOBAL__N_114CompareFunctorIlEESt5arrayIPcLm3EEEEviT0_T1_.num_agpr, 0
	.set _ZN2at6native29vectorized_elementwise_kernelILi16ENS0_12_GLOBAL__N_114CompareFunctorIlEESt5arrayIPcLm3EEEEviT0_T1_.numbered_sgpr, 50
	.set _ZN2at6native29vectorized_elementwise_kernelILi16ENS0_12_GLOBAL__N_114CompareFunctorIlEESt5arrayIPcLm3EEEEviT0_T1_.num_named_barrier, 0
	.set _ZN2at6native29vectorized_elementwise_kernelILi16ENS0_12_GLOBAL__N_114CompareFunctorIlEESt5arrayIPcLm3EEEEviT0_T1_.private_seg_size, 0
	.set _ZN2at6native29vectorized_elementwise_kernelILi16ENS0_12_GLOBAL__N_114CompareFunctorIlEESt5arrayIPcLm3EEEEviT0_T1_.uses_vcc, 1
	.set _ZN2at6native29vectorized_elementwise_kernelILi16ENS0_12_GLOBAL__N_114CompareFunctorIlEESt5arrayIPcLm3EEEEviT0_T1_.uses_flat_scratch, 0
	.set _ZN2at6native29vectorized_elementwise_kernelILi16ENS0_12_GLOBAL__N_114CompareFunctorIlEESt5arrayIPcLm3EEEEviT0_T1_.has_dyn_sized_stack, 0
	.set _ZN2at6native29vectorized_elementwise_kernelILi16ENS0_12_GLOBAL__N_114CompareFunctorIlEESt5arrayIPcLm3EEEEviT0_T1_.has_recursion, 0
	.set _ZN2at6native29vectorized_elementwise_kernelILi16ENS0_12_GLOBAL__N_114CompareFunctorIlEESt5arrayIPcLm3EEEEviT0_T1_.has_indirect_call, 0
	.section	.AMDGPU.csdata,"",@progbits
; Kernel info:
; codeLenInByte = 9076
; TotalNumSgprs: 54
; NumVgprs: 70
; ScratchSize: 0
; MemoryBound: 1
; FloatMode: 240
; IeeeMode: 1
; LDSByteSize: 0 bytes/workgroup (compile time only)
; SGPRBlocks: 6
; VGPRBlocks: 17
; NumSGPRsForWavesPerEU: 54
; NumVGPRsForWavesPerEU: 70
; Occupancy: 3
; WaveLimiterHint : 0
; COMPUTE_PGM_RSRC2:SCRATCH_EN: 0
; COMPUTE_PGM_RSRC2:USER_SGPR: 6
; COMPUTE_PGM_RSRC2:TRAP_HANDLER: 0
; COMPUTE_PGM_RSRC2:TGID_X_EN: 1
; COMPUTE_PGM_RSRC2:TGID_Y_EN: 0
; COMPUTE_PGM_RSRC2:TGID_Z_EN: 0
; COMPUTE_PGM_RSRC2:TIDIG_COMP_CNT: 0
	.section	.text._ZN2at6native29vectorized_elementwise_kernelILi8ENS0_12_GLOBAL__N_114CompareFunctorIlEESt5arrayIPcLm3EEEEviT0_T1_,"axG",@progbits,_ZN2at6native29vectorized_elementwise_kernelILi8ENS0_12_GLOBAL__N_114CompareFunctorIlEESt5arrayIPcLm3EEEEviT0_T1_,comdat
	.globl	_ZN2at6native29vectorized_elementwise_kernelILi8ENS0_12_GLOBAL__N_114CompareFunctorIlEESt5arrayIPcLm3EEEEviT0_T1_ ; -- Begin function _ZN2at6native29vectorized_elementwise_kernelILi8ENS0_12_GLOBAL__N_114CompareFunctorIlEESt5arrayIPcLm3EEEEviT0_T1_
	.p2align	8
	.type	_ZN2at6native29vectorized_elementwise_kernelILi8ENS0_12_GLOBAL__N_114CompareFunctorIlEESt5arrayIPcLm3EEEEviT0_T1_,@function
_ZN2at6native29vectorized_elementwise_kernelILi8ENS0_12_GLOBAL__N_114CompareFunctorIlEESt5arrayIPcLm3EEEEviT0_T1_: ; @_ZN2at6native29vectorized_elementwise_kernelILi8ENS0_12_GLOBAL__N_114CompareFunctorIlEESt5arrayIPcLm3EEEEviT0_T1_
; %bb.0:
	s_load_dwordx2 s[12:13], s[4:5], 0x0
	s_load_dwordx4 s[8:11], s[4:5], 0x8
	s_load_dwordx2 s[14:15], s[4:5], 0x18
	s_lshl_b32 s2, s6, 12
	s_mov_b64 s[0:1], -1
	s_waitcnt lgkmcnt(0)
	s_sub_i32 s12, s12, s2
	s_cmpk_gt_i32 s12, 0xfff
	s_cbranch_scc0 .LBB57_211
; %bb.1:
	s_ashr_i32 s3, s2, 31
	s_lshl_b64 s[0:1], s[2:3], 3
	s_add_u32 s4, s10, s0
	s_addc_u32 s5, s11, s1
	v_lshlrev_b32_e32 v7, 6, v0
	v_mov_b32_e32 v1, s5
	v_add_co_u32_e32 v2, vcc, s4, v7
	v_addc_co_u32_e32 v1, vcc, 0, v1, vcc
	global_load_dwordx4 v[33:36], v7, s[4:5] offset:48
	global_load_dwordx4 v[41:44], v7, s[4:5] offset:32
	;; [unrolled: 1-line block ×3, first 2 shown]
	global_load_dwordx4 v[57:60], v7, s[4:5]
	s_movk_i32 s4, 0x4000
	v_add_co_u32_e32 v5, vcc, s4, v2
	s_add_u32 s0, s14, s0
	v_addc_co_u32_e32 v6, vcc, 0, v1, vcc
	s_addc_u32 s1, s15, s1
	global_load_dwordx4 v[1:4], v[5:6], off offset:48
	global_load_dwordx4 v[9:12], v[5:6], off offset:32
	global_load_dwordx4 v[25:28], v[5:6], off
	global_load_dwordx4 v[17:20], v[5:6], off offset:16
	v_mov_b32_e32 v5, s1
	v_add_co_u32_e32 v6, vcc, s0, v7
	v_addc_co_u32_e32 v5, vcc, 0, v5, vcc
	v_add_co_u32_e32 v65, vcc, s4, v6
	v_addc_co_u32_e32 v66, vcc, 0, v5, vcc
	;; [unrolled: 2-line block ×3, first 2 shown]
	global_load_dwordx4 v[37:40], v7, s[0:1] offset:48
	global_load_dwordx4 v[45:48], v7, s[0:1] offset:32
	;; [unrolled: 1-line block ×3, first 2 shown]
	global_load_dwordx4 v[61:64], v7, s[0:1]
	global_load_dwordx4 v[29:32], v[67:68], off
	s_nop 0
	global_load_dwordx4 v[5:8], v[65:66], off offset:48
	global_load_dwordx4 v[13:16], v[65:66], off offset:32
	;; [unrolled: 1-line block ×3, first 2 shown]
	s_cmp_lt_i32 s13, 1
	s_mov_b64 s[4:5], 0
	s_cbranch_scc1 .LBB57_5
; %bb.2:
	s_cmp_gt_i32 s13, 1
	s_cbranch_scc0 .LBB57_6
; %bb.3:
	s_cmp_eq_u32 s13, 2
	s_cbranch_scc0 .LBB57_7
; %bb.4:
	s_waitcnt vmcnt(4)
	v_cmp_le_i64_e64 s[0:1], v[57:58], v[61:62]
	s_mov_b64 s[6:7], 0
	s_branch .LBB57_8
.LBB57_5:
                                        ; implicit-def: $sgpr0_sgpr1
	s_mov_b64 s[6:7], 0
	s_cbranch_execnz .LBB57_11
	s_branch .LBB57_12
.LBB57_6:
	s_mov_b64 s[6:7], 0
                                        ; implicit-def: $sgpr0_sgpr1
	s_cbranch_execnz .LBB57_9
	s_branch .LBB57_10
.LBB57_7:
	s_mov_b64 s[6:7], -1
                                        ; implicit-def: $sgpr0_sgpr1
.LBB57_8:
	s_branch .LBB57_10
.LBB57_9:
	s_waitcnt vmcnt(4)
	v_cmp_gt_i64_e32 vcc, v[57:58], v[61:62]
	s_andn2_b64 s[0:1], s[0:1], exec
	s_and_b64 s[16:17], vcc, exec
	s_or_b64 s[0:1], s[0:1], s[16:17]
.LBB57_10:
	s_branch .LBB57_12
.LBB57_11:
	s_cmp_lg_u32 s13, 0
	s_mov_b64 s[4:5], -1
	s_cselect_b64 s[6:7], -1, 0
.LBB57_12:
	s_andn2_b64 vcc, exec, s[6:7]
	s_cbranch_vccz .LBB57_18
; %bb.13:
	s_andn2_b64 vcc, exec, s[4:5]
	s_cbranch_vccz .LBB57_19
.LBB57_14:
	s_cmp_lt_i32 s13, 1
	s_mov_b64 s[6:7], 0
	s_cbranch_scc1 .LBB57_20
.LBB57_15:
	s_cmp_gt_i32 s13, 1
	s_cbranch_scc0 .LBB57_21
; %bb.16:
	s_cmp_eq_u32 s13, 2
	s_cbranch_scc0 .LBB57_251
; %bb.17:
	s_waitcnt vmcnt(4)
	v_cmp_le_i64_e64 s[4:5], v[59:60], v[63:64]
	s_mov_b64 s[16:17], 0
	s_branch .LBB57_23
.LBB57_18:
	s_waitcnt vmcnt(4)
	v_cmp_lt_i64_e32 vcc, v[57:58], v[61:62]
	s_andn2_b64 s[0:1], s[0:1], exec
	s_and_b64 s[6:7], vcc, exec
	s_or_b64 s[0:1], s[0:1], s[6:7]
	s_cbranch_execnz .LBB57_14
.LBB57_19:
	s_waitcnt vmcnt(4)
	v_cmp_ge_i64_e32 vcc, v[57:58], v[61:62]
	s_andn2_b64 s[0:1], s[0:1], exec
	s_and_b64 s[4:5], vcc, exec
	s_or_b64 s[0:1], s[0:1], s[4:5]
	s_cmp_lt_i32 s13, 1
	s_mov_b64 s[6:7], 0
	s_cbranch_scc0 .LBB57_15
.LBB57_20:
                                        ; implicit-def: $sgpr4_sgpr5
	s_mov_b64 s[16:17], 0
	s_cbranch_execnz .LBB57_24
	s_branch .LBB57_25
.LBB57_21:
	s_mov_b64 s[16:17], 0
                                        ; implicit-def: $sgpr4_sgpr5
	s_cbranch_execz .LBB57_23
; %bb.22:
	s_waitcnt vmcnt(4)
	v_cmp_gt_i64_e32 vcc, v[59:60], v[63:64]
	s_andn2_b64 s[4:5], s[4:5], exec
	s_and_b64 s[18:19], vcc, exec
	s_or_b64 s[4:5], s[4:5], s[18:19]
.LBB57_23:
	s_branch .LBB57_25
.LBB57_24:
	s_cmp_lg_u32 s13, 0
	s_mov_b64 s[6:7], -1
	s_cselect_b64 s[16:17], -1, 0
.LBB57_25:
	s_andn2_b64 vcc, exec, s[16:17]
	s_cbranch_vccz .LBB57_31
; %bb.26:
	s_andn2_b64 vcc, exec, s[6:7]
	s_cbranch_vccz .LBB57_32
.LBB57_27:
	s_cmp_lt_i32 s13, 1
	s_mov_b64 s[16:17], 0
	s_cbranch_scc1 .LBB57_33
.LBB57_28:
	s_cmp_gt_i32 s13, 1
	s_cbranch_scc0 .LBB57_34
; %bb.29:
	s_cmp_eq_u32 s13, 2
	s_cbranch_scc0 .LBB57_252
; %bb.30:
	s_waitcnt vmcnt(5)
	v_cmp_le_i64_e64 s[6:7], v[49:50], v[53:54]
	s_mov_b64 s[18:19], 0
	s_branch .LBB57_36
.LBB57_31:
	s_waitcnt vmcnt(4)
	v_cmp_lt_i64_e32 vcc, v[59:60], v[63:64]
	s_andn2_b64 s[4:5], s[4:5], exec
	s_and_b64 s[16:17], vcc, exec
	s_or_b64 s[4:5], s[4:5], s[16:17]
	s_cbranch_execnz .LBB57_27
.LBB57_32:
	s_waitcnt vmcnt(4)
	v_cmp_ge_i64_e32 vcc, v[59:60], v[63:64]
	s_andn2_b64 s[4:5], s[4:5], exec
	s_and_b64 s[6:7], vcc, exec
	s_or_b64 s[4:5], s[4:5], s[6:7]
	s_cmp_lt_i32 s13, 1
	s_mov_b64 s[16:17], 0
	s_cbranch_scc0 .LBB57_28
.LBB57_33:
                                        ; implicit-def: $sgpr6_sgpr7
	s_mov_b64 s[18:19], 0
	s_cbranch_execnz .LBB57_37
	s_branch .LBB57_38
.LBB57_34:
	s_mov_b64 s[18:19], 0
                                        ; implicit-def: $sgpr6_sgpr7
	s_cbranch_execz .LBB57_36
; %bb.35:
	s_waitcnt vmcnt(5)
	v_cmp_gt_i64_e32 vcc, v[49:50], v[53:54]
	s_andn2_b64 s[6:7], s[6:7], exec
	s_and_b64 s[20:21], vcc, exec
	s_or_b64 s[6:7], s[6:7], s[20:21]
.LBB57_36:
	s_branch .LBB57_38
.LBB57_37:
	s_cmp_lg_u32 s13, 0
	s_mov_b64 s[16:17], -1
	s_cselect_b64 s[18:19], -1, 0
.LBB57_38:
	s_andn2_b64 vcc, exec, s[18:19]
	s_cbranch_vccz .LBB57_44
; %bb.39:
	s_andn2_b64 vcc, exec, s[16:17]
	s_cbranch_vccz .LBB57_45
.LBB57_40:
	s_cmp_lt_i32 s13, 1
	s_mov_b64 s[18:19], 0
	s_cbranch_scc1 .LBB57_46
.LBB57_41:
	s_cmp_gt_i32 s13, 1
	s_cbranch_scc0 .LBB57_47
; %bb.42:
	s_cmp_eq_u32 s13, 2
	s_cbranch_scc0 .LBB57_253
; %bb.43:
	s_waitcnt vmcnt(5)
	v_cmp_le_i64_e64 s[16:17], v[51:52], v[55:56]
	s_mov_b64 s[20:21], 0
	s_branch .LBB57_49
.LBB57_44:
	s_waitcnt vmcnt(5)
	v_cmp_lt_i64_e32 vcc, v[49:50], v[53:54]
	s_andn2_b64 s[6:7], s[6:7], exec
	s_and_b64 s[18:19], vcc, exec
	s_or_b64 s[6:7], s[6:7], s[18:19]
	s_cbranch_execnz .LBB57_40
.LBB57_45:
	s_waitcnt vmcnt(5)
	v_cmp_ge_i64_e32 vcc, v[49:50], v[53:54]
	s_andn2_b64 s[6:7], s[6:7], exec
	s_and_b64 s[16:17], vcc, exec
	s_or_b64 s[6:7], s[6:7], s[16:17]
	s_cmp_lt_i32 s13, 1
	s_mov_b64 s[18:19], 0
	s_cbranch_scc0 .LBB57_41
.LBB57_46:
                                        ; implicit-def: $sgpr16_sgpr17
	s_mov_b64 s[20:21], 0
	s_cbranch_execnz .LBB57_50
	s_branch .LBB57_51
.LBB57_47:
	s_mov_b64 s[20:21], 0
                                        ; implicit-def: $sgpr16_sgpr17
	s_cbranch_execz .LBB57_49
; %bb.48:
	s_waitcnt vmcnt(5)
	v_cmp_gt_i64_e32 vcc, v[51:52], v[55:56]
	s_andn2_b64 s[16:17], s[16:17], exec
	s_and_b64 s[22:23], vcc, exec
	s_or_b64 s[16:17], s[16:17], s[22:23]
.LBB57_49:
	s_branch .LBB57_51
.LBB57_50:
	s_cmp_lg_u32 s13, 0
	s_mov_b64 s[18:19], -1
	s_cselect_b64 s[20:21], -1, 0
.LBB57_51:
	s_andn2_b64 vcc, exec, s[20:21]
	s_cbranch_vccz .LBB57_57
; %bb.52:
	s_andn2_b64 vcc, exec, s[18:19]
	s_cbranch_vccz .LBB57_58
.LBB57_53:
	s_cmp_lt_i32 s13, 1
	s_mov_b64 s[20:21], 0
	s_cbranch_scc1 .LBB57_59
.LBB57_54:
	s_cmp_gt_i32 s13, 1
	s_cbranch_scc0 .LBB57_60
; %bb.55:
	s_cmp_eq_u32 s13, 2
	s_cbranch_scc0 .LBB57_254
; %bb.56:
	s_waitcnt vmcnt(6)
	v_cmp_le_i64_e64 s[18:19], v[41:42], v[45:46]
	s_mov_b64 s[22:23], 0
	s_branch .LBB57_62
.LBB57_57:
	s_waitcnt vmcnt(5)
	v_cmp_lt_i64_e32 vcc, v[51:52], v[55:56]
	s_andn2_b64 s[16:17], s[16:17], exec
	s_and_b64 s[20:21], vcc, exec
	s_or_b64 s[16:17], s[16:17], s[20:21]
	s_cbranch_execnz .LBB57_53
.LBB57_58:
	s_waitcnt vmcnt(5)
	v_cmp_ge_i64_e32 vcc, v[51:52], v[55:56]
	s_andn2_b64 s[16:17], s[16:17], exec
	s_and_b64 s[18:19], vcc, exec
	s_or_b64 s[16:17], s[16:17], s[18:19]
	s_cmp_lt_i32 s13, 1
	s_mov_b64 s[20:21], 0
	s_cbranch_scc0 .LBB57_54
.LBB57_59:
                                        ; implicit-def: $sgpr18_sgpr19
	s_mov_b64 s[22:23], 0
	s_cbranch_execnz .LBB57_63
	s_branch .LBB57_64
.LBB57_60:
	s_mov_b64 s[22:23], 0
                                        ; implicit-def: $sgpr18_sgpr19
	s_cbranch_execz .LBB57_62
; %bb.61:
	s_waitcnt vmcnt(6)
	v_cmp_gt_i64_e32 vcc, v[41:42], v[45:46]
	s_andn2_b64 s[18:19], s[18:19], exec
	s_and_b64 s[24:25], vcc, exec
	s_or_b64 s[18:19], s[18:19], s[24:25]
.LBB57_62:
	s_branch .LBB57_64
.LBB57_63:
	s_cmp_lg_u32 s13, 0
	s_mov_b64 s[20:21], -1
	s_cselect_b64 s[22:23], -1, 0
.LBB57_64:
	s_andn2_b64 vcc, exec, s[22:23]
	s_cbranch_vccz .LBB57_70
; %bb.65:
	s_andn2_b64 vcc, exec, s[20:21]
	s_cbranch_vccz .LBB57_71
.LBB57_66:
	s_cmp_lt_i32 s13, 1
	s_mov_b64 s[22:23], 0
	s_cbranch_scc1 .LBB57_72
.LBB57_67:
	s_cmp_gt_i32 s13, 1
	s_cbranch_scc0 .LBB57_73
; %bb.68:
	s_cmp_eq_u32 s13, 2
	s_cbranch_scc0 .LBB57_255
; %bb.69:
	s_waitcnt vmcnt(6)
	v_cmp_le_i64_e64 s[20:21], v[43:44], v[47:48]
	s_mov_b64 s[24:25], 0
	s_branch .LBB57_75
.LBB57_70:
	s_waitcnt vmcnt(6)
	v_cmp_lt_i64_e32 vcc, v[41:42], v[45:46]
	s_andn2_b64 s[18:19], s[18:19], exec
	s_and_b64 s[22:23], vcc, exec
	s_or_b64 s[18:19], s[18:19], s[22:23]
	s_cbranch_execnz .LBB57_66
.LBB57_71:
	s_waitcnt vmcnt(6)
	v_cmp_ge_i64_e32 vcc, v[41:42], v[45:46]
	s_andn2_b64 s[18:19], s[18:19], exec
	s_and_b64 s[20:21], vcc, exec
	s_or_b64 s[18:19], s[18:19], s[20:21]
	s_cmp_lt_i32 s13, 1
	s_mov_b64 s[22:23], 0
	s_cbranch_scc0 .LBB57_67
.LBB57_72:
                                        ; implicit-def: $sgpr20_sgpr21
	s_mov_b64 s[24:25], 0
	s_cbranch_execnz .LBB57_76
	s_branch .LBB57_77
.LBB57_73:
	s_mov_b64 s[24:25], 0
                                        ; implicit-def: $sgpr20_sgpr21
	s_cbranch_execz .LBB57_75
; %bb.74:
	s_waitcnt vmcnt(6)
	v_cmp_gt_i64_e32 vcc, v[43:44], v[47:48]
	s_andn2_b64 s[20:21], s[20:21], exec
	s_and_b64 s[26:27], vcc, exec
	s_or_b64 s[20:21], s[20:21], s[26:27]
.LBB57_75:
	s_branch .LBB57_77
.LBB57_76:
	s_cmp_lg_u32 s13, 0
	s_mov_b64 s[22:23], -1
	s_cselect_b64 s[24:25], -1, 0
.LBB57_77:
	s_andn2_b64 vcc, exec, s[24:25]
	s_cbranch_vccz .LBB57_83
; %bb.78:
	s_andn2_b64 vcc, exec, s[22:23]
	s_cbranch_vccz .LBB57_84
.LBB57_79:
	s_cmp_lt_i32 s13, 1
	s_mov_b64 s[24:25], 0
	s_cbranch_scc1 .LBB57_85
.LBB57_80:
	s_cmp_gt_i32 s13, 1
	s_cbranch_scc0 .LBB57_86
; %bb.81:
	s_cmp_eq_u32 s13, 2
	s_cbranch_scc0 .LBB57_256
; %bb.82:
	s_waitcnt vmcnt(7)
	v_cmp_le_i64_e64 s[22:23], v[33:34], v[37:38]
	s_mov_b64 s[26:27], 0
	s_branch .LBB57_88
.LBB57_83:
	s_waitcnt vmcnt(6)
	v_cmp_lt_i64_e32 vcc, v[43:44], v[47:48]
	s_andn2_b64 s[20:21], s[20:21], exec
	s_and_b64 s[24:25], vcc, exec
	s_or_b64 s[20:21], s[20:21], s[24:25]
	s_cbranch_execnz .LBB57_79
.LBB57_84:
	s_waitcnt vmcnt(6)
	v_cmp_ge_i64_e32 vcc, v[43:44], v[47:48]
	s_andn2_b64 s[20:21], s[20:21], exec
	s_and_b64 s[22:23], vcc, exec
	s_or_b64 s[20:21], s[20:21], s[22:23]
	s_cmp_lt_i32 s13, 1
	s_mov_b64 s[24:25], 0
	s_cbranch_scc0 .LBB57_80
.LBB57_85:
                                        ; implicit-def: $sgpr22_sgpr23
	s_mov_b64 s[26:27], 0
	s_cbranch_execnz .LBB57_89
	s_branch .LBB57_90
.LBB57_86:
	s_mov_b64 s[26:27], 0
                                        ; implicit-def: $sgpr22_sgpr23
	s_cbranch_execz .LBB57_88
; %bb.87:
	s_waitcnt vmcnt(7)
	v_cmp_gt_i64_e32 vcc, v[33:34], v[37:38]
	s_andn2_b64 s[22:23], s[22:23], exec
	s_and_b64 s[28:29], vcc, exec
	s_or_b64 s[22:23], s[22:23], s[28:29]
.LBB57_88:
	s_branch .LBB57_90
.LBB57_89:
	s_cmp_lg_u32 s13, 0
	s_mov_b64 s[24:25], -1
	s_cselect_b64 s[26:27], -1, 0
.LBB57_90:
	s_andn2_b64 vcc, exec, s[26:27]
	s_cbranch_vccz .LBB57_96
; %bb.91:
	s_andn2_b64 vcc, exec, s[24:25]
	s_cbranch_vccz .LBB57_97
.LBB57_92:
	s_cmp_lt_i32 s13, 1
	s_mov_b64 s[26:27], 0
	s_cbranch_scc1 .LBB57_98
.LBB57_93:
	s_cmp_gt_i32 s13, 1
	s_cbranch_scc0 .LBB57_99
; %bb.94:
	s_cmp_eq_u32 s13, 2
	s_cbranch_scc0 .LBB57_257
; %bb.95:
	s_waitcnt vmcnt(7)
	v_cmp_le_i64_e64 s[24:25], v[35:36], v[39:40]
	s_mov_b64 s[28:29], 0
	s_branch .LBB57_101
.LBB57_96:
	s_waitcnt vmcnt(7)
	v_cmp_lt_i64_e32 vcc, v[33:34], v[37:38]
	s_andn2_b64 s[22:23], s[22:23], exec
	s_and_b64 s[26:27], vcc, exec
	s_or_b64 s[22:23], s[22:23], s[26:27]
	s_cbranch_execnz .LBB57_92
.LBB57_97:
	s_waitcnt vmcnt(7)
	v_cmp_ge_i64_e32 vcc, v[33:34], v[37:38]
	s_andn2_b64 s[22:23], s[22:23], exec
	s_and_b64 s[24:25], vcc, exec
	s_or_b64 s[22:23], s[22:23], s[24:25]
	s_cmp_lt_i32 s13, 1
	s_mov_b64 s[26:27], 0
	s_cbranch_scc0 .LBB57_93
.LBB57_98:
                                        ; implicit-def: $sgpr24_sgpr25
	s_mov_b64 s[28:29], 0
	s_cbranch_execnz .LBB57_102
	s_branch .LBB57_103
.LBB57_99:
	s_mov_b64 s[28:29], 0
                                        ; implicit-def: $sgpr24_sgpr25
	s_cbranch_execz .LBB57_101
; %bb.100:
	s_waitcnt vmcnt(7)
	v_cmp_gt_i64_e32 vcc, v[35:36], v[39:40]
	s_andn2_b64 s[24:25], s[24:25], exec
	s_and_b64 s[30:31], vcc, exec
	s_or_b64 s[24:25], s[24:25], s[30:31]
.LBB57_101:
	s_branch .LBB57_103
.LBB57_102:
	s_cmp_lg_u32 s13, 0
	s_mov_b64 s[26:27], -1
	s_cselect_b64 s[28:29], -1, 0
.LBB57_103:
	s_andn2_b64 vcc, exec, s[28:29]
	s_cbranch_vccz .LBB57_109
; %bb.104:
	s_andn2_b64 vcc, exec, s[26:27]
	s_cbranch_vccz .LBB57_110
.LBB57_105:
	s_cmp_lt_i32 s13, 1
	s_mov_b64 s[28:29], 0
	s_cbranch_scc1 .LBB57_111
.LBB57_106:
	s_cmp_gt_i32 s13, 1
	s_cbranch_scc0 .LBB57_112
; %bb.107:
	s_cmp_eq_u32 s13, 2
	s_cbranch_scc0 .LBB57_258
; %bb.108:
	s_waitcnt vmcnt(3)
	v_cmp_le_i64_e64 s[26:27], v[25:26], v[29:30]
	s_mov_b64 s[30:31], 0
	s_branch .LBB57_114
.LBB57_109:
	s_waitcnt vmcnt(7)
	v_cmp_lt_i64_e32 vcc, v[35:36], v[39:40]
	s_andn2_b64 s[24:25], s[24:25], exec
	s_and_b64 s[28:29], vcc, exec
	s_or_b64 s[24:25], s[24:25], s[28:29]
	s_cbranch_execnz .LBB57_105
.LBB57_110:
	s_waitcnt vmcnt(7)
	v_cmp_ge_i64_e32 vcc, v[35:36], v[39:40]
	s_andn2_b64 s[24:25], s[24:25], exec
	s_and_b64 s[26:27], vcc, exec
	s_or_b64 s[24:25], s[24:25], s[26:27]
	s_cmp_lt_i32 s13, 1
	s_mov_b64 s[28:29], 0
	s_cbranch_scc0 .LBB57_106
.LBB57_111:
                                        ; implicit-def: $sgpr26_sgpr27
	s_mov_b64 s[30:31], 0
	s_cbranch_execnz .LBB57_115
	s_branch .LBB57_116
.LBB57_112:
	s_mov_b64 s[30:31], 0
                                        ; implicit-def: $sgpr26_sgpr27
	s_cbranch_execz .LBB57_114
; %bb.113:
	s_waitcnt vmcnt(3)
	v_cmp_gt_i64_e32 vcc, v[25:26], v[29:30]
	s_andn2_b64 s[26:27], s[26:27], exec
	s_and_b64 s[34:35], vcc, exec
	s_or_b64 s[26:27], s[26:27], s[34:35]
.LBB57_114:
	s_branch .LBB57_116
.LBB57_115:
	s_cmp_lg_u32 s13, 0
	s_mov_b64 s[28:29], -1
	s_cselect_b64 s[30:31], -1, 0
.LBB57_116:
	s_andn2_b64 vcc, exec, s[30:31]
	s_cbranch_vccz .LBB57_122
; %bb.117:
	s_andn2_b64 vcc, exec, s[28:29]
	s_cbranch_vccz .LBB57_123
.LBB57_118:
	s_cmp_lt_i32 s13, 1
	s_mov_b64 s[30:31], 0
	s_cbranch_scc1 .LBB57_124
.LBB57_119:
	s_cmp_gt_i32 s13, 1
	s_cbranch_scc0 .LBB57_125
; %bb.120:
	s_cmp_eq_u32 s13, 2
	s_cbranch_scc0 .LBB57_259
; %bb.121:
	s_waitcnt vmcnt(3)
	v_cmp_le_i64_e64 s[28:29], v[27:28], v[31:32]
	s_mov_b64 s[34:35], 0
	s_branch .LBB57_127
.LBB57_122:
	s_waitcnt vmcnt(3)
	v_cmp_lt_i64_e32 vcc, v[25:26], v[29:30]
	s_andn2_b64 s[26:27], s[26:27], exec
	s_and_b64 s[30:31], vcc, exec
	s_or_b64 s[26:27], s[26:27], s[30:31]
	s_cbranch_execnz .LBB57_118
.LBB57_123:
	s_waitcnt vmcnt(3)
	v_cmp_ge_i64_e32 vcc, v[25:26], v[29:30]
	s_andn2_b64 s[26:27], s[26:27], exec
	s_and_b64 s[28:29], vcc, exec
	s_or_b64 s[26:27], s[26:27], s[28:29]
	s_cmp_lt_i32 s13, 1
	s_mov_b64 s[30:31], 0
	s_cbranch_scc0 .LBB57_119
.LBB57_124:
                                        ; implicit-def: $sgpr28_sgpr29
	s_mov_b64 s[34:35], 0
	s_cbranch_execnz .LBB57_128
	s_branch .LBB57_129
.LBB57_125:
	s_mov_b64 s[34:35], 0
                                        ; implicit-def: $sgpr28_sgpr29
	s_cbranch_execz .LBB57_127
; %bb.126:
	s_waitcnt vmcnt(3)
	v_cmp_gt_i64_e32 vcc, v[27:28], v[31:32]
	s_andn2_b64 s[28:29], s[28:29], exec
	s_and_b64 s[36:37], vcc, exec
	s_or_b64 s[28:29], s[28:29], s[36:37]
.LBB57_127:
	s_branch .LBB57_129
.LBB57_128:
	s_cmp_lg_u32 s13, 0
	s_mov_b64 s[30:31], -1
	s_cselect_b64 s[34:35], -1, 0
.LBB57_129:
	s_andn2_b64 vcc, exec, s[34:35]
	s_cbranch_vccz .LBB57_135
; %bb.130:
	s_andn2_b64 vcc, exec, s[30:31]
	s_cbranch_vccz .LBB57_136
.LBB57_131:
	s_cmp_lt_i32 s13, 1
	s_mov_b64 s[34:35], 0
	s_cbranch_scc1 .LBB57_137
.LBB57_132:
	s_cmp_gt_i32 s13, 1
	s_cbranch_scc0 .LBB57_138
; %bb.133:
	s_cmp_eq_u32 s13, 2
	s_cbranch_scc0 .LBB57_260
; %bb.134:
	s_waitcnt vmcnt(0)
	v_cmp_le_i64_e64 s[30:31], v[17:18], v[21:22]
	s_mov_b64 s[36:37], 0
	s_branch .LBB57_140
.LBB57_135:
	s_waitcnt vmcnt(3)
	v_cmp_lt_i64_e32 vcc, v[27:28], v[31:32]
	s_andn2_b64 s[28:29], s[28:29], exec
	s_and_b64 s[34:35], vcc, exec
	s_or_b64 s[28:29], s[28:29], s[34:35]
	s_cbranch_execnz .LBB57_131
.LBB57_136:
	s_waitcnt vmcnt(3)
	v_cmp_ge_i64_e32 vcc, v[27:28], v[31:32]
	s_andn2_b64 s[28:29], s[28:29], exec
	s_and_b64 s[30:31], vcc, exec
	s_or_b64 s[28:29], s[28:29], s[30:31]
	s_cmp_lt_i32 s13, 1
	s_mov_b64 s[34:35], 0
	s_cbranch_scc0 .LBB57_132
.LBB57_137:
                                        ; implicit-def: $sgpr30_sgpr31
	s_mov_b64 s[36:37], 0
	s_cbranch_execnz .LBB57_141
	s_branch .LBB57_142
.LBB57_138:
	s_mov_b64 s[36:37], 0
                                        ; implicit-def: $sgpr30_sgpr31
	s_cbranch_execz .LBB57_140
; %bb.139:
	s_waitcnt vmcnt(0)
	v_cmp_gt_i64_e32 vcc, v[17:18], v[21:22]
	s_andn2_b64 s[30:31], s[30:31], exec
	s_and_b64 s[38:39], vcc, exec
	s_or_b64 s[30:31], s[30:31], s[38:39]
.LBB57_140:
	s_branch .LBB57_142
.LBB57_141:
	s_cmp_lg_u32 s13, 0
	s_mov_b64 s[34:35], -1
	s_cselect_b64 s[36:37], -1, 0
.LBB57_142:
	s_andn2_b64 vcc, exec, s[36:37]
	s_cbranch_vccz .LBB57_148
; %bb.143:
	s_andn2_b64 vcc, exec, s[34:35]
	s_cbranch_vccz .LBB57_149
.LBB57_144:
	s_cmp_lt_i32 s13, 1
	s_mov_b64 s[36:37], 0
	s_cbranch_scc1 .LBB57_150
.LBB57_145:
	s_cmp_gt_i32 s13, 1
	s_cbranch_scc0 .LBB57_151
; %bb.146:
	s_cmp_eq_u32 s13, 2
	s_cbranch_scc0 .LBB57_261
; %bb.147:
	s_waitcnt vmcnt(0)
	v_cmp_le_i64_e64 s[34:35], v[19:20], v[23:24]
	s_mov_b64 s[38:39], 0
	s_branch .LBB57_153
.LBB57_148:
	s_waitcnt vmcnt(0)
	v_cmp_lt_i64_e32 vcc, v[17:18], v[21:22]
	s_andn2_b64 s[30:31], s[30:31], exec
	s_and_b64 s[36:37], vcc, exec
	s_or_b64 s[30:31], s[30:31], s[36:37]
	s_cbranch_execnz .LBB57_144
.LBB57_149:
	s_waitcnt vmcnt(0)
	v_cmp_ge_i64_e32 vcc, v[17:18], v[21:22]
	s_andn2_b64 s[30:31], s[30:31], exec
	s_and_b64 s[34:35], vcc, exec
	s_or_b64 s[30:31], s[30:31], s[34:35]
	s_cmp_lt_i32 s13, 1
	s_mov_b64 s[36:37], 0
	s_cbranch_scc0 .LBB57_145
.LBB57_150:
                                        ; implicit-def: $sgpr34_sgpr35
	s_mov_b64 s[38:39], 0
	s_cbranch_execnz .LBB57_154
	s_branch .LBB57_155
.LBB57_151:
	s_mov_b64 s[38:39], 0
                                        ; implicit-def: $sgpr34_sgpr35
	s_cbranch_execz .LBB57_153
; %bb.152:
	s_waitcnt vmcnt(0)
	v_cmp_gt_i64_e32 vcc, v[19:20], v[23:24]
	s_andn2_b64 s[34:35], s[34:35], exec
	s_and_b64 s[40:41], vcc, exec
	s_or_b64 s[34:35], s[34:35], s[40:41]
.LBB57_153:
	s_branch .LBB57_155
.LBB57_154:
	s_cmp_lg_u32 s13, 0
	s_mov_b64 s[36:37], -1
	s_cselect_b64 s[38:39], -1, 0
.LBB57_155:
	s_andn2_b64 vcc, exec, s[38:39]
	s_cbranch_vccz .LBB57_161
; %bb.156:
	s_andn2_b64 vcc, exec, s[36:37]
	s_cbranch_vccz .LBB57_162
.LBB57_157:
	s_cmp_lt_i32 s13, 1
	s_mov_b64 s[38:39], 0
	s_cbranch_scc1 .LBB57_163
.LBB57_158:
	s_cmp_gt_i32 s13, 1
	s_cbranch_scc0 .LBB57_164
; %bb.159:
	s_cmp_eq_u32 s13, 2
	s_cbranch_scc0 .LBB57_262
; %bb.160:
	s_waitcnt vmcnt(1)
	v_cmp_le_i64_e64 s[36:37], v[9:10], v[13:14]
	s_mov_b64 s[40:41], 0
	s_branch .LBB57_166
.LBB57_161:
	s_waitcnt vmcnt(0)
	v_cmp_lt_i64_e32 vcc, v[19:20], v[23:24]
	s_andn2_b64 s[34:35], s[34:35], exec
	s_and_b64 s[38:39], vcc, exec
	s_or_b64 s[34:35], s[34:35], s[38:39]
	s_cbranch_execnz .LBB57_157
.LBB57_162:
	s_waitcnt vmcnt(0)
	v_cmp_ge_i64_e32 vcc, v[19:20], v[23:24]
	s_andn2_b64 s[34:35], s[34:35], exec
	s_and_b64 s[36:37], vcc, exec
	s_or_b64 s[34:35], s[34:35], s[36:37]
	s_cmp_lt_i32 s13, 1
	s_mov_b64 s[38:39], 0
	s_cbranch_scc0 .LBB57_158
.LBB57_163:
                                        ; implicit-def: $sgpr36_sgpr37
	s_mov_b64 s[40:41], 0
	s_cbranch_execnz .LBB57_167
	s_branch .LBB57_168
.LBB57_164:
	s_mov_b64 s[40:41], 0
                                        ; implicit-def: $sgpr36_sgpr37
	s_cbranch_execz .LBB57_166
; %bb.165:
	s_waitcnt vmcnt(1)
	v_cmp_gt_i64_e32 vcc, v[9:10], v[13:14]
	s_andn2_b64 s[36:37], s[36:37], exec
	s_and_b64 s[42:43], vcc, exec
	s_or_b64 s[36:37], s[36:37], s[42:43]
.LBB57_166:
	s_branch .LBB57_168
.LBB57_167:
	s_cmp_lg_u32 s13, 0
	s_mov_b64 s[38:39], -1
	s_cselect_b64 s[40:41], -1, 0
.LBB57_168:
	s_andn2_b64 vcc, exec, s[40:41]
	s_cbranch_vccz .LBB57_174
; %bb.169:
	s_andn2_b64 vcc, exec, s[38:39]
	s_cbranch_vccz .LBB57_175
.LBB57_170:
	s_cmp_lt_i32 s13, 1
	s_mov_b64 s[40:41], 0
	s_cbranch_scc1 .LBB57_176
.LBB57_171:
	s_cmp_gt_i32 s13, 1
	s_cbranch_scc0 .LBB57_177
; %bb.172:
	s_cmp_eq_u32 s13, 2
	s_cbranch_scc0 .LBB57_263
; %bb.173:
	s_waitcnt vmcnt(1)
	v_cmp_le_i64_e64 s[38:39], v[11:12], v[15:16]
	s_mov_b64 s[42:43], 0
	s_branch .LBB57_179
.LBB57_174:
	s_waitcnt vmcnt(1)
	v_cmp_lt_i64_e32 vcc, v[9:10], v[13:14]
	s_andn2_b64 s[36:37], s[36:37], exec
	s_and_b64 s[40:41], vcc, exec
	s_or_b64 s[36:37], s[36:37], s[40:41]
	s_cbranch_execnz .LBB57_170
.LBB57_175:
	s_waitcnt vmcnt(1)
	v_cmp_ge_i64_e32 vcc, v[9:10], v[13:14]
	s_andn2_b64 s[36:37], s[36:37], exec
	s_and_b64 s[38:39], vcc, exec
	s_or_b64 s[36:37], s[36:37], s[38:39]
	s_cmp_lt_i32 s13, 1
	s_mov_b64 s[40:41], 0
	s_cbranch_scc0 .LBB57_171
.LBB57_176:
                                        ; implicit-def: $sgpr38_sgpr39
	s_mov_b64 s[42:43], 0
	s_cbranch_execnz .LBB57_180
	s_branch .LBB57_181
.LBB57_177:
	s_mov_b64 s[42:43], 0
                                        ; implicit-def: $sgpr38_sgpr39
	s_cbranch_execz .LBB57_179
; %bb.178:
	s_waitcnt vmcnt(1)
	v_cmp_gt_i64_e32 vcc, v[11:12], v[15:16]
	s_andn2_b64 s[38:39], s[38:39], exec
	s_and_b64 s[44:45], vcc, exec
	s_or_b64 s[38:39], s[38:39], s[44:45]
.LBB57_179:
	s_branch .LBB57_181
.LBB57_180:
	s_cmp_lg_u32 s13, 0
	s_mov_b64 s[40:41], -1
	s_cselect_b64 s[42:43], -1, 0
.LBB57_181:
	s_andn2_b64 vcc, exec, s[42:43]
	s_cbranch_vccz .LBB57_187
; %bb.182:
	s_andn2_b64 vcc, exec, s[40:41]
	s_cbranch_vccz .LBB57_188
.LBB57_183:
	s_cmp_lt_i32 s13, 1
	s_mov_b64 s[42:43], 0
	s_cbranch_scc1 .LBB57_189
.LBB57_184:
	s_cmp_gt_i32 s13, 1
	s_cbranch_scc0 .LBB57_190
; %bb.185:
	s_cmp_eq_u32 s13, 2
	s_cbranch_scc0 .LBB57_264
; %bb.186:
	s_waitcnt vmcnt(2)
	v_cmp_le_i64_e64 s[40:41], v[1:2], v[5:6]
	s_mov_b64 s[44:45], 0
	s_branch .LBB57_192
.LBB57_187:
	s_waitcnt vmcnt(1)
	v_cmp_lt_i64_e32 vcc, v[11:12], v[15:16]
	s_andn2_b64 s[38:39], s[38:39], exec
	s_and_b64 s[42:43], vcc, exec
	s_or_b64 s[38:39], s[38:39], s[42:43]
	s_cbranch_execnz .LBB57_183
.LBB57_188:
	s_waitcnt vmcnt(1)
	v_cmp_ge_i64_e32 vcc, v[11:12], v[15:16]
	s_andn2_b64 s[38:39], s[38:39], exec
	s_and_b64 s[40:41], vcc, exec
	s_or_b64 s[38:39], s[38:39], s[40:41]
	s_cmp_lt_i32 s13, 1
	s_mov_b64 s[42:43], 0
	s_cbranch_scc0 .LBB57_184
.LBB57_189:
                                        ; implicit-def: $sgpr40_sgpr41
	s_mov_b64 s[44:45], 0
	s_cbranch_execnz .LBB57_193
	s_branch .LBB57_194
.LBB57_190:
	s_mov_b64 s[44:45], 0
                                        ; implicit-def: $sgpr40_sgpr41
	s_cbranch_execz .LBB57_192
; %bb.191:
	s_waitcnt vmcnt(2)
	v_cmp_gt_i64_e32 vcc, v[1:2], v[5:6]
	s_andn2_b64 s[40:41], s[40:41], exec
	s_and_b64 s[46:47], vcc, exec
	s_or_b64 s[40:41], s[40:41], s[46:47]
.LBB57_192:
	s_branch .LBB57_194
.LBB57_193:
	s_cmp_lg_u32 s13, 0
	s_mov_b64 s[42:43], -1
	s_cselect_b64 s[44:45], -1, 0
.LBB57_194:
	s_andn2_b64 vcc, exec, s[44:45]
	s_cbranch_vccz .LBB57_200
; %bb.195:
	s_andn2_b64 vcc, exec, s[42:43]
	s_cbranch_vccz .LBB57_201
.LBB57_196:
	s_cmp_lt_i32 s13, 1
	s_mov_b64 s[44:45], 0
	s_cbranch_scc1 .LBB57_202
.LBB57_197:
	s_cmp_gt_i32 s13, 1
	s_cbranch_scc0 .LBB57_203
; %bb.198:
	s_cmp_eq_u32 s13, 2
	s_cbranch_scc0 .LBB57_265
; %bb.199:
	s_waitcnt vmcnt(2)
	v_cmp_le_i64_e64 s[42:43], v[3:4], v[7:8]
	s_mov_b64 s[46:47], 0
	s_branch .LBB57_205
.LBB57_200:
	s_waitcnt vmcnt(2)
	v_cmp_lt_i64_e32 vcc, v[1:2], v[5:6]
	s_andn2_b64 s[40:41], s[40:41], exec
	s_and_b64 s[44:45], vcc, exec
	s_or_b64 s[40:41], s[40:41], s[44:45]
	s_cbranch_execnz .LBB57_196
.LBB57_201:
	s_waitcnt vmcnt(2)
	v_cmp_ge_i64_e32 vcc, v[1:2], v[5:6]
	s_andn2_b64 s[40:41], s[40:41], exec
	s_and_b64 s[42:43], vcc, exec
	s_or_b64 s[40:41], s[40:41], s[42:43]
	s_cmp_lt_i32 s13, 1
	s_mov_b64 s[44:45], 0
	s_cbranch_scc0 .LBB57_197
.LBB57_202:
                                        ; implicit-def: $sgpr42_sgpr43
	s_mov_b64 s[46:47], 0
	s_cbranch_execnz .LBB57_206
	s_branch .LBB57_207
.LBB57_203:
	s_mov_b64 s[46:47], 0
                                        ; implicit-def: $sgpr42_sgpr43
	s_cbranch_execz .LBB57_205
; %bb.204:
	s_waitcnt vmcnt(2)
	v_cmp_gt_i64_e32 vcc, v[3:4], v[7:8]
	s_andn2_b64 s[42:43], s[42:43], exec
	s_and_b64 s[48:49], vcc, exec
	s_or_b64 s[42:43], s[42:43], s[48:49]
.LBB57_205:
	s_branch .LBB57_207
.LBB57_206:
	s_cmp_lg_u32 s13, 0
	s_mov_b64 s[44:45], -1
	s_cselect_b64 s[46:47], -1, 0
.LBB57_207:
	s_andn2_b64 vcc, exec, s[46:47]
	s_cbranch_vccz .LBB57_249
; %bb.208:
	s_andn2_b64 vcc, exec, s[44:45]
	s_cbranch_vccnz .LBB57_210
.LBB57_209:
	s_waitcnt vmcnt(2)
	v_cmp_ge_i64_e32 vcc, v[3:4], v[7:8]
	s_andn2_b64 s[42:43], s[42:43], exec
	s_and_b64 s[44:45], vcc, exec
	s_or_b64 s[42:43], s[42:43], s[44:45]
.LBB57_210:
	s_waitcnt vmcnt(11)
	v_mov_b32_e32 v1, 0x100
	v_cndmask_b32_e64 v2, 0, v1, s[28:29]
	v_cndmask_b32_e64 v3, 0, 1, s[26:27]
	v_or_b32_e32 v2, v2, v3
	v_mov_b32_e32 v3, 0x10000
	s_waitcnt vmcnt(2)
	v_mov_b32_e32 v5, 0x1000000
	v_cndmask_b32_e64 v4, 0, v3, s[30:31]
	v_cndmask_b32_e64 v6, 0, v5, s[34:35]
	v_or3_b32 v7, 0, 0, 0
	v_or3_b32 v2, v2, v4, v6
	v_cndmask_b32_e64 v4, 0, 1, s[36:37]
	v_cndmask_b32_e64 v6, 0, v1, s[38:39]
	v_or3_b32 v4, v7, v4, v6
	v_or3_b32 v6, v2, 0, 0
	v_cndmask_b32_e64 v2, 0, v1, s[4:5]
	v_cndmask_b32_e64 v9, 0, 1, s[0:1]
	v_or_b32_e32 v2, v2, v9
	v_cndmask_b32_e64 v9, 0, v3, s[6:7]
	v_cndmask_b32_e64 v10, 0, v5, s[16:17]
	v_or3_b32 v2, v2, v9, v10
	v_cndmask_b32_e64 v9, 0, 1, s[18:19]
	v_cndmask_b32_e64 v1, 0, v1, s[20:21]
	v_cndmask_b32_e64 v8, 0, v3, s[40:41]
	v_or3_b32 v1, v7, v9, v1
	v_or3_b32 v7, v2, 0, 0
	v_cndmask_b32_e64 v2, 0, v3, s[22:23]
	v_cndmask_b32_e64 v3, 0, v5, s[24:25]
	s_add_u32 s0, s8, s2
	v_or3_b32 v2, v1, v2, v3
	v_or3_b32 v1, v7, 0, 0
	v_cndmask_b32_e64 v3, 0, v5, s[42:43]
	s_addc_u32 s1, s9, s3
	v_lshlrev_b32_e32 v5, 3, v0
	v_or3_b32 v4, v4, v8, v3
	v_or3_b32 v3, v6, 0, 0
	global_store_dwordx2 v5, v[1:2], s[0:1]
	global_store_dwordx2 v5, v[3:4], s[0:1] offset:2048
	s_mov_b64 s[0:1], 0
.LBB57_211:
	s_and_b64 vcc, exec, s[0:1]
	s_cbranch_vccz .LBB57_519
; %bb.212:
	v_mov_b32_e32 v58, 0
	v_mov_b32_e32 v62, 0
	;; [unrolled: 1-line block ×3, first 2 shown]
	v_cmp_gt_i32_e64 s[0:1], s12, v0
	v_mov_b32_e32 v59, 0
	v_or_b32_e32 v1, s2, v0
	v_mov_b32_e32 v63, 0
	v_mov_b32_e32 v65, 0
	;; [unrolled: 1-line block ×3, first 2 shown]
	s_and_saveexec_b64 s[4:5], s[0:1]
	s_cbranch_execz .LBB57_214
; %bb.213:
	v_mov_b32_e32 v2, 0
	v_lshlrev_b64 v[2:3], 3, v[1:2]
	v_mov_b32_e32 v5, s15
	v_add_co_u32_e32 v4, vcc, s14, v2
	v_addc_co_u32_e32 v5, vcc, v5, v3, vcc
	v_mov_b32_e32 v6, s11
	v_add_co_u32_e32 v2, vcc, s10, v2
	v_addc_co_u32_e32 v3, vcc, v6, v3, vcc
	global_load_dwordx2 v[62:63], v[2:3], off
	global_load_dwordx2 v[64:65], v[4:5], off
	v_or_b32_e32 v66, 0x100, v0
.LBB57_214:
	s_or_b64 exec, exec, s[4:5]
	v_mov_b32_e32 v60, 0
	v_mov_b32_e32 v61, 0
	v_cmp_gt_i32_e32 vcc, s12, v66
	s_and_saveexec_b64 s[4:5], vcc
	s_cbranch_execz .LBB57_216
; %bb.215:
	v_add_u32_e32 v2, s2, v66
	v_mov_b32_e32 v3, 0
	v_lshlrev_b64 v[2:3], 3, v[2:3]
	v_mov_b32_e32 v5, s15
	v_add_co_u32_e32 v4, vcc, s14, v2
	v_addc_co_u32_e32 v5, vcc, v5, v3, vcc
	v_mov_b32_e32 v6, s11
	v_add_co_u32_e32 v2, vcc, s10, v2
	v_addc_co_u32_e32 v3, vcc, v6, v3, vcc
	global_load_dwordx2 v[58:59], v[2:3], off
	global_load_dwordx2 v[60:61], v[4:5], off
	v_add_u32_e32 v66, 0x100, v66
.LBB57_216:
	s_or_b64 exec, exec, s[4:5]
	v_mov_b32_e32 v50, 0
	v_mov_b32_e32 v54, 0
	v_mov_b32_e32 v56, 0
	v_mov_b32_e32 v51, 0
	v_mov_b32_e32 v55, 0
	v_mov_b32_e32 v57, 0
	v_cmp_gt_i32_e32 vcc, s12, v66
	s_and_saveexec_b64 s[4:5], vcc
	s_cbranch_execz .LBB57_218
; %bb.217:
	v_add_u32_e32 v2, s2, v66
	v_mov_b32_e32 v3, 0
	v_lshlrev_b64 v[2:3], 3, v[2:3]
	v_mov_b32_e32 v5, s15
	v_add_co_u32_e32 v4, vcc, s14, v2
	v_addc_co_u32_e32 v5, vcc, v5, v3, vcc
	v_mov_b32_e32 v6, s11
	v_add_co_u32_e32 v2, vcc, s10, v2
	v_addc_co_u32_e32 v3, vcc, v6, v3, vcc
	global_load_dwordx2 v[54:55], v[2:3], off
	global_load_dwordx2 v[56:57], v[4:5], off
	v_add_u32_e32 v66, 0x100, v66
.LBB57_218:
	s_or_b64 exec, exec, s[4:5]
	v_mov_b32_e32 v52, 0
	v_mov_b32_e32 v53, 0
	v_cmp_gt_i32_e32 vcc, s12, v66
	s_and_saveexec_b64 s[4:5], vcc
	s_cbranch_execz .LBB57_220
; %bb.219:
	v_add_u32_e32 v2, s2, v66
	v_mov_b32_e32 v3, 0
	v_lshlrev_b64 v[2:3], 3, v[2:3]
	v_mov_b32_e32 v5, s15
	v_add_co_u32_e32 v4, vcc, s14, v2
	v_addc_co_u32_e32 v5, vcc, v5, v3, vcc
	v_mov_b32_e32 v6, s11
	v_add_co_u32_e32 v2, vcc, s10, v2
	v_addc_co_u32_e32 v3, vcc, v6, v3, vcc
	global_load_dwordx2 v[50:51], v[2:3], off
	global_load_dwordx2 v[52:53], v[4:5], off
	v_add_u32_e32 v66, 0x100, v66
.LBB57_220:
	s_or_b64 exec, exec, s[4:5]
	v_mov_b32_e32 v42, 0
	v_mov_b32_e32 v46, 0
	v_mov_b32_e32 v48, 0
	v_mov_b32_e32 v43, 0
	v_mov_b32_e32 v47, 0
	v_mov_b32_e32 v49, 0
	v_cmp_gt_i32_e32 vcc, s12, v66
	s_and_saveexec_b64 s[4:5], vcc
	s_cbranch_execz .LBB57_222
; %bb.221:
	v_add_u32_e32 v2, s2, v66
	v_mov_b32_e32 v3, 0
	v_lshlrev_b64 v[2:3], 3, v[2:3]
	v_mov_b32_e32 v5, s15
	v_add_co_u32_e32 v4, vcc, s14, v2
	v_addc_co_u32_e32 v5, vcc, v5, v3, vcc
	v_mov_b32_e32 v6, s11
	v_add_co_u32_e32 v2, vcc, s10, v2
	v_addc_co_u32_e32 v3, vcc, v6, v3, vcc
	global_load_dwordx2 v[46:47], v[2:3], off
	global_load_dwordx2 v[48:49], v[4:5], off
	v_add_u32_e32 v66, 0x100, v66
.LBB57_222:
	;; [unrolled: 44-line block ×4, first 2 shown]
	s_or_b64 exec, exec, s[4:5]
	v_mov_b32_e32 v28, 0
	v_mov_b32_e32 v29, 0
	v_cmp_gt_i32_e32 vcc, s12, v66
	s_and_saveexec_b64 s[4:5], vcc
	s_cbranch_execz .LBB57_232
; %bb.231:
	v_add_u32_e32 v2, s2, v66
	v_mov_b32_e32 v3, 0
	v_lshlrev_b64 v[2:3], 3, v[2:3]
	v_mov_b32_e32 v5, s15
	v_add_co_u32_e32 v4, vcc, s14, v2
	v_addc_co_u32_e32 v5, vcc, v5, v3, vcc
	v_mov_b32_e32 v6, s11
	v_add_co_u32_e32 v2, vcc, s10, v2
	v_addc_co_u32_e32 v3, vcc, v6, v3, vcc
	global_load_dwordx2 v[26:27], v[2:3], off
	global_load_dwordx2 v[28:29], v[4:5], off
	v_add_u32_e32 v66, 0x100, v66
.LBB57_232:
	s_or_b64 exec, exec, s[4:5]
	v_mov_b32_e32 v18, 0
	s_waitcnt vmcnt(2)
	v_mov_b32_e32 v22, 0
	v_mov_b32_e32 v24, 0
	;; [unrolled: 1-line block ×5, first 2 shown]
	v_cmp_gt_i32_e32 vcc, s12, v66
	s_and_saveexec_b64 s[4:5], vcc
	s_cbranch_execz .LBB57_234
; %bb.233:
	v_add_u32_e32 v2, s2, v66
	v_mov_b32_e32 v3, 0
	v_lshlrev_b64 v[2:3], 3, v[2:3]
	v_mov_b32_e32 v5, s15
	v_add_co_u32_e32 v4, vcc, s14, v2
	v_addc_co_u32_e32 v5, vcc, v5, v3, vcc
	v_mov_b32_e32 v6, s11
	v_add_co_u32_e32 v2, vcc, s10, v2
	v_addc_co_u32_e32 v3, vcc, v6, v3, vcc
	global_load_dwordx2 v[22:23], v[2:3], off
	global_load_dwordx2 v[24:25], v[4:5], off
	v_add_u32_e32 v66, 0x100, v66
.LBB57_234:
	s_or_b64 exec, exec, s[4:5]
	v_mov_b32_e32 v20, 0
	v_mov_b32_e32 v21, 0
	v_cmp_gt_i32_e32 vcc, s12, v66
	s_and_saveexec_b64 s[4:5], vcc
	s_cbranch_execz .LBB57_236
; %bb.235:
	v_add_u32_e32 v2, s2, v66
	v_mov_b32_e32 v3, 0
	v_lshlrev_b64 v[2:3], 3, v[2:3]
	v_mov_b32_e32 v5, s15
	v_add_co_u32_e32 v4, vcc, s14, v2
	v_addc_co_u32_e32 v5, vcc, v5, v3, vcc
	v_mov_b32_e32 v6, s11
	v_add_co_u32_e32 v2, vcc, s10, v2
	v_addc_co_u32_e32 v3, vcc, v6, v3, vcc
	global_load_dwordx2 v[18:19], v[2:3], off
	global_load_dwordx2 v[20:21], v[4:5], off
	v_add_u32_e32 v66, 0x100, v66
.LBB57_236:
	s_or_b64 exec, exec, s[4:5]
	v_mov_b32_e32 v10, 0
	v_mov_b32_e32 v14, 0
	;; [unrolled: 1-line block ×6, first 2 shown]
	v_cmp_gt_i32_e32 vcc, s12, v66
	s_and_saveexec_b64 s[4:5], vcc
	s_cbranch_execz .LBB57_238
; %bb.237:
	v_add_u32_e32 v2, s2, v66
	v_mov_b32_e32 v3, 0
	v_lshlrev_b64 v[2:3], 3, v[2:3]
	v_mov_b32_e32 v5, s15
	v_add_co_u32_e32 v4, vcc, s14, v2
	v_addc_co_u32_e32 v5, vcc, v5, v3, vcc
	v_mov_b32_e32 v6, s11
	v_add_co_u32_e32 v2, vcc, s10, v2
	v_addc_co_u32_e32 v3, vcc, v6, v3, vcc
	global_load_dwordx2 v[14:15], v[2:3], off
	global_load_dwordx2 v[16:17], v[4:5], off
	v_add_u32_e32 v66, 0x100, v66
.LBB57_238:
	s_or_b64 exec, exec, s[4:5]
	v_mov_b32_e32 v12, 0
	v_mov_b32_e32 v13, 0
	v_cmp_gt_i32_e32 vcc, s12, v66
	s_and_saveexec_b64 s[4:5], vcc
	s_cbranch_execz .LBB57_240
; %bb.239:
	v_add_u32_e32 v2, s2, v66
	v_mov_b32_e32 v3, 0
	v_lshlrev_b64 v[2:3], 3, v[2:3]
	v_mov_b32_e32 v5, s15
	v_add_co_u32_e32 v4, vcc, s14, v2
	v_addc_co_u32_e32 v5, vcc, v5, v3, vcc
	v_mov_b32_e32 v6, s11
	v_add_co_u32_e32 v2, vcc, s10, v2
	v_addc_co_u32_e32 v3, vcc, v6, v3, vcc
	global_load_dwordx2 v[10:11], v[2:3], off
	global_load_dwordx2 v[12:13], v[4:5], off
	v_add_u32_e32 v66, 0x100, v66
.LBB57_240:
	s_or_b64 exec, exec, s[4:5]
	v_mov_b32_e32 v2, 0
	v_mov_b32_e32 v6, 0
	;; [unrolled: 1-line block ×6, first 2 shown]
	v_cmp_gt_i32_e32 vcc, s12, v66
	s_and_saveexec_b64 s[4:5], vcc
	s_cbranch_execz .LBB57_242
; %bb.241:
	v_add_u32_e32 v4, s2, v66
	v_mov_b32_e32 v5, 0
	v_lshlrev_b64 v[4:5], 3, v[4:5]
	v_mov_b32_e32 v6, s15
	v_add_co_u32_e32 v67, vcc, s14, v4
	v_addc_co_u32_e32 v68, vcc, v6, v5, vcc
	v_mov_b32_e32 v6, s11
	v_add_co_u32_e32 v4, vcc, s10, v4
	v_addc_co_u32_e32 v5, vcc, v6, v5, vcc
	global_load_dwordx2 v[6:7], v[4:5], off
	global_load_dwordx2 v[8:9], v[67:68], off
	v_add_u32_e32 v66, 0x100, v66
.LBB57_242:
	s_or_b64 exec, exec, s[4:5]
	v_mov_b32_e32 v4, 0
	v_mov_b32_e32 v5, 0
	v_cmp_gt_i32_e32 vcc, s12, v66
	s_and_saveexec_b64 s[4:5], vcc
	s_cbranch_execz .LBB57_244
; %bb.243:
	v_add_u32_e32 v2, s2, v66
	v_mov_b32_e32 v3, 0
	v_lshlrev_b64 v[2:3], 3, v[2:3]
	v_mov_b32_e32 v4, s15
	v_add_co_u32_e32 v66, vcc, s14, v2
	v_addc_co_u32_e32 v67, vcc, v4, v3, vcc
	v_mov_b32_e32 v4, s11
	v_add_co_u32_e32 v68, vcc, s10, v2
	v_addc_co_u32_e32 v69, vcc, v4, v3, vcc
	global_load_dwordx2 v[2:3], v[68:69], off
	global_load_dwordx2 v[4:5], v[66:67], off
.LBB57_244:
	s_or_b64 exec, exec, s[4:5]
                                        ; implicit-def: $vgpr66
	s_and_saveexec_b64 s[4:5], s[0:1]
	s_cbranch_execz .LBB57_276
; %bb.245:
	s_cmp_lt_i32 s13, 1
	s_mov_b64 s[6:7], 0
	s_cbranch_scc1 .LBB57_250
; %bb.246:
	s_cmp_gt_i32 s13, 1
	s_cbranch_scc0 .LBB57_266
; %bb.247:
	s_cmp_eq_u32 s13, 2
	s_cbranch_scc0 .LBB57_267
; %bb.248:
	s_waitcnt vmcnt(0)
	v_cmp_le_i64_e64 s[10:11], v[62:63], v[64:65]
	s_mov_b64 s[14:15], 0
	s_branch .LBB57_268
.LBB57_249:
	s_waitcnt vmcnt(2)
	v_cmp_lt_i64_e32 vcc, v[3:4], v[7:8]
	s_andn2_b64 s[42:43], s[42:43], exec
	s_and_b64 s[46:47], vcc, exec
	s_or_b64 s[42:43], s[42:43], s[46:47]
	s_cbranch_execz .LBB57_209
	s_branch .LBB57_210
.LBB57_250:
                                        ; implicit-def: $sgpr10_sgpr11
	s_mov_b64 s[14:15], 0
	s_cbranch_execnz .LBB57_271
	s_branch .LBB57_272
.LBB57_251:
	s_mov_b64 s[16:17], -1
                                        ; implicit-def: $sgpr4_sgpr5
	s_branch .LBB57_23
.LBB57_252:
	s_mov_b64 s[18:19], -1
                                        ; implicit-def: $sgpr6_sgpr7
	s_branch .LBB57_36
.LBB57_253:
	s_mov_b64 s[20:21], -1
                                        ; implicit-def: $sgpr16_sgpr17
	s_branch .LBB57_49
.LBB57_254:
	s_mov_b64 s[22:23], -1
                                        ; implicit-def: $sgpr18_sgpr19
	s_branch .LBB57_62
.LBB57_255:
	s_mov_b64 s[24:25], -1
                                        ; implicit-def: $sgpr20_sgpr21
	s_branch .LBB57_75
.LBB57_256:
	s_mov_b64 s[26:27], -1
                                        ; implicit-def: $sgpr22_sgpr23
	s_branch .LBB57_88
.LBB57_257:
	s_mov_b64 s[28:29], -1
                                        ; implicit-def: $sgpr24_sgpr25
	s_branch .LBB57_101
.LBB57_258:
	s_mov_b64 s[30:31], -1
                                        ; implicit-def: $sgpr26_sgpr27
	s_branch .LBB57_114
.LBB57_259:
	s_mov_b64 s[34:35], -1
                                        ; implicit-def: $sgpr28_sgpr29
	s_branch .LBB57_127
.LBB57_260:
	s_mov_b64 s[36:37], -1
                                        ; implicit-def: $sgpr30_sgpr31
	s_branch .LBB57_140
.LBB57_261:
	s_mov_b64 s[38:39], -1
                                        ; implicit-def: $sgpr34_sgpr35
	s_branch .LBB57_153
.LBB57_262:
	s_mov_b64 s[40:41], -1
                                        ; implicit-def: $sgpr36_sgpr37
	s_branch .LBB57_166
.LBB57_263:
	s_mov_b64 s[42:43], -1
                                        ; implicit-def: $sgpr38_sgpr39
	s_branch .LBB57_179
.LBB57_264:
	s_mov_b64 s[44:45], -1
                                        ; implicit-def: $sgpr40_sgpr41
	s_branch .LBB57_192
.LBB57_265:
	s_mov_b64 s[46:47], -1
                                        ; implicit-def: $sgpr42_sgpr43
	s_branch .LBB57_205
.LBB57_266:
	s_mov_b64 s[14:15], 0
                                        ; implicit-def: $sgpr10_sgpr11
	s_cbranch_execnz .LBB57_269
	s_branch .LBB57_270
.LBB57_267:
	s_mov_b64 s[14:15], -1
                                        ; implicit-def: $sgpr10_sgpr11
.LBB57_268:
	s_branch .LBB57_270
.LBB57_269:
	s_waitcnt vmcnt(0)
	v_cmp_gt_i64_e32 vcc, v[62:63], v[64:65]
	s_andn2_b64 s[10:11], s[10:11], exec
	s_and_b64 s[16:17], vcc, exec
	s_or_b64 s[10:11], s[10:11], s[16:17]
.LBB57_270:
	s_branch .LBB57_272
.LBB57_271:
	s_cmp_lg_u32 s13, 0
	s_mov_b64 s[6:7], -1
	s_cselect_b64 s[14:15], -1, 0
.LBB57_272:
	s_andn2_b64 vcc, exec, s[14:15]
	s_cbranch_vccz .LBB57_281
; %bb.273:
	s_andn2_b64 vcc, exec, s[6:7]
	s_cbranch_vccnz .LBB57_275
.LBB57_274:
	s_waitcnt vmcnt(0)
	v_cmp_ge_i64_e32 vcc, v[62:63], v[64:65]
	s_andn2_b64 s[6:7], s[10:11], exec
	s_and_b64 s[10:11], vcc, exec
	s_or_b64 s[10:11], s[6:7], s[10:11]
.LBB57_275:
	v_cndmask_b32_e64 v66, 0, 1, s[10:11]
.LBB57_276:
	s_or_b64 exec, exec, s[4:5]
	s_waitcnt vmcnt(1)
	v_or_b32_e32 v62, 0x100, v0
	v_cmp_gt_i32_e32 vcc, s12, v62
                                        ; implicit-def: $vgpr63
	s_and_saveexec_b64 s[4:5], vcc
	s_cbranch_execz .LBB57_291
; %bb.277:
	s_cmp_lt_i32 s13, 1
	s_mov_b64 s[6:7], 0
	s_cbranch_scc1 .LBB57_282
; %bb.278:
	s_cmp_gt_i32 s13, 1
	s_cbranch_scc0 .LBB57_283
; %bb.279:
	s_cmp_eq_u32 s13, 2
	s_cbranch_scc0 .LBB57_535
; %bb.280:
	s_waitcnt vmcnt(0)
	v_cmp_le_i64_e64 s[10:11], v[58:59], v[60:61]
	s_mov_b64 s[14:15], 0
	s_branch .LBB57_285
.LBB57_281:
	s_waitcnt vmcnt(0)
	v_cmp_lt_i64_e32 vcc, v[62:63], v[64:65]
	s_andn2_b64 s[10:11], s[10:11], exec
	s_and_b64 s[14:15], vcc, exec
	s_or_b64 s[10:11], s[10:11], s[14:15]
	s_cbranch_execz .LBB57_274
	s_branch .LBB57_275
.LBB57_282:
                                        ; implicit-def: $sgpr10_sgpr11
	s_mov_b64 s[14:15], 0
	s_cbranch_execnz .LBB57_286
	s_branch .LBB57_287
.LBB57_283:
	s_mov_b64 s[14:15], 0
                                        ; implicit-def: $sgpr10_sgpr11
	s_cbranch_execz .LBB57_285
; %bb.284:
	s_waitcnt vmcnt(0)
	v_cmp_gt_i64_e32 vcc, v[58:59], v[60:61]
	s_andn2_b64 s[10:11], s[10:11], exec
	s_and_b64 s[16:17], vcc, exec
	s_or_b64 s[10:11], s[10:11], s[16:17]
.LBB57_285:
	s_branch .LBB57_287
.LBB57_286:
	s_cmp_lg_u32 s13, 0
	s_mov_b64 s[6:7], -1
	s_cselect_b64 s[14:15], -1, 0
.LBB57_287:
	s_andn2_b64 vcc, exec, s[14:15]
	s_cbranch_vccz .LBB57_296
; %bb.288:
	s_andn2_b64 vcc, exec, s[6:7]
	s_cbranch_vccnz .LBB57_290
.LBB57_289:
	s_waitcnt vmcnt(0)
	v_cmp_ge_i64_e32 vcc, v[58:59], v[60:61]
	s_andn2_b64 s[6:7], s[10:11], exec
	s_and_b64 s[10:11], vcc, exec
	s_or_b64 s[10:11], s[6:7], s[10:11]
.LBB57_290:
	v_cndmask_b32_e64 v63, 0, 1, s[10:11]
.LBB57_291:
	s_or_b64 exec, exec, s[4:5]
	v_or_b32_e32 v58, 0x200, v0
	v_cmp_gt_i32_e32 vcc, s12, v58
                                        ; implicit-def: $vgpr58
	s_and_saveexec_b64 s[4:5], vcc
	s_cbranch_execz .LBB57_306
; %bb.292:
	s_cmp_lt_i32 s13, 1
	s_mov_b64 s[6:7], 0
	s_cbranch_scc1 .LBB57_297
; %bb.293:
	s_cmp_gt_i32 s13, 1
	s_cbranch_scc0 .LBB57_298
; %bb.294:
	s_cmp_eq_u32 s13, 2
	s_cbranch_scc0 .LBB57_536
; %bb.295:
	s_waitcnt vmcnt(0)
	v_cmp_le_i64_e64 s[10:11], v[54:55], v[56:57]
	s_mov_b64 s[14:15], 0
	s_branch .LBB57_300
.LBB57_296:
	s_waitcnt vmcnt(0)
	v_cmp_lt_i64_e32 vcc, v[58:59], v[60:61]
	s_andn2_b64 s[10:11], s[10:11], exec
	s_and_b64 s[14:15], vcc, exec
	s_or_b64 s[10:11], s[10:11], s[14:15]
	s_cbranch_execz .LBB57_289
	s_branch .LBB57_290
.LBB57_297:
                                        ; implicit-def: $sgpr10_sgpr11
	s_mov_b64 s[14:15], 0
	s_cbranch_execnz .LBB57_301
	s_branch .LBB57_302
.LBB57_298:
	s_mov_b64 s[14:15], 0
                                        ; implicit-def: $sgpr10_sgpr11
	s_cbranch_execz .LBB57_300
; %bb.299:
	s_waitcnt vmcnt(0)
	v_cmp_gt_i64_e32 vcc, v[54:55], v[56:57]
	s_andn2_b64 s[10:11], s[10:11], exec
	s_and_b64 s[16:17], vcc, exec
	s_or_b64 s[10:11], s[10:11], s[16:17]
.LBB57_300:
	s_branch .LBB57_302
.LBB57_301:
	s_cmp_lg_u32 s13, 0
	s_mov_b64 s[6:7], -1
	s_cselect_b64 s[14:15], -1, 0
.LBB57_302:
	s_andn2_b64 vcc, exec, s[14:15]
	s_cbranch_vccz .LBB57_311
; %bb.303:
	s_andn2_b64 vcc, exec, s[6:7]
	s_cbranch_vccnz .LBB57_305
.LBB57_304:
	s_waitcnt vmcnt(0)
	v_cmp_ge_i64_e32 vcc, v[54:55], v[56:57]
	s_andn2_b64 s[6:7], s[10:11], exec
	s_and_b64 s[10:11], vcc, exec
	s_or_b64 s[10:11], s[6:7], s[10:11]
.LBB57_305:
	v_cndmask_b32_e64 v58, 0, 1, s[10:11]
.LBB57_306:
	s_or_b64 exec, exec, s[4:5]
	v_or_b32_e32 v54, 0x300, v0
	v_cmp_gt_i32_e32 vcc, s12, v54
                                        ; implicit-def: $vgpr54
	s_and_saveexec_b64 s[4:5], vcc
	s_cbranch_execz .LBB57_321
; %bb.307:
	s_cmp_lt_i32 s13, 1
	s_mov_b64 s[6:7], 0
	s_cbranch_scc1 .LBB57_312
; %bb.308:
	s_cmp_gt_i32 s13, 1
	s_cbranch_scc0 .LBB57_313
; %bb.309:
	s_cmp_eq_u32 s13, 2
	s_cbranch_scc0 .LBB57_537
; %bb.310:
	s_waitcnt vmcnt(0)
	v_cmp_le_i64_e64 s[10:11], v[50:51], v[52:53]
	s_mov_b64 s[14:15], 0
	s_branch .LBB57_315
.LBB57_311:
	s_waitcnt vmcnt(0)
	v_cmp_lt_i64_e32 vcc, v[54:55], v[56:57]
	s_andn2_b64 s[10:11], s[10:11], exec
	s_and_b64 s[14:15], vcc, exec
	s_or_b64 s[10:11], s[10:11], s[14:15]
	s_cbranch_execz .LBB57_304
	s_branch .LBB57_305
.LBB57_312:
                                        ; implicit-def: $sgpr10_sgpr11
	s_mov_b64 s[14:15], 0
	s_cbranch_execnz .LBB57_316
	s_branch .LBB57_317
.LBB57_313:
	s_mov_b64 s[14:15], 0
                                        ; implicit-def: $sgpr10_sgpr11
	s_cbranch_execz .LBB57_315
; %bb.314:
	s_waitcnt vmcnt(0)
	v_cmp_gt_i64_e32 vcc, v[50:51], v[52:53]
	s_andn2_b64 s[10:11], s[10:11], exec
	s_and_b64 s[16:17], vcc, exec
	s_or_b64 s[10:11], s[10:11], s[16:17]
.LBB57_315:
	s_branch .LBB57_317
.LBB57_316:
	s_cmp_lg_u32 s13, 0
	s_mov_b64 s[6:7], -1
	s_cselect_b64 s[14:15], -1, 0
.LBB57_317:
	s_andn2_b64 vcc, exec, s[14:15]
	s_cbranch_vccz .LBB57_326
; %bb.318:
	s_andn2_b64 vcc, exec, s[6:7]
	s_cbranch_vccnz .LBB57_320
.LBB57_319:
	s_waitcnt vmcnt(0)
	v_cmp_ge_i64_e32 vcc, v[50:51], v[52:53]
	s_andn2_b64 s[6:7], s[10:11], exec
	s_and_b64 s[10:11], vcc, exec
	s_or_b64 s[10:11], s[6:7], s[10:11]
.LBB57_320:
	v_cndmask_b32_e64 v54, 0, 1, s[10:11]
.LBB57_321:
	s_or_b64 exec, exec, s[4:5]
	v_or_b32_e32 v50, 0x400, v0
	v_cmp_gt_i32_e32 vcc, s12, v50
                                        ; implicit-def: $vgpr50
	s_and_saveexec_b64 s[4:5], vcc
	s_cbranch_execz .LBB57_336
; %bb.322:
	s_cmp_lt_i32 s13, 1
	s_mov_b64 s[6:7], 0
	s_cbranch_scc1 .LBB57_327
; %bb.323:
	s_cmp_gt_i32 s13, 1
	s_cbranch_scc0 .LBB57_328
; %bb.324:
	s_cmp_eq_u32 s13, 2
	s_cbranch_scc0 .LBB57_538
; %bb.325:
	s_waitcnt vmcnt(0)
	v_cmp_le_i64_e64 s[10:11], v[46:47], v[48:49]
	s_mov_b64 s[14:15], 0
	s_branch .LBB57_330
.LBB57_326:
	s_waitcnt vmcnt(0)
	v_cmp_lt_i64_e32 vcc, v[50:51], v[52:53]
	s_andn2_b64 s[10:11], s[10:11], exec
	s_and_b64 s[14:15], vcc, exec
	s_or_b64 s[10:11], s[10:11], s[14:15]
	s_cbranch_execz .LBB57_319
	s_branch .LBB57_320
.LBB57_327:
                                        ; implicit-def: $sgpr10_sgpr11
	s_mov_b64 s[14:15], 0
	s_cbranch_execnz .LBB57_331
	s_branch .LBB57_332
.LBB57_328:
	s_mov_b64 s[14:15], 0
                                        ; implicit-def: $sgpr10_sgpr11
	s_cbranch_execz .LBB57_330
; %bb.329:
	s_waitcnt vmcnt(0)
	v_cmp_gt_i64_e32 vcc, v[46:47], v[48:49]
	s_andn2_b64 s[10:11], s[10:11], exec
	s_and_b64 s[16:17], vcc, exec
	s_or_b64 s[10:11], s[10:11], s[16:17]
.LBB57_330:
	s_branch .LBB57_332
.LBB57_331:
	s_cmp_lg_u32 s13, 0
	s_mov_b64 s[6:7], -1
	s_cselect_b64 s[14:15], -1, 0
.LBB57_332:
	s_andn2_b64 vcc, exec, s[14:15]
	s_cbranch_vccz .LBB57_341
; %bb.333:
	s_andn2_b64 vcc, exec, s[6:7]
	s_cbranch_vccnz .LBB57_335
.LBB57_334:
	s_waitcnt vmcnt(0)
	v_cmp_ge_i64_e32 vcc, v[46:47], v[48:49]
	s_andn2_b64 s[6:7], s[10:11], exec
	s_and_b64 s[10:11], vcc, exec
	s_or_b64 s[10:11], s[6:7], s[10:11]
.LBB57_335:
	v_cndmask_b32_e64 v50, 0, 1, s[10:11]
.LBB57_336:
	s_or_b64 exec, exec, s[4:5]
	v_or_b32_e32 v46, 0x500, v0
	v_cmp_gt_i32_e32 vcc, s12, v46
                                        ; implicit-def: $vgpr46
	s_and_saveexec_b64 s[4:5], vcc
	s_cbranch_execz .LBB57_351
; %bb.337:
	s_cmp_lt_i32 s13, 1
	s_mov_b64 s[6:7], 0
	s_cbranch_scc1 .LBB57_342
; %bb.338:
	s_cmp_gt_i32 s13, 1
	s_cbranch_scc0 .LBB57_343
; %bb.339:
	s_cmp_eq_u32 s13, 2
	s_cbranch_scc0 .LBB57_539
; %bb.340:
	s_waitcnt vmcnt(0)
	v_cmp_le_i64_e64 s[10:11], v[42:43], v[44:45]
	s_mov_b64 s[14:15], 0
	s_branch .LBB57_345
.LBB57_341:
	s_waitcnt vmcnt(0)
	v_cmp_lt_i64_e32 vcc, v[46:47], v[48:49]
	s_andn2_b64 s[10:11], s[10:11], exec
	s_and_b64 s[14:15], vcc, exec
	s_or_b64 s[10:11], s[10:11], s[14:15]
	s_cbranch_execz .LBB57_334
	s_branch .LBB57_335
.LBB57_342:
                                        ; implicit-def: $sgpr10_sgpr11
	s_mov_b64 s[14:15], 0
	s_cbranch_execnz .LBB57_346
	s_branch .LBB57_347
.LBB57_343:
	s_mov_b64 s[14:15], 0
                                        ; implicit-def: $sgpr10_sgpr11
	s_cbranch_execz .LBB57_345
; %bb.344:
	s_waitcnt vmcnt(0)
	v_cmp_gt_i64_e32 vcc, v[42:43], v[44:45]
	s_andn2_b64 s[10:11], s[10:11], exec
	s_and_b64 s[16:17], vcc, exec
	s_or_b64 s[10:11], s[10:11], s[16:17]
.LBB57_345:
	s_branch .LBB57_347
.LBB57_346:
	s_cmp_lg_u32 s13, 0
	s_mov_b64 s[6:7], -1
	s_cselect_b64 s[14:15], -1, 0
.LBB57_347:
	s_andn2_b64 vcc, exec, s[14:15]
	s_cbranch_vccz .LBB57_356
; %bb.348:
	s_andn2_b64 vcc, exec, s[6:7]
	s_cbranch_vccnz .LBB57_350
.LBB57_349:
	s_waitcnt vmcnt(0)
	v_cmp_ge_i64_e32 vcc, v[42:43], v[44:45]
	s_andn2_b64 s[6:7], s[10:11], exec
	s_and_b64 s[10:11], vcc, exec
	s_or_b64 s[10:11], s[6:7], s[10:11]
.LBB57_350:
	v_cndmask_b32_e64 v46, 0, 1, s[10:11]
.LBB57_351:
	s_or_b64 exec, exec, s[4:5]
	v_or_b32_e32 v42, 0x600, v0
	v_cmp_gt_i32_e32 vcc, s12, v42
                                        ; implicit-def: $vgpr42
	s_and_saveexec_b64 s[4:5], vcc
	s_cbranch_execz .LBB57_366
; %bb.352:
	s_cmp_lt_i32 s13, 1
	s_mov_b64 s[6:7], 0
	s_cbranch_scc1 .LBB57_357
; %bb.353:
	s_cmp_gt_i32 s13, 1
	s_cbranch_scc0 .LBB57_358
; %bb.354:
	s_cmp_eq_u32 s13, 2
	s_cbranch_scc0 .LBB57_540
; %bb.355:
	s_waitcnt vmcnt(0)
	v_cmp_le_i64_e64 s[10:11], v[38:39], v[40:41]
	s_mov_b64 s[14:15], 0
	s_branch .LBB57_360
.LBB57_356:
	s_waitcnt vmcnt(0)
	v_cmp_lt_i64_e32 vcc, v[42:43], v[44:45]
	s_andn2_b64 s[10:11], s[10:11], exec
	s_and_b64 s[14:15], vcc, exec
	s_or_b64 s[10:11], s[10:11], s[14:15]
	s_cbranch_execz .LBB57_349
	s_branch .LBB57_350
.LBB57_357:
                                        ; implicit-def: $sgpr10_sgpr11
	s_mov_b64 s[14:15], 0
	s_cbranch_execnz .LBB57_361
	s_branch .LBB57_362
.LBB57_358:
	s_mov_b64 s[14:15], 0
                                        ; implicit-def: $sgpr10_sgpr11
	s_cbranch_execz .LBB57_360
; %bb.359:
	s_waitcnt vmcnt(0)
	v_cmp_gt_i64_e32 vcc, v[38:39], v[40:41]
	s_andn2_b64 s[10:11], s[10:11], exec
	s_and_b64 s[16:17], vcc, exec
	s_or_b64 s[10:11], s[10:11], s[16:17]
.LBB57_360:
	s_branch .LBB57_362
.LBB57_361:
	s_cmp_lg_u32 s13, 0
	s_mov_b64 s[6:7], -1
	s_cselect_b64 s[14:15], -1, 0
.LBB57_362:
	s_andn2_b64 vcc, exec, s[14:15]
	s_cbranch_vccz .LBB57_371
; %bb.363:
	s_andn2_b64 vcc, exec, s[6:7]
	s_cbranch_vccnz .LBB57_365
.LBB57_364:
	s_waitcnt vmcnt(0)
	v_cmp_ge_i64_e32 vcc, v[38:39], v[40:41]
	s_andn2_b64 s[6:7], s[10:11], exec
	s_and_b64 s[10:11], vcc, exec
	s_or_b64 s[10:11], s[6:7], s[10:11]
.LBB57_365:
	v_cndmask_b32_e64 v42, 0, 1, s[10:11]
.LBB57_366:
	s_or_b64 exec, exec, s[4:5]
	v_or_b32_e32 v38, 0x700, v0
	v_cmp_gt_i32_e32 vcc, s12, v38
                                        ; implicit-def: $vgpr38
	s_and_saveexec_b64 s[4:5], vcc
	s_cbranch_execz .LBB57_381
; %bb.367:
	s_cmp_lt_i32 s13, 1
	s_mov_b64 s[6:7], 0
	s_cbranch_scc1 .LBB57_372
; %bb.368:
	s_cmp_gt_i32 s13, 1
	s_cbranch_scc0 .LBB57_373
; %bb.369:
	s_cmp_eq_u32 s13, 2
	s_cbranch_scc0 .LBB57_541
; %bb.370:
	s_waitcnt vmcnt(0)
	v_cmp_le_i64_e64 s[10:11], v[34:35], v[36:37]
	s_mov_b64 s[14:15], 0
	s_branch .LBB57_375
.LBB57_371:
	s_waitcnt vmcnt(0)
	v_cmp_lt_i64_e32 vcc, v[38:39], v[40:41]
	s_andn2_b64 s[10:11], s[10:11], exec
	s_and_b64 s[14:15], vcc, exec
	s_or_b64 s[10:11], s[10:11], s[14:15]
	s_cbranch_execz .LBB57_364
	s_branch .LBB57_365
.LBB57_372:
                                        ; implicit-def: $sgpr10_sgpr11
	s_mov_b64 s[14:15], 0
	s_cbranch_execnz .LBB57_376
	s_branch .LBB57_377
.LBB57_373:
	s_mov_b64 s[14:15], 0
                                        ; implicit-def: $sgpr10_sgpr11
	s_cbranch_execz .LBB57_375
; %bb.374:
	s_waitcnt vmcnt(0)
	v_cmp_gt_i64_e32 vcc, v[34:35], v[36:37]
	s_andn2_b64 s[10:11], s[10:11], exec
	s_and_b64 s[16:17], vcc, exec
	s_or_b64 s[10:11], s[10:11], s[16:17]
.LBB57_375:
	s_branch .LBB57_377
.LBB57_376:
	s_cmp_lg_u32 s13, 0
	s_mov_b64 s[6:7], -1
	s_cselect_b64 s[14:15], -1, 0
.LBB57_377:
	s_andn2_b64 vcc, exec, s[14:15]
	s_cbranch_vccz .LBB57_386
; %bb.378:
	s_andn2_b64 vcc, exec, s[6:7]
	s_cbranch_vccnz .LBB57_380
.LBB57_379:
	s_waitcnt vmcnt(0)
	v_cmp_ge_i64_e32 vcc, v[34:35], v[36:37]
	s_andn2_b64 s[6:7], s[10:11], exec
	s_and_b64 s[10:11], vcc, exec
	s_or_b64 s[10:11], s[6:7], s[10:11]
.LBB57_380:
	v_cndmask_b32_e64 v38, 0, 1, s[10:11]
.LBB57_381:
	s_or_b64 exec, exec, s[4:5]
	v_or_b32_e32 v34, 0x800, v0
	v_cmp_gt_i32_e32 vcc, s12, v34
                                        ; implicit-def: $vgpr34
	s_and_saveexec_b64 s[4:5], vcc
	s_cbranch_execz .LBB57_396
; %bb.382:
	s_cmp_lt_i32 s13, 1
	s_mov_b64 s[6:7], 0
	s_cbranch_scc1 .LBB57_387
; %bb.383:
	s_cmp_gt_i32 s13, 1
	s_cbranch_scc0 .LBB57_388
; %bb.384:
	s_cmp_eq_u32 s13, 2
	s_cbranch_scc0 .LBB57_542
; %bb.385:
	s_waitcnt vmcnt(0)
	v_cmp_le_i64_e64 s[10:11], v[30:31], v[32:33]
	s_mov_b64 s[14:15], 0
	s_branch .LBB57_390
.LBB57_386:
	s_waitcnt vmcnt(0)
	v_cmp_lt_i64_e32 vcc, v[34:35], v[36:37]
	s_andn2_b64 s[10:11], s[10:11], exec
	s_and_b64 s[14:15], vcc, exec
	s_or_b64 s[10:11], s[10:11], s[14:15]
	s_cbranch_execz .LBB57_379
	s_branch .LBB57_380
.LBB57_387:
                                        ; implicit-def: $sgpr10_sgpr11
	s_mov_b64 s[14:15], 0
	s_cbranch_execnz .LBB57_391
	s_branch .LBB57_392
.LBB57_388:
	s_mov_b64 s[14:15], 0
                                        ; implicit-def: $sgpr10_sgpr11
	s_cbranch_execz .LBB57_390
; %bb.389:
	s_waitcnt vmcnt(0)
	v_cmp_gt_i64_e32 vcc, v[30:31], v[32:33]
	s_andn2_b64 s[10:11], s[10:11], exec
	s_and_b64 s[16:17], vcc, exec
	s_or_b64 s[10:11], s[10:11], s[16:17]
.LBB57_390:
	s_branch .LBB57_392
.LBB57_391:
	s_cmp_lg_u32 s13, 0
	s_mov_b64 s[6:7], -1
	s_cselect_b64 s[14:15], -1, 0
.LBB57_392:
	s_andn2_b64 vcc, exec, s[14:15]
	s_cbranch_vccz .LBB57_401
; %bb.393:
	s_andn2_b64 vcc, exec, s[6:7]
	s_cbranch_vccnz .LBB57_395
.LBB57_394:
	s_waitcnt vmcnt(0)
	v_cmp_ge_i64_e32 vcc, v[30:31], v[32:33]
	s_andn2_b64 s[6:7], s[10:11], exec
	s_and_b64 s[10:11], vcc, exec
	s_or_b64 s[10:11], s[6:7], s[10:11]
.LBB57_395:
	v_cndmask_b32_e64 v34, 0, 1, s[10:11]
.LBB57_396:
	s_or_b64 exec, exec, s[4:5]
	v_or_b32_e32 v30, 0x900, v0
	v_cmp_gt_i32_e32 vcc, s12, v30
                                        ; implicit-def: $vgpr30
	s_and_saveexec_b64 s[4:5], vcc
	s_cbranch_execz .LBB57_411
; %bb.397:
	s_cmp_lt_i32 s13, 1
	s_mov_b64 s[6:7], 0
	s_cbranch_scc1 .LBB57_402
; %bb.398:
	s_cmp_gt_i32 s13, 1
	s_cbranch_scc0 .LBB57_403
; %bb.399:
	s_cmp_eq_u32 s13, 2
	s_cbranch_scc0 .LBB57_543
; %bb.400:
	s_waitcnt vmcnt(0)
	v_cmp_le_i64_e64 s[10:11], v[26:27], v[28:29]
	s_mov_b64 s[14:15], 0
	s_branch .LBB57_405
.LBB57_401:
	s_waitcnt vmcnt(0)
	v_cmp_lt_i64_e32 vcc, v[30:31], v[32:33]
	s_andn2_b64 s[10:11], s[10:11], exec
	s_and_b64 s[14:15], vcc, exec
	s_or_b64 s[10:11], s[10:11], s[14:15]
	s_cbranch_execz .LBB57_394
	s_branch .LBB57_395
.LBB57_402:
                                        ; implicit-def: $sgpr10_sgpr11
	s_mov_b64 s[14:15], 0
	s_cbranch_execnz .LBB57_406
	s_branch .LBB57_407
.LBB57_403:
	s_mov_b64 s[14:15], 0
                                        ; implicit-def: $sgpr10_sgpr11
	s_cbranch_execz .LBB57_405
; %bb.404:
	s_waitcnt vmcnt(0)
	v_cmp_gt_i64_e32 vcc, v[26:27], v[28:29]
	s_andn2_b64 s[10:11], s[10:11], exec
	s_and_b64 s[16:17], vcc, exec
	s_or_b64 s[10:11], s[10:11], s[16:17]
.LBB57_405:
	s_branch .LBB57_407
.LBB57_406:
	s_cmp_lg_u32 s13, 0
	s_mov_b64 s[6:7], -1
	s_cselect_b64 s[14:15], -1, 0
.LBB57_407:
	s_andn2_b64 vcc, exec, s[14:15]
	s_cbranch_vccz .LBB57_416
; %bb.408:
	s_andn2_b64 vcc, exec, s[6:7]
	s_cbranch_vccnz .LBB57_410
.LBB57_409:
	s_waitcnt vmcnt(0)
	v_cmp_ge_i64_e32 vcc, v[26:27], v[28:29]
	s_andn2_b64 s[6:7], s[10:11], exec
	s_and_b64 s[10:11], vcc, exec
	s_or_b64 s[10:11], s[6:7], s[10:11]
.LBB57_410:
	v_cndmask_b32_e64 v30, 0, 1, s[10:11]
.LBB57_411:
	s_or_b64 exec, exec, s[4:5]
	v_or_b32_e32 v26, 0xa00, v0
	v_cmp_gt_i32_e32 vcc, s12, v26
                                        ; implicit-def: $vgpr26
	s_and_saveexec_b64 s[4:5], vcc
	s_cbranch_execz .LBB57_426
; %bb.412:
	s_cmp_lt_i32 s13, 1
	s_mov_b64 s[6:7], 0
	s_cbranch_scc1 .LBB57_417
; %bb.413:
	s_cmp_gt_i32 s13, 1
	s_cbranch_scc0 .LBB57_418
; %bb.414:
	s_cmp_eq_u32 s13, 2
	s_cbranch_scc0 .LBB57_544
; %bb.415:
	s_waitcnt vmcnt(0)
	v_cmp_le_i64_e64 s[10:11], v[22:23], v[24:25]
	s_mov_b64 s[14:15], 0
	s_branch .LBB57_420
.LBB57_416:
	s_waitcnt vmcnt(0)
	v_cmp_lt_i64_e32 vcc, v[26:27], v[28:29]
	s_andn2_b64 s[10:11], s[10:11], exec
	s_and_b64 s[14:15], vcc, exec
	s_or_b64 s[10:11], s[10:11], s[14:15]
	s_cbranch_execz .LBB57_409
	s_branch .LBB57_410
.LBB57_417:
                                        ; implicit-def: $sgpr10_sgpr11
	s_mov_b64 s[14:15], 0
	s_cbranch_execnz .LBB57_421
	s_branch .LBB57_422
.LBB57_418:
	s_mov_b64 s[14:15], 0
                                        ; implicit-def: $sgpr10_sgpr11
	s_cbranch_execz .LBB57_420
; %bb.419:
	s_waitcnt vmcnt(0)
	v_cmp_gt_i64_e32 vcc, v[22:23], v[24:25]
	s_andn2_b64 s[10:11], s[10:11], exec
	s_and_b64 s[16:17], vcc, exec
	s_or_b64 s[10:11], s[10:11], s[16:17]
.LBB57_420:
	s_branch .LBB57_422
.LBB57_421:
	s_cmp_lg_u32 s13, 0
	s_mov_b64 s[6:7], -1
	s_cselect_b64 s[14:15], -1, 0
.LBB57_422:
	s_andn2_b64 vcc, exec, s[14:15]
	s_cbranch_vccz .LBB57_431
; %bb.423:
	s_andn2_b64 vcc, exec, s[6:7]
	s_cbranch_vccnz .LBB57_425
.LBB57_424:
	s_waitcnt vmcnt(0)
	v_cmp_ge_i64_e32 vcc, v[22:23], v[24:25]
	s_andn2_b64 s[6:7], s[10:11], exec
	s_and_b64 s[10:11], vcc, exec
	s_or_b64 s[10:11], s[6:7], s[10:11]
.LBB57_425:
	v_cndmask_b32_e64 v26, 0, 1, s[10:11]
.LBB57_426:
	s_or_b64 exec, exec, s[4:5]
	v_or_b32_e32 v22, 0xb00, v0
	v_cmp_gt_i32_e32 vcc, s12, v22
                                        ; implicit-def: $vgpr22
	s_and_saveexec_b64 s[4:5], vcc
	s_cbranch_execz .LBB57_441
; %bb.427:
	s_cmp_lt_i32 s13, 1
	s_mov_b64 s[6:7], 0
	s_cbranch_scc1 .LBB57_432
; %bb.428:
	s_cmp_gt_i32 s13, 1
	s_cbranch_scc0 .LBB57_433
; %bb.429:
	s_cmp_eq_u32 s13, 2
	s_cbranch_scc0 .LBB57_545
; %bb.430:
	s_waitcnt vmcnt(0)
	v_cmp_le_i64_e64 s[10:11], v[18:19], v[20:21]
	s_mov_b64 s[14:15], 0
	s_branch .LBB57_435
.LBB57_431:
	s_waitcnt vmcnt(0)
	v_cmp_lt_i64_e32 vcc, v[22:23], v[24:25]
	s_andn2_b64 s[10:11], s[10:11], exec
	s_and_b64 s[14:15], vcc, exec
	s_or_b64 s[10:11], s[10:11], s[14:15]
	s_cbranch_execz .LBB57_424
	s_branch .LBB57_425
.LBB57_432:
                                        ; implicit-def: $sgpr10_sgpr11
	s_mov_b64 s[14:15], 0
	s_cbranch_execnz .LBB57_436
	s_branch .LBB57_437
.LBB57_433:
	s_mov_b64 s[14:15], 0
                                        ; implicit-def: $sgpr10_sgpr11
	s_cbranch_execz .LBB57_435
; %bb.434:
	s_waitcnt vmcnt(0)
	v_cmp_gt_i64_e32 vcc, v[18:19], v[20:21]
	s_andn2_b64 s[10:11], s[10:11], exec
	s_and_b64 s[16:17], vcc, exec
	s_or_b64 s[10:11], s[10:11], s[16:17]
.LBB57_435:
	s_branch .LBB57_437
.LBB57_436:
	s_cmp_lg_u32 s13, 0
	s_mov_b64 s[6:7], -1
	s_cselect_b64 s[14:15], -1, 0
.LBB57_437:
	s_andn2_b64 vcc, exec, s[14:15]
	s_cbranch_vccz .LBB57_446
; %bb.438:
	s_andn2_b64 vcc, exec, s[6:7]
	s_cbranch_vccnz .LBB57_440
.LBB57_439:
	s_waitcnt vmcnt(0)
	v_cmp_ge_i64_e32 vcc, v[18:19], v[20:21]
	s_andn2_b64 s[6:7], s[10:11], exec
	s_and_b64 s[10:11], vcc, exec
	s_or_b64 s[10:11], s[6:7], s[10:11]
.LBB57_440:
	v_cndmask_b32_e64 v22, 0, 1, s[10:11]
.LBB57_441:
	s_or_b64 exec, exec, s[4:5]
	v_or_b32_e32 v18, 0xc00, v0
	v_cmp_gt_i32_e32 vcc, s12, v18
                                        ; implicit-def: $vgpr18
	s_and_saveexec_b64 s[4:5], vcc
	s_cbranch_execz .LBB57_456
; %bb.442:
	s_cmp_lt_i32 s13, 1
	s_mov_b64 s[6:7], 0
	s_cbranch_scc1 .LBB57_447
; %bb.443:
	s_cmp_gt_i32 s13, 1
	s_cbranch_scc0 .LBB57_448
; %bb.444:
	s_cmp_eq_u32 s13, 2
	s_cbranch_scc0 .LBB57_546
; %bb.445:
	s_waitcnt vmcnt(0)
	v_cmp_le_i64_e64 s[10:11], v[14:15], v[16:17]
	s_mov_b64 s[14:15], 0
	s_branch .LBB57_450
.LBB57_446:
	s_waitcnt vmcnt(0)
	v_cmp_lt_i64_e32 vcc, v[18:19], v[20:21]
	s_andn2_b64 s[10:11], s[10:11], exec
	s_and_b64 s[14:15], vcc, exec
	s_or_b64 s[10:11], s[10:11], s[14:15]
	s_cbranch_execz .LBB57_439
	s_branch .LBB57_440
.LBB57_447:
                                        ; implicit-def: $sgpr10_sgpr11
	s_mov_b64 s[14:15], 0
	s_cbranch_execnz .LBB57_451
	s_branch .LBB57_452
.LBB57_448:
	s_mov_b64 s[14:15], 0
                                        ; implicit-def: $sgpr10_sgpr11
	s_cbranch_execz .LBB57_450
; %bb.449:
	s_waitcnt vmcnt(0)
	v_cmp_gt_i64_e32 vcc, v[14:15], v[16:17]
	s_andn2_b64 s[10:11], s[10:11], exec
	s_and_b64 s[16:17], vcc, exec
	s_or_b64 s[10:11], s[10:11], s[16:17]
.LBB57_450:
	s_branch .LBB57_452
.LBB57_451:
	s_cmp_lg_u32 s13, 0
	s_mov_b64 s[6:7], -1
	s_cselect_b64 s[14:15], -1, 0
.LBB57_452:
	s_andn2_b64 vcc, exec, s[14:15]
	s_cbranch_vccz .LBB57_461
; %bb.453:
	s_andn2_b64 vcc, exec, s[6:7]
	s_cbranch_vccnz .LBB57_455
.LBB57_454:
	s_waitcnt vmcnt(0)
	v_cmp_ge_i64_e32 vcc, v[14:15], v[16:17]
	s_andn2_b64 s[6:7], s[10:11], exec
	s_and_b64 s[10:11], vcc, exec
	s_or_b64 s[10:11], s[6:7], s[10:11]
.LBB57_455:
	v_cndmask_b32_e64 v18, 0, 1, s[10:11]
.LBB57_456:
	s_or_b64 exec, exec, s[4:5]
	v_or_b32_e32 v14, 0xd00, v0
	v_cmp_gt_i32_e32 vcc, s12, v14
                                        ; implicit-def: $vgpr14
	s_and_saveexec_b64 s[4:5], vcc
	s_cbranch_execz .LBB57_471
; %bb.457:
	s_cmp_lt_i32 s13, 1
	s_mov_b64 s[6:7], 0
	s_cbranch_scc1 .LBB57_462
; %bb.458:
	s_cmp_gt_i32 s13, 1
	s_cbranch_scc0 .LBB57_463
; %bb.459:
	s_cmp_eq_u32 s13, 2
	s_cbranch_scc0 .LBB57_547
; %bb.460:
	s_waitcnt vmcnt(0)
	v_cmp_le_i64_e64 s[10:11], v[10:11], v[12:13]
	s_mov_b64 s[14:15], 0
	s_branch .LBB57_465
.LBB57_461:
	s_waitcnt vmcnt(0)
	v_cmp_lt_i64_e32 vcc, v[14:15], v[16:17]
	s_andn2_b64 s[10:11], s[10:11], exec
	s_and_b64 s[14:15], vcc, exec
	s_or_b64 s[10:11], s[10:11], s[14:15]
	s_cbranch_execz .LBB57_454
	s_branch .LBB57_455
.LBB57_462:
                                        ; implicit-def: $sgpr10_sgpr11
	s_mov_b64 s[14:15], 0
	s_cbranch_execnz .LBB57_466
	s_branch .LBB57_467
.LBB57_463:
	s_mov_b64 s[14:15], 0
                                        ; implicit-def: $sgpr10_sgpr11
	s_cbranch_execz .LBB57_465
; %bb.464:
	s_waitcnt vmcnt(0)
	v_cmp_gt_i64_e32 vcc, v[10:11], v[12:13]
	s_andn2_b64 s[10:11], s[10:11], exec
	s_and_b64 s[16:17], vcc, exec
	s_or_b64 s[10:11], s[10:11], s[16:17]
.LBB57_465:
	s_branch .LBB57_467
.LBB57_466:
	s_cmp_lg_u32 s13, 0
	s_mov_b64 s[6:7], -1
	s_cselect_b64 s[14:15], -1, 0
.LBB57_467:
	s_andn2_b64 vcc, exec, s[14:15]
	s_cbranch_vccz .LBB57_476
; %bb.468:
	s_andn2_b64 vcc, exec, s[6:7]
	s_cbranch_vccnz .LBB57_470
.LBB57_469:
	s_waitcnt vmcnt(0)
	v_cmp_ge_i64_e32 vcc, v[10:11], v[12:13]
	s_andn2_b64 s[6:7], s[10:11], exec
	s_and_b64 s[10:11], vcc, exec
	s_or_b64 s[10:11], s[6:7], s[10:11]
.LBB57_470:
	v_cndmask_b32_e64 v14, 0, 1, s[10:11]
.LBB57_471:
	s_or_b64 exec, exec, s[4:5]
	v_or_b32_e32 v10, 0xe00, v0
	v_cmp_gt_i32_e32 vcc, s12, v10
                                        ; implicit-def: $vgpr10
	s_and_saveexec_b64 s[4:5], vcc
	s_cbranch_execz .LBB57_486
; %bb.472:
	s_cmp_lt_i32 s13, 1
	s_mov_b64 s[6:7], 0
	s_cbranch_scc1 .LBB57_477
; %bb.473:
	s_cmp_gt_i32 s13, 1
	s_cbranch_scc0 .LBB57_478
; %bb.474:
	s_cmp_eq_u32 s13, 2
	s_cbranch_scc0 .LBB57_548
; %bb.475:
	s_waitcnt vmcnt(0)
	v_cmp_le_i64_e64 s[10:11], v[6:7], v[8:9]
	s_mov_b64 s[14:15], 0
	s_branch .LBB57_480
.LBB57_476:
	s_waitcnt vmcnt(0)
	v_cmp_lt_i64_e32 vcc, v[10:11], v[12:13]
	s_andn2_b64 s[10:11], s[10:11], exec
	s_and_b64 s[14:15], vcc, exec
	s_or_b64 s[10:11], s[10:11], s[14:15]
	s_cbranch_execz .LBB57_469
	s_branch .LBB57_470
.LBB57_477:
                                        ; implicit-def: $sgpr10_sgpr11
	s_mov_b64 s[14:15], 0
	s_cbranch_execnz .LBB57_481
	s_branch .LBB57_482
.LBB57_478:
	s_mov_b64 s[14:15], 0
                                        ; implicit-def: $sgpr10_sgpr11
	s_cbranch_execz .LBB57_480
; %bb.479:
	s_waitcnt vmcnt(0)
	v_cmp_gt_i64_e32 vcc, v[6:7], v[8:9]
	s_andn2_b64 s[10:11], s[10:11], exec
	s_and_b64 s[16:17], vcc, exec
	s_or_b64 s[10:11], s[10:11], s[16:17]
.LBB57_480:
	s_branch .LBB57_482
.LBB57_481:
	s_cmp_lg_u32 s13, 0
	s_mov_b64 s[6:7], -1
	s_cselect_b64 s[14:15], -1, 0
.LBB57_482:
	s_andn2_b64 vcc, exec, s[14:15]
	s_cbranch_vccz .LBB57_491
; %bb.483:
	s_andn2_b64 vcc, exec, s[6:7]
	s_cbranch_vccnz .LBB57_485
.LBB57_484:
	s_waitcnt vmcnt(0)
	v_cmp_ge_i64_e32 vcc, v[6:7], v[8:9]
	s_andn2_b64 s[6:7], s[10:11], exec
	s_and_b64 s[10:11], vcc, exec
	s_or_b64 s[10:11], s[6:7], s[10:11]
.LBB57_485:
	v_cndmask_b32_e64 v10, 0, 1, s[10:11]
.LBB57_486:
	s_or_b64 exec, exec, s[4:5]
	v_or_b32_e32 v6, 0xf00, v0
	v_cmp_gt_i32_e32 vcc, s12, v6
                                        ; implicit-def: $vgpr6
	s_and_saveexec_b64 s[4:5], vcc
	s_cbranch_execz .LBB57_501
; %bb.487:
	s_cmp_lt_i32 s13, 1
	s_mov_b64 s[6:7], 0
	s_cbranch_scc1 .LBB57_492
; %bb.488:
	s_cmp_gt_i32 s13, 1
	s_cbranch_scc0 .LBB57_493
; %bb.489:
	s_cmp_eq_u32 s13, 2
	s_cbranch_scc0 .LBB57_549
; %bb.490:
	s_waitcnt vmcnt(0)
	v_cmp_le_i64_e64 s[10:11], v[2:3], v[4:5]
	s_mov_b64 s[14:15], 0
	s_branch .LBB57_495
.LBB57_491:
	s_waitcnt vmcnt(0)
	v_cmp_lt_i64_e32 vcc, v[6:7], v[8:9]
	s_andn2_b64 s[10:11], s[10:11], exec
	s_and_b64 s[14:15], vcc, exec
	s_or_b64 s[10:11], s[10:11], s[14:15]
	s_cbranch_execz .LBB57_484
	s_branch .LBB57_485
.LBB57_492:
                                        ; implicit-def: $sgpr10_sgpr11
	s_mov_b64 s[14:15], 0
	s_cbranch_execnz .LBB57_496
	s_branch .LBB57_497
.LBB57_493:
	s_mov_b64 s[14:15], 0
                                        ; implicit-def: $sgpr10_sgpr11
	s_cbranch_execz .LBB57_495
; %bb.494:
	s_waitcnt vmcnt(0)
	v_cmp_gt_i64_e32 vcc, v[2:3], v[4:5]
	s_andn2_b64 s[10:11], s[10:11], exec
	s_and_b64 s[16:17], vcc, exec
	s_or_b64 s[10:11], s[10:11], s[16:17]
.LBB57_495:
	s_branch .LBB57_497
.LBB57_496:
	s_cmp_lg_u32 s13, 0
	s_mov_b64 s[6:7], -1
	s_cselect_b64 s[14:15], -1, 0
.LBB57_497:
	s_andn2_b64 vcc, exec, s[14:15]
	s_cbranch_vccz .LBB57_534
; %bb.498:
	s_andn2_b64 vcc, exec, s[6:7]
	s_cbranch_vccnz .LBB57_500
.LBB57_499:
	s_waitcnt vmcnt(0)
	v_cmp_ge_i64_e32 vcc, v[2:3], v[4:5]
	s_andn2_b64 s[6:7], s[10:11], exec
	s_and_b64 s[10:11], vcc, exec
	s_or_b64 s[10:11], s[6:7], s[10:11]
.LBB57_500:
	v_cndmask_b32_e64 v6, 0, 1, s[10:11]
.LBB57_501:
	s_or_b64 exec, exec, s[4:5]
	s_and_saveexec_b64 s[4:5], s[0:1]
	s_xor_b64 s[0:1], exec, s[4:5]
	s_cbranch_execz .LBB57_503
; %bb.502:
	v_mov_b32_e32 v0, v62
	global_store_byte v1, v66, s[8:9]
.LBB57_503:
	s_or_b64 exec, exec, s[0:1]
	v_cmp_gt_i32_e32 vcc, s12, v0
	s_and_saveexec_b64 s[0:1], vcc
	s_cbranch_execnz .LBB57_520
; %bb.504:
	s_or_b64 exec, exec, s[0:1]
	v_cmp_gt_i32_e32 vcc, s12, v0
	s_and_saveexec_b64 s[0:1], vcc
	s_cbranch_execnz .LBB57_521
.LBB57_505:
	s_or_b64 exec, exec, s[0:1]
	v_cmp_gt_i32_e32 vcc, s12, v0
	s_and_saveexec_b64 s[0:1], vcc
	s_cbranch_execnz .LBB57_522
.LBB57_506:
	s_or_b64 exec, exec, s[0:1]
	v_cmp_gt_i32_e32 vcc, s12, v0
	s_and_saveexec_b64 s[0:1], vcc
	s_cbranch_execnz .LBB57_523
.LBB57_507:
	s_or_b64 exec, exec, s[0:1]
	v_cmp_gt_i32_e32 vcc, s12, v0
	s_and_saveexec_b64 s[0:1], vcc
	s_cbranch_execnz .LBB57_524
.LBB57_508:
	s_or_b64 exec, exec, s[0:1]
	v_cmp_gt_i32_e32 vcc, s12, v0
	s_and_saveexec_b64 s[0:1], vcc
	s_cbranch_execnz .LBB57_525
.LBB57_509:
	s_or_b64 exec, exec, s[0:1]
	v_cmp_gt_i32_e32 vcc, s12, v0
	s_and_saveexec_b64 s[0:1], vcc
	s_cbranch_execnz .LBB57_526
.LBB57_510:
	s_or_b64 exec, exec, s[0:1]
	v_cmp_gt_i32_e32 vcc, s12, v0
	s_and_saveexec_b64 s[0:1], vcc
	s_cbranch_execnz .LBB57_527
.LBB57_511:
	s_or_b64 exec, exec, s[0:1]
	v_cmp_gt_i32_e32 vcc, s12, v0
	s_and_saveexec_b64 s[0:1], vcc
	s_cbranch_execnz .LBB57_528
.LBB57_512:
	s_or_b64 exec, exec, s[0:1]
	v_cmp_gt_i32_e32 vcc, s12, v0
	s_and_saveexec_b64 s[0:1], vcc
	s_cbranch_execnz .LBB57_529
.LBB57_513:
	s_or_b64 exec, exec, s[0:1]
	v_cmp_gt_i32_e32 vcc, s12, v0
	s_and_saveexec_b64 s[0:1], vcc
	s_cbranch_execnz .LBB57_530
.LBB57_514:
	s_or_b64 exec, exec, s[0:1]
	v_cmp_gt_i32_e32 vcc, s12, v0
	s_and_saveexec_b64 s[0:1], vcc
	s_cbranch_execnz .LBB57_531
.LBB57_515:
	s_or_b64 exec, exec, s[0:1]
	v_cmp_gt_i32_e32 vcc, s12, v0
	s_and_saveexec_b64 s[0:1], vcc
	s_cbranch_execnz .LBB57_532
.LBB57_516:
	s_or_b64 exec, exec, s[0:1]
	v_cmp_gt_i32_e32 vcc, s12, v0
	s_and_saveexec_b64 s[0:1], vcc
	s_cbranch_execnz .LBB57_533
.LBB57_517:
	s_or_b64 exec, exec, s[0:1]
	v_cmp_gt_i32_e32 vcc, s12, v0
	s_and_saveexec_b64 s[0:1], vcc
	s_cbranch_execz .LBB57_519
.LBB57_518:
	v_add_u32_e32 v0, s2, v0
	global_store_byte v0, v6, s[8:9]
.LBB57_519:
	s_endpgm
.LBB57_520:
	v_add_u32_e32 v1, s2, v0
	v_add_u32_e32 v0, 0x100, v0
	global_store_byte v1, v63, s[8:9]
	s_or_b64 exec, exec, s[0:1]
	v_cmp_gt_i32_e32 vcc, s12, v0
	s_and_saveexec_b64 s[0:1], vcc
	s_cbranch_execz .LBB57_505
.LBB57_521:
	v_add_u32_e32 v1, s2, v0
	v_add_u32_e32 v0, 0x100, v0
	global_store_byte v1, v58, s[8:9]
	s_or_b64 exec, exec, s[0:1]
	v_cmp_gt_i32_e32 vcc, s12, v0
	s_and_saveexec_b64 s[0:1], vcc
	s_cbranch_execz .LBB57_506
.LBB57_522:
	v_add_u32_e32 v1, s2, v0
	v_add_u32_e32 v0, 0x100, v0
	global_store_byte v1, v54, s[8:9]
	s_or_b64 exec, exec, s[0:1]
	v_cmp_gt_i32_e32 vcc, s12, v0
	s_and_saveexec_b64 s[0:1], vcc
	s_cbranch_execz .LBB57_507
.LBB57_523:
	v_add_u32_e32 v1, s2, v0
	v_add_u32_e32 v0, 0x100, v0
	global_store_byte v1, v50, s[8:9]
	s_or_b64 exec, exec, s[0:1]
	v_cmp_gt_i32_e32 vcc, s12, v0
	s_and_saveexec_b64 s[0:1], vcc
	s_cbranch_execz .LBB57_508
.LBB57_524:
	v_add_u32_e32 v1, s2, v0
	v_add_u32_e32 v0, 0x100, v0
	global_store_byte v1, v46, s[8:9]
	s_or_b64 exec, exec, s[0:1]
	v_cmp_gt_i32_e32 vcc, s12, v0
	s_and_saveexec_b64 s[0:1], vcc
	s_cbranch_execz .LBB57_509
.LBB57_525:
	v_add_u32_e32 v1, s2, v0
	v_add_u32_e32 v0, 0x100, v0
	global_store_byte v1, v42, s[8:9]
	s_or_b64 exec, exec, s[0:1]
	v_cmp_gt_i32_e32 vcc, s12, v0
	s_and_saveexec_b64 s[0:1], vcc
	s_cbranch_execz .LBB57_510
.LBB57_526:
	v_add_u32_e32 v1, s2, v0
	v_add_u32_e32 v0, 0x100, v0
	global_store_byte v1, v38, s[8:9]
	s_or_b64 exec, exec, s[0:1]
	v_cmp_gt_i32_e32 vcc, s12, v0
	s_and_saveexec_b64 s[0:1], vcc
	s_cbranch_execz .LBB57_511
.LBB57_527:
	v_add_u32_e32 v1, s2, v0
	v_add_u32_e32 v0, 0x100, v0
	global_store_byte v1, v34, s[8:9]
	s_or_b64 exec, exec, s[0:1]
	v_cmp_gt_i32_e32 vcc, s12, v0
	s_and_saveexec_b64 s[0:1], vcc
	s_cbranch_execz .LBB57_512
.LBB57_528:
	v_add_u32_e32 v1, s2, v0
	v_add_u32_e32 v0, 0x100, v0
	global_store_byte v1, v30, s[8:9]
	s_or_b64 exec, exec, s[0:1]
	v_cmp_gt_i32_e32 vcc, s12, v0
	s_and_saveexec_b64 s[0:1], vcc
	s_cbranch_execz .LBB57_513
.LBB57_529:
	v_add_u32_e32 v1, s2, v0
	v_add_u32_e32 v0, 0x100, v0
	global_store_byte v1, v26, s[8:9]
	s_or_b64 exec, exec, s[0:1]
	v_cmp_gt_i32_e32 vcc, s12, v0
	s_and_saveexec_b64 s[0:1], vcc
	s_cbranch_execz .LBB57_514
.LBB57_530:
	v_add_u32_e32 v1, s2, v0
	v_add_u32_e32 v0, 0x100, v0
	global_store_byte v1, v22, s[8:9]
	s_or_b64 exec, exec, s[0:1]
	v_cmp_gt_i32_e32 vcc, s12, v0
	s_and_saveexec_b64 s[0:1], vcc
	s_cbranch_execz .LBB57_515
.LBB57_531:
	v_add_u32_e32 v1, s2, v0
	v_add_u32_e32 v0, 0x100, v0
	global_store_byte v1, v18, s[8:9]
	s_or_b64 exec, exec, s[0:1]
	v_cmp_gt_i32_e32 vcc, s12, v0
	s_and_saveexec_b64 s[0:1], vcc
	s_cbranch_execz .LBB57_516
.LBB57_532:
	v_add_u32_e32 v1, s2, v0
	v_add_u32_e32 v0, 0x100, v0
	global_store_byte v1, v14, s[8:9]
	s_or_b64 exec, exec, s[0:1]
	v_cmp_gt_i32_e32 vcc, s12, v0
	s_and_saveexec_b64 s[0:1], vcc
	s_cbranch_execz .LBB57_517
.LBB57_533:
	v_add_u32_e32 v1, s2, v0
	v_add_u32_e32 v0, 0x100, v0
	global_store_byte v1, v10, s[8:9]
	s_or_b64 exec, exec, s[0:1]
	v_cmp_gt_i32_e32 vcc, s12, v0
	s_and_saveexec_b64 s[0:1], vcc
	s_cbranch_execnz .LBB57_518
	s_branch .LBB57_519
.LBB57_534:
	s_waitcnt vmcnt(0)
	v_cmp_lt_i64_e32 vcc, v[2:3], v[4:5]
	s_andn2_b64 s[10:11], s[10:11], exec
	s_and_b64 s[14:15], vcc, exec
	s_or_b64 s[10:11], s[10:11], s[14:15]
	s_cbranch_execz .LBB57_499
	s_branch .LBB57_500
.LBB57_535:
	s_mov_b64 s[14:15], -1
                                        ; implicit-def: $sgpr10_sgpr11
	s_branch .LBB57_285
.LBB57_536:
	s_mov_b64 s[14:15], -1
                                        ; implicit-def: $sgpr10_sgpr11
	s_branch .LBB57_300
.LBB57_537:
	s_mov_b64 s[14:15], -1
                                        ; implicit-def: $sgpr10_sgpr11
	s_branch .LBB57_315
.LBB57_538:
	s_mov_b64 s[14:15], -1
                                        ; implicit-def: $sgpr10_sgpr11
	s_branch .LBB57_330
.LBB57_539:
	s_mov_b64 s[14:15], -1
                                        ; implicit-def: $sgpr10_sgpr11
	s_branch .LBB57_345
.LBB57_540:
	s_mov_b64 s[14:15], -1
                                        ; implicit-def: $sgpr10_sgpr11
	s_branch .LBB57_360
.LBB57_541:
	s_mov_b64 s[14:15], -1
                                        ; implicit-def: $sgpr10_sgpr11
	s_branch .LBB57_375
.LBB57_542:
	s_mov_b64 s[14:15], -1
                                        ; implicit-def: $sgpr10_sgpr11
	s_branch .LBB57_390
.LBB57_543:
	s_mov_b64 s[14:15], -1
                                        ; implicit-def: $sgpr10_sgpr11
	s_branch .LBB57_405
.LBB57_544:
	s_mov_b64 s[14:15], -1
                                        ; implicit-def: $sgpr10_sgpr11
	s_branch .LBB57_420
.LBB57_545:
	s_mov_b64 s[14:15], -1
                                        ; implicit-def: $sgpr10_sgpr11
	s_branch .LBB57_435
.LBB57_546:
	s_mov_b64 s[14:15], -1
                                        ; implicit-def: $sgpr10_sgpr11
	s_branch .LBB57_450
.LBB57_547:
	s_mov_b64 s[14:15], -1
                                        ; implicit-def: $sgpr10_sgpr11
	s_branch .LBB57_465
.LBB57_548:
	s_mov_b64 s[14:15], -1
                                        ; implicit-def: $sgpr10_sgpr11
	s_branch .LBB57_480
.LBB57_549:
	s_mov_b64 s[14:15], -1
                                        ; implicit-def: $sgpr10_sgpr11
	s_branch .LBB57_495
	.section	.rodata,"a",@progbits
	.p2align	6, 0x0
	.amdhsa_kernel _ZN2at6native29vectorized_elementwise_kernelILi8ENS0_12_GLOBAL__N_114CompareFunctorIlEESt5arrayIPcLm3EEEEviT0_T1_
		.amdhsa_group_segment_fixed_size 0
		.amdhsa_private_segment_fixed_size 0
		.amdhsa_kernarg_size 32
		.amdhsa_user_sgpr_count 6
		.amdhsa_user_sgpr_private_segment_buffer 1
		.amdhsa_user_sgpr_dispatch_ptr 0
		.amdhsa_user_sgpr_queue_ptr 0
		.amdhsa_user_sgpr_kernarg_segment_ptr 1
		.amdhsa_user_sgpr_dispatch_id 0
		.amdhsa_user_sgpr_flat_scratch_init 0
		.amdhsa_user_sgpr_private_segment_size 0
		.amdhsa_uses_dynamic_stack 0
		.amdhsa_system_sgpr_private_segment_wavefront_offset 0
		.amdhsa_system_sgpr_workgroup_id_x 1
		.amdhsa_system_sgpr_workgroup_id_y 0
		.amdhsa_system_sgpr_workgroup_id_z 0
		.amdhsa_system_sgpr_workgroup_info 0
		.amdhsa_system_vgpr_workitem_id 0
		.amdhsa_next_free_vgpr 70
		.amdhsa_next_free_sgpr 50
		.amdhsa_reserve_vcc 1
		.amdhsa_reserve_flat_scratch 0
		.amdhsa_float_round_mode_32 0
		.amdhsa_float_round_mode_16_64 0
		.amdhsa_float_denorm_mode_32 3
		.amdhsa_float_denorm_mode_16_64 3
		.amdhsa_dx10_clamp 1
		.amdhsa_ieee_mode 1
		.amdhsa_fp16_overflow 0
		.amdhsa_exception_fp_ieee_invalid_op 0
		.amdhsa_exception_fp_denorm_src 0
		.amdhsa_exception_fp_ieee_div_zero 0
		.amdhsa_exception_fp_ieee_overflow 0
		.amdhsa_exception_fp_ieee_underflow 0
		.amdhsa_exception_fp_ieee_inexact 0
		.amdhsa_exception_int_div_zero 0
	.end_amdhsa_kernel
	.section	.text._ZN2at6native29vectorized_elementwise_kernelILi8ENS0_12_GLOBAL__N_114CompareFunctorIlEESt5arrayIPcLm3EEEEviT0_T1_,"axG",@progbits,_ZN2at6native29vectorized_elementwise_kernelILi8ENS0_12_GLOBAL__N_114CompareFunctorIlEESt5arrayIPcLm3EEEEviT0_T1_,comdat
.Lfunc_end57:
	.size	_ZN2at6native29vectorized_elementwise_kernelILi8ENS0_12_GLOBAL__N_114CompareFunctorIlEESt5arrayIPcLm3EEEEviT0_T1_, .Lfunc_end57-_ZN2at6native29vectorized_elementwise_kernelILi8ENS0_12_GLOBAL__N_114CompareFunctorIlEESt5arrayIPcLm3EEEEviT0_T1_
                                        ; -- End function
	.set _ZN2at6native29vectorized_elementwise_kernelILi8ENS0_12_GLOBAL__N_114CompareFunctorIlEESt5arrayIPcLm3EEEEviT0_T1_.num_vgpr, 70
	.set _ZN2at6native29vectorized_elementwise_kernelILi8ENS0_12_GLOBAL__N_114CompareFunctorIlEESt5arrayIPcLm3EEEEviT0_T1_.num_agpr, 0
	.set _ZN2at6native29vectorized_elementwise_kernelILi8ENS0_12_GLOBAL__N_114CompareFunctorIlEESt5arrayIPcLm3EEEEviT0_T1_.numbered_sgpr, 50
	.set _ZN2at6native29vectorized_elementwise_kernelILi8ENS0_12_GLOBAL__N_114CompareFunctorIlEESt5arrayIPcLm3EEEEviT0_T1_.num_named_barrier, 0
	.set _ZN2at6native29vectorized_elementwise_kernelILi8ENS0_12_GLOBAL__N_114CompareFunctorIlEESt5arrayIPcLm3EEEEviT0_T1_.private_seg_size, 0
	.set _ZN2at6native29vectorized_elementwise_kernelILi8ENS0_12_GLOBAL__N_114CompareFunctorIlEESt5arrayIPcLm3EEEEviT0_T1_.uses_vcc, 1
	.set _ZN2at6native29vectorized_elementwise_kernelILi8ENS0_12_GLOBAL__N_114CompareFunctorIlEESt5arrayIPcLm3EEEEviT0_T1_.uses_flat_scratch, 0
	.set _ZN2at6native29vectorized_elementwise_kernelILi8ENS0_12_GLOBAL__N_114CompareFunctorIlEESt5arrayIPcLm3EEEEviT0_T1_.has_dyn_sized_stack, 0
	.set _ZN2at6native29vectorized_elementwise_kernelILi8ENS0_12_GLOBAL__N_114CompareFunctorIlEESt5arrayIPcLm3EEEEviT0_T1_.has_recursion, 0
	.set _ZN2at6native29vectorized_elementwise_kernelILi8ENS0_12_GLOBAL__N_114CompareFunctorIlEESt5arrayIPcLm3EEEEviT0_T1_.has_indirect_call, 0
	.section	.AMDGPU.csdata,"",@progbits
; Kernel info:
; codeLenInByte = 9152
; TotalNumSgprs: 54
; NumVgprs: 70
; ScratchSize: 0
; MemoryBound: 1
; FloatMode: 240
; IeeeMode: 1
; LDSByteSize: 0 bytes/workgroup (compile time only)
; SGPRBlocks: 6
; VGPRBlocks: 17
; NumSGPRsForWavesPerEU: 54
; NumVGPRsForWavesPerEU: 70
; Occupancy: 3
; WaveLimiterHint : 1
; COMPUTE_PGM_RSRC2:SCRATCH_EN: 0
; COMPUTE_PGM_RSRC2:USER_SGPR: 6
; COMPUTE_PGM_RSRC2:TRAP_HANDLER: 0
; COMPUTE_PGM_RSRC2:TGID_X_EN: 1
; COMPUTE_PGM_RSRC2:TGID_Y_EN: 0
; COMPUTE_PGM_RSRC2:TGID_Z_EN: 0
; COMPUTE_PGM_RSRC2:TIDIG_COMP_CNT: 0
	.section	.text._ZN2at6native29vectorized_elementwise_kernelILi4ENS0_12_GLOBAL__N_114CompareFunctorIlEESt5arrayIPcLm3EEEEviT0_T1_,"axG",@progbits,_ZN2at6native29vectorized_elementwise_kernelILi4ENS0_12_GLOBAL__N_114CompareFunctorIlEESt5arrayIPcLm3EEEEviT0_T1_,comdat
	.globl	_ZN2at6native29vectorized_elementwise_kernelILi4ENS0_12_GLOBAL__N_114CompareFunctorIlEESt5arrayIPcLm3EEEEviT0_T1_ ; -- Begin function _ZN2at6native29vectorized_elementwise_kernelILi4ENS0_12_GLOBAL__N_114CompareFunctorIlEESt5arrayIPcLm3EEEEviT0_T1_
	.p2align	8
	.type	_ZN2at6native29vectorized_elementwise_kernelILi4ENS0_12_GLOBAL__N_114CompareFunctorIlEESt5arrayIPcLm3EEEEviT0_T1_,@function
_ZN2at6native29vectorized_elementwise_kernelILi4ENS0_12_GLOBAL__N_114CompareFunctorIlEESt5arrayIPcLm3EEEEviT0_T1_: ; @_ZN2at6native29vectorized_elementwise_kernelILi4ENS0_12_GLOBAL__N_114CompareFunctorIlEESt5arrayIPcLm3EEEEviT0_T1_
; %bb.0:
	s_load_dwordx2 s[12:13], s[4:5], 0x0
	s_load_dwordx4 s[8:11], s[4:5], 0x8
	s_load_dwordx2 s[14:15], s[4:5], 0x18
	s_lshl_b32 s2, s6, 12
	s_mov_b64 s[0:1], -1
	s_waitcnt lgkmcnt(0)
	s_sub_i32 s12, s12, s2
	s_cmpk_gt_i32 s12, 0xfff
	s_cbranch_scc0 .LBB58_211
; %bb.1:
	s_ashr_i32 s3, s2, 31
	s_lshl_b64 s[4:5], s[2:3], 3
	s_add_u32 s0, s10, s4
	s_addc_u32 s1, s11, s5
	v_lshlrev_b32_e32 v13, 5, v0
	v_mov_b32_e32 v1, s1
	v_add_co_u32_e32 v5, vcc, s0, v13
	v_addc_co_u32_e32 v7, vcc, 0, v1, vcc
	v_add_co_u32_e32 v1, vcc, 0x2000, v5
	global_load_dwordx4 v[49:52], v13, s[0:1] offset:16
	global_load_dwordx4 v[57:60], v13, s[0:1]
	v_addc_co_u32_e64 v2, s[0:1], 0, v7, vcc
	v_addc_co_u32_e32 v4, vcc, 0, v7, vcc
	v_mov_b32_e32 v3, v1
	global_load_dwordx4 v[41:44], v[3:4], off
	global_load_dwordx4 v[33:36], v[1:2], off offset:16
	v_add_co_u32_e32 v1, vcc, 0x4000, v5
	v_addc_co_u32_e64 v2, s[0:1], 0, v7, vcc
	v_addc_co_u32_e32 v4, vcc, 0, v7, vcc
	v_add_co_u32_e32 v5, vcc, 0x6000, v5
	v_addc_co_u32_e64 v6, s[0:1], 0, v7, vcc
	s_add_u32 s0, s14, s4
	v_mov_b32_e32 v3, v1
	v_addc_co_u32_e32 v8, vcc, 0, v7, vcc
	v_mov_b32_e32 v7, v5
	s_addc_u32 s1, s15, s5
	global_load_dwordx4 v[25:28], v[3:4], off
	global_load_dwordx4 v[17:20], v[1:2], off offset:16
	global_load_dwordx4 v[9:12], v[7:8], off
	s_nop 0
	global_load_dwordx4 v[1:4], v[5:6], off offset:16
	v_mov_b32_e32 v5, s1
	v_add_co_u32_e32 v7, vcc, s0, v13
	s_movk_i32 s6, 0x2000
	v_addc_co_u32_e32 v8, vcc, 0, v5, vcc
	v_add_co_u32_e32 v5, vcc, s6, v7
	s_movk_i32 s7, 0x4000
	v_addc_co_u32_e32 v6, vcc, 0, v8, vcc
	global_load_dwordx4 v[53:56], v13, s[0:1] offset:16
	global_load_dwordx4 v[61:64], v13, s[0:1]
	global_load_dwordx4 v[45:48], v[5:6], off
	global_load_dwordx4 v[37:40], v[5:6], off offset:16
	v_add_co_u32_e32 v5, vcc, s7, v7
	v_addc_co_u32_e32 v6, vcc, 0, v8, vcc
	v_add_co_u32_e32 v65, vcc, 0x6000, v7
	v_addc_co_u32_e64 v66, s[0:1], 0, v8, vcc
	v_addc_co_u32_e32 v68, vcc, 0, v8, vcc
	v_mov_b32_e32 v67, v65
	global_load_dwordx4 v[29:32], v[5:6], off
	global_load_dwordx4 v[21:24], v[5:6], off offset:16
	global_load_dwordx4 v[13:16], v[67:68], off
	s_nop 0
	global_load_dwordx4 v[5:8], v[65:66], off offset:16
	s_cmp_lt_i32 s13, 1
	s_mov_b64 s[4:5], 0
	s_cbranch_scc1 .LBB58_5
; %bb.2:
	s_cmp_gt_i32 s13, 1
	s_cbranch_scc0 .LBB58_6
; %bb.3:
	s_cmp_eq_u32 s13, 2
	s_cbranch_scc0 .LBB58_7
; %bb.4:
	s_waitcnt vmcnt(6)
	v_cmp_le_i64_e64 s[0:1], v[57:58], v[61:62]
	s_mov_b64 s[6:7], 0
	s_branch .LBB58_8
.LBB58_5:
                                        ; implicit-def: $sgpr0_sgpr1
	s_mov_b64 s[6:7], 0
	s_cbranch_execnz .LBB58_11
	s_branch .LBB58_12
.LBB58_6:
	s_mov_b64 s[6:7], 0
                                        ; implicit-def: $sgpr0_sgpr1
	s_cbranch_execnz .LBB58_9
	s_branch .LBB58_10
.LBB58_7:
	s_mov_b64 s[6:7], -1
                                        ; implicit-def: $sgpr0_sgpr1
.LBB58_8:
	s_branch .LBB58_10
.LBB58_9:
	s_waitcnt vmcnt(6)
	v_cmp_gt_i64_e32 vcc, v[57:58], v[61:62]
	s_andn2_b64 s[0:1], s[0:1], exec
	s_and_b64 s[16:17], vcc, exec
	s_or_b64 s[0:1], s[0:1], s[16:17]
.LBB58_10:
	s_branch .LBB58_12
.LBB58_11:
	s_cmp_lg_u32 s13, 0
	s_mov_b64 s[4:5], -1
	s_cselect_b64 s[6:7], -1, 0
.LBB58_12:
	s_andn2_b64 vcc, exec, s[6:7]
	s_cbranch_vccz .LBB58_18
; %bb.13:
	s_andn2_b64 vcc, exec, s[4:5]
	s_cbranch_vccz .LBB58_19
.LBB58_14:
	s_cmp_lt_i32 s13, 1
	s_mov_b64 s[6:7], 0
	s_cbranch_scc1 .LBB58_20
.LBB58_15:
	s_cmp_gt_i32 s13, 1
	s_cbranch_scc0 .LBB58_21
; %bb.16:
	s_cmp_eq_u32 s13, 2
	s_cbranch_scc0 .LBB58_251
; %bb.17:
	s_waitcnt vmcnt(6)
	v_cmp_le_i64_e64 s[4:5], v[59:60], v[63:64]
	s_mov_b64 s[16:17], 0
	s_branch .LBB58_23
.LBB58_18:
	s_waitcnt vmcnt(6)
	v_cmp_lt_i64_e32 vcc, v[57:58], v[61:62]
	s_andn2_b64 s[0:1], s[0:1], exec
	s_and_b64 s[6:7], vcc, exec
	s_or_b64 s[0:1], s[0:1], s[6:7]
	s_cbranch_execnz .LBB58_14
.LBB58_19:
	s_waitcnt vmcnt(6)
	v_cmp_ge_i64_e32 vcc, v[57:58], v[61:62]
	s_andn2_b64 s[0:1], s[0:1], exec
	s_and_b64 s[4:5], vcc, exec
	s_or_b64 s[0:1], s[0:1], s[4:5]
	s_cmp_lt_i32 s13, 1
	s_mov_b64 s[6:7], 0
	s_cbranch_scc0 .LBB58_15
.LBB58_20:
                                        ; implicit-def: $sgpr4_sgpr5
	s_mov_b64 s[16:17], 0
	s_cbranch_execnz .LBB58_24
	s_branch .LBB58_25
.LBB58_21:
	s_mov_b64 s[16:17], 0
                                        ; implicit-def: $sgpr4_sgpr5
	s_cbranch_execz .LBB58_23
; %bb.22:
	s_waitcnt vmcnt(6)
	v_cmp_gt_i64_e32 vcc, v[59:60], v[63:64]
	s_andn2_b64 s[4:5], s[4:5], exec
	s_and_b64 s[18:19], vcc, exec
	s_or_b64 s[4:5], s[4:5], s[18:19]
.LBB58_23:
	s_branch .LBB58_25
.LBB58_24:
	s_cmp_lg_u32 s13, 0
	s_mov_b64 s[6:7], -1
	s_cselect_b64 s[16:17], -1, 0
.LBB58_25:
	s_andn2_b64 vcc, exec, s[16:17]
	s_cbranch_vccz .LBB58_31
; %bb.26:
	s_andn2_b64 vcc, exec, s[6:7]
	s_cbranch_vccz .LBB58_32
.LBB58_27:
	s_cmp_lt_i32 s13, 1
	s_mov_b64 s[16:17], 0
	s_cbranch_scc1 .LBB58_33
.LBB58_28:
	s_cmp_gt_i32 s13, 1
	s_cbranch_scc0 .LBB58_34
; %bb.29:
	s_cmp_eq_u32 s13, 2
	s_cbranch_scc0 .LBB58_252
; %bb.30:
	s_waitcnt vmcnt(7)
	v_cmp_le_i64_e64 s[6:7], v[49:50], v[53:54]
	s_mov_b64 s[18:19], 0
	s_branch .LBB58_36
.LBB58_31:
	s_waitcnt vmcnt(6)
	v_cmp_lt_i64_e32 vcc, v[59:60], v[63:64]
	s_andn2_b64 s[4:5], s[4:5], exec
	s_and_b64 s[16:17], vcc, exec
	s_or_b64 s[4:5], s[4:5], s[16:17]
	s_cbranch_execnz .LBB58_27
.LBB58_32:
	s_waitcnt vmcnt(6)
	v_cmp_ge_i64_e32 vcc, v[59:60], v[63:64]
	s_andn2_b64 s[4:5], s[4:5], exec
	s_and_b64 s[6:7], vcc, exec
	s_or_b64 s[4:5], s[4:5], s[6:7]
	s_cmp_lt_i32 s13, 1
	s_mov_b64 s[16:17], 0
	s_cbranch_scc0 .LBB58_28
.LBB58_33:
                                        ; implicit-def: $sgpr6_sgpr7
	s_mov_b64 s[18:19], 0
	s_cbranch_execnz .LBB58_37
	s_branch .LBB58_38
.LBB58_34:
	s_mov_b64 s[18:19], 0
                                        ; implicit-def: $sgpr6_sgpr7
	s_cbranch_execz .LBB58_36
; %bb.35:
	s_waitcnt vmcnt(7)
	v_cmp_gt_i64_e32 vcc, v[49:50], v[53:54]
	s_andn2_b64 s[6:7], s[6:7], exec
	s_and_b64 s[20:21], vcc, exec
	s_or_b64 s[6:7], s[6:7], s[20:21]
.LBB58_36:
	s_branch .LBB58_38
.LBB58_37:
	s_cmp_lg_u32 s13, 0
	s_mov_b64 s[16:17], -1
	s_cselect_b64 s[18:19], -1, 0
.LBB58_38:
	s_andn2_b64 vcc, exec, s[18:19]
	s_cbranch_vccz .LBB58_44
; %bb.39:
	s_andn2_b64 vcc, exec, s[16:17]
	s_cbranch_vccz .LBB58_45
.LBB58_40:
	s_cmp_lt_i32 s13, 1
	s_mov_b64 s[18:19], 0
	s_cbranch_scc1 .LBB58_46
.LBB58_41:
	s_cmp_gt_i32 s13, 1
	s_cbranch_scc0 .LBB58_47
; %bb.42:
	s_cmp_eq_u32 s13, 2
	s_cbranch_scc0 .LBB58_253
; %bb.43:
	s_waitcnt vmcnt(7)
	v_cmp_le_i64_e64 s[16:17], v[51:52], v[55:56]
	s_mov_b64 s[20:21], 0
	s_branch .LBB58_49
.LBB58_44:
	s_waitcnt vmcnt(7)
	v_cmp_lt_i64_e32 vcc, v[49:50], v[53:54]
	s_andn2_b64 s[6:7], s[6:7], exec
	s_and_b64 s[18:19], vcc, exec
	s_or_b64 s[6:7], s[6:7], s[18:19]
	s_cbranch_execnz .LBB58_40
.LBB58_45:
	s_waitcnt vmcnt(7)
	v_cmp_ge_i64_e32 vcc, v[49:50], v[53:54]
	s_andn2_b64 s[6:7], s[6:7], exec
	s_and_b64 s[16:17], vcc, exec
	s_or_b64 s[6:7], s[6:7], s[16:17]
	s_cmp_lt_i32 s13, 1
	s_mov_b64 s[18:19], 0
	s_cbranch_scc0 .LBB58_41
.LBB58_46:
                                        ; implicit-def: $sgpr16_sgpr17
	s_mov_b64 s[20:21], 0
	s_cbranch_execnz .LBB58_50
	s_branch .LBB58_51
.LBB58_47:
	s_mov_b64 s[20:21], 0
                                        ; implicit-def: $sgpr16_sgpr17
	s_cbranch_execz .LBB58_49
; %bb.48:
	s_waitcnt vmcnt(7)
	v_cmp_gt_i64_e32 vcc, v[51:52], v[55:56]
	s_andn2_b64 s[16:17], s[16:17], exec
	s_and_b64 s[22:23], vcc, exec
	s_or_b64 s[16:17], s[16:17], s[22:23]
.LBB58_49:
	s_branch .LBB58_51
.LBB58_50:
	s_cmp_lg_u32 s13, 0
	s_mov_b64 s[18:19], -1
	s_cselect_b64 s[20:21], -1, 0
.LBB58_51:
	s_andn2_b64 vcc, exec, s[20:21]
	s_cbranch_vccz .LBB58_57
; %bb.52:
	s_andn2_b64 vcc, exec, s[18:19]
	s_cbranch_vccz .LBB58_58
.LBB58_53:
	s_cmp_lt_i32 s13, 1
	s_mov_b64 s[20:21], 0
	s_cbranch_scc1 .LBB58_59
.LBB58_54:
	s_cmp_gt_i32 s13, 1
	s_cbranch_scc0 .LBB58_60
; %bb.55:
	s_cmp_eq_u32 s13, 2
	s_cbranch_scc0 .LBB58_254
; %bb.56:
	s_waitcnt vmcnt(5)
	v_cmp_le_i64_e64 s[18:19], v[41:42], v[45:46]
	s_mov_b64 s[22:23], 0
	s_branch .LBB58_62
.LBB58_57:
	s_waitcnt vmcnt(7)
	v_cmp_lt_i64_e32 vcc, v[51:52], v[55:56]
	s_andn2_b64 s[16:17], s[16:17], exec
	s_and_b64 s[20:21], vcc, exec
	s_or_b64 s[16:17], s[16:17], s[20:21]
	s_cbranch_execnz .LBB58_53
.LBB58_58:
	s_waitcnt vmcnt(7)
	v_cmp_ge_i64_e32 vcc, v[51:52], v[55:56]
	s_andn2_b64 s[16:17], s[16:17], exec
	s_and_b64 s[18:19], vcc, exec
	s_or_b64 s[16:17], s[16:17], s[18:19]
	s_cmp_lt_i32 s13, 1
	s_mov_b64 s[20:21], 0
	s_cbranch_scc0 .LBB58_54
.LBB58_59:
                                        ; implicit-def: $sgpr18_sgpr19
	s_mov_b64 s[22:23], 0
	s_cbranch_execnz .LBB58_63
	s_branch .LBB58_64
.LBB58_60:
	s_mov_b64 s[22:23], 0
                                        ; implicit-def: $sgpr18_sgpr19
	s_cbranch_execz .LBB58_62
; %bb.61:
	s_waitcnt vmcnt(5)
	v_cmp_gt_i64_e32 vcc, v[41:42], v[45:46]
	s_andn2_b64 s[18:19], s[18:19], exec
	s_and_b64 s[24:25], vcc, exec
	s_or_b64 s[18:19], s[18:19], s[24:25]
.LBB58_62:
	s_branch .LBB58_64
.LBB58_63:
	s_cmp_lg_u32 s13, 0
	s_mov_b64 s[20:21], -1
	s_cselect_b64 s[22:23], -1, 0
.LBB58_64:
	s_andn2_b64 vcc, exec, s[22:23]
	s_cbranch_vccz .LBB58_70
; %bb.65:
	s_andn2_b64 vcc, exec, s[20:21]
	s_cbranch_vccz .LBB58_71
.LBB58_66:
	s_cmp_lt_i32 s13, 1
	s_mov_b64 s[22:23], 0
	s_cbranch_scc1 .LBB58_72
.LBB58_67:
	s_cmp_gt_i32 s13, 1
	s_cbranch_scc0 .LBB58_73
; %bb.68:
	s_cmp_eq_u32 s13, 2
	s_cbranch_scc0 .LBB58_255
; %bb.69:
	s_waitcnt vmcnt(5)
	v_cmp_le_i64_e64 s[20:21], v[43:44], v[47:48]
	s_mov_b64 s[24:25], 0
	s_branch .LBB58_75
.LBB58_70:
	s_waitcnt vmcnt(5)
	v_cmp_lt_i64_e32 vcc, v[41:42], v[45:46]
	s_andn2_b64 s[18:19], s[18:19], exec
	s_and_b64 s[22:23], vcc, exec
	s_or_b64 s[18:19], s[18:19], s[22:23]
	s_cbranch_execnz .LBB58_66
.LBB58_71:
	s_waitcnt vmcnt(5)
	v_cmp_ge_i64_e32 vcc, v[41:42], v[45:46]
	s_andn2_b64 s[18:19], s[18:19], exec
	s_and_b64 s[20:21], vcc, exec
	s_or_b64 s[18:19], s[18:19], s[20:21]
	s_cmp_lt_i32 s13, 1
	s_mov_b64 s[22:23], 0
	s_cbranch_scc0 .LBB58_67
.LBB58_72:
                                        ; implicit-def: $sgpr20_sgpr21
	s_mov_b64 s[24:25], 0
	s_cbranch_execnz .LBB58_76
	s_branch .LBB58_77
.LBB58_73:
	s_mov_b64 s[24:25], 0
                                        ; implicit-def: $sgpr20_sgpr21
	s_cbranch_execz .LBB58_75
; %bb.74:
	s_waitcnt vmcnt(5)
	v_cmp_gt_i64_e32 vcc, v[43:44], v[47:48]
	s_andn2_b64 s[20:21], s[20:21], exec
	s_and_b64 s[26:27], vcc, exec
	s_or_b64 s[20:21], s[20:21], s[26:27]
.LBB58_75:
	s_branch .LBB58_77
.LBB58_76:
	s_cmp_lg_u32 s13, 0
	s_mov_b64 s[22:23], -1
	s_cselect_b64 s[24:25], -1, 0
.LBB58_77:
	s_andn2_b64 vcc, exec, s[24:25]
	s_cbranch_vccz .LBB58_83
; %bb.78:
	s_andn2_b64 vcc, exec, s[22:23]
	s_cbranch_vccz .LBB58_84
.LBB58_79:
	s_cmp_lt_i32 s13, 1
	s_mov_b64 s[24:25], 0
	s_cbranch_scc1 .LBB58_85
.LBB58_80:
	s_cmp_gt_i32 s13, 1
	s_cbranch_scc0 .LBB58_86
; %bb.81:
	s_cmp_eq_u32 s13, 2
	s_cbranch_scc0 .LBB58_256
; %bb.82:
	s_waitcnt vmcnt(4)
	v_cmp_le_i64_e64 s[22:23], v[33:34], v[37:38]
	s_mov_b64 s[26:27], 0
	s_branch .LBB58_88
.LBB58_83:
	s_waitcnt vmcnt(5)
	v_cmp_lt_i64_e32 vcc, v[43:44], v[47:48]
	s_andn2_b64 s[20:21], s[20:21], exec
	s_and_b64 s[24:25], vcc, exec
	s_or_b64 s[20:21], s[20:21], s[24:25]
	s_cbranch_execnz .LBB58_79
.LBB58_84:
	s_waitcnt vmcnt(5)
	v_cmp_ge_i64_e32 vcc, v[43:44], v[47:48]
	s_andn2_b64 s[20:21], s[20:21], exec
	s_and_b64 s[22:23], vcc, exec
	s_or_b64 s[20:21], s[20:21], s[22:23]
	s_cmp_lt_i32 s13, 1
	s_mov_b64 s[24:25], 0
	s_cbranch_scc0 .LBB58_80
.LBB58_85:
                                        ; implicit-def: $sgpr22_sgpr23
	s_mov_b64 s[26:27], 0
	s_cbranch_execnz .LBB58_89
	s_branch .LBB58_90
.LBB58_86:
	s_mov_b64 s[26:27], 0
                                        ; implicit-def: $sgpr22_sgpr23
	s_cbranch_execz .LBB58_88
; %bb.87:
	s_waitcnt vmcnt(4)
	v_cmp_gt_i64_e32 vcc, v[33:34], v[37:38]
	s_andn2_b64 s[22:23], s[22:23], exec
	s_and_b64 s[28:29], vcc, exec
	s_or_b64 s[22:23], s[22:23], s[28:29]
.LBB58_88:
	s_branch .LBB58_90
.LBB58_89:
	s_cmp_lg_u32 s13, 0
	s_mov_b64 s[24:25], -1
	s_cselect_b64 s[26:27], -1, 0
.LBB58_90:
	s_andn2_b64 vcc, exec, s[26:27]
	s_cbranch_vccz .LBB58_96
; %bb.91:
	s_andn2_b64 vcc, exec, s[24:25]
	s_cbranch_vccz .LBB58_97
.LBB58_92:
	s_cmp_lt_i32 s13, 1
	s_mov_b64 s[26:27], 0
	s_cbranch_scc1 .LBB58_98
.LBB58_93:
	s_cmp_gt_i32 s13, 1
	s_cbranch_scc0 .LBB58_99
; %bb.94:
	s_cmp_eq_u32 s13, 2
	s_cbranch_scc0 .LBB58_257
; %bb.95:
	s_waitcnt vmcnt(4)
	v_cmp_le_i64_e64 s[24:25], v[35:36], v[39:40]
	s_mov_b64 s[28:29], 0
	s_branch .LBB58_101
.LBB58_96:
	s_waitcnt vmcnt(4)
	v_cmp_lt_i64_e32 vcc, v[33:34], v[37:38]
	s_andn2_b64 s[22:23], s[22:23], exec
	s_and_b64 s[26:27], vcc, exec
	s_or_b64 s[22:23], s[22:23], s[26:27]
	s_cbranch_execnz .LBB58_92
.LBB58_97:
	s_waitcnt vmcnt(4)
	v_cmp_ge_i64_e32 vcc, v[33:34], v[37:38]
	s_andn2_b64 s[22:23], s[22:23], exec
	s_and_b64 s[24:25], vcc, exec
	s_or_b64 s[22:23], s[22:23], s[24:25]
	s_cmp_lt_i32 s13, 1
	s_mov_b64 s[26:27], 0
	s_cbranch_scc0 .LBB58_93
.LBB58_98:
                                        ; implicit-def: $sgpr24_sgpr25
	s_mov_b64 s[28:29], 0
	s_cbranch_execnz .LBB58_102
	s_branch .LBB58_103
.LBB58_99:
	s_mov_b64 s[28:29], 0
                                        ; implicit-def: $sgpr24_sgpr25
	s_cbranch_execz .LBB58_101
; %bb.100:
	s_waitcnt vmcnt(4)
	v_cmp_gt_i64_e32 vcc, v[35:36], v[39:40]
	s_andn2_b64 s[24:25], s[24:25], exec
	s_and_b64 s[30:31], vcc, exec
	s_or_b64 s[24:25], s[24:25], s[30:31]
.LBB58_101:
	s_branch .LBB58_103
.LBB58_102:
	s_cmp_lg_u32 s13, 0
	s_mov_b64 s[26:27], -1
	s_cselect_b64 s[28:29], -1, 0
.LBB58_103:
	s_andn2_b64 vcc, exec, s[28:29]
	s_cbranch_vccz .LBB58_109
; %bb.104:
	s_andn2_b64 vcc, exec, s[26:27]
	s_cbranch_vccz .LBB58_110
.LBB58_105:
	s_cmp_lt_i32 s13, 1
	s_mov_b64 s[28:29], 0
	s_cbranch_scc1 .LBB58_111
.LBB58_106:
	s_cmp_gt_i32 s13, 1
	s_cbranch_scc0 .LBB58_112
; %bb.107:
	s_cmp_eq_u32 s13, 2
	s_cbranch_scc0 .LBB58_258
; %bb.108:
	s_waitcnt vmcnt(3)
	v_cmp_le_i64_e64 s[26:27], v[25:26], v[29:30]
	s_mov_b64 s[30:31], 0
	s_branch .LBB58_114
.LBB58_109:
	s_waitcnt vmcnt(4)
	v_cmp_lt_i64_e32 vcc, v[35:36], v[39:40]
	s_andn2_b64 s[24:25], s[24:25], exec
	s_and_b64 s[28:29], vcc, exec
	s_or_b64 s[24:25], s[24:25], s[28:29]
	s_cbranch_execnz .LBB58_105
.LBB58_110:
	s_waitcnt vmcnt(4)
	v_cmp_ge_i64_e32 vcc, v[35:36], v[39:40]
	s_andn2_b64 s[24:25], s[24:25], exec
	s_and_b64 s[26:27], vcc, exec
	s_or_b64 s[24:25], s[24:25], s[26:27]
	s_cmp_lt_i32 s13, 1
	s_mov_b64 s[28:29], 0
	s_cbranch_scc0 .LBB58_106
.LBB58_111:
                                        ; implicit-def: $sgpr26_sgpr27
	s_mov_b64 s[30:31], 0
	s_cbranch_execnz .LBB58_115
	s_branch .LBB58_116
.LBB58_112:
	s_mov_b64 s[30:31], 0
                                        ; implicit-def: $sgpr26_sgpr27
	s_cbranch_execz .LBB58_114
; %bb.113:
	s_waitcnt vmcnt(3)
	v_cmp_gt_i64_e32 vcc, v[25:26], v[29:30]
	s_andn2_b64 s[26:27], s[26:27], exec
	s_and_b64 s[34:35], vcc, exec
	s_or_b64 s[26:27], s[26:27], s[34:35]
.LBB58_114:
	s_branch .LBB58_116
.LBB58_115:
	s_cmp_lg_u32 s13, 0
	s_mov_b64 s[28:29], -1
	s_cselect_b64 s[30:31], -1, 0
.LBB58_116:
	s_andn2_b64 vcc, exec, s[30:31]
	s_cbranch_vccz .LBB58_122
; %bb.117:
	s_andn2_b64 vcc, exec, s[28:29]
	s_cbranch_vccz .LBB58_123
.LBB58_118:
	s_cmp_lt_i32 s13, 1
	s_mov_b64 s[30:31], 0
	s_cbranch_scc1 .LBB58_124
.LBB58_119:
	s_cmp_gt_i32 s13, 1
	s_cbranch_scc0 .LBB58_125
; %bb.120:
	s_cmp_eq_u32 s13, 2
	s_cbranch_scc0 .LBB58_259
; %bb.121:
	s_waitcnt vmcnt(3)
	v_cmp_le_i64_e64 s[28:29], v[27:28], v[31:32]
	s_mov_b64 s[34:35], 0
	s_branch .LBB58_127
.LBB58_122:
	s_waitcnt vmcnt(3)
	v_cmp_lt_i64_e32 vcc, v[25:26], v[29:30]
	s_andn2_b64 s[26:27], s[26:27], exec
	s_and_b64 s[30:31], vcc, exec
	s_or_b64 s[26:27], s[26:27], s[30:31]
	s_cbranch_execnz .LBB58_118
.LBB58_123:
	s_waitcnt vmcnt(3)
	v_cmp_ge_i64_e32 vcc, v[25:26], v[29:30]
	s_andn2_b64 s[26:27], s[26:27], exec
	s_and_b64 s[28:29], vcc, exec
	s_or_b64 s[26:27], s[26:27], s[28:29]
	s_cmp_lt_i32 s13, 1
	s_mov_b64 s[30:31], 0
	s_cbranch_scc0 .LBB58_119
.LBB58_124:
                                        ; implicit-def: $sgpr28_sgpr29
	s_mov_b64 s[34:35], 0
	s_cbranch_execnz .LBB58_128
	s_branch .LBB58_129
.LBB58_125:
	s_mov_b64 s[34:35], 0
                                        ; implicit-def: $sgpr28_sgpr29
	s_cbranch_execz .LBB58_127
; %bb.126:
	s_waitcnt vmcnt(3)
	v_cmp_gt_i64_e32 vcc, v[27:28], v[31:32]
	s_andn2_b64 s[28:29], s[28:29], exec
	s_and_b64 s[36:37], vcc, exec
	s_or_b64 s[28:29], s[28:29], s[36:37]
.LBB58_127:
	s_branch .LBB58_129
.LBB58_128:
	s_cmp_lg_u32 s13, 0
	s_mov_b64 s[30:31], -1
	s_cselect_b64 s[34:35], -1, 0
.LBB58_129:
	s_andn2_b64 vcc, exec, s[34:35]
	s_cbranch_vccz .LBB58_135
; %bb.130:
	s_andn2_b64 vcc, exec, s[30:31]
	s_cbranch_vccz .LBB58_136
.LBB58_131:
	s_cmp_lt_i32 s13, 1
	s_mov_b64 s[34:35], 0
	s_cbranch_scc1 .LBB58_137
.LBB58_132:
	s_cmp_gt_i32 s13, 1
	s_cbranch_scc0 .LBB58_138
; %bb.133:
	s_cmp_eq_u32 s13, 2
	s_cbranch_scc0 .LBB58_260
; %bb.134:
	s_waitcnt vmcnt(2)
	v_cmp_le_i64_e64 s[30:31], v[17:18], v[21:22]
	s_mov_b64 s[36:37], 0
	s_branch .LBB58_140
.LBB58_135:
	s_waitcnt vmcnt(3)
	v_cmp_lt_i64_e32 vcc, v[27:28], v[31:32]
	s_andn2_b64 s[28:29], s[28:29], exec
	s_and_b64 s[34:35], vcc, exec
	s_or_b64 s[28:29], s[28:29], s[34:35]
	s_cbranch_execnz .LBB58_131
.LBB58_136:
	s_waitcnt vmcnt(3)
	v_cmp_ge_i64_e32 vcc, v[27:28], v[31:32]
	s_andn2_b64 s[28:29], s[28:29], exec
	s_and_b64 s[30:31], vcc, exec
	s_or_b64 s[28:29], s[28:29], s[30:31]
	s_cmp_lt_i32 s13, 1
	s_mov_b64 s[34:35], 0
	s_cbranch_scc0 .LBB58_132
.LBB58_137:
                                        ; implicit-def: $sgpr30_sgpr31
	s_mov_b64 s[36:37], 0
	s_cbranch_execnz .LBB58_141
	s_branch .LBB58_142
.LBB58_138:
	s_mov_b64 s[36:37], 0
                                        ; implicit-def: $sgpr30_sgpr31
	s_cbranch_execz .LBB58_140
; %bb.139:
	s_waitcnt vmcnt(2)
	v_cmp_gt_i64_e32 vcc, v[17:18], v[21:22]
	s_andn2_b64 s[30:31], s[30:31], exec
	s_and_b64 s[38:39], vcc, exec
	s_or_b64 s[30:31], s[30:31], s[38:39]
.LBB58_140:
	s_branch .LBB58_142
.LBB58_141:
	s_cmp_lg_u32 s13, 0
	s_mov_b64 s[34:35], -1
	s_cselect_b64 s[36:37], -1, 0
.LBB58_142:
	s_andn2_b64 vcc, exec, s[36:37]
	s_cbranch_vccz .LBB58_148
; %bb.143:
	s_andn2_b64 vcc, exec, s[34:35]
	s_cbranch_vccz .LBB58_149
.LBB58_144:
	s_cmp_lt_i32 s13, 1
	s_mov_b64 s[36:37], 0
	s_cbranch_scc1 .LBB58_150
.LBB58_145:
	s_cmp_gt_i32 s13, 1
	s_cbranch_scc0 .LBB58_151
; %bb.146:
	s_cmp_eq_u32 s13, 2
	s_cbranch_scc0 .LBB58_261
; %bb.147:
	s_waitcnt vmcnt(2)
	v_cmp_le_i64_e64 s[34:35], v[19:20], v[23:24]
	s_mov_b64 s[38:39], 0
	s_branch .LBB58_153
.LBB58_148:
	s_waitcnt vmcnt(2)
	v_cmp_lt_i64_e32 vcc, v[17:18], v[21:22]
	s_andn2_b64 s[30:31], s[30:31], exec
	s_and_b64 s[36:37], vcc, exec
	s_or_b64 s[30:31], s[30:31], s[36:37]
	s_cbranch_execnz .LBB58_144
.LBB58_149:
	s_waitcnt vmcnt(2)
	v_cmp_ge_i64_e32 vcc, v[17:18], v[21:22]
	s_andn2_b64 s[30:31], s[30:31], exec
	s_and_b64 s[34:35], vcc, exec
	s_or_b64 s[30:31], s[30:31], s[34:35]
	s_cmp_lt_i32 s13, 1
	s_mov_b64 s[36:37], 0
	s_cbranch_scc0 .LBB58_145
.LBB58_150:
                                        ; implicit-def: $sgpr34_sgpr35
	s_mov_b64 s[38:39], 0
	s_cbranch_execnz .LBB58_154
	s_branch .LBB58_155
.LBB58_151:
	s_mov_b64 s[38:39], 0
                                        ; implicit-def: $sgpr34_sgpr35
	s_cbranch_execz .LBB58_153
; %bb.152:
	s_waitcnt vmcnt(2)
	v_cmp_gt_i64_e32 vcc, v[19:20], v[23:24]
	s_andn2_b64 s[34:35], s[34:35], exec
	s_and_b64 s[40:41], vcc, exec
	s_or_b64 s[34:35], s[34:35], s[40:41]
.LBB58_153:
	s_branch .LBB58_155
.LBB58_154:
	s_cmp_lg_u32 s13, 0
	s_mov_b64 s[36:37], -1
	s_cselect_b64 s[38:39], -1, 0
.LBB58_155:
	s_andn2_b64 vcc, exec, s[38:39]
	s_cbranch_vccz .LBB58_161
; %bb.156:
	s_andn2_b64 vcc, exec, s[36:37]
	s_cbranch_vccz .LBB58_162
.LBB58_157:
	s_cmp_lt_i32 s13, 1
	s_mov_b64 s[38:39], 0
	s_cbranch_scc1 .LBB58_163
.LBB58_158:
	s_cmp_gt_i32 s13, 1
	s_cbranch_scc0 .LBB58_164
; %bb.159:
	s_cmp_eq_u32 s13, 2
	s_cbranch_scc0 .LBB58_262
; %bb.160:
	s_waitcnt vmcnt(1)
	v_cmp_le_i64_e64 s[36:37], v[9:10], v[13:14]
	s_mov_b64 s[40:41], 0
	s_branch .LBB58_166
.LBB58_161:
	s_waitcnt vmcnt(2)
	v_cmp_lt_i64_e32 vcc, v[19:20], v[23:24]
	s_andn2_b64 s[34:35], s[34:35], exec
	s_and_b64 s[38:39], vcc, exec
	s_or_b64 s[34:35], s[34:35], s[38:39]
	s_cbranch_execnz .LBB58_157
.LBB58_162:
	s_waitcnt vmcnt(2)
	v_cmp_ge_i64_e32 vcc, v[19:20], v[23:24]
	s_andn2_b64 s[34:35], s[34:35], exec
	s_and_b64 s[36:37], vcc, exec
	s_or_b64 s[34:35], s[34:35], s[36:37]
	s_cmp_lt_i32 s13, 1
	s_mov_b64 s[38:39], 0
	s_cbranch_scc0 .LBB58_158
.LBB58_163:
                                        ; implicit-def: $sgpr36_sgpr37
	s_mov_b64 s[40:41], 0
	s_cbranch_execnz .LBB58_167
	s_branch .LBB58_168
.LBB58_164:
	s_mov_b64 s[40:41], 0
                                        ; implicit-def: $sgpr36_sgpr37
	s_cbranch_execz .LBB58_166
; %bb.165:
	s_waitcnt vmcnt(1)
	v_cmp_gt_i64_e32 vcc, v[9:10], v[13:14]
	s_andn2_b64 s[36:37], s[36:37], exec
	s_and_b64 s[42:43], vcc, exec
	s_or_b64 s[36:37], s[36:37], s[42:43]
.LBB58_166:
	s_branch .LBB58_168
.LBB58_167:
	s_cmp_lg_u32 s13, 0
	s_mov_b64 s[38:39], -1
	s_cselect_b64 s[40:41], -1, 0
.LBB58_168:
	s_andn2_b64 vcc, exec, s[40:41]
	s_cbranch_vccz .LBB58_174
; %bb.169:
	s_andn2_b64 vcc, exec, s[38:39]
	s_cbranch_vccz .LBB58_175
.LBB58_170:
	s_cmp_lt_i32 s13, 1
	s_mov_b64 s[40:41], 0
	s_cbranch_scc1 .LBB58_176
.LBB58_171:
	s_cmp_gt_i32 s13, 1
	s_cbranch_scc0 .LBB58_177
; %bb.172:
	s_cmp_eq_u32 s13, 2
	s_cbranch_scc0 .LBB58_263
; %bb.173:
	s_waitcnt vmcnt(1)
	v_cmp_le_i64_e64 s[38:39], v[11:12], v[15:16]
	s_mov_b64 s[42:43], 0
	s_branch .LBB58_179
.LBB58_174:
	s_waitcnt vmcnt(1)
	v_cmp_lt_i64_e32 vcc, v[9:10], v[13:14]
	s_andn2_b64 s[36:37], s[36:37], exec
	s_and_b64 s[40:41], vcc, exec
	s_or_b64 s[36:37], s[36:37], s[40:41]
	s_cbranch_execnz .LBB58_170
.LBB58_175:
	s_waitcnt vmcnt(1)
	v_cmp_ge_i64_e32 vcc, v[9:10], v[13:14]
	s_andn2_b64 s[36:37], s[36:37], exec
	s_and_b64 s[38:39], vcc, exec
	s_or_b64 s[36:37], s[36:37], s[38:39]
	s_cmp_lt_i32 s13, 1
	s_mov_b64 s[40:41], 0
	s_cbranch_scc0 .LBB58_171
.LBB58_176:
                                        ; implicit-def: $sgpr38_sgpr39
	s_mov_b64 s[42:43], 0
	s_cbranch_execnz .LBB58_180
	s_branch .LBB58_181
.LBB58_177:
	s_mov_b64 s[42:43], 0
                                        ; implicit-def: $sgpr38_sgpr39
	s_cbranch_execz .LBB58_179
; %bb.178:
	s_waitcnt vmcnt(1)
	v_cmp_gt_i64_e32 vcc, v[11:12], v[15:16]
	s_andn2_b64 s[38:39], s[38:39], exec
	s_and_b64 s[44:45], vcc, exec
	s_or_b64 s[38:39], s[38:39], s[44:45]
.LBB58_179:
	s_branch .LBB58_181
.LBB58_180:
	s_cmp_lg_u32 s13, 0
	s_mov_b64 s[40:41], -1
	s_cselect_b64 s[42:43], -1, 0
.LBB58_181:
	s_andn2_b64 vcc, exec, s[42:43]
	s_cbranch_vccz .LBB58_187
; %bb.182:
	s_andn2_b64 vcc, exec, s[40:41]
	s_cbranch_vccz .LBB58_188
.LBB58_183:
	s_cmp_lt_i32 s13, 1
	s_mov_b64 s[42:43], 0
	s_cbranch_scc1 .LBB58_189
.LBB58_184:
	s_cmp_gt_i32 s13, 1
	s_cbranch_scc0 .LBB58_190
; %bb.185:
	s_cmp_eq_u32 s13, 2
	s_cbranch_scc0 .LBB58_264
; %bb.186:
	s_waitcnt vmcnt(0)
	v_cmp_le_i64_e64 s[40:41], v[1:2], v[5:6]
	s_mov_b64 s[44:45], 0
	s_branch .LBB58_192
.LBB58_187:
	s_waitcnt vmcnt(1)
	v_cmp_lt_i64_e32 vcc, v[11:12], v[15:16]
	s_andn2_b64 s[38:39], s[38:39], exec
	s_and_b64 s[42:43], vcc, exec
	s_or_b64 s[38:39], s[38:39], s[42:43]
	s_cbranch_execnz .LBB58_183
.LBB58_188:
	s_waitcnt vmcnt(1)
	v_cmp_ge_i64_e32 vcc, v[11:12], v[15:16]
	s_andn2_b64 s[38:39], s[38:39], exec
	s_and_b64 s[40:41], vcc, exec
	s_or_b64 s[38:39], s[38:39], s[40:41]
	s_cmp_lt_i32 s13, 1
	s_mov_b64 s[42:43], 0
	s_cbranch_scc0 .LBB58_184
.LBB58_189:
                                        ; implicit-def: $sgpr40_sgpr41
	s_mov_b64 s[44:45], 0
	s_cbranch_execnz .LBB58_193
	s_branch .LBB58_194
.LBB58_190:
	s_mov_b64 s[44:45], 0
                                        ; implicit-def: $sgpr40_sgpr41
	s_cbranch_execz .LBB58_192
; %bb.191:
	s_waitcnt vmcnt(0)
	v_cmp_gt_i64_e32 vcc, v[1:2], v[5:6]
	s_andn2_b64 s[40:41], s[40:41], exec
	s_and_b64 s[46:47], vcc, exec
	s_or_b64 s[40:41], s[40:41], s[46:47]
.LBB58_192:
	s_branch .LBB58_194
.LBB58_193:
	s_cmp_lg_u32 s13, 0
	s_mov_b64 s[42:43], -1
	s_cselect_b64 s[44:45], -1, 0
.LBB58_194:
	s_andn2_b64 vcc, exec, s[44:45]
	s_cbranch_vccz .LBB58_200
; %bb.195:
	s_andn2_b64 vcc, exec, s[42:43]
	s_cbranch_vccz .LBB58_201
.LBB58_196:
	s_cmp_lt_i32 s13, 1
	s_mov_b64 s[44:45], 0
	s_cbranch_scc1 .LBB58_202
.LBB58_197:
	s_cmp_gt_i32 s13, 1
	s_cbranch_scc0 .LBB58_203
; %bb.198:
	s_cmp_eq_u32 s13, 2
	s_cbranch_scc0 .LBB58_265
; %bb.199:
	s_waitcnt vmcnt(0)
	v_cmp_le_i64_e64 s[42:43], v[3:4], v[7:8]
	s_mov_b64 s[46:47], 0
	s_branch .LBB58_205
.LBB58_200:
	s_waitcnt vmcnt(0)
	v_cmp_lt_i64_e32 vcc, v[1:2], v[5:6]
	s_andn2_b64 s[40:41], s[40:41], exec
	s_and_b64 s[44:45], vcc, exec
	s_or_b64 s[40:41], s[40:41], s[44:45]
	s_cbranch_execnz .LBB58_196
.LBB58_201:
	s_waitcnt vmcnt(0)
	v_cmp_ge_i64_e32 vcc, v[1:2], v[5:6]
	s_andn2_b64 s[40:41], s[40:41], exec
	s_and_b64 s[42:43], vcc, exec
	s_or_b64 s[40:41], s[40:41], s[42:43]
	s_cmp_lt_i32 s13, 1
	s_mov_b64 s[44:45], 0
	s_cbranch_scc0 .LBB58_197
.LBB58_202:
                                        ; implicit-def: $sgpr42_sgpr43
	s_mov_b64 s[46:47], 0
	s_cbranch_execnz .LBB58_206
	s_branch .LBB58_207
.LBB58_203:
	s_mov_b64 s[46:47], 0
                                        ; implicit-def: $sgpr42_sgpr43
	s_cbranch_execz .LBB58_205
; %bb.204:
	s_waitcnt vmcnt(0)
	v_cmp_gt_i64_e32 vcc, v[3:4], v[7:8]
	s_andn2_b64 s[42:43], s[42:43], exec
	s_and_b64 s[48:49], vcc, exec
	s_or_b64 s[42:43], s[42:43], s[48:49]
.LBB58_205:
	s_branch .LBB58_207
.LBB58_206:
	s_cmp_lg_u32 s13, 0
	s_mov_b64 s[44:45], -1
	s_cselect_b64 s[46:47], -1, 0
.LBB58_207:
	s_andn2_b64 vcc, exec, s[46:47]
	s_cbranch_vccz .LBB58_249
; %bb.208:
	s_andn2_b64 vcc, exec, s[44:45]
	s_cbranch_vccnz .LBB58_210
.LBB58_209:
	s_waitcnt vmcnt(0)
	v_cmp_ge_i64_e32 vcc, v[3:4], v[7:8]
	s_andn2_b64 s[42:43], s[42:43], exec
	s_and_b64 s[44:45], vcc, exec
	s_or_b64 s[42:43], s[42:43], s[44:45]
.LBB58_210:
	s_waitcnt vmcnt(8)
	v_mov_b32_e32 v1, 0x100
	v_cndmask_b32_e64 v2, 0, v1, s[38:39]
	v_cndmask_b32_e64 v3, 0, 1, s[36:37]
	v_or_b32_e32 v2, v2, v3
	v_mov_b32_e32 v3, 0x10000
	s_waitcnt vmcnt(0)
	v_cndmask_b32_e64 v5, 0, v1, s[28:29]
	v_cndmask_b32_e64 v6, 0, 1, s[26:27]
	v_mov_b32_e32 v7, 0x1000000
	v_or_b32_e32 v5, v5, v6
	v_cndmask_b32_e64 v6, 0, v3, s[30:31]
	v_cndmask_b32_e64 v8, 0, v7, s[34:35]
	v_or3_b32 v5, v5, v6, v8
	v_cndmask_b32_e64 v6, 0, v1, s[20:21]
	v_cndmask_b32_e64 v8, 0, 1, s[18:19]
	v_or_b32_e32 v6, v6, v8
	v_cndmask_b32_e64 v8, 0, v3, s[22:23]
	v_cndmask_b32_e64 v9, 0, v7, s[24:25]
	v_or3_b32 v6, v6, v8, v9
	v_cndmask_b32_e64 v1, 0, v1, s[4:5]
	v_cndmask_b32_e64 v8, 0, 1, s[0:1]
	;; [unrolled: 1-line block ×3, first 2 shown]
	v_or_b32_e32 v1, v1, v8
	v_cndmask_b32_e64 v3, 0, v3, s[6:7]
	v_cndmask_b32_e64 v8, 0, v7, s[16:17]
	v_or3_b32 v1, v1, v3, v8
	v_cndmask_b32_e64 v3, 0, v7, s[42:43]
	s_add_u32 s0, s8, s2
	v_or3_b32 v2, v2, v4, v3
	s_addc_u32 s1, s9, s3
	v_lshlrev_b32_e32 v3, 2, v0
	global_store_dword v3, v1, s[0:1]
	global_store_dword v3, v6, s[0:1] offset:1024
	global_store_dword v3, v5, s[0:1] offset:2048
	;; [unrolled: 1-line block ×3, first 2 shown]
	s_mov_b64 s[0:1], 0
.LBB58_211:
	s_and_b64 vcc, exec, s[0:1]
	s_cbranch_vccz .LBB58_519
; %bb.212:
	v_mov_b32_e32 v58, 0
	v_mov_b32_e32 v62, 0
	;; [unrolled: 1-line block ×3, first 2 shown]
	v_cmp_gt_i32_e64 s[0:1], s12, v0
	v_mov_b32_e32 v59, 0
	v_or_b32_e32 v1, s2, v0
	v_mov_b32_e32 v63, 0
	v_mov_b32_e32 v65, 0
	;; [unrolled: 1-line block ×3, first 2 shown]
	s_and_saveexec_b64 s[4:5], s[0:1]
	s_cbranch_execz .LBB58_214
; %bb.213:
	v_mov_b32_e32 v2, 0
	v_lshlrev_b64 v[2:3], 3, v[1:2]
	v_mov_b32_e32 v5, s15
	v_add_co_u32_e32 v4, vcc, s14, v2
	v_addc_co_u32_e32 v5, vcc, v5, v3, vcc
	v_mov_b32_e32 v6, s11
	v_add_co_u32_e32 v2, vcc, s10, v2
	v_addc_co_u32_e32 v3, vcc, v6, v3, vcc
	global_load_dwordx2 v[62:63], v[2:3], off
	global_load_dwordx2 v[64:65], v[4:5], off
	v_or_b32_e32 v66, 0x100, v0
.LBB58_214:
	s_or_b64 exec, exec, s[4:5]
	v_mov_b32_e32 v60, 0
	v_mov_b32_e32 v61, 0
	v_cmp_gt_i32_e32 vcc, s12, v66
	s_and_saveexec_b64 s[4:5], vcc
	s_cbranch_execz .LBB58_216
; %bb.215:
	v_add_u32_e32 v2, s2, v66
	v_mov_b32_e32 v3, 0
	v_lshlrev_b64 v[2:3], 3, v[2:3]
	v_mov_b32_e32 v5, s15
	v_add_co_u32_e32 v4, vcc, s14, v2
	v_addc_co_u32_e32 v5, vcc, v5, v3, vcc
	v_mov_b32_e32 v6, s11
	v_add_co_u32_e32 v2, vcc, s10, v2
	v_addc_co_u32_e32 v3, vcc, v6, v3, vcc
	global_load_dwordx2 v[58:59], v[2:3], off
	global_load_dwordx2 v[60:61], v[4:5], off
	v_add_u32_e32 v66, 0x100, v66
.LBB58_216:
	s_or_b64 exec, exec, s[4:5]
	v_mov_b32_e32 v50, 0
	v_mov_b32_e32 v54, 0
	v_mov_b32_e32 v56, 0
	v_mov_b32_e32 v51, 0
	v_mov_b32_e32 v55, 0
	v_mov_b32_e32 v57, 0
	v_cmp_gt_i32_e32 vcc, s12, v66
	s_and_saveexec_b64 s[4:5], vcc
	s_cbranch_execz .LBB58_218
; %bb.217:
	v_add_u32_e32 v2, s2, v66
	v_mov_b32_e32 v3, 0
	v_lshlrev_b64 v[2:3], 3, v[2:3]
	v_mov_b32_e32 v5, s15
	v_add_co_u32_e32 v4, vcc, s14, v2
	v_addc_co_u32_e32 v5, vcc, v5, v3, vcc
	v_mov_b32_e32 v6, s11
	v_add_co_u32_e32 v2, vcc, s10, v2
	v_addc_co_u32_e32 v3, vcc, v6, v3, vcc
	global_load_dwordx2 v[54:55], v[2:3], off
	global_load_dwordx2 v[56:57], v[4:5], off
	v_add_u32_e32 v66, 0x100, v66
.LBB58_218:
	s_or_b64 exec, exec, s[4:5]
	v_mov_b32_e32 v52, 0
	v_mov_b32_e32 v53, 0
	v_cmp_gt_i32_e32 vcc, s12, v66
	s_and_saveexec_b64 s[4:5], vcc
	s_cbranch_execz .LBB58_220
; %bb.219:
	v_add_u32_e32 v2, s2, v66
	v_mov_b32_e32 v3, 0
	v_lshlrev_b64 v[2:3], 3, v[2:3]
	v_mov_b32_e32 v5, s15
	v_add_co_u32_e32 v4, vcc, s14, v2
	v_addc_co_u32_e32 v5, vcc, v5, v3, vcc
	v_mov_b32_e32 v6, s11
	v_add_co_u32_e32 v2, vcc, s10, v2
	v_addc_co_u32_e32 v3, vcc, v6, v3, vcc
	global_load_dwordx2 v[50:51], v[2:3], off
	global_load_dwordx2 v[52:53], v[4:5], off
	v_add_u32_e32 v66, 0x100, v66
.LBB58_220:
	s_or_b64 exec, exec, s[4:5]
	v_mov_b32_e32 v42, 0
	v_mov_b32_e32 v46, 0
	v_mov_b32_e32 v48, 0
	v_mov_b32_e32 v43, 0
	v_mov_b32_e32 v47, 0
	v_mov_b32_e32 v49, 0
	v_cmp_gt_i32_e32 vcc, s12, v66
	s_and_saveexec_b64 s[4:5], vcc
	s_cbranch_execz .LBB58_222
; %bb.221:
	v_add_u32_e32 v2, s2, v66
	v_mov_b32_e32 v3, 0
	v_lshlrev_b64 v[2:3], 3, v[2:3]
	v_mov_b32_e32 v5, s15
	v_add_co_u32_e32 v4, vcc, s14, v2
	v_addc_co_u32_e32 v5, vcc, v5, v3, vcc
	v_mov_b32_e32 v6, s11
	v_add_co_u32_e32 v2, vcc, s10, v2
	v_addc_co_u32_e32 v3, vcc, v6, v3, vcc
	global_load_dwordx2 v[46:47], v[2:3], off
	global_load_dwordx2 v[48:49], v[4:5], off
	v_add_u32_e32 v66, 0x100, v66
.LBB58_222:
	;; [unrolled: 44-line block ×7, first 2 shown]
	s_or_b64 exec, exec, s[4:5]
	v_mov_b32_e32 v4, 0
	v_mov_b32_e32 v5, 0
	v_cmp_gt_i32_e32 vcc, s12, v66
	s_and_saveexec_b64 s[4:5], vcc
	s_cbranch_execz .LBB58_244
; %bb.243:
	v_add_u32_e32 v2, s2, v66
	v_mov_b32_e32 v3, 0
	v_lshlrev_b64 v[2:3], 3, v[2:3]
	v_mov_b32_e32 v4, s15
	v_add_co_u32_e32 v66, vcc, s14, v2
	v_addc_co_u32_e32 v67, vcc, v4, v3, vcc
	v_mov_b32_e32 v4, s11
	v_add_co_u32_e32 v68, vcc, s10, v2
	v_addc_co_u32_e32 v69, vcc, v4, v3, vcc
	global_load_dwordx2 v[2:3], v[68:69], off
	global_load_dwordx2 v[4:5], v[66:67], off
.LBB58_244:
	s_or_b64 exec, exec, s[4:5]
                                        ; implicit-def: $vgpr66
	s_and_saveexec_b64 s[4:5], s[0:1]
	s_cbranch_execz .LBB58_276
; %bb.245:
	s_cmp_lt_i32 s13, 1
	s_mov_b64 s[6:7], 0
	s_cbranch_scc1 .LBB58_250
; %bb.246:
	s_cmp_gt_i32 s13, 1
	s_cbranch_scc0 .LBB58_266
; %bb.247:
	s_cmp_eq_u32 s13, 2
	s_cbranch_scc0 .LBB58_267
; %bb.248:
	s_waitcnt vmcnt(0)
	v_cmp_le_i64_e64 s[10:11], v[62:63], v[64:65]
	s_mov_b64 s[14:15], 0
	s_branch .LBB58_268
.LBB58_249:
	s_waitcnt vmcnt(0)
	v_cmp_lt_i64_e32 vcc, v[3:4], v[7:8]
	s_andn2_b64 s[42:43], s[42:43], exec
	s_and_b64 s[46:47], vcc, exec
	s_or_b64 s[42:43], s[42:43], s[46:47]
	s_cbranch_execz .LBB58_209
	s_branch .LBB58_210
.LBB58_250:
                                        ; implicit-def: $sgpr10_sgpr11
	s_mov_b64 s[14:15], 0
	s_cbranch_execnz .LBB58_271
	s_branch .LBB58_272
.LBB58_251:
	s_mov_b64 s[16:17], -1
                                        ; implicit-def: $sgpr4_sgpr5
	s_branch .LBB58_23
.LBB58_252:
	s_mov_b64 s[18:19], -1
                                        ; implicit-def: $sgpr6_sgpr7
	s_branch .LBB58_36
.LBB58_253:
	s_mov_b64 s[20:21], -1
                                        ; implicit-def: $sgpr16_sgpr17
	s_branch .LBB58_49
.LBB58_254:
	s_mov_b64 s[22:23], -1
                                        ; implicit-def: $sgpr18_sgpr19
	s_branch .LBB58_62
.LBB58_255:
	s_mov_b64 s[24:25], -1
                                        ; implicit-def: $sgpr20_sgpr21
	s_branch .LBB58_75
.LBB58_256:
	s_mov_b64 s[26:27], -1
                                        ; implicit-def: $sgpr22_sgpr23
	s_branch .LBB58_88
.LBB58_257:
	s_mov_b64 s[28:29], -1
                                        ; implicit-def: $sgpr24_sgpr25
	s_branch .LBB58_101
.LBB58_258:
	s_mov_b64 s[30:31], -1
                                        ; implicit-def: $sgpr26_sgpr27
	s_branch .LBB58_114
.LBB58_259:
	s_mov_b64 s[34:35], -1
                                        ; implicit-def: $sgpr28_sgpr29
	s_branch .LBB58_127
.LBB58_260:
	s_mov_b64 s[36:37], -1
                                        ; implicit-def: $sgpr30_sgpr31
	s_branch .LBB58_140
.LBB58_261:
	s_mov_b64 s[38:39], -1
                                        ; implicit-def: $sgpr34_sgpr35
	s_branch .LBB58_153
.LBB58_262:
	s_mov_b64 s[40:41], -1
                                        ; implicit-def: $sgpr36_sgpr37
	s_branch .LBB58_166
.LBB58_263:
	s_mov_b64 s[42:43], -1
                                        ; implicit-def: $sgpr38_sgpr39
	s_branch .LBB58_179
.LBB58_264:
	s_mov_b64 s[44:45], -1
                                        ; implicit-def: $sgpr40_sgpr41
	s_branch .LBB58_192
.LBB58_265:
	s_mov_b64 s[46:47], -1
                                        ; implicit-def: $sgpr42_sgpr43
	s_branch .LBB58_205
.LBB58_266:
	s_mov_b64 s[14:15], 0
                                        ; implicit-def: $sgpr10_sgpr11
	s_cbranch_execnz .LBB58_269
	s_branch .LBB58_270
.LBB58_267:
	s_mov_b64 s[14:15], -1
                                        ; implicit-def: $sgpr10_sgpr11
.LBB58_268:
	s_branch .LBB58_270
.LBB58_269:
	s_waitcnt vmcnt(0)
	v_cmp_gt_i64_e32 vcc, v[62:63], v[64:65]
	s_andn2_b64 s[10:11], s[10:11], exec
	s_and_b64 s[16:17], vcc, exec
	s_or_b64 s[10:11], s[10:11], s[16:17]
.LBB58_270:
	s_branch .LBB58_272
.LBB58_271:
	s_cmp_lg_u32 s13, 0
	s_mov_b64 s[6:7], -1
	s_cselect_b64 s[14:15], -1, 0
.LBB58_272:
	s_andn2_b64 vcc, exec, s[14:15]
	s_cbranch_vccz .LBB58_281
; %bb.273:
	s_andn2_b64 vcc, exec, s[6:7]
	s_cbranch_vccnz .LBB58_275
.LBB58_274:
	s_waitcnt vmcnt(0)
	v_cmp_ge_i64_e32 vcc, v[62:63], v[64:65]
	s_andn2_b64 s[6:7], s[10:11], exec
	s_and_b64 s[10:11], vcc, exec
	s_or_b64 s[10:11], s[6:7], s[10:11]
.LBB58_275:
	v_cndmask_b32_e64 v66, 0, 1, s[10:11]
.LBB58_276:
	s_or_b64 exec, exec, s[4:5]
	s_waitcnt vmcnt(1)
	v_or_b32_e32 v62, 0x100, v0
	v_cmp_gt_i32_e32 vcc, s12, v62
                                        ; implicit-def: $vgpr63
	s_and_saveexec_b64 s[4:5], vcc
	s_cbranch_execz .LBB58_291
; %bb.277:
	s_cmp_lt_i32 s13, 1
	s_mov_b64 s[6:7], 0
	s_cbranch_scc1 .LBB58_282
; %bb.278:
	s_cmp_gt_i32 s13, 1
	s_cbranch_scc0 .LBB58_283
; %bb.279:
	s_cmp_eq_u32 s13, 2
	s_cbranch_scc0 .LBB58_535
; %bb.280:
	s_waitcnt vmcnt(0)
	v_cmp_le_i64_e64 s[10:11], v[58:59], v[60:61]
	s_mov_b64 s[14:15], 0
	s_branch .LBB58_285
.LBB58_281:
	s_waitcnt vmcnt(0)
	v_cmp_lt_i64_e32 vcc, v[62:63], v[64:65]
	s_andn2_b64 s[10:11], s[10:11], exec
	s_and_b64 s[14:15], vcc, exec
	s_or_b64 s[10:11], s[10:11], s[14:15]
	s_cbranch_execz .LBB58_274
	s_branch .LBB58_275
.LBB58_282:
                                        ; implicit-def: $sgpr10_sgpr11
	s_mov_b64 s[14:15], 0
	s_cbranch_execnz .LBB58_286
	s_branch .LBB58_287
.LBB58_283:
	s_mov_b64 s[14:15], 0
                                        ; implicit-def: $sgpr10_sgpr11
	s_cbranch_execz .LBB58_285
; %bb.284:
	s_waitcnt vmcnt(0)
	v_cmp_gt_i64_e32 vcc, v[58:59], v[60:61]
	s_andn2_b64 s[10:11], s[10:11], exec
	s_and_b64 s[16:17], vcc, exec
	s_or_b64 s[10:11], s[10:11], s[16:17]
.LBB58_285:
	s_branch .LBB58_287
.LBB58_286:
	s_cmp_lg_u32 s13, 0
	s_mov_b64 s[6:7], -1
	s_cselect_b64 s[14:15], -1, 0
.LBB58_287:
	s_andn2_b64 vcc, exec, s[14:15]
	s_cbranch_vccz .LBB58_296
; %bb.288:
	s_andn2_b64 vcc, exec, s[6:7]
	s_cbranch_vccnz .LBB58_290
.LBB58_289:
	s_waitcnt vmcnt(0)
	v_cmp_ge_i64_e32 vcc, v[58:59], v[60:61]
	s_andn2_b64 s[6:7], s[10:11], exec
	s_and_b64 s[10:11], vcc, exec
	s_or_b64 s[10:11], s[6:7], s[10:11]
.LBB58_290:
	v_cndmask_b32_e64 v63, 0, 1, s[10:11]
.LBB58_291:
	s_or_b64 exec, exec, s[4:5]
	v_or_b32_e32 v58, 0x200, v0
	v_cmp_gt_i32_e32 vcc, s12, v58
                                        ; implicit-def: $vgpr58
	s_and_saveexec_b64 s[4:5], vcc
	s_cbranch_execz .LBB58_306
; %bb.292:
	s_cmp_lt_i32 s13, 1
	s_mov_b64 s[6:7], 0
	s_cbranch_scc1 .LBB58_297
; %bb.293:
	s_cmp_gt_i32 s13, 1
	s_cbranch_scc0 .LBB58_298
; %bb.294:
	s_cmp_eq_u32 s13, 2
	s_cbranch_scc0 .LBB58_536
; %bb.295:
	s_waitcnt vmcnt(0)
	v_cmp_le_i64_e64 s[10:11], v[54:55], v[56:57]
	s_mov_b64 s[14:15], 0
	s_branch .LBB58_300
.LBB58_296:
	s_waitcnt vmcnt(0)
	v_cmp_lt_i64_e32 vcc, v[58:59], v[60:61]
	s_andn2_b64 s[10:11], s[10:11], exec
	s_and_b64 s[14:15], vcc, exec
	s_or_b64 s[10:11], s[10:11], s[14:15]
	s_cbranch_execz .LBB58_289
	s_branch .LBB58_290
.LBB58_297:
                                        ; implicit-def: $sgpr10_sgpr11
	s_mov_b64 s[14:15], 0
	s_cbranch_execnz .LBB58_301
	s_branch .LBB58_302
.LBB58_298:
	s_mov_b64 s[14:15], 0
                                        ; implicit-def: $sgpr10_sgpr11
	s_cbranch_execz .LBB58_300
; %bb.299:
	s_waitcnt vmcnt(0)
	v_cmp_gt_i64_e32 vcc, v[54:55], v[56:57]
	s_andn2_b64 s[10:11], s[10:11], exec
	s_and_b64 s[16:17], vcc, exec
	s_or_b64 s[10:11], s[10:11], s[16:17]
.LBB58_300:
	s_branch .LBB58_302
.LBB58_301:
	s_cmp_lg_u32 s13, 0
	s_mov_b64 s[6:7], -1
	s_cselect_b64 s[14:15], -1, 0
.LBB58_302:
	s_andn2_b64 vcc, exec, s[14:15]
	s_cbranch_vccz .LBB58_311
; %bb.303:
	s_andn2_b64 vcc, exec, s[6:7]
	s_cbranch_vccnz .LBB58_305
.LBB58_304:
	s_waitcnt vmcnt(0)
	v_cmp_ge_i64_e32 vcc, v[54:55], v[56:57]
	s_andn2_b64 s[6:7], s[10:11], exec
	s_and_b64 s[10:11], vcc, exec
	s_or_b64 s[10:11], s[6:7], s[10:11]
.LBB58_305:
	v_cndmask_b32_e64 v58, 0, 1, s[10:11]
.LBB58_306:
	s_or_b64 exec, exec, s[4:5]
	v_or_b32_e32 v54, 0x300, v0
	v_cmp_gt_i32_e32 vcc, s12, v54
                                        ; implicit-def: $vgpr54
	s_and_saveexec_b64 s[4:5], vcc
	s_cbranch_execz .LBB58_321
; %bb.307:
	s_cmp_lt_i32 s13, 1
	s_mov_b64 s[6:7], 0
	s_cbranch_scc1 .LBB58_312
; %bb.308:
	s_cmp_gt_i32 s13, 1
	s_cbranch_scc0 .LBB58_313
; %bb.309:
	s_cmp_eq_u32 s13, 2
	s_cbranch_scc0 .LBB58_537
; %bb.310:
	s_waitcnt vmcnt(0)
	v_cmp_le_i64_e64 s[10:11], v[50:51], v[52:53]
	s_mov_b64 s[14:15], 0
	s_branch .LBB58_315
.LBB58_311:
	s_waitcnt vmcnt(0)
	v_cmp_lt_i64_e32 vcc, v[54:55], v[56:57]
	s_andn2_b64 s[10:11], s[10:11], exec
	s_and_b64 s[14:15], vcc, exec
	s_or_b64 s[10:11], s[10:11], s[14:15]
	s_cbranch_execz .LBB58_304
	s_branch .LBB58_305
.LBB58_312:
                                        ; implicit-def: $sgpr10_sgpr11
	s_mov_b64 s[14:15], 0
	s_cbranch_execnz .LBB58_316
	s_branch .LBB58_317
.LBB58_313:
	s_mov_b64 s[14:15], 0
                                        ; implicit-def: $sgpr10_sgpr11
	s_cbranch_execz .LBB58_315
; %bb.314:
	s_waitcnt vmcnt(0)
	v_cmp_gt_i64_e32 vcc, v[50:51], v[52:53]
	s_andn2_b64 s[10:11], s[10:11], exec
	s_and_b64 s[16:17], vcc, exec
	s_or_b64 s[10:11], s[10:11], s[16:17]
.LBB58_315:
	s_branch .LBB58_317
.LBB58_316:
	s_cmp_lg_u32 s13, 0
	s_mov_b64 s[6:7], -1
	s_cselect_b64 s[14:15], -1, 0
.LBB58_317:
	s_andn2_b64 vcc, exec, s[14:15]
	s_cbranch_vccz .LBB58_326
; %bb.318:
	s_andn2_b64 vcc, exec, s[6:7]
	s_cbranch_vccnz .LBB58_320
.LBB58_319:
	s_waitcnt vmcnt(0)
	v_cmp_ge_i64_e32 vcc, v[50:51], v[52:53]
	s_andn2_b64 s[6:7], s[10:11], exec
	s_and_b64 s[10:11], vcc, exec
	s_or_b64 s[10:11], s[6:7], s[10:11]
.LBB58_320:
	v_cndmask_b32_e64 v54, 0, 1, s[10:11]
.LBB58_321:
	s_or_b64 exec, exec, s[4:5]
	v_or_b32_e32 v50, 0x400, v0
	v_cmp_gt_i32_e32 vcc, s12, v50
                                        ; implicit-def: $vgpr50
	s_and_saveexec_b64 s[4:5], vcc
	s_cbranch_execz .LBB58_336
; %bb.322:
	s_cmp_lt_i32 s13, 1
	s_mov_b64 s[6:7], 0
	s_cbranch_scc1 .LBB58_327
; %bb.323:
	s_cmp_gt_i32 s13, 1
	s_cbranch_scc0 .LBB58_328
; %bb.324:
	s_cmp_eq_u32 s13, 2
	s_cbranch_scc0 .LBB58_538
; %bb.325:
	s_waitcnt vmcnt(0)
	v_cmp_le_i64_e64 s[10:11], v[46:47], v[48:49]
	s_mov_b64 s[14:15], 0
	s_branch .LBB58_330
.LBB58_326:
	s_waitcnt vmcnt(0)
	v_cmp_lt_i64_e32 vcc, v[50:51], v[52:53]
	s_andn2_b64 s[10:11], s[10:11], exec
	s_and_b64 s[14:15], vcc, exec
	s_or_b64 s[10:11], s[10:11], s[14:15]
	s_cbranch_execz .LBB58_319
	s_branch .LBB58_320
.LBB58_327:
                                        ; implicit-def: $sgpr10_sgpr11
	s_mov_b64 s[14:15], 0
	s_cbranch_execnz .LBB58_331
	s_branch .LBB58_332
.LBB58_328:
	s_mov_b64 s[14:15], 0
                                        ; implicit-def: $sgpr10_sgpr11
	s_cbranch_execz .LBB58_330
; %bb.329:
	s_waitcnt vmcnt(0)
	v_cmp_gt_i64_e32 vcc, v[46:47], v[48:49]
	s_andn2_b64 s[10:11], s[10:11], exec
	s_and_b64 s[16:17], vcc, exec
	s_or_b64 s[10:11], s[10:11], s[16:17]
.LBB58_330:
	s_branch .LBB58_332
.LBB58_331:
	s_cmp_lg_u32 s13, 0
	s_mov_b64 s[6:7], -1
	s_cselect_b64 s[14:15], -1, 0
.LBB58_332:
	s_andn2_b64 vcc, exec, s[14:15]
	s_cbranch_vccz .LBB58_341
; %bb.333:
	s_andn2_b64 vcc, exec, s[6:7]
	s_cbranch_vccnz .LBB58_335
.LBB58_334:
	s_waitcnt vmcnt(0)
	v_cmp_ge_i64_e32 vcc, v[46:47], v[48:49]
	s_andn2_b64 s[6:7], s[10:11], exec
	s_and_b64 s[10:11], vcc, exec
	s_or_b64 s[10:11], s[6:7], s[10:11]
.LBB58_335:
	v_cndmask_b32_e64 v50, 0, 1, s[10:11]
.LBB58_336:
	s_or_b64 exec, exec, s[4:5]
	v_or_b32_e32 v46, 0x500, v0
	v_cmp_gt_i32_e32 vcc, s12, v46
                                        ; implicit-def: $vgpr46
	s_and_saveexec_b64 s[4:5], vcc
	s_cbranch_execz .LBB58_351
; %bb.337:
	s_cmp_lt_i32 s13, 1
	s_mov_b64 s[6:7], 0
	s_cbranch_scc1 .LBB58_342
; %bb.338:
	s_cmp_gt_i32 s13, 1
	s_cbranch_scc0 .LBB58_343
; %bb.339:
	s_cmp_eq_u32 s13, 2
	s_cbranch_scc0 .LBB58_539
; %bb.340:
	s_waitcnt vmcnt(0)
	v_cmp_le_i64_e64 s[10:11], v[42:43], v[44:45]
	s_mov_b64 s[14:15], 0
	s_branch .LBB58_345
.LBB58_341:
	s_waitcnt vmcnt(0)
	v_cmp_lt_i64_e32 vcc, v[46:47], v[48:49]
	s_andn2_b64 s[10:11], s[10:11], exec
	s_and_b64 s[14:15], vcc, exec
	s_or_b64 s[10:11], s[10:11], s[14:15]
	s_cbranch_execz .LBB58_334
	s_branch .LBB58_335
.LBB58_342:
                                        ; implicit-def: $sgpr10_sgpr11
	s_mov_b64 s[14:15], 0
	s_cbranch_execnz .LBB58_346
	s_branch .LBB58_347
.LBB58_343:
	s_mov_b64 s[14:15], 0
                                        ; implicit-def: $sgpr10_sgpr11
	s_cbranch_execz .LBB58_345
; %bb.344:
	s_waitcnt vmcnt(0)
	v_cmp_gt_i64_e32 vcc, v[42:43], v[44:45]
	s_andn2_b64 s[10:11], s[10:11], exec
	s_and_b64 s[16:17], vcc, exec
	s_or_b64 s[10:11], s[10:11], s[16:17]
.LBB58_345:
	s_branch .LBB58_347
.LBB58_346:
	s_cmp_lg_u32 s13, 0
	s_mov_b64 s[6:7], -1
	s_cselect_b64 s[14:15], -1, 0
.LBB58_347:
	s_andn2_b64 vcc, exec, s[14:15]
	s_cbranch_vccz .LBB58_356
; %bb.348:
	s_andn2_b64 vcc, exec, s[6:7]
	s_cbranch_vccnz .LBB58_350
.LBB58_349:
	s_waitcnt vmcnt(0)
	v_cmp_ge_i64_e32 vcc, v[42:43], v[44:45]
	s_andn2_b64 s[6:7], s[10:11], exec
	s_and_b64 s[10:11], vcc, exec
	s_or_b64 s[10:11], s[6:7], s[10:11]
.LBB58_350:
	v_cndmask_b32_e64 v46, 0, 1, s[10:11]
.LBB58_351:
	s_or_b64 exec, exec, s[4:5]
	v_or_b32_e32 v42, 0x600, v0
	v_cmp_gt_i32_e32 vcc, s12, v42
                                        ; implicit-def: $vgpr42
	s_and_saveexec_b64 s[4:5], vcc
	s_cbranch_execz .LBB58_366
; %bb.352:
	s_cmp_lt_i32 s13, 1
	s_mov_b64 s[6:7], 0
	s_cbranch_scc1 .LBB58_357
; %bb.353:
	s_cmp_gt_i32 s13, 1
	s_cbranch_scc0 .LBB58_358
; %bb.354:
	s_cmp_eq_u32 s13, 2
	s_cbranch_scc0 .LBB58_540
; %bb.355:
	s_waitcnt vmcnt(0)
	v_cmp_le_i64_e64 s[10:11], v[38:39], v[40:41]
	s_mov_b64 s[14:15], 0
	s_branch .LBB58_360
.LBB58_356:
	s_waitcnt vmcnt(0)
	v_cmp_lt_i64_e32 vcc, v[42:43], v[44:45]
	s_andn2_b64 s[10:11], s[10:11], exec
	s_and_b64 s[14:15], vcc, exec
	s_or_b64 s[10:11], s[10:11], s[14:15]
	s_cbranch_execz .LBB58_349
	s_branch .LBB58_350
.LBB58_357:
                                        ; implicit-def: $sgpr10_sgpr11
	s_mov_b64 s[14:15], 0
	s_cbranch_execnz .LBB58_361
	s_branch .LBB58_362
.LBB58_358:
	s_mov_b64 s[14:15], 0
                                        ; implicit-def: $sgpr10_sgpr11
	s_cbranch_execz .LBB58_360
; %bb.359:
	s_waitcnt vmcnt(0)
	v_cmp_gt_i64_e32 vcc, v[38:39], v[40:41]
	s_andn2_b64 s[10:11], s[10:11], exec
	s_and_b64 s[16:17], vcc, exec
	s_or_b64 s[10:11], s[10:11], s[16:17]
.LBB58_360:
	s_branch .LBB58_362
.LBB58_361:
	s_cmp_lg_u32 s13, 0
	s_mov_b64 s[6:7], -1
	s_cselect_b64 s[14:15], -1, 0
.LBB58_362:
	s_andn2_b64 vcc, exec, s[14:15]
	s_cbranch_vccz .LBB58_371
; %bb.363:
	s_andn2_b64 vcc, exec, s[6:7]
	s_cbranch_vccnz .LBB58_365
.LBB58_364:
	s_waitcnt vmcnt(0)
	v_cmp_ge_i64_e32 vcc, v[38:39], v[40:41]
	s_andn2_b64 s[6:7], s[10:11], exec
	s_and_b64 s[10:11], vcc, exec
	s_or_b64 s[10:11], s[6:7], s[10:11]
.LBB58_365:
	v_cndmask_b32_e64 v42, 0, 1, s[10:11]
.LBB58_366:
	s_or_b64 exec, exec, s[4:5]
	v_or_b32_e32 v38, 0x700, v0
	v_cmp_gt_i32_e32 vcc, s12, v38
                                        ; implicit-def: $vgpr38
	s_and_saveexec_b64 s[4:5], vcc
	s_cbranch_execz .LBB58_381
; %bb.367:
	s_cmp_lt_i32 s13, 1
	s_mov_b64 s[6:7], 0
	s_cbranch_scc1 .LBB58_372
; %bb.368:
	s_cmp_gt_i32 s13, 1
	s_cbranch_scc0 .LBB58_373
; %bb.369:
	s_cmp_eq_u32 s13, 2
	s_cbranch_scc0 .LBB58_541
; %bb.370:
	s_waitcnt vmcnt(0)
	v_cmp_le_i64_e64 s[10:11], v[34:35], v[36:37]
	s_mov_b64 s[14:15], 0
	s_branch .LBB58_375
.LBB58_371:
	s_waitcnt vmcnt(0)
	v_cmp_lt_i64_e32 vcc, v[38:39], v[40:41]
	s_andn2_b64 s[10:11], s[10:11], exec
	s_and_b64 s[14:15], vcc, exec
	s_or_b64 s[10:11], s[10:11], s[14:15]
	s_cbranch_execz .LBB58_364
	s_branch .LBB58_365
.LBB58_372:
                                        ; implicit-def: $sgpr10_sgpr11
	s_mov_b64 s[14:15], 0
	s_cbranch_execnz .LBB58_376
	s_branch .LBB58_377
.LBB58_373:
	s_mov_b64 s[14:15], 0
                                        ; implicit-def: $sgpr10_sgpr11
	s_cbranch_execz .LBB58_375
; %bb.374:
	s_waitcnt vmcnt(0)
	v_cmp_gt_i64_e32 vcc, v[34:35], v[36:37]
	s_andn2_b64 s[10:11], s[10:11], exec
	s_and_b64 s[16:17], vcc, exec
	s_or_b64 s[10:11], s[10:11], s[16:17]
.LBB58_375:
	s_branch .LBB58_377
.LBB58_376:
	s_cmp_lg_u32 s13, 0
	s_mov_b64 s[6:7], -1
	s_cselect_b64 s[14:15], -1, 0
.LBB58_377:
	s_andn2_b64 vcc, exec, s[14:15]
	s_cbranch_vccz .LBB58_386
; %bb.378:
	s_andn2_b64 vcc, exec, s[6:7]
	s_cbranch_vccnz .LBB58_380
.LBB58_379:
	s_waitcnt vmcnt(0)
	v_cmp_ge_i64_e32 vcc, v[34:35], v[36:37]
	s_andn2_b64 s[6:7], s[10:11], exec
	s_and_b64 s[10:11], vcc, exec
	s_or_b64 s[10:11], s[6:7], s[10:11]
.LBB58_380:
	v_cndmask_b32_e64 v38, 0, 1, s[10:11]
.LBB58_381:
	s_or_b64 exec, exec, s[4:5]
	v_or_b32_e32 v34, 0x800, v0
	v_cmp_gt_i32_e32 vcc, s12, v34
                                        ; implicit-def: $vgpr34
	s_and_saveexec_b64 s[4:5], vcc
	s_cbranch_execz .LBB58_396
; %bb.382:
	s_cmp_lt_i32 s13, 1
	s_mov_b64 s[6:7], 0
	s_cbranch_scc1 .LBB58_387
; %bb.383:
	s_cmp_gt_i32 s13, 1
	s_cbranch_scc0 .LBB58_388
; %bb.384:
	s_cmp_eq_u32 s13, 2
	s_cbranch_scc0 .LBB58_542
; %bb.385:
	s_waitcnt vmcnt(0)
	v_cmp_le_i64_e64 s[10:11], v[30:31], v[32:33]
	s_mov_b64 s[14:15], 0
	s_branch .LBB58_390
.LBB58_386:
	s_waitcnt vmcnt(0)
	v_cmp_lt_i64_e32 vcc, v[34:35], v[36:37]
	s_andn2_b64 s[10:11], s[10:11], exec
	s_and_b64 s[14:15], vcc, exec
	s_or_b64 s[10:11], s[10:11], s[14:15]
	s_cbranch_execz .LBB58_379
	s_branch .LBB58_380
.LBB58_387:
                                        ; implicit-def: $sgpr10_sgpr11
	s_mov_b64 s[14:15], 0
	s_cbranch_execnz .LBB58_391
	s_branch .LBB58_392
.LBB58_388:
	s_mov_b64 s[14:15], 0
                                        ; implicit-def: $sgpr10_sgpr11
	s_cbranch_execz .LBB58_390
; %bb.389:
	s_waitcnt vmcnt(0)
	v_cmp_gt_i64_e32 vcc, v[30:31], v[32:33]
	s_andn2_b64 s[10:11], s[10:11], exec
	s_and_b64 s[16:17], vcc, exec
	s_or_b64 s[10:11], s[10:11], s[16:17]
.LBB58_390:
	s_branch .LBB58_392
.LBB58_391:
	s_cmp_lg_u32 s13, 0
	s_mov_b64 s[6:7], -1
	s_cselect_b64 s[14:15], -1, 0
.LBB58_392:
	s_andn2_b64 vcc, exec, s[14:15]
	s_cbranch_vccz .LBB58_401
; %bb.393:
	s_andn2_b64 vcc, exec, s[6:7]
	s_cbranch_vccnz .LBB58_395
.LBB58_394:
	s_waitcnt vmcnt(0)
	v_cmp_ge_i64_e32 vcc, v[30:31], v[32:33]
	s_andn2_b64 s[6:7], s[10:11], exec
	s_and_b64 s[10:11], vcc, exec
	s_or_b64 s[10:11], s[6:7], s[10:11]
.LBB58_395:
	v_cndmask_b32_e64 v34, 0, 1, s[10:11]
.LBB58_396:
	s_or_b64 exec, exec, s[4:5]
	v_or_b32_e32 v30, 0x900, v0
	v_cmp_gt_i32_e32 vcc, s12, v30
                                        ; implicit-def: $vgpr30
	s_and_saveexec_b64 s[4:5], vcc
	s_cbranch_execz .LBB58_411
; %bb.397:
	s_cmp_lt_i32 s13, 1
	s_mov_b64 s[6:7], 0
	s_cbranch_scc1 .LBB58_402
; %bb.398:
	s_cmp_gt_i32 s13, 1
	s_cbranch_scc0 .LBB58_403
; %bb.399:
	s_cmp_eq_u32 s13, 2
	s_cbranch_scc0 .LBB58_543
; %bb.400:
	s_waitcnt vmcnt(0)
	v_cmp_le_i64_e64 s[10:11], v[26:27], v[28:29]
	s_mov_b64 s[14:15], 0
	s_branch .LBB58_405
.LBB58_401:
	s_waitcnt vmcnt(0)
	v_cmp_lt_i64_e32 vcc, v[30:31], v[32:33]
	s_andn2_b64 s[10:11], s[10:11], exec
	s_and_b64 s[14:15], vcc, exec
	s_or_b64 s[10:11], s[10:11], s[14:15]
	s_cbranch_execz .LBB58_394
	s_branch .LBB58_395
.LBB58_402:
                                        ; implicit-def: $sgpr10_sgpr11
	s_mov_b64 s[14:15], 0
	s_cbranch_execnz .LBB58_406
	s_branch .LBB58_407
.LBB58_403:
	s_mov_b64 s[14:15], 0
                                        ; implicit-def: $sgpr10_sgpr11
	s_cbranch_execz .LBB58_405
; %bb.404:
	s_waitcnt vmcnt(0)
	v_cmp_gt_i64_e32 vcc, v[26:27], v[28:29]
	s_andn2_b64 s[10:11], s[10:11], exec
	s_and_b64 s[16:17], vcc, exec
	s_or_b64 s[10:11], s[10:11], s[16:17]
.LBB58_405:
	s_branch .LBB58_407
.LBB58_406:
	s_cmp_lg_u32 s13, 0
	s_mov_b64 s[6:7], -1
	s_cselect_b64 s[14:15], -1, 0
.LBB58_407:
	s_andn2_b64 vcc, exec, s[14:15]
	s_cbranch_vccz .LBB58_416
; %bb.408:
	s_andn2_b64 vcc, exec, s[6:7]
	s_cbranch_vccnz .LBB58_410
.LBB58_409:
	s_waitcnt vmcnt(0)
	v_cmp_ge_i64_e32 vcc, v[26:27], v[28:29]
	s_andn2_b64 s[6:7], s[10:11], exec
	s_and_b64 s[10:11], vcc, exec
	s_or_b64 s[10:11], s[6:7], s[10:11]
.LBB58_410:
	v_cndmask_b32_e64 v30, 0, 1, s[10:11]
.LBB58_411:
	s_or_b64 exec, exec, s[4:5]
	v_or_b32_e32 v26, 0xa00, v0
	v_cmp_gt_i32_e32 vcc, s12, v26
                                        ; implicit-def: $vgpr26
	s_and_saveexec_b64 s[4:5], vcc
	s_cbranch_execz .LBB58_426
; %bb.412:
	s_cmp_lt_i32 s13, 1
	s_mov_b64 s[6:7], 0
	s_cbranch_scc1 .LBB58_417
; %bb.413:
	s_cmp_gt_i32 s13, 1
	s_cbranch_scc0 .LBB58_418
; %bb.414:
	s_cmp_eq_u32 s13, 2
	s_cbranch_scc0 .LBB58_544
; %bb.415:
	s_waitcnt vmcnt(0)
	v_cmp_le_i64_e64 s[10:11], v[22:23], v[24:25]
	s_mov_b64 s[14:15], 0
	s_branch .LBB58_420
.LBB58_416:
	s_waitcnt vmcnt(0)
	v_cmp_lt_i64_e32 vcc, v[26:27], v[28:29]
	s_andn2_b64 s[10:11], s[10:11], exec
	s_and_b64 s[14:15], vcc, exec
	s_or_b64 s[10:11], s[10:11], s[14:15]
	s_cbranch_execz .LBB58_409
	s_branch .LBB58_410
.LBB58_417:
                                        ; implicit-def: $sgpr10_sgpr11
	s_mov_b64 s[14:15], 0
	s_cbranch_execnz .LBB58_421
	s_branch .LBB58_422
.LBB58_418:
	s_mov_b64 s[14:15], 0
                                        ; implicit-def: $sgpr10_sgpr11
	s_cbranch_execz .LBB58_420
; %bb.419:
	s_waitcnt vmcnt(0)
	v_cmp_gt_i64_e32 vcc, v[22:23], v[24:25]
	s_andn2_b64 s[10:11], s[10:11], exec
	s_and_b64 s[16:17], vcc, exec
	s_or_b64 s[10:11], s[10:11], s[16:17]
.LBB58_420:
	s_branch .LBB58_422
.LBB58_421:
	s_cmp_lg_u32 s13, 0
	s_mov_b64 s[6:7], -1
	s_cselect_b64 s[14:15], -1, 0
.LBB58_422:
	s_andn2_b64 vcc, exec, s[14:15]
	s_cbranch_vccz .LBB58_431
; %bb.423:
	s_andn2_b64 vcc, exec, s[6:7]
	s_cbranch_vccnz .LBB58_425
.LBB58_424:
	s_waitcnt vmcnt(0)
	v_cmp_ge_i64_e32 vcc, v[22:23], v[24:25]
	s_andn2_b64 s[6:7], s[10:11], exec
	s_and_b64 s[10:11], vcc, exec
	s_or_b64 s[10:11], s[6:7], s[10:11]
.LBB58_425:
	v_cndmask_b32_e64 v26, 0, 1, s[10:11]
.LBB58_426:
	s_or_b64 exec, exec, s[4:5]
	v_or_b32_e32 v22, 0xb00, v0
	v_cmp_gt_i32_e32 vcc, s12, v22
                                        ; implicit-def: $vgpr22
	s_and_saveexec_b64 s[4:5], vcc
	s_cbranch_execz .LBB58_441
; %bb.427:
	s_cmp_lt_i32 s13, 1
	s_mov_b64 s[6:7], 0
	s_cbranch_scc1 .LBB58_432
; %bb.428:
	s_cmp_gt_i32 s13, 1
	s_cbranch_scc0 .LBB58_433
; %bb.429:
	s_cmp_eq_u32 s13, 2
	s_cbranch_scc0 .LBB58_545
; %bb.430:
	s_waitcnt vmcnt(0)
	v_cmp_le_i64_e64 s[10:11], v[18:19], v[20:21]
	s_mov_b64 s[14:15], 0
	s_branch .LBB58_435
.LBB58_431:
	s_waitcnt vmcnt(0)
	v_cmp_lt_i64_e32 vcc, v[22:23], v[24:25]
	s_andn2_b64 s[10:11], s[10:11], exec
	s_and_b64 s[14:15], vcc, exec
	s_or_b64 s[10:11], s[10:11], s[14:15]
	s_cbranch_execz .LBB58_424
	s_branch .LBB58_425
.LBB58_432:
                                        ; implicit-def: $sgpr10_sgpr11
	s_mov_b64 s[14:15], 0
	s_cbranch_execnz .LBB58_436
	s_branch .LBB58_437
.LBB58_433:
	s_mov_b64 s[14:15], 0
                                        ; implicit-def: $sgpr10_sgpr11
	s_cbranch_execz .LBB58_435
; %bb.434:
	s_waitcnt vmcnt(0)
	v_cmp_gt_i64_e32 vcc, v[18:19], v[20:21]
	s_andn2_b64 s[10:11], s[10:11], exec
	s_and_b64 s[16:17], vcc, exec
	s_or_b64 s[10:11], s[10:11], s[16:17]
.LBB58_435:
	s_branch .LBB58_437
.LBB58_436:
	s_cmp_lg_u32 s13, 0
	s_mov_b64 s[6:7], -1
	s_cselect_b64 s[14:15], -1, 0
.LBB58_437:
	s_andn2_b64 vcc, exec, s[14:15]
	s_cbranch_vccz .LBB58_446
; %bb.438:
	s_andn2_b64 vcc, exec, s[6:7]
	s_cbranch_vccnz .LBB58_440
.LBB58_439:
	s_waitcnt vmcnt(0)
	v_cmp_ge_i64_e32 vcc, v[18:19], v[20:21]
	s_andn2_b64 s[6:7], s[10:11], exec
	s_and_b64 s[10:11], vcc, exec
	s_or_b64 s[10:11], s[6:7], s[10:11]
.LBB58_440:
	v_cndmask_b32_e64 v22, 0, 1, s[10:11]
.LBB58_441:
	s_or_b64 exec, exec, s[4:5]
	v_or_b32_e32 v18, 0xc00, v0
	v_cmp_gt_i32_e32 vcc, s12, v18
                                        ; implicit-def: $vgpr18
	s_and_saveexec_b64 s[4:5], vcc
	s_cbranch_execz .LBB58_456
; %bb.442:
	s_cmp_lt_i32 s13, 1
	s_mov_b64 s[6:7], 0
	s_cbranch_scc1 .LBB58_447
; %bb.443:
	s_cmp_gt_i32 s13, 1
	s_cbranch_scc0 .LBB58_448
; %bb.444:
	s_cmp_eq_u32 s13, 2
	s_cbranch_scc0 .LBB58_546
; %bb.445:
	s_waitcnt vmcnt(0)
	v_cmp_le_i64_e64 s[10:11], v[14:15], v[16:17]
	s_mov_b64 s[14:15], 0
	s_branch .LBB58_450
.LBB58_446:
	s_waitcnt vmcnt(0)
	v_cmp_lt_i64_e32 vcc, v[18:19], v[20:21]
	s_andn2_b64 s[10:11], s[10:11], exec
	s_and_b64 s[14:15], vcc, exec
	s_or_b64 s[10:11], s[10:11], s[14:15]
	s_cbranch_execz .LBB58_439
	s_branch .LBB58_440
.LBB58_447:
                                        ; implicit-def: $sgpr10_sgpr11
	s_mov_b64 s[14:15], 0
	s_cbranch_execnz .LBB58_451
	s_branch .LBB58_452
.LBB58_448:
	s_mov_b64 s[14:15], 0
                                        ; implicit-def: $sgpr10_sgpr11
	s_cbranch_execz .LBB58_450
; %bb.449:
	s_waitcnt vmcnt(0)
	v_cmp_gt_i64_e32 vcc, v[14:15], v[16:17]
	s_andn2_b64 s[10:11], s[10:11], exec
	s_and_b64 s[16:17], vcc, exec
	s_or_b64 s[10:11], s[10:11], s[16:17]
.LBB58_450:
	s_branch .LBB58_452
.LBB58_451:
	s_cmp_lg_u32 s13, 0
	s_mov_b64 s[6:7], -1
	s_cselect_b64 s[14:15], -1, 0
.LBB58_452:
	s_andn2_b64 vcc, exec, s[14:15]
	s_cbranch_vccz .LBB58_461
; %bb.453:
	s_andn2_b64 vcc, exec, s[6:7]
	s_cbranch_vccnz .LBB58_455
.LBB58_454:
	s_waitcnt vmcnt(0)
	v_cmp_ge_i64_e32 vcc, v[14:15], v[16:17]
	s_andn2_b64 s[6:7], s[10:11], exec
	s_and_b64 s[10:11], vcc, exec
	s_or_b64 s[10:11], s[6:7], s[10:11]
.LBB58_455:
	v_cndmask_b32_e64 v18, 0, 1, s[10:11]
.LBB58_456:
	s_or_b64 exec, exec, s[4:5]
	v_or_b32_e32 v14, 0xd00, v0
	v_cmp_gt_i32_e32 vcc, s12, v14
                                        ; implicit-def: $vgpr14
	s_and_saveexec_b64 s[4:5], vcc
	s_cbranch_execz .LBB58_471
; %bb.457:
	s_cmp_lt_i32 s13, 1
	s_mov_b64 s[6:7], 0
	s_cbranch_scc1 .LBB58_462
; %bb.458:
	s_cmp_gt_i32 s13, 1
	s_cbranch_scc0 .LBB58_463
; %bb.459:
	s_cmp_eq_u32 s13, 2
	s_cbranch_scc0 .LBB58_547
; %bb.460:
	s_waitcnt vmcnt(0)
	v_cmp_le_i64_e64 s[10:11], v[10:11], v[12:13]
	s_mov_b64 s[14:15], 0
	s_branch .LBB58_465
.LBB58_461:
	s_waitcnt vmcnt(0)
	v_cmp_lt_i64_e32 vcc, v[14:15], v[16:17]
	s_andn2_b64 s[10:11], s[10:11], exec
	s_and_b64 s[14:15], vcc, exec
	s_or_b64 s[10:11], s[10:11], s[14:15]
	s_cbranch_execz .LBB58_454
	s_branch .LBB58_455
.LBB58_462:
                                        ; implicit-def: $sgpr10_sgpr11
	s_mov_b64 s[14:15], 0
	s_cbranch_execnz .LBB58_466
	s_branch .LBB58_467
.LBB58_463:
	s_mov_b64 s[14:15], 0
                                        ; implicit-def: $sgpr10_sgpr11
	s_cbranch_execz .LBB58_465
; %bb.464:
	s_waitcnt vmcnt(0)
	v_cmp_gt_i64_e32 vcc, v[10:11], v[12:13]
	s_andn2_b64 s[10:11], s[10:11], exec
	s_and_b64 s[16:17], vcc, exec
	s_or_b64 s[10:11], s[10:11], s[16:17]
.LBB58_465:
	s_branch .LBB58_467
.LBB58_466:
	s_cmp_lg_u32 s13, 0
	s_mov_b64 s[6:7], -1
	s_cselect_b64 s[14:15], -1, 0
.LBB58_467:
	s_andn2_b64 vcc, exec, s[14:15]
	s_cbranch_vccz .LBB58_476
; %bb.468:
	s_andn2_b64 vcc, exec, s[6:7]
	s_cbranch_vccnz .LBB58_470
.LBB58_469:
	s_waitcnt vmcnt(0)
	v_cmp_ge_i64_e32 vcc, v[10:11], v[12:13]
	s_andn2_b64 s[6:7], s[10:11], exec
	s_and_b64 s[10:11], vcc, exec
	s_or_b64 s[10:11], s[6:7], s[10:11]
.LBB58_470:
	v_cndmask_b32_e64 v14, 0, 1, s[10:11]
.LBB58_471:
	s_or_b64 exec, exec, s[4:5]
	v_or_b32_e32 v10, 0xe00, v0
	v_cmp_gt_i32_e32 vcc, s12, v10
                                        ; implicit-def: $vgpr10
	s_and_saveexec_b64 s[4:5], vcc
	s_cbranch_execz .LBB58_486
; %bb.472:
	s_cmp_lt_i32 s13, 1
	s_mov_b64 s[6:7], 0
	s_cbranch_scc1 .LBB58_477
; %bb.473:
	s_cmp_gt_i32 s13, 1
	s_cbranch_scc0 .LBB58_478
; %bb.474:
	s_cmp_eq_u32 s13, 2
	s_cbranch_scc0 .LBB58_548
; %bb.475:
	s_waitcnt vmcnt(0)
	v_cmp_le_i64_e64 s[10:11], v[6:7], v[8:9]
	s_mov_b64 s[14:15], 0
	s_branch .LBB58_480
.LBB58_476:
	s_waitcnt vmcnt(0)
	v_cmp_lt_i64_e32 vcc, v[10:11], v[12:13]
	s_andn2_b64 s[10:11], s[10:11], exec
	s_and_b64 s[14:15], vcc, exec
	s_or_b64 s[10:11], s[10:11], s[14:15]
	s_cbranch_execz .LBB58_469
	s_branch .LBB58_470
.LBB58_477:
                                        ; implicit-def: $sgpr10_sgpr11
	s_mov_b64 s[14:15], 0
	s_cbranch_execnz .LBB58_481
	s_branch .LBB58_482
.LBB58_478:
	s_mov_b64 s[14:15], 0
                                        ; implicit-def: $sgpr10_sgpr11
	s_cbranch_execz .LBB58_480
; %bb.479:
	s_waitcnt vmcnt(0)
	v_cmp_gt_i64_e32 vcc, v[6:7], v[8:9]
	s_andn2_b64 s[10:11], s[10:11], exec
	s_and_b64 s[16:17], vcc, exec
	s_or_b64 s[10:11], s[10:11], s[16:17]
.LBB58_480:
	s_branch .LBB58_482
.LBB58_481:
	s_cmp_lg_u32 s13, 0
	s_mov_b64 s[6:7], -1
	s_cselect_b64 s[14:15], -1, 0
.LBB58_482:
	s_andn2_b64 vcc, exec, s[14:15]
	s_cbranch_vccz .LBB58_491
; %bb.483:
	s_andn2_b64 vcc, exec, s[6:7]
	s_cbranch_vccnz .LBB58_485
.LBB58_484:
	s_waitcnt vmcnt(0)
	v_cmp_ge_i64_e32 vcc, v[6:7], v[8:9]
	s_andn2_b64 s[6:7], s[10:11], exec
	s_and_b64 s[10:11], vcc, exec
	s_or_b64 s[10:11], s[6:7], s[10:11]
.LBB58_485:
	v_cndmask_b32_e64 v10, 0, 1, s[10:11]
.LBB58_486:
	s_or_b64 exec, exec, s[4:5]
	v_or_b32_e32 v6, 0xf00, v0
	v_cmp_gt_i32_e32 vcc, s12, v6
                                        ; implicit-def: $vgpr6
	s_and_saveexec_b64 s[4:5], vcc
	s_cbranch_execz .LBB58_501
; %bb.487:
	s_cmp_lt_i32 s13, 1
	s_mov_b64 s[6:7], 0
	s_cbranch_scc1 .LBB58_492
; %bb.488:
	s_cmp_gt_i32 s13, 1
	s_cbranch_scc0 .LBB58_493
; %bb.489:
	s_cmp_eq_u32 s13, 2
	s_cbranch_scc0 .LBB58_549
; %bb.490:
	s_waitcnt vmcnt(0)
	v_cmp_le_i64_e64 s[10:11], v[2:3], v[4:5]
	s_mov_b64 s[14:15], 0
	s_branch .LBB58_495
.LBB58_491:
	s_waitcnt vmcnt(0)
	v_cmp_lt_i64_e32 vcc, v[6:7], v[8:9]
	s_andn2_b64 s[10:11], s[10:11], exec
	s_and_b64 s[14:15], vcc, exec
	s_or_b64 s[10:11], s[10:11], s[14:15]
	s_cbranch_execz .LBB58_484
	s_branch .LBB58_485
.LBB58_492:
                                        ; implicit-def: $sgpr10_sgpr11
	s_mov_b64 s[14:15], 0
	s_cbranch_execnz .LBB58_496
	s_branch .LBB58_497
.LBB58_493:
	s_mov_b64 s[14:15], 0
                                        ; implicit-def: $sgpr10_sgpr11
	s_cbranch_execz .LBB58_495
; %bb.494:
	s_waitcnt vmcnt(0)
	v_cmp_gt_i64_e32 vcc, v[2:3], v[4:5]
	s_andn2_b64 s[10:11], s[10:11], exec
	s_and_b64 s[16:17], vcc, exec
	s_or_b64 s[10:11], s[10:11], s[16:17]
.LBB58_495:
	s_branch .LBB58_497
.LBB58_496:
	s_cmp_lg_u32 s13, 0
	s_mov_b64 s[6:7], -1
	s_cselect_b64 s[14:15], -1, 0
.LBB58_497:
	s_andn2_b64 vcc, exec, s[14:15]
	s_cbranch_vccz .LBB58_534
; %bb.498:
	s_andn2_b64 vcc, exec, s[6:7]
	s_cbranch_vccnz .LBB58_500
.LBB58_499:
	s_waitcnt vmcnt(0)
	v_cmp_ge_i64_e32 vcc, v[2:3], v[4:5]
	s_andn2_b64 s[6:7], s[10:11], exec
	s_and_b64 s[10:11], vcc, exec
	s_or_b64 s[10:11], s[6:7], s[10:11]
.LBB58_500:
	v_cndmask_b32_e64 v6, 0, 1, s[10:11]
.LBB58_501:
	s_or_b64 exec, exec, s[4:5]
	s_and_saveexec_b64 s[4:5], s[0:1]
	s_xor_b64 s[0:1], exec, s[4:5]
	s_cbranch_execz .LBB58_503
; %bb.502:
	v_mov_b32_e32 v0, v62
	global_store_byte v1, v66, s[8:9]
.LBB58_503:
	s_or_b64 exec, exec, s[0:1]
	v_cmp_gt_i32_e32 vcc, s12, v0
	s_and_saveexec_b64 s[0:1], vcc
	s_cbranch_execnz .LBB58_520
; %bb.504:
	s_or_b64 exec, exec, s[0:1]
	v_cmp_gt_i32_e32 vcc, s12, v0
	s_and_saveexec_b64 s[0:1], vcc
	s_cbranch_execnz .LBB58_521
.LBB58_505:
	s_or_b64 exec, exec, s[0:1]
	v_cmp_gt_i32_e32 vcc, s12, v0
	s_and_saveexec_b64 s[0:1], vcc
	s_cbranch_execnz .LBB58_522
.LBB58_506:
	s_or_b64 exec, exec, s[0:1]
	v_cmp_gt_i32_e32 vcc, s12, v0
	s_and_saveexec_b64 s[0:1], vcc
	s_cbranch_execnz .LBB58_523
.LBB58_507:
	s_or_b64 exec, exec, s[0:1]
	v_cmp_gt_i32_e32 vcc, s12, v0
	s_and_saveexec_b64 s[0:1], vcc
	s_cbranch_execnz .LBB58_524
.LBB58_508:
	s_or_b64 exec, exec, s[0:1]
	v_cmp_gt_i32_e32 vcc, s12, v0
	s_and_saveexec_b64 s[0:1], vcc
	s_cbranch_execnz .LBB58_525
.LBB58_509:
	s_or_b64 exec, exec, s[0:1]
	v_cmp_gt_i32_e32 vcc, s12, v0
	s_and_saveexec_b64 s[0:1], vcc
	s_cbranch_execnz .LBB58_526
.LBB58_510:
	s_or_b64 exec, exec, s[0:1]
	v_cmp_gt_i32_e32 vcc, s12, v0
	s_and_saveexec_b64 s[0:1], vcc
	s_cbranch_execnz .LBB58_527
.LBB58_511:
	s_or_b64 exec, exec, s[0:1]
	v_cmp_gt_i32_e32 vcc, s12, v0
	s_and_saveexec_b64 s[0:1], vcc
	s_cbranch_execnz .LBB58_528
.LBB58_512:
	s_or_b64 exec, exec, s[0:1]
	v_cmp_gt_i32_e32 vcc, s12, v0
	s_and_saveexec_b64 s[0:1], vcc
	s_cbranch_execnz .LBB58_529
.LBB58_513:
	s_or_b64 exec, exec, s[0:1]
	v_cmp_gt_i32_e32 vcc, s12, v0
	s_and_saveexec_b64 s[0:1], vcc
	s_cbranch_execnz .LBB58_530
.LBB58_514:
	s_or_b64 exec, exec, s[0:1]
	v_cmp_gt_i32_e32 vcc, s12, v0
	s_and_saveexec_b64 s[0:1], vcc
	s_cbranch_execnz .LBB58_531
.LBB58_515:
	s_or_b64 exec, exec, s[0:1]
	v_cmp_gt_i32_e32 vcc, s12, v0
	s_and_saveexec_b64 s[0:1], vcc
	s_cbranch_execnz .LBB58_532
.LBB58_516:
	s_or_b64 exec, exec, s[0:1]
	v_cmp_gt_i32_e32 vcc, s12, v0
	s_and_saveexec_b64 s[0:1], vcc
	s_cbranch_execnz .LBB58_533
.LBB58_517:
	s_or_b64 exec, exec, s[0:1]
	v_cmp_gt_i32_e32 vcc, s12, v0
	s_and_saveexec_b64 s[0:1], vcc
	s_cbranch_execz .LBB58_519
.LBB58_518:
	v_add_u32_e32 v0, s2, v0
	global_store_byte v0, v6, s[8:9]
.LBB58_519:
	s_endpgm
.LBB58_520:
	v_add_u32_e32 v1, s2, v0
	v_add_u32_e32 v0, 0x100, v0
	global_store_byte v1, v63, s[8:9]
	s_or_b64 exec, exec, s[0:1]
	v_cmp_gt_i32_e32 vcc, s12, v0
	s_and_saveexec_b64 s[0:1], vcc
	s_cbranch_execz .LBB58_505
.LBB58_521:
	v_add_u32_e32 v1, s2, v0
	v_add_u32_e32 v0, 0x100, v0
	global_store_byte v1, v58, s[8:9]
	s_or_b64 exec, exec, s[0:1]
	v_cmp_gt_i32_e32 vcc, s12, v0
	s_and_saveexec_b64 s[0:1], vcc
	s_cbranch_execz .LBB58_506
.LBB58_522:
	v_add_u32_e32 v1, s2, v0
	v_add_u32_e32 v0, 0x100, v0
	global_store_byte v1, v54, s[8:9]
	s_or_b64 exec, exec, s[0:1]
	v_cmp_gt_i32_e32 vcc, s12, v0
	s_and_saveexec_b64 s[0:1], vcc
	s_cbranch_execz .LBB58_507
.LBB58_523:
	v_add_u32_e32 v1, s2, v0
	v_add_u32_e32 v0, 0x100, v0
	global_store_byte v1, v50, s[8:9]
	s_or_b64 exec, exec, s[0:1]
	v_cmp_gt_i32_e32 vcc, s12, v0
	s_and_saveexec_b64 s[0:1], vcc
	s_cbranch_execz .LBB58_508
.LBB58_524:
	v_add_u32_e32 v1, s2, v0
	v_add_u32_e32 v0, 0x100, v0
	global_store_byte v1, v46, s[8:9]
	s_or_b64 exec, exec, s[0:1]
	v_cmp_gt_i32_e32 vcc, s12, v0
	s_and_saveexec_b64 s[0:1], vcc
	s_cbranch_execz .LBB58_509
.LBB58_525:
	v_add_u32_e32 v1, s2, v0
	v_add_u32_e32 v0, 0x100, v0
	global_store_byte v1, v42, s[8:9]
	s_or_b64 exec, exec, s[0:1]
	v_cmp_gt_i32_e32 vcc, s12, v0
	s_and_saveexec_b64 s[0:1], vcc
	s_cbranch_execz .LBB58_510
.LBB58_526:
	v_add_u32_e32 v1, s2, v0
	v_add_u32_e32 v0, 0x100, v0
	global_store_byte v1, v38, s[8:9]
	s_or_b64 exec, exec, s[0:1]
	v_cmp_gt_i32_e32 vcc, s12, v0
	s_and_saveexec_b64 s[0:1], vcc
	s_cbranch_execz .LBB58_511
.LBB58_527:
	v_add_u32_e32 v1, s2, v0
	v_add_u32_e32 v0, 0x100, v0
	global_store_byte v1, v34, s[8:9]
	s_or_b64 exec, exec, s[0:1]
	v_cmp_gt_i32_e32 vcc, s12, v0
	s_and_saveexec_b64 s[0:1], vcc
	s_cbranch_execz .LBB58_512
.LBB58_528:
	v_add_u32_e32 v1, s2, v0
	v_add_u32_e32 v0, 0x100, v0
	global_store_byte v1, v30, s[8:9]
	s_or_b64 exec, exec, s[0:1]
	v_cmp_gt_i32_e32 vcc, s12, v0
	s_and_saveexec_b64 s[0:1], vcc
	s_cbranch_execz .LBB58_513
.LBB58_529:
	v_add_u32_e32 v1, s2, v0
	v_add_u32_e32 v0, 0x100, v0
	global_store_byte v1, v26, s[8:9]
	s_or_b64 exec, exec, s[0:1]
	v_cmp_gt_i32_e32 vcc, s12, v0
	s_and_saveexec_b64 s[0:1], vcc
	s_cbranch_execz .LBB58_514
.LBB58_530:
	v_add_u32_e32 v1, s2, v0
	v_add_u32_e32 v0, 0x100, v0
	global_store_byte v1, v22, s[8:9]
	s_or_b64 exec, exec, s[0:1]
	v_cmp_gt_i32_e32 vcc, s12, v0
	s_and_saveexec_b64 s[0:1], vcc
	s_cbranch_execz .LBB58_515
.LBB58_531:
	v_add_u32_e32 v1, s2, v0
	v_add_u32_e32 v0, 0x100, v0
	global_store_byte v1, v18, s[8:9]
	s_or_b64 exec, exec, s[0:1]
	v_cmp_gt_i32_e32 vcc, s12, v0
	s_and_saveexec_b64 s[0:1], vcc
	s_cbranch_execz .LBB58_516
.LBB58_532:
	v_add_u32_e32 v1, s2, v0
	v_add_u32_e32 v0, 0x100, v0
	global_store_byte v1, v14, s[8:9]
	s_or_b64 exec, exec, s[0:1]
	v_cmp_gt_i32_e32 vcc, s12, v0
	s_and_saveexec_b64 s[0:1], vcc
	s_cbranch_execz .LBB58_517
.LBB58_533:
	v_add_u32_e32 v1, s2, v0
	v_add_u32_e32 v0, 0x100, v0
	global_store_byte v1, v10, s[8:9]
	s_or_b64 exec, exec, s[0:1]
	v_cmp_gt_i32_e32 vcc, s12, v0
	s_and_saveexec_b64 s[0:1], vcc
	s_cbranch_execnz .LBB58_518
	s_branch .LBB58_519
.LBB58_534:
	s_waitcnt vmcnt(0)
	v_cmp_lt_i64_e32 vcc, v[2:3], v[4:5]
	s_andn2_b64 s[10:11], s[10:11], exec
	s_and_b64 s[14:15], vcc, exec
	s_or_b64 s[10:11], s[10:11], s[14:15]
	s_cbranch_execz .LBB58_499
	s_branch .LBB58_500
.LBB58_535:
	s_mov_b64 s[14:15], -1
                                        ; implicit-def: $sgpr10_sgpr11
	s_branch .LBB58_285
.LBB58_536:
	s_mov_b64 s[14:15], -1
                                        ; implicit-def: $sgpr10_sgpr11
	s_branch .LBB58_300
.LBB58_537:
	s_mov_b64 s[14:15], -1
                                        ; implicit-def: $sgpr10_sgpr11
	s_branch .LBB58_315
.LBB58_538:
	s_mov_b64 s[14:15], -1
                                        ; implicit-def: $sgpr10_sgpr11
	s_branch .LBB58_330
.LBB58_539:
	s_mov_b64 s[14:15], -1
                                        ; implicit-def: $sgpr10_sgpr11
	s_branch .LBB58_345
.LBB58_540:
	s_mov_b64 s[14:15], -1
                                        ; implicit-def: $sgpr10_sgpr11
	s_branch .LBB58_360
.LBB58_541:
	s_mov_b64 s[14:15], -1
                                        ; implicit-def: $sgpr10_sgpr11
	s_branch .LBB58_375
.LBB58_542:
	s_mov_b64 s[14:15], -1
                                        ; implicit-def: $sgpr10_sgpr11
	s_branch .LBB58_390
.LBB58_543:
	s_mov_b64 s[14:15], -1
                                        ; implicit-def: $sgpr10_sgpr11
	s_branch .LBB58_405
.LBB58_544:
	s_mov_b64 s[14:15], -1
                                        ; implicit-def: $sgpr10_sgpr11
	s_branch .LBB58_420
.LBB58_545:
	s_mov_b64 s[14:15], -1
                                        ; implicit-def: $sgpr10_sgpr11
	s_branch .LBB58_435
.LBB58_546:
	s_mov_b64 s[14:15], -1
                                        ; implicit-def: $sgpr10_sgpr11
	s_branch .LBB58_450
.LBB58_547:
	s_mov_b64 s[14:15], -1
                                        ; implicit-def: $sgpr10_sgpr11
	s_branch .LBB58_465
.LBB58_548:
	s_mov_b64 s[14:15], -1
                                        ; implicit-def: $sgpr10_sgpr11
	s_branch .LBB58_480
.LBB58_549:
	s_mov_b64 s[14:15], -1
                                        ; implicit-def: $sgpr10_sgpr11
	s_branch .LBB58_495
	.section	.rodata,"a",@progbits
	.p2align	6, 0x0
	.amdhsa_kernel _ZN2at6native29vectorized_elementwise_kernelILi4ENS0_12_GLOBAL__N_114CompareFunctorIlEESt5arrayIPcLm3EEEEviT0_T1_
		.amdhsa_group_segment_fixed_size 0
		.amdhsa_private_segment_fixed_size 0
		.amdhsa_kernarg_size 32
		.amdhsa_user_sgpr_count 6
		.amdhsa_user_sgpr_private_segment_buffer 1
		.amdhsa_user_sgpr_dispatch_ptr 0
		.amdhsa_user_sgpr_queue_ptr 0
		.amdhsa_user_sgpr_kernarg_segment_ptr 1
		.amdhsa_user_sgpr_dispatch_id 0
		.amdhsa_user_sgpr_flat_scratch_init 0
		.amdhsa_user_sgpr_private_segment_size 0
		.amdhsa_uses_dynamic_stack 0
		.amdhsa_system_sgpr_private_segment_wavefront_offset 0
		.amdhsa_system_sgpr_workgroup_id_x 1
		.amdhsa_system_sgpr_workgroup_id_y 0
		.amdhsa_system_sgpr_workgroup_id_z 0
		.amdhsa_system_sgpr_workgroup_info 0
		.amdhsa_system_vgpr_workitem_id 0
		.amdhsa_next_free_vgpr 70
		.amdhsa_next_free_sgpr 50
		.amdhsa_reserve_vcc 1
		.amdhsa_reserve_flat_scratch 0
		.amdhsa_float_round_mode_32 0
		.amdhsa_float_round_mode_16_64 0
		.amdhsa_float_denorm_mode_32 3
		.amdhsa_float_denorm_mode_16_64 3
		.amdhsa_dx10_clamp 1
		.amdhsa_ieee_mode 1
		.amdhsa_fp16_overflow 0
		.amdhsa_exception_fp_ieee_invalid_op 0
		.amdhsa_exception_fp_denorm_src 0
		.amdhsa_exception_fp_ieee_div_zero 0
		.amdhsa_exception_fp_ieee_overflow 0
		.amdhsa_exception_fp_ieee_underflow 0
		.amdhsa_exception_fp_ieee_inexact 0
		.amdhsa_exception_int_div_zero 0
	.end_amdhsa_kernel
	.section	.text._ZN2at6native29vectorized_elementwise_kernelILi4ENS0_12_GLOBAL__N_114CompareFunctorIlEESt5arrayIPcLm3EEEEviT0_T1_,"axG",@progbits,_ZN2at6native29vectorized_elementwise_kernelILi4ENS0_12_GLOBAL__N_114CompareFunctorIlEESt5arrayIPcLm3EEEEviT0_T1_,comdat
.Lfunc_end58:
	.size	_ZN2at6native29vectorized_elementwise_kernelILi4ENS0_12_GLOBAL__N_114CompareFunctorIlEESt5arrayIPcLm3EEEEviT0_T1_, .Lfunc_end58-_ZN2at6native29vectorized_elementwise_kernelILi4ENS0_12_GLOBAL__N_114CompareFunctorIlEESt5arrayIPcLm3EEEEviT0_T1_
                                        ; -- End function
	.set _ZN2at6native29vectorized_elementwise_kernelILi4ENS0_12_GLOBAL__N_114CompareFunctorIlEESt5arrayIPcLm3EEEEviT0_T1_.num_vgpr, 70
	.set _ZN2at6native29vectorized_elementwise_kernelILi4ENS0_12_GLOBAL__N_114CompareFunctorIlEESt5arrayIPcLm3EEEEviT0_T1_.num_agpr, 0
	.set _ZN2at6native29vectorized_elementwise_kernelILi4ENS0_12_GLOBAL__N_114CompareFunctorIlEESt5arrayIPcLm3EEEEviT0_T1_.numbered_sgpr, 50
	.set _ZN2at6native29vectorized_elementwise_kernelILi4ENS0_12_GLOBAL__N_114CompareFunctorIlEESt5arrayIPcLm3EEEEviT0_T1_.num_named_barrier, 0
	.set _ZN2at6native29vectorized_elementwise_kernelILi4ENS0_12_GLOBAL__N_114CompareFunctorIlEESt5arrayIPcLm3EEEEviT0_T1_.private_seg_size, 0
	.set _ZN2at6native29vectorized_elementwise_kernelILi4ENS0_12_GLOBAL__N_114CompareFunctorIlEESt5arrayIPcLm3EEEEviT0_T1_.uses_vcc, 1
	.set _ZN2at6native29vectorized_elementwise_kernelILi4ENS0_12_GLOBAL__N_114CompareFunctorIlEESt5arrayIPcLm3EEEEviT0_T1_.uses_flat_scratch, 0
	.set _ZN2at6native29vectorized_elementwise_kernelILi4ENS0_12_GLOBAL__N_114CompareFunctorIlEESt5arrayIPcLm3EEEEviT0_T1_.has_dyn_sized_stack, 0
	.set _ZN2at6native29vectorized_elementwise_kernelILi4ENS0_12_GLOBAL__N_114CompareFunctorIlEESt5arrayIPcLm3EEEEviT0_T1_.has_recursion, 0
	.set _ZN2at6native29vectorized_elementwise_kernelILi4ENS0_12_GLOBAL__N_114CompareFunctorIlEESt5arrayIPcLm3EEEEviT0_T1_.has_indirect_call, 0
	.section	.AMDGPU.csdata,"",@progbits
; Kernel info:
; codeLenInByte = 9208
; TotalNumSgprs: 54
; NumVgprs: 70
; ScratchSize: 0
; MemoryBound: 1
; FloatMode: 240
; IeeeMode: 1
; LDSByteSize: 0 bytes/workgroup (compile time only)
; SGPRBlocks: 6
; VGPRBlocks: 17
; NumSGPRsForWavesPerEU: 54
; NumVGPRsForWavesPerEU: 70
; Occupancy: 3
; WaveLimiterHint : 1
; COMPUTE_PGM_RSRC2:SCRATCH_EN: 0
; COMPUTE_PGM_RSRC2:USER_SGPR: 6
; COMPUTE_PGM_RSRC2:TRAP_HANDLER: 0
; COMPUTE_PGM_RSRC2:TGID_X_EN: 1
; COMPUTE_PGM_RSRC2:TGID_Y_EN: 0
; COMPUTE_PGM_RSRC2:TGID_Z_EN: 0
; COMPUTE_PGM_RSRC2:TIDIG_COMP_CNT: 0
	.section	.text._ZN2at6native29vectorized_elementwise_kernelILi2ENS0_12_GLOBAL__N_114CompareFunctorIlEESt5arrayIPcLm3EEEEviT0_T1_,"axG",@progbits,_ZN2at6native29vectorized_elementwise_kernelILi2ENS0_12_GLOBAL__N_114CompareFunctorIlEESt5arrayIPcLm3EEEEviT0_T1_,comdat
	.globl	_ZN2at6native29vectorized_elementwise_kernelILi2ENS0_12_GLOBAL__N_114CompareFunctorIlEESt5arrayIPcLm3EEEEviT0_T1_ ; -- Begin function _ZN2at6native29vectorized_elementwise_kernelILi2ENS0_12_GLOBAL__N_114CompareFunctorIlEESt5arrayIPcLm3EEEEviT0_T1_
	.p2align	8
	.type	_ZN2at6native29vectorized_elementwise_kernelILi2ENS0_12_GLOBAL__N_114CompareFunctorIlEESt5arrayIPcLm3EEEEviT0_T1_,@function
_ZN2at6native29vectorized_elementwise_kernelILi2ENS0_12_GLOBAL__N_114CompareFunctorIlEESt5arrayIPcLm3EEEEviT0_T1_: ; @_ZN2at6native29vectorized_elementwise_kernelILi2ENS0_12_GLOBAL__N_114CompareFunctorIlEESt5arrayIPcLm3EEEEviT0_T1_
; %bb.0:
	s_load_dwordx2 s[12:13], s[4:5], 0x0
	s_load_dwordx4 s[8:11], s[4:5], 0x8
	s_load_dwordx2 s[14:15], s[4:5], 0x18
	s_lshl_b32 s2, s6, 12
	s_mov_b64 s[0:1], -1
	s_waitcnt lgkmcnt(0)
	s_sub_i32 s12, s12, s2
	s_cmpk_gt_i32 s12, 0xfff
	s_cbranch_scc0 .LBB59_211
; %bb.1:
	s_ashr_i32 s3, s2, 31
	s_lshl_b64 s[0:1], s[2:3], 3
	s_add_u32 s4, s10, s0
	s_addc_u32 s5, s11, s1
	v_lshlrev_b32_e32 v5, 4, v0
	v_mov_b32_e32 v1, s5
	v_add_co_u32_e32 v6, vcc, s4, v5
	v_addc_co_u32_e32 v7, vcc, 0, v1, vcc
	v_add_co_u32_e32 v1, vcc, 0x1000, v6
	v_addc_co_u32_e32 v2, vcc, 0, v7, vcc
	;; [unrolled: 2-line block ×3, first 2 shown]
	global_load_dwordx4 v[49:52], v[1:2], off
	global_load_dwordx4 v[41:44], v[3:4], off
	v_add_co_u32_e32 v1, vcc, 0x3000, v6
	v_addc_co_u32_e32 v2, vcc, 0, v7, vcc
	v_add_co_u32_e32 v3, vcc, 0x4000, v6
	v_addc_co_u32_e32 v4, vcc, 0, v7, vcc
	global_load_dwordx4 v[33:36], v[1:2], off
	global_load_dwordx4 v[25:28], v[3:4], off
	v_add_co_u32_e32 v1, vcc, 0x5000, v6
	v_addc_co_u32_e32 v2, vcc, 0, v7, vcc
	v_add_co_u32_e32 v3, vcc, 0x6000, v6
	v_addc_co_u32_e32 v4, vcc, 0, v7, vcc
	global_load_dwordx4 v[17:20], v[1:2], off
	global_load_dwordx4 v[9:12], v[3:4], off
	v_add_co_u32_e32 v1, vcc, 0x7000, v6
	s_add_u32 s0, s14, s0
	v_addc_co_u32_e32 v2, vcc, 0, v7, vcc
	s_addc_u32 s1, s15, s1
	v_mov_b32_e32 v6, s1
	v_add_co_u32_e32 v53, vcc, s0, v5
	s_movk_i32 s6, 0x2000
	v_addc_co_u32_e32 v54, vcc, 0, v6, vcc
	v_add_co_u32_e32 v65, vcc, s6, v53
	s_movk_i32 s7, 0x4000
	v_addc_co_u32_e32 v66, vcc, 0, v54, vcc
	global_load_dwordx4 v[1:4], v[1:2], off
	s_nop 0
	global_load_dwordx4 v[57:60], v5, s[4:5]
	global_load_dwordx4 v[61:64], v5, s[0:1]
	v_add_co_u32_e32 v5, vcc, s7, v53
	s_movk_i32 s16, 0x5000
	v_addc_co_u32_e32 v6, vcc, 0, v54, vcc
	global_load_dwordx4 v[45:48], v[65:66], off
	global_load_dwordx4 v[37:40], v[5:6], off offset:-4096
	global_load_dwordx4 v[29:32], v[5:6], off
	v_add_co_u32_e32 v5, vcc, s16, v53
	v_addc_co_u32_e32 v6, vcc, 0, v54, vcc
	v_add_co_u32_e32 v7, vcc, 0x6000, v53
	v_addc_co_u32_e32 v8, vcc, 0, v54, vcc
	v_add_co_u32_e32 v67, vcc, 0x7000, v53
	global_load_dwordx4 v[21:24], v[5:6], off
	global_load_dwordx4 v[13:16], v[7:8], off
	v_addc_co_u32_e32 v68, vcc, 0, v54, vcc
	global_load_dwordx4 v[53:56], v[65:66], off offset:-4096
	global_load_dwordx4 v[5:8], v[67:68], off
	s_cmp_lt_i32 s13, 1
	s_mov_b64 s[4:5], 0
	s_cbranch_scc1 .LBB59_5
; %bb.2:
	s_cmp_gt_i32 s13, 1
	s_cbranch_scc0 .LBB59_6
; %bb.3:
	s_cmp_eq_u32 s13, 2
	s_cbranch_scc0 .LBB59_7
; %bb.4:
	s_waitcnt vmcnt(7)
	v_cmp_le_i64_e64 s[0:1], v[57:58], v[61:62]
	s_mov_b64 s[6:7], 0
	s_branch .LBB59_8
.LBB59_5:
                                        ; implicit-def: $sgpr0_sgpr1
	s_mov_b64 s[6:7], 0
	s_cbranch_execnz .LBB59_11
	s_branch .LBB59_12
.LBB59_6:
	s_mov_b64 s[6:7], 0
                                        ; implicit-def: $sgpr0_sgpr1
	s_cbranch_execnz .LBB59_9
	s_branch .LBB59_10
.LBB59_7:
	s_mov_b64 s[6:7], -1
                                        ; implicit-def: $sgpr0_sgpr1
.LBB59_8:
	s_branch .LBB59_10
.LBB59_9:
	s_waitcnt vmcnt(7)
	v_cmp_gt_i64_e32 vcc, v[57:58], v[61:62]
	s_andn2_b64 s[0:1], s[0:1], exec
	s_and_b64 s[16:17], vcc, exec
	s_or_b64 s[0:1], s[0:1], s[16:17]
.LBB59_10:
	s_branch .LBB59_12
.LBB59_11:
	s_cmp_lg_u32 s13, 0
	s_mov_b64 s[4:5], -1
	s_cselect_b64 s[6:7], -1, 0
.LBB59_12:
	s_andn2_b64 vcc, exec, s[6:7]
	s_cbranch_vccz .LBB59_18
; %bb.13:
	s_andn2_b64 vcc, exec, s[4:5]
	s_cbranch_vccz .LBB59_19
.LBB59_14:
	s_cmp_lt_i32 s13, 1
	s_mov_b64 s[6:7], 0
	s_cbranch_scc1 .LBB59_20
.LBB59_15:
	s_cmp_gt_i32 s13, 1
	s_cbranch_scc0 .LBB59_21
; %bb.16:
	s_cmp_eq_u32 s13, 2
	s_cbranch_scc0 .LBB59_251
; %bb.17:
	s_waitcnt vmcnt(7)
	v_cmp_le_i64_e64 s[4:5], v[59:60], v[63:64]
	s_mov_b64 s[16:17], 0
	s_branch .LBB59_23
.LBB59_18:
	s_waitcnt vmcnt(7)
	v_cmp_lt_i64_e32 vcc, v[57:58], v[61:62]
	s_andn2_b64 s[0:1], s[0:1], exec
	s_and_b64 s[6:7], vcc, exec
	s_or_b64 s[0:1], s[0:1], s[6:7]
	s_cbranch_execnz .LBB59_14
.LBB59_19:
	s_waitcnt vmcnt(7)
	v_cmp_ge_i64_e32 vcc, v[57:58], v[61:62]
	s_andn2_b64 s[0:1], s[0:1], exec
	s_and_b64 s[4:5], vcc, exec
	s_or_b64 s[0:1], s[0:1], s[4:5]
	s_cmp_lt_i32 s13, 1
	s_mov_b64 s[6:7], 0
	s_cbranch_scc0 .LBB59_15
.LBB59_20:
                                        ; implicit-def: $sgpr4_sgpr5
	s_mov_b64 s[16:17], 0
	s_cbranch_execnz .LBB59_24
	s_branch .LBB59_25
.LBB59_21:
	s_mov_b64 s[16:17], 0
                                        ; implicit-def: $sgpr4_sgpr5
	s_cbranch_execz .LBB59_23
; %bb.22:
	s_waitcnt vmcnt(7)
	v_cmp_gt_i64_e32 vcc, v[59:60], v[63:64]
	s_andn2_b64 s[4:5], s[4:5], exec
	s_and_b64 s[18:19], vcc, exec
	s_or_b64 s[4:5], s[4:5], s[18:19]
.LBB59_23:
	s_branch .LBB59_25
.LBB59_24:
	s_cmp_lg_u32 s13, 0
	s_mov_b64 s[6:7], -1
	s_cselect_b64 s[16:17], -1, 0
.LBB59_25:
	s_andn2_b64 vcc, exec, s[16:17]
	s_cbranch_vccz .LBB59_31
; %bb.26:
	s_andn2_b64 vcc, exec, s[6:7]
	s_cbranch_vccz .LBB59_32
.LBB59_27:
	s_cmp_lt_i32 s13, 1
	s_mov_b64 s[16:17], 0
	s_cbranch_scc1 .LBB59_33
.LBB59_28:
	s_cmp_gt_i32 s13, 1
	s_cbranch_scc0 .LBB59_34
; %bb.29:
	s_cmp_eq_u32 s13, 2
	s_cbranch_scc0 .LBB59_252
; %bb.30:
	s_waitcnt vmcnt(1)
	v_cmp_le_i64_e64 s[6:7], v[49:50], v[53:54]
	s_mov_b64 s[18:19], 0
	s_branch .LBB59_36
.LBB59_31:
	s_waitcnt vmcnt(7)
	v_cmp_lt_i64_e32 vcc, v[59:60], v[63:64]
	s_andn2_b64 s[4:5], s[4:5], exec
	s_and_b64 s[16:17], vcc, exec
	s_or_b64 s[4:5], s[4:5], s[16:17]
	s_cbranch_execnz .LBB59_27
.LBB59_32:
	s_waitcnt vmcnt(7)
	v_cmp_ge_i64_e32 vcc, v[59:60], v[63:64]
	s_andn2_b64 s[4:5], s[4:5], exec
	s_and_b64 s[6:7], vcc, exec
	s_or_b64 s[4:5], s[4:5], s[6:7]
	s_cmp_lt_i32 s13, 1
	s_mov_b64 s[16:17], 0
	s_cbranch_scc0 .LBB59_28
.LBB59_33:
                                        ; implicit-def: $sgpr6_sgpr7
	s_mov_b64 s[18:19], 0
	s_cbranch_execnz .LBB59_37
	s_branch .LBB59_38
.LBB59_34:
	s_mov_b64 s[18:19], 0
                                        ; implicit-def: $sgpr6_sgpr7
	s_cbranch_execz .LBB59_36
; %bb.35:
	s_waitcnt vmcnt(1)
	v_cmp_gt_i64_e32 vcc, v[49:50], v[53:54]
	s_andn2_b64 s[6:7], s[6:7], exec
	s_and_b64 s[20:21], vcc, exec
	s_or_b64 s[6:7], s[6:7], s[20:21]
.LBB59_36:
	s_branch .LBB59_38
.LBB59_37:
	s_cmp_lg_u32 s13, 0
	s_mov_b64 s[16:17], -1
	s_cselect_b64 s[18:19], -1, 0
.LBB59_38:
	s_andn2_b64 vcc, exec, s[18:19]
	s_cbranch_vccz .LBB59_44
; %bb.39:
	s_andn2_b64 vcc, exec, s[16:17]
	s_cbranch_vccz .LBB59_45
.LBB59_40:
	s_cmp_lt_i32 s13, 1
	s_mov_b64 s[18:19], 0
	s_cbranch_scc1 .LBB59_46
.LBB59_41:
	s_cmp_gt_i32 s13, 1
	s_cbranch_scc0 .LBB59_47
; %bb.42:
	s_cmp_eq_u32 s13, 2
	s_cbranch_scc0 .LBB59_253
; %bb.43:
	s_waitcnt vmcnt(1)
	v_cmp_le_i64_e64 s[16:17], v[51:52], v[55:56]
	s_mov_b64 s[20:21], 0
	s_branch .LBB59_49
.LBB59_44:
	s_waitcnt vmcnt(1)
	v_cmp_lt_i64_e32 vcc, v[49:50], v[53:54]
	s_andn2_b64 s[6:7], s[6:7], exec
	s_and_b64 s[18:19], vcc, exec
	s_or_b64 s[6:7], s[6:7], s[18:19]
	s_cbranch_execnz .LBB59_40
.LBB59_45:
	s_waitcnt vmcnt(1)
	v_cmp_ge_i64_e32 vcc, v[49:50], v[53:54]
	s_andn2_b64 s[6:7], s[6:7], exec
	s_and_b64 s[16:17], vcc, exec
	s_or_b64 s[6:7], s[6:7], s[16:17]
	s_cmp_lt_i32 s13, 1
	s_mov_b64 s[18:19], 0
	s_cbranch_scc0 .LBB59_41
.LBB59_46:
                                        ; implicit-def: $sgpr16_sgpr17
	s_mov_b64 s[20:21], 0
	s_cbranch_execnz .LBB59_50
	s_branch .LBB59_51
.LBB59_47:
	s_mov_b64 s[20:21], 0
                                        ; implicit-def: $sgpr16_sgpr17
	s_cbranch_execz .LBB59_49
; %bb.48:
	s_waitcnt vmcnt(1)
	v_cmp_gt_i64_e32 vcc, v[51:52], v[55:56]
	s_andn2_b64 s[16:17], s[16:17], exec
	s_and_b64 s[22:23], vcc, exec
	s_or_b64 s[16:17], s[16:17], s[22:23]
.LBB59_49:
	s_branch .LBB59_51
.LBB59_50:
	s_cmp_lg_u32 s13, 0
	s_mov_b64 s[18:19], -1
	s_cselect_b64 s[20:21], -1, 0
.LBB59_51:
	s_andn2_b64 vcc, exec, s[20:21]
	s_cbranch_vccz .LBB59_57
; %bb.52:
	s_andn2_b64 vcc, exec, s[18:19]
	s_cbranch_vccz .LBB59_58
.LBB59_53:
	s_cmp_lt_i32 s13, 1
	s_mov_b64 s[20:21], 0
	s_cbranch_scc1 .LBB59_59
.LBB59_54:
	s_cmp_gt_i32 s13, 1
	s_cbranch_scc0 .LBB59_60
; %bb.55:
	s_cmp_eq_u32 s13, 2
	s_cbranch_scc0 .LBB59_254
; %bb.56:
	s_waitcnt vmcnt(6)
	v_cmp_le_i64_e64 s[18:19], v[41:42], v[45:46]
	s_mov_b64 s[22:23], 0
	s_branch .LBB59_62
.LBB59_57:
	s_waitcnt vmcnt(1)
	v_cmp_lt_i64_e32 vcc, v[51:52], v[55:56]
	s_andn2_b64 s[16:17], s[16:17], exec
	s_and_b64 s[20:21], vcc, exec
	s_or_b64 s[16:17], s[16:17], s[20:21]
	s_cbranch_execnz .LBB59_53
.LBB59_58:
	s_waitcnt vmcnt(1)
	v_cmp_ge_i64_e32 vcc, v[51:52], v[55:56]
	s_andn2_b64 s[16:17], s[16:17], exec
	s_and_b64 s[18:19], vcc, exec
	s_or_b64 s[16:17], s[16:17], s[18:19]
	s_cmp_lt_i32 s13, 1
	s_mov_b64 s[20:21], 0
	s_cbranch_scc0 .LBB59_54
.LBB59_59:
                                        ; implicit-def: $sgpr18_sgpr19
	s_mov_b64 s[22:23], 0
	s_cbranch_execnz .LBB59_63
	s_branch .LBB59_64
.LBB59_60:
	s_mov_b64 s[22:23], 0
                                        ; implicit-def: $sgpr18_sgpr19
	s_cbranch_execz .LBB59_62
; %bb.61:
	s_waitcnt vmcnt(6)
	v_cmp_gt_i64_e32 vcc, v[41:42], v[45:46]
	s_andn2_b64 s[18:19], s[18:19], exec
	s_and_b64 s[24:25], vcc, exec
	s_or_b64 s[18:19], s[18:19], s[24:25]
.LBB59_62:
	s_branch .LBB59_64
.LBB59_63:
	s_cmp_lg_u32 s13, 0
	s_mov_b64 s[20:21], -1
	s_cselect_b64 s[22:23], -1, 0
.LBB59_64:
	s_andn2_b64 vcc, exec, s[22:23]
	s_cbranch_vccz .LBB59_70
; %bb.65:
	s_andn2_b64 vcc, exec, s[20:21]
	s_cbranch_vccz .LBB59_71
.LBB59_66:
	s_cmp_lt_i32 s13, 1
	s_mov_b64 s[22:23], 0
	s_cbranch_scc1 .LBB59_72
.LBB59_67:
	s_cmp_gt_i32 s13, 1
	s_cbranch_scc0 .LBB59_73
; %bb.68:
	s_cmp_eq_u32 s13, 2
	s_cbranch_scc0 .LBB59_255
; %bb.69:
	s_waitcnt vmcnt(6)
	v_cmp_le_i64_e64 s[20:21], v[43:44], v[47:48]
	s_mov_b64 s[24:25], 0
	s_branch .LBB59_75
.LBB59_70:
	s_waitcnt vmcnt(6)
	v_cmp_lt_i64_e32 vcc, v[41:42], v[45:46]
	s_andn2_b64 s[18:19], s[18:19], exec
	s_and_b64 s[22:23], vcc, exec
	s_or_b64 s[18:19], s[18:19], s[22:23]
	s_cbranch_execnz .LBB59_66
.LBB59_71:
	s_waitcnt vmcnt(6)
	v_cmp_ge_i64_e32 vcc, v[41:42], v[45:46]
	s_andn2_b64 s[18:19], s[18:19], exec
	s_and_b64 s[20:21], vcc, exec
	s_or_b64 s[18:19], s[18:19], s[20:21]
	s_cmp_lt_i32 s13, 1
	s_mov_b64 s[22:23], 0
	s_cbranch_scc0 .LBB59_67
.LBB59_72:
                                        ; implicit-def: $sgpr20_sgpr21
	s_mov_b64 s[24:25], 0
	s_cbranch_execnz .LBB59_76
	s_branch .LBB59_77
.LBB59_73:
	s_mov_b64 s[24:25], 0
                                        ; implicit-def: $sgpr20_sgpr21
	s_cbranch_execz .LBB59_75
; %bb.74:
	s_waitcnt vmcnt(6)
	v_cmp_gt_i64_e32 vcc, v[43:44], v[47:48]
	s_andn2_b64 s[20:21], s[20:21], exec
	s_and_b64 s[26:27], vcc, exec
	s_or_b64 s[20:21], s[20:21], s[26:27]
.LBB59_75:
	s_branch .LBB59_77
.LBB59_76:
	s_cmp_lg_u32 s13, 0
	s_mov_b64 s[22:23], -1
	s_cselect_b64 s[24:25], -1, 0
.LBB59_77:
	s_andn2_b64 vcc, exec, s[24:25]
	s_cbranch_vccz .LBB59_83
; %bb.78:
	s_andn2_b64 vcc, exec, s[22:23]
	s_cbranch_vccz .LBB59_84
.LBB59_79:
	s_cmp_lt_i32 s13, 1
	s_mov_b64 s[24:25], 0
	s_cbranch_scc1 .LBB59_85
.LBB59_80:
	s_cmp_gt_i32 s13, 1
	s_cbranch_scc0 .LBB59_86
; %bb.81:
	s_cmp_eq_u32 s13, 2
	s_cbranch_scc0 .LBB59_256
; %bb.82:
	s_waitcnt vmcnt(5)
	v_cmp_le_i64_e64 s[22:23], v[33:34], v[37:38]
	s_mov_b64 s[26:27], 0
	s_branch .LBB59_88
.LBB59_83:
	s_waitcnt vmcnt(6)
	v_cmp_lt_i64_e32 vcc, v[43:44], v[47:48]
	s_andn2_b64 s[20:21], s[20:21], exec
	s_and_b64 s[24:25], vcc, exec
	s_or_b64 s[20:21], s[20:21], s[24:25]
	s_cbranch_execnz .LBB59_79
.LBB59_84:
	s_waitcnt vmcnt(6)
	v_cmp_ge_i64_e32 vcc, v[43:44], v[47:48]
	s_andn2_b64 s[20:21], s[20:21], exec
	s_and_b64 s[22:23], vcc, exec
	s_or_b64 s[20:21], s[20:21], s[22:23]
	s_cmp_lt_i32 s13, 1
	s_mov_b64 s[24:25], 0
	s_cbranch_scc0 .LBB59_80
.LBB59_85:
                                        ; implicit-def: $sgpr22_sgpr23
	s_mov_b64 s[26:27], 0
	s_cbranch_execnz .LBB59_89
	s_branch .LBB59_90
.LBB59_86:
	s_mov_b64 s[26:27], 0
                                        ; implicit-def: $sgpr22_sgpr23
	s_cbranch_execz .LBB59_88
; %bb.87:
	s_waitcnt vmcnt(5)
	v_cmp_gt_i64_e32 vcc, v[33:34], v[37:38]
	s_andn2_b64 s[22:23], s[22:23], exec
	s_and_b64 s[28:29], vcc, exec
	s_or_b64 s[22:23], s[22:23], s[28:29]
.LBB59_88:
	s_branch .LBB59_90
.LBB59_89:
	s_cmp_lg_u32 s13, 0
	s_mov_b64 s[24:25], -1
	s_cselect_b64 s[26:27], -1, 0
.LBB59_90:
	s_andn2_b64 vcc, exec, s[26:27]
	s_cbranch_vccz .LBB59_96
; %bb.91:
	s_andn2_b64 vcc, exec, s[24:25]
	s_cbranch_vccz .LBB59_97
.LBB59_92:
	s_cmp_lt_i32 s13, 1
	s_mov_b64 s[26:27], 0
	s_cbranch_scc1 .LBB59_98
.LBB59_93:
	s_cmp_gt_i32 s13, 1
	s_cbranch_scc0 .LBB59_99
; %bb.94:
	s_cmp_eq_u32 s13, 2
	s_cbranch_scc0 .LBB59_257
; %bb.95:
	s_waitcnt vmcnt(5)
	v_cmp_le_i64_e64 s[24:25], v[35:36], v[39:40]
	s_mov_b64 s[28:29], 0
	s_branch .LBB59_101
.LBB59_96:
	s_waitcnt vmcnt(5)
	v_cmp_lt_i64_e32 vcc, v[33:34], v[37:38]
	s_andn2_b64 s[22:23], s[22:23], exec
	s_and_b64 s[26:27], vcc, exec
	s_or_b64 s[22:23], s[22:23], s[26:27]
	s_cbranch_execnz .LBB59_92
.LBB59_97:
	s_waitcnt vmcnt(5)
	v_cmp_ge_i64_e32 vcc, v[33:34], v[37:38]
	s_andn2_b64 s[22:23], s[22:23], exec
	s_and_b64 s[24:25], vcc, exec
	s_or_b64 s[22:23], s[22:23], s[24:25]
	s_cmp_lt_i32 s13, 1
	s_mov_b64 s[26:27], 0
	s_cbranch_scc0 .LBB59_93
.LBB59_98:
                                        ; implicit-def: $sgpr24_sgpr25
	s_mov_b64 s[28:29], 0
	s_cbranch_execnz .LBB59_102
	s_branch .LBB59_103
.LBB59_99:
	s_mov_b64 s[28:29], 0
                                        ; implicit-def: $sgpr24_sgpr25
	s_cbranch_execz .LBB59_101
; %bb.100:
	s_waitcnt vmcnt(5)
	v_cmp_gt_i64_e32 vcc, v[35:36], v[39:40]
	s_andn2_b64 s[24:25], s[24:25], exec
	s_and_b64 s[30:31], vcc, exec
	s_or_b64 s[24:25], s[24:25], s[30:31]
.LBB59_101:
	s_branch .LBB59_103
.LBB59_102:
	s_cmp_lg_u32 s13, 0
	s_mov_b64 s[26:27], -1
	s_cselect_b64 s[28:29], -1, 0
.LBB59_103:
	s_andn2_b64 vcc, exec, s[28:29]
	s_cbranch_vccz .LBB59_109
; %bb.104:
	s_andn2_b64 vcc, exec, s[26:27]
	s_cbranch_vccz .LBB59_110
.LBB59_105:
	s_cmp_lt_i32 s13, 1
	s_mov_b64 s[28:29], 0
	s_cbranch_scc1 .LBB59_111
.LBB59_106:
	s_cmp_gt_i32 s13, 1
	s_cbranch_scc0 .LBB59_112
; %bb.107:
	s_cmp_eq_u32 s13, 2
	s_cbranch_scc0 .LBB59_258
; %bb.108:
	s_waitcnt vmcnt(4)
	v_cmp_le_i64_e64 s[26:27], v[25:26], v[29:30]
	s_mov_b64 s[30:31], 0
	s_branch .LBB59_114
.LBB59_109:
	s_waitcnt vmcnt(5)
	v_cmp_lt_i64_e32 vcc, v[35:36], v[39:40]
	s_andn2_b64 s[24:25], s[24:25], exec
	s_and_b64 s[28:29], vcc, exec
	s_or_b64 s[24:25], s[24:25], s[28:29]
	s_cbranch_execnz .LBB59_105
.LBB59_110:
	s_waitcnt vmcnt(5)
	v_cmp_ge_i64_e32 vcc, v[35:36], v[39:40]
	s_andn2_b64 s[24:25], s[24:25], exec
	s_and_b64 s[26:27], vcc, exec
	s_or_b64 s[24:25], s[24:25], s[26:27]
	s_cmp_lt_i32 s13, 1
	s_mov_b64 s[28:29], 0
	s_cbranch_scc0 .LBB59_106
.LBB59_111:
                                        ; implicit-def: $sgpr26_sgpr27
	s_mov_b64 s[30:31], 0
	s_cbranch_execnz .LBB59_115
	s_branch .LBB59_116
.LBB59_112:
	s_mov_b64 s[30:31], 0
                                        ; implicit-def: $sgpr26_sgpr27
	s_cbranch_execz .LBB59_114
; %bb.113:
	s_waitcnt vmcnt(4)
	v_cmp_gt_i64_e32 vcc, v[25:26], v[29:30]
	s_andn2_b64 s[26:27], s[26:27], exec
	s_and_b64 s[34:35], vcc, exec
	s_or_b64 s[26:27], s[26:27], s[34:35]
.LBB59_114:
	s_branch .LBB59_116
.LBB59_115:
	s_cmp_lg_u32 s13, 0
	s_mov_b64 s[28:29], -1
	s_cselect_b64 s[30:31], -1, 0
.LBB59_116:
	s_andn2_b64 vcc, exec, s[30:31]
	s_cbranch_vccz .LBB59_122
; %bb.117:
	s_andn2_b64 vcc, exec, s[28:29]
	s_cbranch_vccz .LBB59_123
.LBB59_118:
	s_cmp_lt_i32 s13, 1
	s_mov_b64 s[30:31], 0
	s_cbranch_scc1 .LBB59_124
.LBB59_119:
	s_cmp_gt_i32 s13, 1
	s_cbranch_scc0 .LBB59_125
; %bb.120:
	s_cmp_eq_u32 s13, 2
	s_cbranch_scc0 .LBB59_259
; %bb.121:
	s_waitcnt vmcnt(4)
	v_cmp_le_i64_e64 s[28:29], v[27:28], v[31:32]
	s_mov_b64 s[34:35], 0
	s_branch .LBB59_127
.LBB59_122:
	s_waitcnt vmcnt(4)
	v_cmp_lt_i64_e32 vcc, v[25:26], v[29:30]
	s_andn2_b64 s[26:27], s[26:27], exec
	s_and_b64 s[30:31], vcc, exec
	s_or_b64 s[26:27], s[26:27], s[30:31]
	s_cbranch_execnz .LBB59_118
.LBB59_123:
	s_waitcnt vmcnt(4)
	v_cmp_ge_i64_e32 vcc, v[25:26], v[29:30]
	s_andn2_b64 s[26:27], s[26:27], exec
	s_and_b64 s[28:29], vcc, exec
	s_or_b64 s[26:27], s[26:27], s[28:29]
	s_cmp_lt_i32 s13, 1
	s_mov_b64 s[30:31], 0
	s_cbranch_scc0 .LBB59_119
.LBB59_124:
                                        ; implicit-def: $sgpr28_sgpr29
	s_mov_b64 s[34:35], 0
	s_cbranch_execnz .LBB59_128
	s_branch .LBB59_129
.LBB59_125:
	s_mov_b64 s[34:35], 0
                                        ; implicit-def: $sgpr28_sgpr29
	s_cbranch_execz .LBB59_127
; %bb.126:
	s_waitcnt vmcnt(4)
	v_cmp_gt_i64_e32 vcc, v[27:28], v[31:32]
	s_andn2_b64 s[28:29], s[28:29], exec
	s_and_b64 s[36:37], vcc, exec
	s_or_b64 s[28:29], s[28:29], s[36:37]
.LBB59_127:
	s_branch .LBB59_129
.LBB59_128:
	s_cmp_lg_u32 s13, 0
	s_mov_b64 s[30:31], -1
	s_cselect_b64 s[34:35], -1, 0
.LBB59_129:
	s_andn2_b64 vcc, exec, s[34:35]
	s_cbranch_vccz .LBB59_135
; %bb.130:
	s_andn2_b64 vcc, exec, s[30:31]
	s_cbranch_vccz .LBB59_136
.LBB59_131:
	s_cmp_lt_i32 s13, 1
	s_mov_b64 s[34:35], 0
	s_cbranch_scc1 .LBB59_137
.LBB59_132:
	s_cmp_gt_i32 s13, 1
	s_cbranch_scc0 .LBB59_138
; %bb.133:
	s_cmp_eq_u32 s13, 2
	s_cbranch_scc0 .LBB59_260
; %bb.134:
	s_waitcnt vmcnt(3)
	v_cmp_le_i64_e64 s[30:31], v[17:18], v[21:22]
	s_mov_b64 s[36:37], 0
	s_branch .LBB59_140
.LBB59_135:
	s_waitcnt vmcnt(4)
	v_cmp_lt_i64_e32 vcc, v[27:28], v[31:32]
	s_andn2_b64 s[28:29], s[28:29], exec
	s_and_b64 s[34:35], vcc, exec
	s_or_b64 s[28:29], s[28:29], s[34:35]
	s_cbranch_execnz .LBB59_131
.LBB59_136:
	s_waitcnt vmcnt(4)
	v_cmp_ge_i64_e32 vcc, v[27:28], v[31:32]
	s_andn2_b64 s[28:29], s[28:29], exec
	s_and_b64 s[30:31], vcc, exec
	s_or_b64 s[28:29], s[28:29], s[30:31]
	s_cmp_lt_i32 s13, 1
	s_mov_b64 s[34:35], 0
	s_cbranch_scc0 .LBB59_132
.LBB59_137:
                                        ; implicit-def: $sgpr30_sgpr31
	s_mov_b64 s[36:37], 0
	s_cbranch_execnz .LBB59_141
	s_branch .LBB59_142
.LBB59_138:
	s_mov_b64 s[36:37], 0
                                        ; implicit-def: $sgpr30_sgpr31
	s_cbranch_execz .LBB59_140
; %bb.139:
	s_waitcnt vmcnt(3)
	v_cmp_gt_i64_e32 vcc, v[17:18], v[21:22]
	s_andn2_b64 s[30:31], s[30:31], exec
	s_and_b64 s[38:39], vcc, exec
	s_or_b64 s[30:31], s[30:31], s[38:39]
.LBB59_140:
	s_branch .LBB59_142
.LBB59_141:
	s_cmp_lg_u32 s13, 0
	s_mov_b64 s[34:35], -1
	s_cselect_b64 s[36:37], -1, 0
.LBB59_142:
	s_andn2_b64 vcc, exec, s[36:37]
	s_cbranch_vccz .LBB59_148
; %bb.143:
	s_andn2_b64 vcc, exec, s[34:35]
	s_cbranch_vccz .LBB59_149
.LBB59_144:
	s_cmp_lt_i32 s13, 1
	s_mov_b64 s[36:37], 0
	s_cbranch_scc1 .LBB59_150
.LBB59_145:
	s_cmp_gt_i32 s13, 1
	s_cbranch_scc0 .LBB59_151
; %bb.146:
	s_cmp_eq_u32 s13, 2
	s_cbranch_scc0 .LBB59_261
; %bb.147:
	s_waitcnt vmcnt(3)
	v_cmp_le_i64_e64 s[34:35], v[19:20], v[23:24]
	s_mov_b64 s[38:39], 0
	s_branch .LBB59_153
.LBB59_148:
	s_waitcnt vmcnt(3)
	v_cmp_lt_i64_e32 vcc, v[17:18], v[21:22]
	s_andn2_b64 s[30:31], s[30:31], exec
	s_and_b64 s[36:37], vcc, exec
	s_or_b64 s[30:31], s[30:31], s[36:37]
	s_cbranch_execnz .LBB59_144
.LBB59_149:
	s_waitcnt vmcnt(3)
	v_cmp_ge_i64_e32 vcc, v[17:18], v[21:22]
	s_andn2_b64 s[30:31], s[30:31], exec
	s_and_b64 s[34:35], vcc, exec
	s_or_b64 s[30:31], s[30:31], s[34:35]
	s_cmp_lt_i32 s13, 1
	s_mov_b64 s[36:37], 0
	s_cbranch_scc0 .LBB59_145
.LBB59_150:
                                        ; implicit-def: $sgpr34_sgpr35
	s_mov_b64 s[38:39], 0
	s_cbranch_execnz .LBB59_154
	s_branch .LBB59_155
.LBB59_151:
	s_mov_b64 s[38:39], 0
                                        ; implicit-def: $sgpr34_sgpr35
	s_cbranch_execz .LBB59_153
; %bb.152:
	s_waitcnt vmcnt(3)
	v_cmp_gt_i64_e32 vcc, v[19:20], v[23:24]
	s_andn2_b64 s[34:35], s[34:35], exec
	s_and_b64 s[40:41], vcc, exec
	s_or_b64 s[34:35], s[34:35], s[40:41]
.LBB59_153:
	s_branch .LBB59_155
.LBB59_154:
	s_cmp_lg_u32 s13, 0
	s_mov_b64 s[36:37], -1
	s_cselect_b64 s[38:39], -1, 0
.LBB59_155:
	s_andn2_b64 vcc, exec, s[38:39]
	s_cbranch_vccz .LBB59_161
; %bb.156:
	s_andn2_b64 vcc, exec, s[36:37]
	s_cbranch_vccz .LBB59_162
.LBB59_157:
	s_cmp_lt_i32 s13, 1
	s_mov_b64 s[38:39], 0
	s_cbranch_scc1 .LBB59_163
.LBB59_158:
	s_cmp_gt_i32 s13, 1
	s_cbranch_scc0 .LBB59_164
; %bb.159:
	s_cmp_eq_u32 s13, 2
	s_cbranch_scc0 .LBB59_262
; %bb.160:
	s_waitcnt vmcnt(2)
	v_cmp_le_i64_e64 s[36:37], v[9:10], v[13:14]
	s_mov_b64 s[40:41], 0
	s_branch .LBB59_166
.LBB59_161:
	s_waitcnt vmcnt(3)
	v_cmp_lt_i64_e32 vcc, v[19:20], v[23:24]
	s_andn2_b64 s[34:35], s[34:35], exec
	s_and_b64 s[38:39], vcc, exec
	s_or_b64 s[34:35], s[34:35], s[38:39]
	s_cbranch_execnz .LBB59_157
.LBB59_162:
	s_waitcnt vmcnt(3)
	v_cmp_ge_i64_e32 vcc, v[19:20], v[23:24]
	s_andn2_b64 s[34:35], s[34:35], exec
	s_and_b64 s[36:37], vcc, exec
	s_or_b64 s[34:35], s[34:35], s[36:37]
	s_cmp_lt_i32 s13, 1
	s_mov_b64 s[38:39], 0
	s_cbranch_scc0 .LBB59_158
.LBB59_163:
                                        ; implicit-def: $sgpr36_sgpr37
	s_mov_b64 s[40:41], 0
	s_cbranch_execnz .LBB59_167
	s_branch .LBB59_168
.LBB59_164:
	s_mov_b64 s[40:41], 0
                                        ; implicit-def: $sgpr36_sgpr37
	s_cbranch_execz .LBB59_166
; %bb.165:
	s_waitcnt vmcnt(2)
	v_cmp_gt_i64_e32 vcc, v[9:10], v[13:14]
	s_andn2_b64 s[36:37], s[36:37], exec
	s_and_b64 s[42:43], vcc, exec
	s_or_b64 s[36:37], s[36:37], s[42:43]
.LBB59_166:
	s_branch .LBB59_168
.LBB59_167:
	s_cmp_lg_u32 s13, 0
	s_mov_b64 s[38:39], -1
	s_cselect_b64 s[40:41], -1, 0
.LBB59_168:
	s_andn2_b64 vcc, exec, s[40:41]
	s_cbranch_vccz .LBB59_174
; %bb.169:
	s_andn2_b64 vcc, exec, s[38:39]
	s_cbranch_vccz .LBB59_175
.LBB59_170:
	s_cmp_lt_i32 s13, 1
	s_mov_b64 s[40:41], 0
	s_cbranch_scc1 .LBB59_176
.LBB59_171:
	s_cmp_gt_i32 s13, 1
	s_cbranch_scc0 .LBB59_177
; %bb.172:
	s_cmp_eq_u32 s13, 2
	s_cbranch_scc0 .LBB59_263
; %bb.173:
	s_waitcnt vmcnt(2)
	v_cmp_le_i64_e64 s[38:39], v[11:12], v[15:16]
	s_mov_b64 s[42:43], 0
	s_branch .LBB59_179
.LBB59_174:
	s_waitcnt vmcnt(2)
	v_cmp_lt_i64_e32 vcc, v[9:10], v[13:14]
	s_andn2_b64 s[36:37], s[36:37], exec
	s_and_b64 s[40:41], vcc, exec
	s_or_b64 s[36:37], s[36:37], s[40:41]
	s_cbranch_execnz .LBB59_170
.LBB59_175:
	s_waitcnt vmcnt(2)
	v_cmp_ge_i64_e32 vcc, v[9:10], v[13:14]
	s_andn2_b64 s[36:37], s[36:37], exec
	s_and_b64 s[38:39], vcc, exec
	s_or_b64 s[36:37], s[36:37], s[38:39]
	s_cmp_lt_i32 s13, 1
	s_mov_b64 s[40:41], 0
	s_cbranch_scc0 .LBB59_171
.LBB59_176:
                                        ; implicit-def: $sgpr38_sgpr39
	s_mov_b64 s[42:43], 0
	s_cbranch_execnz .LBB59_180
	s_branch .LBB59_181
.LBB59_177:
	s_mov_b64 s[42:43], 0
                                        ; implicit-def: $sgpr38_sgpr39
	s_cbranch_execz .LBB59_179
; %bb.178:
	s_waitcnt vmcnt(2)
	v_cmp_gt_i64_e32 vcc, v[11:12], v[15:16]
	s_andn2_b64 s[38:39], s[38:39], exec
	s_and_b64 s[44:45], vcc, exec
	s_or_b64 s[38:39], s[38:39], s[44:45]
.LBB59_179:
	s_branch .LBB59_181
.LBB59_180:
	s_cmp_lg_u32 s13, 0
	s_mov_b64 s[40:41], -1
	s_cselect_b64 s[42:43], -1, 0
.LBB59_181:
	s_andn2_b64 vcc, exec, s[42:43]
	s_cbranch_vccz .LBB59_187
; %bb.182:
	s_andn2_b64 vcc, exec, s[40:41]
	s_cbranch_vccz .LBB59_188
.LBB59_183:
	s_cmp_lt_i32 s13, 1
	s_mov_b64 s[42:43], 0
	s_cbranch_scc1 .LBB59_189
.LBB59_184:
	s_cmp_gt_i32 s13, 1
	s_cbranch_scc0 .LBB59_190
; %bb.185:
	s_cmp_eq_u32 s13, 2
	s_cbranch_scc0 .LBB59_264
; %bb.186:
	s_waitcnt vmcnt(0)
	v_cmp_le_i64_e64 s[40:41], v[1:2], v[5:6]
	s_mov_b64 s[44:45], 0
	s_branch .LBB59_192
.LBB59_187:
	s_waitcnt vmcnt(2)
	v_cmp_lt_i64_e32 vcc, v[11:12], v[15:16]
	s_andn2_b64 s[38:39], s[38:39], exec
	s_and_b64 s[42:43], vcc, exec
	s_or_b64 s[38:39], s[38:39], s[42:43]
	s_cbranch_execnz .LBB59_183
.LBB59_188:
	s_waitcnt vmcnt(2)
	v_cmp_ge_i64_e32 vcc, v[11:12], v[15:16]
	s_andn2_b64 s[38:39], s[38:39], exec
	s_and_b64 s[40:41], vcc, exec
	s_or_b64 s[38:39], s[38:39], s[40:41]
	s_cmp_lt_i32 s13, 1
	s_mov_b64 s[42:43], 0
	s_cbranch_scc0 .LBB59_184
.LBB59_189:
                                        ; implicit-def: $sgpr40_sgpr41
	s_mov_b64 s[44:45], 0
	s_cbranch_execnz .LBB59_193
	s_branch .LBB59_194
.LBB59_190:
	s_mov_b64 s[44:45], 0
                                        ; implicit-def: $sgpr40_sgpr41
	s_cbranch_execz .LBB59_192
; %bb.191:
	s_waitcnt vmcnt(0)
	v_cmp_gt_i64_e32 vcc, v[1:2], v[5:6]
	s_andn2_b64 s[40:41], s[40:41], exec
	s_and_b64 s[46:47], vcc, exec
	s_or_b64 s[40:41], s[40:41], s[46:47]
.LBB59_192:
	s_branch .LBB59_194
.LBB59_193:
	s_cmp_lg_u32 s13, 0
	s_mov_b64 s[42:43], -1
	s_cselect_b64 s[44:45], -1, 0
.LBB59_194:
	s_andn2_b64 vcc, exec, s[44:45]
	s_cbranch_vccz .LBB59_200
; %bb.195:
	s_andn2_b64 vcc, exec, s[42:43]
	s_cbranch_vccz .LBB59_201
.LBB59_196:
	s_cmp_lt_i32 s13, 1
	s_mov_b64 s[44:45], 0
	s_cbranch_scc1 .LBB59_202
.LBB59_197:
	s_cmp_gt_i32 s13, 1
	s_cbranch_scc0 .LBB59_203
; %bb.198:
	s_cmp_eq_u32 s13, 2
	s_cbranch_scc0 .LBB59_265
; %bb.199:
	s_waitcnt vmcnt(0)
	v_cmp_le_i64_e64 s[42:43], v[3:4], v[7:8]
	s_mov_b64 s[46:47], 0
	s_branch .LBB59_205
.LBB59_200:
	s_waitcnt vmcnt(0)
	v_cmp_lt_i64_e32 vcc, v[1:2], v[5:6]
	s_andn2_b64 s[40:41], s[40:41], exec
	s_and_b64 s[44:45], vcc, exec
	s_or_b64 s[40:41], s[40:41], s[44:45]
	s_cbranch_execnz .LBB59_196
.LBB59_201:
	s_waitcnt vmcnt(0)
	v_cmp_ge_i64_e32 vcc, v[1:2], v[5:6]
	s_andn2_b64 s[40:41], s[40:41], exec
	s_and_b64 s[42:43], vcc, exec
	s_or_b64 s[40:41], s[40:41], s[42:43]
	s_cmp_lt_i32 s13, 1
	s_mov_b64 s[44:45], 0
	s_cbranch_scc0 .LBB59_197
.LBB59_202:
                                        ; implicit-def: $sgpr42_sgpr43
	s_mov_b64 s[46:47], 0
	s_cbranch_execnz .LBB59_206
	s_branch .LBB59_207
.LBB59_203:
	s_mov_b64 s[46:47], 0
                                        ; implicit-def: $sgpr42_sgpr43
	s_cbranch_execz .LBB59_205
; %bb.204:
	s_waitcnt vmcnt(0)
	v_cmp_gt_i64_e32 vcc, v[3:4], v[7:8]
	s_andn2_b64 s[42:43], s[42:43], exec
	s_and_b64 s[48:49], vcc, exec
	s_or_b64 s[42:43], s[42:43], s[48:49]
.LBB59_205:
	s_branch .LBB59_207
.LBB59_206:
	s_cmp_lg_u32 s13, 0
	s_mov_b64 s[44:45], -1
	s_cselect_b64 s[46:47], -1, 0
.LBB59_207:
	s_andn2_b64 vcc, exec, s[46:47]
	s_cbranch_vccz .LBB59_249
; %bb.208:
	s_andn2_b64 vcc, exec, s[44:45]
	s_cbranch_vccnz .LBB59_210
.LBB59_209:
	s_waitcnt vmcnt(0)
	v_cmp_ge_i64_e32 vcc, v[3:4], v[7:8]
	s_andn2_b64 s[42:43], s[42:43], exec
	s_and_b64 s[44:45], vcc, exec
	s_or_b64 s[42:43], s[42:43], s[44:45]
.LBB59_210:
	s_waitcnt vmcnt(9)
	v_mov_b32_e32 v3, 0x100
	v_cndmask_b32_e64 v2, 0, 1, s[36:37]
	v_cndmask_b32_e64 v4, 0, v3, s[38:39]
	v_or_b32_e32 v2, v4, v2
	v_cndmask_b32_e64 v4, 0, 1, s[30:31]
	s_waitcnt vmcnt(0)
	v_cndmask_b32_e64 v5, 0, v3, s[34:35]
	v_or_b32_e32 v4, v5, v4
	v_cndmask_b32_e64 v5, 0, 1, s[26:27]
	v_cndmask_b32_e64 v6, 0, v3, s[28:29]
	v_or_b32_e32 v5, v6, v5
	v_cndmask_b32_e64 v6, 0, 1, s[22:23]
	;; [unrolled: 3-line block ×4, first 2 shown]
	v_cndmask_b32_e64 v9, 0, v3, s[16:17]
	v_cndmask_b32_e64 v1, 0, 1, s[40:41]
	v_or_b32_e32 v8, v9, v8
	v_cndmask_b32_e64 v9, 0, 1, s[0:1]
	v_cndmask_b32_e64 v10, 0, v3, s[4:5]
	;; [unrolled: 1-line block ×3, first 2 shown]
	s_add_u32 s0, s8, s2
	v_or_b32_e32 v9, v10, v9
	v_or_b32_e32 v1, v3, v1
	s_addc_u32 s1, s9, s3
	v_lshlrev_b32_e32 v3, 1, v0
	global_store_short v3, v9, s[0:1]
	global_store_short v3, v8, s[0:1] offset:512
	global_store_short v3, v7, s[0:1] offset:1024
	;; [unrolled: 1-line block ×7, first 2 shown]
	s_mov_b64 s[0:1], 0
.LBB59_211:
	s_and_b64 vcc, exec, s[0:1]
	s_cbranch_vccz .LBB59_519
; %bb.212:
	v_mov_b32_e32 v58, 0
	v_mov_b32_e32 v62, 0
	;; [unrolled: 1-line block ×3, first 2 shown]
	v_cmp_gt_i32_e64 s[0:1], s12, v0
	v_mov_b32_e32 v59, 0
	v_or_b32_e32 v1, s2, v0
	v_mov_b32_e32 v63, 0
	v_mov_b32_e32 v65, 0
	;; [unrolled: 1-line block ×3, first 2 shown]
	s_and_saveexec_b64 s[4:5], s[0:1]
	s_cbranch_execz .LBB59_214
; %bb.213:
	v_mov_b32_e32 v2, 0
	v_lshlrev_b64 v[2:3], 3, v[1:2]
	v_mov_b32_e32 v5, s15
	v_add_co_u32_e32 v4, vcc, s14, v2
	v_addc_co_u32_e32 v5, vcc, v5, v3, vcc
	v_mov_b32_e32 v6, s11
	v_add_co_u32_e32 v2, vcc, s10, v2
	v_addc_co_u32_e32 v3, vcc, v6, v3, vcc
	global_load_dwordx2 v[62:63], v[2:3], off
	global_load_dwordx2 v[64:65], v[4:5], off
	v_or_b32_e32 v66, 0x100, v0
.LBB59_214:
	s_or_b64 exec, exec, s[4:5]
	v_mov_b32_e32 v60, 0
	v_mov_b32_e32 v61, 0
	v_cmp_gt_i32_e32 vcc, s12, v66
	s_and_saveexec_b64 s[4:5], vcc
	s_cbranch_execz .LBB59_216
; %bb.215:
	v_add_u32_e32 v2, s2, v66
	v_mov_b32_e32 v3, 0
	v_lshlrev_b64 v[2:3], 3, v[2:3]
	v_mov_b32_e32 v5, s15
	v_add_co_u32_e32 v4, vcc, s14, v2
	v_addc_co_u32_e32 v5, vcc, v5, v3, vcc
	v_mov_b32_e32 v6, s11
	v_add_co_u32_e32 v2, vcc, s10, v2
	v_addc_co_u32_e32 v3, vcc, v6, v3, vcc
	global_load_dwordx2 v[58:59], v[2:3], off
	global_load_dwordx2 v[60:61], v[4:5], off
	v_add_u32_e32 v66, 0x100, v66
.LBB59_216:
	s_or_b64 exec, exec, s[4:5]
	v_mov_b32_e32 v50, 0
	v_mov_b32_e32 v54, 0
	v_mov_b32_e32 v56, 0
	v_mov_b32_e32 v51, 0
	v_mov_b32_e32 v55, 0
	v_mov_b32_e32 v57, 0
	v_cmp_gt_i32_e32 vcc, s12, v66
	s_and_saveexec_b64 s[4:5], vcc
	s_cbranch_execz .LBB59_218
; %bb.217:
	v_add_u32_e32 v2, s2, v66
	v_mov_b32_e32 v3, 0
	v_lshlrev_b64 v[2:3], 3, v[2:3]
	v_mov_b32_e32 v5, s15
	v_add_co_u32_e32 v4, vcc, s14, v2
	v_addc_co_u32_e32 v5, vcc, v5, v3, vcc
	v_mov_b32_e32 v6, s11
	v_add_co_u32_e32 v2, vcc, s10, v2
	v_addc_co_u32_e32 v3, vcc, v6, v3, vcc
	global_load_dwordx2 v[54:55], v[2:3], off
	global_load_dwordx2 v[56:57], v[4:5], off
	v_add_u32_e32 v66, 0x100, v66
.LBB59_218:
	s_or_b64 exec, exec, s[4:5]
	v_mov_b32_e32 v52, 0
	v_mov_b32_e32 v53, 0
	v_cmp_gt_i32_e32 vcc, s12, v66
	s_and_saveexec_b64 s[4:5], vcc
	s_cbranch_execz .LBB59_220
; %bb.219:
	v_add_u32_e32 v2, s2, v66
	v_mov_b32_e32 v3, 0
	v_lshlrev_b64 v[2:3], 3, v[2:3]
	v_mov_b32_e32 v5, s15
	v_add_co_u32_e32 v4, vcc, s14, v2
	v_addc_co_u32_e32 v5, vcc, v5, v3, vcc
	v_mov_b32_e32 v6, s11
	v_add_co_u32_e32 v2, vcc, s10, v2
	v_addc_co_u32_e32 v3, vcc, v6, v3, vcc
	global_load_dwordx2 v[50:51], v[2:3], off
	global_load_dwordx2 v[52:53], v[4:5], off
	v_add_u32_e32 v66, 0x100, v66
.LBB59_220:
	s_or_b64 exec, exec, s[4:5]
	v_mov_b32_e32 v42, 0
	v_mov_b32_e32 v46, 0
	v_mov_b32_e32 v48, 0
	v_mov_b32_e32 v43, 0
	v_mov_b32_e32 v47, 0
	v_mov_b32_e32 v49, 0
	v_cmp_gt_i32_e32 vcc, s12, v66
	s_and_saveexec_b64 s[4:5], vcc
	s_cbranch_execz .LBB59_222
; %bb.221:
	v_add_u32_e32 v2, s2, v66
	v_mov_b32_e32 v3, 0
	v_lshlrev_b64 v[2:3], 3, v[2:3]
	v_mov_b32_e32 v5, s15
	v_add_co_u32_e32 v4, vcc, s14, v2
	v_addc_co_u32_e32 v5, vcc, v5, v3, vcc
	v_mov_b32_e32 v6, s11
	v_add_co_u32_e32 v2, vcc, s10, v2
	v_addc_co_u32_e32 v3, vcc, v6, v3, vcc
	global_load_dwordx2 v[46:47], v[2:3], off
	global_load_dwordx2 v[48:49], v[4:5], off
	v_add_u32_e32 v66, 0x100, v66
.LBB59_222:
	;; [unrolled: 44-line block ×7, first 2 shown]
	s_or_b64 exec, exec, s[4:5]
	v_mov_b32_e32 v4, 0
	v_mov_b32_e32 v5, 0
	v_cmp_gt_i32_e32 vcc, s12, v66
	s_and_saveexec_b64 s[4:5], vcc
	s_cbranch_execz .LBB59_244
; %bb.243:
	v_add_u32_e32 v2, s2, v66
	v_mov_b32_e32 v3, 0
	v_lshlrev_b64 v[2:3], 3, v[2:3]
	v_mov_b32_e32 v4, s15
	v_add_co_u32_e32 v66, vcc, s14, v2
	v_addc_co_u32_e32 v67, vcc, v4, v3, vcc
	v_mov_b32_e32 v4, s11
	v_add_co_u32_e32 v68, vcc, s10, v2
	v_addc_co_u32_e32 v69, vcc, v4, v3, vcc
	global_load_dwordx2 v[2:3], v[68:69], off
	global_load_dwordx2 v[4:5], v[66:67], off
.LBB59_244:
	s_or_b64 exec, exec, s[4:5]
                                        ; implicit-def: $vgpr66
	s_and_saveexec_b64 s[4:5], s[0:1]
	s_cbranch_execz .LBB59_276
; %bb.245:
	s_cmp_lt_i32 s13, 1
	s_mov_b64 s[6:7], 0
	s_cbranch_scc1 .LBB59_250
; %bb.246:
	s_cmp_gt_i32 s13, 1
	s_cbranch_scc0 .LBB59_266
; %bb.247:
	s_cmp_eq_u32 s13, 2
	s_cbranch_scc0 .LBB59_267
; %bb.248:
	s_waitcnt vmcnt(0)
	v_cmp_le_i64_e64 s[10:11], v[62:63], v[64:65]
	s_mov_b64 s[14:15], 0
	s_branch .LBB59_268
.LBB59_249:
	s_waitcnt vmcnt(0)
	v_cmp_lt_i64_e32 vcc, v[3:4], v[7:8]
	s_andn2_b64 s[42:43], s[42:43], exec
	s_and_b64 s[46:47], vcc, exec
	s_or_b64 s[42:43], s[42:43], s[46:47]
	s_cbranch_execz .LBB59_209
	s_branch .LBB59_210
.LBB59_250:
                                        ; implicit-def: $sgpr10_sgpr11
	s_mov_b64 s[14:15], 0
	s_cbranch_execnz .LBB59_271
	s_branch .LBB59_272
.LBB59_251:
	s_mov_b64 s[16:17], -1
                                        ; implicit-def: $sgpr4_sgpr5
	s_branch .LBB59_23
.LBB59_252:
	s_mov_b64 s[18:19], -1
                                        ; implicit-def: $sgpr6_sgpr7
	s_branch .LBB59_36
.LBB59_253:
	s_mov_b64 s[20:21], -1
                                        ; implicit-def: $sgpr16_sgpr17
	s_branch .LBB59_49
.LBB59_254:
	s_mov_b64 s[22:23], -1
                                        ; implicit-def: $sgpr18_sgpr19
	s_branch .LBB59_62
.LBB59_255:
	s_mov_b64 s[24:25], -1
                                        ; implicit-def: $sgpr20_sgpr21
	s_branch .LBB59_75
.LBB59_256:
	s_mov_b64 s[26:27], -1
                                        ; implicit-def: $sgpr22_sgpr23
	s_branch .LBB59_88
.LBB59_257:
	s_mov_b64 s[28:29], -1
                                        ; implicit-def: $sgpr24_sgpr25
	s_branch .LBB59_101
.LBB59_258:
	s_mov_b64 s[30:31], -1
                                        ; implicit-def: $sgpr26_sgpr27
	s_branch .LBB59_114
.LBB59_259:
	s_mov_b64 s[34:35], -1
                                        ; implicit-def: $sgpr28_sgpr29
	s_branch .LBB59_127
.LBB59_260:
	s_mov_b64 s[36:37], -1
                                        ; implicit-def: $sgpr30_sgpr31
	s_branch .LBB59_140
.LBB59_261:
	s_mov_b64 s[38:39], -1
                                        ; implicit-def: $sgpr34_sgpr35
	s_branch .LBB59_153
.LBB59_262:
	s_mov_b64 s[40:41], -1
                                        ; implicit-def: $sgpr36_sgpr37
	s_branch .LBB59_166
.LBB59_263:
	s_mov_b64 s[42:43], -1
                                        ; implicit-def: $sgpr38_sgpr39
	s_branch .LBB59_179
.LBB59_264:
	s_mov_b64 s[44:45], -1
                                        ; implicit-def: $sgpr40_sgpr41
	s_branch .LBB59_192
.LBB59_265:
	s_mov_b64 s[46:47], -1
                                        ; implicit-def: $sgpr42_sgpr43
	s_branch .LBB59_205
.LBB59_266:
	s_mov_b64 s[14:15], 0
                                        ; implicit-def: $sgpr10_sgpr11
	s_cbranch_execnz .LBB59_269
	s_branch .LBB59_270
.LBB59_267:
	s_mov_b64 s[14:15], -1
                                        ; implicit-def: $sgpr10_sgpr11
.LBB59_268:
	s_branch .LBB59_270
.LBB59_269:
	s_waitcnt vmcnt(0)
	v_cmp_gt_i64_e32 vcc, v[62:63], v[64:65]
	s_andn2_b64 s[10:11], s[10:11], exec
	s_and_b64 s[16:17], vcc, exec
	s_or_b64 s[10:11], s[10:11], s[16:17]
.LBB59_270:
	s_branch .LBB59_272
.LBB59_271:
	s_cmp_lg_u32 s13, 0
	s_mov_b64 s[6:7], -1
	s_cselect_b64 s[14:15], -1, 0
.LBB59_272:
	s_andn2_b64 vcc, exec, s[14:15]
	s_cbranch_vccz .LBB59_281
; %bb.273:
	s_andn2_b64 vcc, exec, s[6:7]
	s_cbranch_vccnz .LBB59_275
.LBB59_274:
	s_waitcnt vmcnt(0)
	v_cmp_ge_i64_e32 vcc, v[62:63], v[64:65]
	s_andn2_b64 s[6:7], s[10:11], exec
	s_and_b64 s[10:11], vcc, exec
	s_or_b64 s[10:11], s[6:7], s[10:11]
.LBB59_275:
	v_cndmask_b32_e64 v66, 0, 1, s[10:11]
.LBB59_276:
	s_or_b64 exec, exec, s[4:5]
	s_waitcnt vmcnt(1)
	v_or_b32_e32 v62, 0x100, v0
	v_cmp_gt_i32_e32 vcc, s12, v62
                                        ; implicit-def: $vgpr63
	s_and_saveexec_b64 s[4:5], vcc
	s_cbranch_execz .LBB59_291
; %bb.277:
	s_cmp_lt_i32 s13, 1
	s_mov_b64 s[6:7], 0
	s_cbranch_scc1 .LBB59_282
; %bb.278:
	s_cmp_gt_i32 s13, 1
	s_cbranch_scc0 .LBB59_283
; %bb.279:
	s_cmp_eq_u32 s13, 2
	s_cbranch_scc0 .LBB59_535
; %bb.280:
	s_waitcnt vmcnt(0)
	v_cmp_le_i64_e64 s[10:11], v[58:59], v[60:61]
	s_mov_b64 s[14:15], 0
	s_branch .LBB59_285
.LBB59_281:
	s_waitcnt vmcnt(0)
	v_cmp_lt_i64_e32 vcc, v[62:63], v[64:65]
	s_andn2_b64 s[10:11], s[10:11], exec
	s_and_b64 s[14:15], vcc, exec
	s_or_b64 s[10:11], s[10:11], s[14:15]
	s_cbranch_execz .LBB59_274
	s_branch .LBB59_275
.LBB59_282:
                                        ; implicit-def: $sgpr10_sgpr11
	s_mov_b64 s[14:15], 0
	s_cbranch_execnz .LBB59_286
	s_branch .LBB59_287
.LBB59_283:
	s_mov_b64 s[14:15], 0
                                        ; implicit-def: $sgpr10_sgpr11
	s_cbranch_execz .LBB59_285
; %bb.284:
	s_waitcnt vmcnt(0)
	v_cmp_gt_i64_e32 vcc, v[58:59], v[60:61]
	s_andn2_b64 s[10:11], s[10:11], exec
	s_and_b64 s[16:17], vcc, exec
	s_or_b64 s[10:11], s[10:11], s[16:17]
.LBB59_285:
	s_branch .LBB59_287
.LBB59_286:
	s_cmp_lg_u32 s13, 0
	s_mov_b64 s[6:7], -1
	s_cselect_b64 s[14:15], -1, 0
.LBB59_287:
	s_andn2_b64 vcc, exec, s[14:15]
	s_cbranch_vccz .LBB59_296
; %bb.288:
	s_andn2_b64 vcc, exec, s[6:7]
	s_cbranch_vccnz .LBB59_290
.LBB59_289:
	s_waitcnt vmcnt(0)
	v_cmp_ge_i64_e32 vcc, v[58:59], v[60:61]
	s_andn2_b64 s[6:7], s[10:11], exec
	s_and_b64 s[10:11], vcc, exec
	s_or_b64 s[10:11], s[6:7], s[10:11]
.LBB59_290:
	v_cndmask_b32_e64 v63, 0, 1, s[10:11]
.LBB59_291:
	s_or_b64 exec, exec, s[4:5]
	v_or_b32_e32 v58, 0x200, v0
	v_cmp_gt_i32_e32 vcc, s12, v58
                                        ; implicit-def: $vgpr58
	s_and_saveexec_b64 s[4:5], vcc
	s_cbranch_execz .LBB59_306
; %bb.292:
	s_cmp_lt_i32 s13, 1
	s_mov_b64 s[6:7], 0
	s_cbranch_scc1 .LBB59_297
; %bb.293:
	s_cmp_gt_i32 s13, 1
	s_cbranch_scc0 .LBB59_298
; %bb.294:
	s_cmp_eq_u32 s13, 2
	s_cbranch_scc0 .LBB59_536
; %bb.295:
	s_waitcnt vmcnt(0)
	v_cmp_le_i64_e64 s[10:11], v[54:55], v[56:57]
	s_mov_b64 s[14:15], 0
	s_branch .LBB59_300
.LBB59_296:
	s_waitcnt vmcnt(0)
	v_cmp_lt_i64_e32 vcc, v[58:59], v[60:61]
	s_andn2_b64 s[10:11], s[10:11], exec
	s_and_b64 s[14:15], vcc, exec
	s_or_b64 s[10:11], s[10:11], s[14:15]
	s_cbranch_execz .LBB59_289
	s_branch .LBB59_290
.LBB59_297:
                                        ; implicit-def: $sgpr10_sgpr11
	s_mov_b64 s[14:15], 0
	s_cbranch_execnz .LBB59_301
	s_branch .LBB59_302
.LBB59_298:
	s_mov_b64 s[14:15], 0
                                        ; implicit-def: $sgpr10_sgpr11
	s_cbranch_execz .LBB59_300
; %bb.299:
	s_waitcnt vmcnt(0)
	v_cmp_gt_i64_e32 vcc, v[54:55], v[56:57]
	s_andn2_b64 s[10:11], s[10:11], exec
	s_and_b64 s[16:17], vcc, exec
	s_or_b64 s[10:11], s[10:11], s[16:17]
.LBB59_300:
	s_branch .LBB59_302
.LBB59_301:
	s_cmp_lg_u32 s13, 0
	s_mov_b64 s[6:7], -1
	s_cselect_b64 s[14:15], -1, 0
.LBB59_302:
	s_andn2_b64 vcc, exec, s[14:15]
	s_cbranch_vccz .LBB59_311
; %bb.303:
	s_andn2_b64 vcc, exec, s[6:7]
	s_cbranch_vccnz .LBB59_305
.LBB59_304:
	s_waitcnt vmcnt(0)
	v_cmp_ge_i64_e32 vcc, v[54:55], v[56:57]
	s_andn2_b64 s[6:7], s[10:11], exec
	s_and_b64 s[10:11], vcc, exec
	s_or_b64 s[10:11], s[6:7], s[10:11]
.LBB59_305:
	v_cndmask_b32_e64 v58, 0, 1, s[10:11]
.LBB59_306:
	s_or_b64 exec, exec, s[4:5]
	v_or_b32_e32 v54, 0x300, v0
	v_cmp_gt_i32_e32 vcc, s12, v54
                                        ; implicit-def: $vgpr54
	s_and_saveexec_b64 s[4:5], vcc
	s_cbranch_execz .LBB59_321
; %bb.307:
	s_cmp_lt_i32 s13, 1
	s_mov_b64 s[6:7], 0
	s_cbranch_scc1 .LBB59_312
; %bb.308:
	s_cmp_gt_i32 s13, 1
	s_cbranch_scc0 .LBB59_313
; %bb.309:
	s_cmp_eq_u32 s13, 2
	s_cbranch_scc0 .LBB59_537
; %bb.310:
	s_waitcnt vmcnt(0)
	v_cmp_le_i64_e64 s[10:11], v[50:51], v[52:53]
	s_mov_b64 s[14:15], 0
	s_branch .LBB59_315
.LBB59_311:
	s_waitcnt vmcnt(0)
	v_cmp_lt_i64_e32 vcc, v[54:55], v[56:57]
	s_andn2_b64 s[10:11], s[10:11], exec
	s_and_b64 s[14:15], vcc, exec
	s_or_b64 s[10:11], s[10:11], s[14:15]
	s_cbranch_execz .LBB59_304
	s_branch .LBB59_305
.LBB59_312:
                                        ; implicit-def: $sgpr10_sgpr11
	s_mov_b64 s[14:15], 0
	s_cbranch_execnz .LBB59_316
	s_branch .LBB59_317
.LBB59_313:
	s_mov_b64 s[14:15], 0
                                        ; implicit-def: $sgpr10_sgpr11
	s_cbranch_execz .LBB59_315
; %bb.314:
	s_waitcnt vmcnt(0)
	v_cmp_gt_i64_e32 vcc, v[50:51], v[52:53]
	s_andn2_b64 s[10:11], s[10:11], exec
	s_and_b64 s[16:17], vcc, exec
	s_or_b64 s[10:11], s[10:11], s[16:17]
.LBB59_315:
	s_branch .LBB59_317
.LBB59_316:
	s_cmp_lg_u32 s13, 0
	s_mov_b64 s[6:7], -1
	s_cselect_b64 s[14:15], -1, 0
.LBB59_317:
	s_andn2_b64 vcc, exec, s[14:15]
	s_cbranch_vccz .LBB59_326
; %bb.318:
	s_andn2_b64 vcc, exec, s[6:7]
	s_cbranch_vccnz .LBB59_320
.LBB59_319:
	s_waitcnt vmcnt(0)
	v_cmp_ge_i64_e32 vcc, v[50:51], v[52:53]
	s_andn2_b64 s[6:7], s[10:11], exec
	s_and_b64 s[10:11], vcc, exec
	s_or_b64 s[10:11], s[6:7], s[10:11]
.LBB59_320:
	v_cndmask_b32_e64 v54, 0, 1, s[10:11]
.LBB59_321:
	s_or_b64 exec, exec, s[4:5]
	v_or_b32_e32 v50, 0x400, v0
	v_cmp_gt_i32_e32 vcc, s12, v50
                                        ; implicit-def: $vgpr50
	s_and_saveexec_b64 s[4:5], vcc
	s_cbranch_execz .LBB59_336
; %bb.322:
	s_cmp_lt_i32 s13, 1
	s_mov_b64 s[6:7], 0
	s_cbranch_scc1 .LBB59_327
; %bb.323:
	s_cmp_gt_i32 s13, 1
	s_cbranch_scc0 .LBB59_328
; %bb.324:
	s_cmp_eq_u32 s13, 2
	s_cbranch_scc0 .LBB59_538
; %bb.325:
	s_waitcnt vmcnt(0)
	v_cmp_le_i64_e64 s[10:11], v[46:47], v[48:49]
	s_mov_b64 s[14:15], 0
	s_branch .LBB59_330
.LBB59_326:
	s_waitcnt vmcnt(0)
	v_cmp_lt_i64_e32 vcc, v[50:51], v[52:53]
	s_andn2_b64 s[10:11], s[10:11], exec
	s_and_b64 s[14:15], vcc, exec
	s_or_b64 s[10:11], s[10:11], s[14:15]
	s_cbranch_execz .LBB59_319
	s_branch .LBB59_320
.LBB59_327:
                                        ; implicit-def: $sgpr10_sgpr11
	s_mov_b64 s[14:15], 0
	s_cbranch_execnz .LBB59_331
	s_branch .LBB59_332
.LBB59_328:
	s_mov_b64 s[14:15], 0
                                        ; implicit-def: $sgpr10_sgpr11
	s_cbranch_execz .LBB59_330
; %bb.329:
	s_waitcnt vmcnt(0)
	v_cmp_gt_i64_e32 vcc, v[46:47], v[48:49]
	s_andn2_b64 s[10:11], s[10:11], exec
	s_and_b64 s[16:17], vcc, exec
	s_or_b64 s[10:11], s[10:11], s[16:17]
.LBB59_330:
	s_branch .LBB59_332
.LBB59_331:
	s_cmp_lg_u32 s13, 0
	s_mov_b64 s[6:7], -1
	s_cselect_b64 s[14:15], -1, 0
.LBB59_332:
	s_andn2_b64 vcc, exec, s[14:15]
	s_cbranch_vccz .LBB59_341
; %bb.333:
	s_andn2_b64 vcc, exec, s[6:7]
	s_cbranch_vccnz .LBB59_335
.LBB59_334:
	s_waitcnt vmcnt(0)
	v_cmp_ge_i64_e32 vcc, v[46:47], v[48:49]
	s_andn2_b64 s[6:7], s[10:11], exec
	s_and_b64 s[10:11], vcc, exec
	s_or_b64 s[10:11], s[6:7], s[10:11]
.LBB59_335:
	v_cndmask_b32_e64 v50, 0, 1, s[10:11]
.LBB59_336:
	s_or_b64 exec, exec, s[4:5]
	v_or_b32_e32 v46, 0x500, v0
	v_cmp_gt_i32_e32 vcc, s12, v46
                                        ; implicit-def: $vgpr46
	s_and_saveexec_b64 s[4:5], vcc
	s_cbranch_execz .LBB59_351
; %bb.337:
	s_cmp_lt_i32 s13, 1
	s_mov_b64 s[6:7], 0
	s_cbranch_scc1 .LBB59_342
; %bb.338:
	s_cmp_gt_i32 s13, 1
	s_cbranch_scc0 .LBB59_343
; %bb.339:
	s_cmp_eq_u32 s13, 2
	s_cbranch_scc0 .LBB59_539
; %bb.340:
	s_waitcnt vmcnt(0)
	v_cmp_le_i64_e64 s[10:11], v[42:43], v[44:45]
	s_mov_b64 s[14:15], 0
	s_branch .LBB59_345
.LBB59_341:
	s_waitcnt vmcnt(0)
	v_cmp_lt_i64_e32 vcc, v[46:47], v[48:49]
	s_andn2_b64 s[10:11], s[10:11], exec
	s_and_b64 s[14:15], vcc, exec
	s_or_b64 s[10:11], s[10:11], s[14:15]
	s_cbranch_execz .LBB59_334
	s_branch .LBB59_335
.LBB59_342:
                                        ; implicit-def: $sgpr10_sgpr11
	s_mov_b64 s[14:15], 0
	s_cbranch_execnz .LBB59_346
	s_branch .LBB59_347
.LBB59_343:
	s_mov_b64 s[14:15], 0
                                        ; implicit-def: $sgpr10_sgpr11
	s_cbranch_execz .LBB59_345
; %bb.344:
	s_waitcnt vmcnt(0)
	v_cmp_gt_i64_e32 vcc, v[42:43], v[44:45]
	s_andn2_b64 s[10:11], s[10:11], exec
	s_and_b64 s[16:17], vcc, exec
	s_or_b64 s[10:11], s[10:11], s[16:17]
.LBB59_345:
	s_branch .LBB59_347
.LBB59_346:
	s_cmp_lg_u32 s13, 0
	s_mov_b64 s[6:7], -1
	s_cselect_b64 s[14:15], -1, 0
.LBB59_347:
	s_andn2_b64 vcc, exec, s[14:15]
	s_cbranch_vccz .LBB59_356
; %bb.348:
	s_andn2_b64 vcc, exec, s[6:7]
	s_cbranch_vccnz .LBB59_350
.LBB59_349:
	s_waitcnt vmcnt(0)
	v_cmp_ge_i64_e32 vcc, v[42:43], v[44:45]
	s_andn2_b64 s[6:7], s[10:11], exec
	s_and_b64 s[10:11], vcc, exec
	s_or_b64 s[10:11], s[6:7], s[10:11]
.LBB59_350:
	v_cndmask_b32_e64 v46, 0, 1, s[10:11]
.LBB59_351:
	s_or_b64 exec, exec, s[4:5]
	v_or_b32_e32 v42, 0x600, v0
	v_cmp_gt_i32_e32 vcc, s12, v42
                                        ; implicit-def: $vgpr42
	s_and_saveexec_b64 s[4:5], vcc
	s_cbranch_execz .LBB59_366
; %bb.352:
	s_cmp_lt_i32 s13, 1
	s_mov_b64 s[6:7], 0
	s_cbranch_scc1 .LBB59_357
; %bb.353:
	s_cmp_gt_i32 s13, 1
	s_cbranch_scc0 .LBB59_358
; %bb.354:
	s_cmp_eq_u32 s13, 2
	s_cbranch_scc0 .LBB59_540
; %bb.355:
	s_waitcnt vmcnt(0)
	v_cmp_le_i64_e64 s[10:11], v[38:39], v[40:41]
	s_mov_b64 s[14:15], 0
	s_branch .LBB59_360
.LBB59_356:
	s_waitcnt vmcnt(0)
	v_cmp_lt_i64_e32 vcc, v[42:43], v[44:45]
	s_andn2_b64 s[10:11], s[10:11], exec
	s_and_b64 s[14:15], vcc, exec
	s_or_b64 s[10:11], s[10:11], s[14:15]
	s_cbranch_execz .LBB59_349
	s_branch .LBB59_350
.LBB59_357:
                                        ; implicit-def: $sgpr10_sgpr11
	s_mov_b64 s[14:15], 0
	s_cbranch_execnz .LBB59_361
	s_branch .LBB59_362
.LBB59_358:
	s_mov_b64 s[14:15], 0
                                        ; implicit-def: $sgpr10_sgpr11
	s_cbranch_execz .LBB59_360
; %bb.359:
	s_waitcnt vmcnt(0)
	v_cmp_gt_i64_e32 vcc, v[38:39], v[40:41]
	s_andn2_b64 s[10:11], s[10:11], exec
	s_and_b64 s[16:17], vcc, exec
	s_or_b64 s[10:11], s[10:11], s[16:17]
.LBB59_360:
	s_branch .LBB59_362
.LBB59_361:
	s_cmp_lg_u32 s13, 0
	s_mov_b64 s[6:7], -1
	s_cselect_b64 s[14:15], -1, 0
.LBB59_362:
	s_andn2_b64 vcc, exec, s[14:15]
	s_cbranch_vccz .LBB59_371
; %bb.363:
	s_andn2_b64 vcc, exec, s[6:7]
	s_cbranch_vccnz .LBB59_365
.LBB59_364:
	s_waitcnt vmcnt(0)
	v_cmp_ge_i64_e32 vcc, v[38:39], v[40:41]
	s_andn2_b64 s[6:7], s[10:11], exec
	s_and_b64 s[10:11], vcc, exec
	s_or_b64 s[10:11], s[6:7], s[10:11]
.LBB59_365:
	v_cndmask_b32_e64 v42, 0, 1, s[10:11]
.LBB59_366:
	s_or_b64 exec, exec, s[4:5]
	v_or_b32_e32 v38, 0x700, v0
	v_cmp_gt_i32_e32 vcc, s12, v38
                                        ; implicit-def: $vgpr38
	s_and_saveexec_b64 s[4:5], vcc
	s_cbranch_execz .LBB59_381
; %bb.367:
	s_cmp_lt_i32 s13, 1
	s_mov_b64 s[6:7], 0
	s_cbranch_scc1 .LBB59_372
; %bb.368:
	s_cmp_gt_i32 s13, 1
	s_cbranch_scc0 .LBB59_373
; %bb.369:
	s_cmp_eq_u32 s13, 2
	s_cbranch_scc0 .LBB59_541
; %bb.370:
	s_waitcnt vmcnt(0)
	v_cmp_le_i64_e64 s[10:11], v[34:35], v[36:37]
	s_mov_b64 s[14:15], 0
	s_branch .LBB59_375
.LBB59_371:
	s_waitcnt vmcnt(0)
	v_cmp_lt_i64_e32 vcc, v[38:39], v[40:41]
	s_andn2_b64 s[10:11], s[10:11], exec
	s_and_b64 s[14:15], vcc, exec
	s_or_b64 s[10:11], s[10:11], s[14:15]
	s_cbranch_execz .LBB59_364
	s_branch .LBB59_365
.LBB59_372:
                                        ; implicit-def: $sgpr10_sgpr11
	s_mov_b64 s[14:15], 0
	s_cbranch_execnz .LBB59_376
	s_branch .LBB59_377
.LBB59_373:
	s_mov_b64 s[14:15], 0
                                        ; implicit-def: $sgpr10_sgpr11
	s_cbranch_execz .LBB59_375
; %bb.374:
	s_waitcnt vmcnt(0)
	v_cmp_gt_i64_e32 vcc, v[34:35], v[36:37]
	s_andn2_b64 s[10:11], s[10:11], exec
	s_and_b64 s[16:17], vcc, exec
	s_or_b64 s[10:11], s[10:11], s[16:17]
.LBB59_375:
	s_branch .LBB59_377
.LBB59_376:
	s_cmp_lg_u32 s13, 0
	s_mov_b64 s[6:7], -1
	s_cselect_b64 s[14:15], -1, 0
.LBB59_377:
	s_andn2_b64 vcc, exec, s[14:15]
	s_cbranch_vccz .LBB59_386
; %bb.378:
	s_andn2_b64 vcc, exec, s[6:7]
	s_cbranch_vccnz .LBB59_380
.LBB59_379:
	s_waitcnt vmcnt(0)
	v_cmp_ge_i64_e32 vcc, v[34:35], v[36:37]
	s_andn2_b64 s[6:7], s[10:11], exec
	s_and_b64 s[10:11], vcc, exec
	s_or_b64 s[10:11], s[6:7], s[10:11]
.LBB59_380:
	v_cndmask_b32_e64 v38, 0, 1, s[10:11]
.LBB59_381:
	s_or_b64 exec, exec, s[4:5]
	v_or_b32_e32 v34, 0x800, v0
	v_cmp_gt_i32_e32 vcc, s12, v34
                                        ; implicit-def: $vgpr34
	s_and_saveexec_b64 s[4:5], vcc
	s_cbranch_execz .LBB59_396
; %bb.382:
	s_cmp_lt_i32 s13, 1
	s_mov_b64 s[6:7], 0
	s_cbranch_scc1 .LBB59_387
; %bb.383:
	s_cmp_gt_i32 s13, 1
	s_cbranch_scc0 .LBB59_388
; %bb.384:
	s_cmp_eq_u32 s13, 2
	s_cbranch_scc0 .LBB59_542
; %bb.385:
	s_waitcnt vmcnt(0)
	v_cmp_le_i64_e64 s[10:11], v[30:31], v[32:33]
	s_mov_b64 s[14:15], 0
	s_branch .LBB59_390
.LBB59_386:
	s_waitcnt vmcnt(0)
	v_cmp_lt_i64_e32 vcc, v[34:35], v[36:37]
	s_andn2_b64 s[10:11], s[10:11], exec
	s_and_b64 s[14:15], vcc, exec
	s_or_b64 s[10:11], s[10:11], s[14:15]
	s_cbranch_execz .LBB59_379
	s_branch .LBB59_380
.LBB59_387:
                                        ; implicit-def: $sgpr10_sgpr11
	s_mov_b64 s[14:15], 0
	s_cbranch_execnz .LBB59_391
	s_branch .LBB59_392
.LBB59_388:
	s_mov_b64 s[14:15], 0
                                        ; implicit-def: $sgpr10_sgpr11
	s_cbranch_execz .LBB59_390
; %bb.389:
	s_waitcnt vmcnt(0)
	v_cmp_gt_i64_e32 vcc, v[30:31], v[32:33]
	s_andn2_b64 s[10:11], s[10:11], exec
	s_and_b64 s[16:17], vcc, exec
	s_or_b64 s[10:11], s[10:11], s[16:17]
.LBB59_390:
	s_branch .LBB59_392
.LBB59_391:
	s_cmp_lg_u32 s13, 0
	s_mov_b64 s[6:7], -1
	s_cselect_b64 s[14:15], -1, 0
.LBB59_392:
	s_andn2_b64 vcc, exec, s[14:15]
	s_cbranch_vccz .LBB59_401
; %bb.393:
	s_andn2_b64 vcc, exec, s[6:7]
	s_cbranch_vccnz .LBB59_395
.LBB59_394:
	s_waitcnt vmcnt(0)
	v_cmp_ge_i64_e32 vcc, v[30:31], v[32:33]
	s_andn2_b64 s[6:7], s[10:11], exec
	s_and_b64 s[10:11], vcc, exec
	s_or_b64 s[10:11], s[6:7], s[10:11]
.LBB59_395:
	v_cndmask_b32_e64 v34, 0, 1, s[10:11]
.LBB59_396:
	s_or_b64 exec, exec, s[4:5]
	v_or_b32_e32 v30, 0x900, v0
	v_cmp_gt_i32_e32 vcc, s12, v30
                                        ; implicit-def: $vgpr30
	s_and_saveexec_b64 s[4:5], vcc
	s_cbranch_execz .LBB59_411
; %bb.397:
	s_cmp_lt_i32 s13, 1
	s_mov_b64 s[6:7], 0
	s_cbranch_scc1 .LBB59_402
; %bb.398:
	s_cmp_gt_i32 s13, 1
	s_cbranch_scc0 .LBB59_403
; %bb.399:
	s_cmp_eq_u32 s13, 2
	s_cbranch_scc0 .LBB59_543
; %bb.400:
	s_waitcnt vmcnt(0)
	v_cmp_le_i64_e64 s[10:11], v[26:27], v[28:29]
	s_mov_b64 s[14:15], 0
	s_branch .LBB59_405
.LBB59_401:
	s_waitcnt vmcnt(0)
	v_cmp_lt_i64_e32 vcc, v[30:31], v[32:33]
	s_andn2_b64 s[10:11], s[10:11], exec
	s_and_b64 s[14:15], vcc, exec
	s_or_b64 s[10:11], s[10:11], s[14:15]
	s_cbranch_execz .LBB59_394
	s_branch .LBB59_395
.LBB59_402:
                                        ; implicit-def: $sgpr10_sgpr11
	s_mov_b64 s[14:15], 0
	s_cbranch_execnz .LBB59_406
	s_branch .LBB59_407
.LBB59_403:
	s_mov_b64 s[14:15], 0
                                        ; implicit-def: $sgpr10_sgpr11
	s_cbranch_execz .LBB59_405
; %bb.404:
	s_waitcnt vmcnt(0)
	v_cmp_gt_i64_e32 vcc, v[26:27], v[28:29]
	s_andn2_b64 s[10:11], s[10:11], exec
	s_and_b64 s[16:17], vcc, exec
	s_or_b64 s[10:11], s[10:11], s[16:17]
.LBB59_405:
	s_branch .LBB59_407
.LBB59_406:
	s_cmp_lg_u32 s13, 0
	s_mov_b64 s[6:7], -1
	s_cselect_b64 s[14:15], -1, 0
.LBB59_407:
	s_andn2_b64 vcc, exec, s[14:15]
	s_cbranch_vccz .LBB59_416
; %bb.408:
	s_andn2_b64 vcc, exec, s[6:7]
	s_cbranch_vccnz .LBB59_410
.LBB59_409:
	s_waitcnt vmcnt(0)
	v_cmp_ge_i64_e32 vcc, v[26:27], v[28:29]
	s_andn2_b64 s[6:7], s[10:11], exec
	s_and_b64 s[10:11], vcc, exec
	s_or_b64 s[10:11], s[6:7], s[10:11]
.LBB59_410:
	v_cndmask_b32_e64 v30, 0, 1, s[10:11]
.LBB59_411:
	s_or_b64 exec, exec, s[4:5]
	v_or_b32_e32 v26, 0xa00, v0
	v_cmp_gt_i32_e32 vcc, s12, v26
                                        ; implicit-def: $vgpr26
	s_and_saveexec_b64 s[4:5], vcc
	s_cbranch_execz .LBB59_426
; %bb.412:
	s_cmp_lt_i32 s13, 1
	s_mov_b64 s[6:7], 0
	s_cbranch_scc1 .LBB59_417
; %bb.413:
	s_cmp_gt_i32 s13, 1
	s_cbranch_scc0 .LBB59_418
; %bb.414:
	s_cmp_eq_u32 s13, 2
	s_cbranch_scc0 .LBB59_544
; %bb.415:
	s_waitcnt vmcnt(0)
	v_cmp_le_i64_e64 s[10:11], v[22:23], v[24:25]
	s_mov_b64 s[14:15], 0
	s_branch .LBB59_420
.LBB59_416:
	s_waitcnt vmcnt(0)
	v_cmp_lt_i64_e32 vcc, v[26:27], v[28:29]
	s_andn2_b64 s[10:11], s[10:11], exec
	s_and_b64 s[14:15], vcc, exec
	s_or_b64 s[10:11], s[10:11], s[14:15]
	s_cbranch_execz .LBB59_409
	s_branch .LBB59_410
.LBB59_417:
                                        ; implicit-def: $sgpr10_sgpr11
	s_mov_b64 s[14:15], 0
	s_cbranch_execnz .LBB59_421
	s_branch .LBB59_422
.LBB59_418:
	s_mov_b64 s[14:15], 0
                                        ; implicit-def: $sgpr10_sgpr11
	s_cbranch_execz .LBB59_420
; %bb.419:
	s_waitcnt vmcnt(0)
	v_cmp_gt_i64_e32 vcc, v[22:23], v[24:25]
	s_andn2_b64 s[10:11], s[10:11], exec
	s_and_b64 s[16:17], vcc, exec
	s_or_b64 s[10:11], s[10:11], s[16:17]
.LBB59_420:
	s_branch .LBB59_422
.LBB59_421:
	s_cmp_lg_u32 s13, 0
	s_mov_b64 s[6:7], -1
	s_cselect_b64 s[14:15], -1, 0
.LBB59_422:
	s_andn2_b64 vcc, exec, s[14:15]
	s_cbranch_vccz .LBB59_431
; %bb.423:
	s_andn2_b64 vcc, exec, s[6:7]
	s_cbranch_vccnz .LBB59_425
.LBB59_424:
	s_waitcnt vmcnt(0)
	v_cmp_ge_i64_e32 vcc, v[22:23], v[24:25]
	s_andn2_b64 s[6:7], s[10:11], exec
	s_and_b64 s[10:11], vcc, exec
	s_or_b64 s[10:11], s[6:7], s[10:11]
.LBB59_425:
	v_cndmask_b32_e64 v26, 0, 1, s[10:11]
.LBB59_426:
	s_or_b64 exec, exec, s[4:5]
	v_or_b32_e32 v22, 0xb00, v0
	v_cmp_gt_i32_e32 vcc, s12, v22
                                        ; implicit-def: $vgpr22
	s_and_saveexec_b64 s[4:5], vcc
	s_cbranch_execz .LBB59_441
; %bb.427:
	s_cmp_lt_i32 s13, 1
	s_mov_b64 s[6:7], 0
	s_cbranch_scc1 .LBB59_432
; %bb.428:
	s_cmp_gt_i32 s13, 1
	s_cbranch_scc0 .LBB59_433
; %bb.429:
	s_cmp_eq_u32 s13, 2
	s_cbranch_scc0 .LBB59_545
; %bb.430:
	s_waitcnt vmcnt(0)
	v_cmp_le_i64_e64 s[10:11], v[18:19], v[20:21]
	s_mov_b64 s[14:15], 0
	s_branch .LBB59_435
.LBB59_431:
	s_waitcnt vmcnt(0)
	v_cmp_lt_i64_e32 vcc, v[22:23], v[24:25]
	s_andn2_b64 s[10:11], s[10:11], exec
	s_and_b64 s[14:15], vcc, exec
	s_or_b64 s[10:11], s[10:11], s[14:15]
	s_cbranch_execz .LBB59_424
	s_branch .LBB59_425
.LBB59_432:
                                        ; implicit-def: $sgpr10_sgpr11
	s_mov_b64 s[14:15], 0
	s_cbranch_execnz .LBB59_436
	s_branch .LBB59_437
.LBB59_433:
	s_mov_b64 s[14:15], 0
                                        ; implicit-def: $sgpr10_sgpr11
	s_cbranch_execz .LBB59_435
; %bb.434:
	s_waitcnt vmcnt(0)
	v_cmp_gt_i64_e32 vcc, v[18:19], v[20:21]
	s_andn2_b64 s[10:11], s[10:11], exec
	s_and_b64 s[16:17], vcc, exec
	s_or_b64 s[10:11], s[10:11], s[16:17]
.LBB59_435:
	s_branch .LBB59_437
.LBB59_436:
	s_cmp_lg_u32 s13, 0
	s_mov_b64 s[6:7], -1
	s_cselect_b64 s[14:15], -1, 0
.LBB59_437:
	s_andn2_b64 vcc, exec, s[14:15]
	s_cbranch_vccz .LBB59_446
; %bb.438:
	s_andn2_b64 vcc, exec, s[6:7]
	s_cbranch_vccnz .LBB59_440
.LBB59_439:
	s_waitcnt vmcnt(0)
	v_cmp_ge_i64_e32 vcc, v[18:19], v[20:21]
	s_andn2_b64 s[6:7], s[10:11], exec
	s_and_b64 s[10:11], vcc, exec
	s_or_b64 s[10:11], s[6:7], s[10:11]
.LBB59_440:
	v_cndmask_b32_e64 v22, 0, 1, s[10:11]
.LBB59_441:
	s_or_b64 exec, exec, s[4:5]
	v_or_b32_e32 v18, 0xc00, v0
	v_cmp_gt_i32_e32 vcc, s12, v18
                                        ; implicit-def: $vgpr18
	s_and_saveexec_b64 s[4:5], vcc
	s_cbranch_execz .LBB59_456
; %bb.442:
	s_cmp_lt_i32 s13, 1
	s_mov_b64 s[6:7], 0
	s_cbranch_scc1 .LBB59_447
; %bb.443:
	s_cmp_gt_i32 s13, 1
	s_cbranch_scc0 .LBB59_448
; %bb.444:
	s_cmp_eq_u32 s13, 2
	s_cbranch_scc0 .LBB59_546
; %bb.445:
	s_waitcnt vmcnt(0)
	v_cmp_le_i64_e64 s[10:11], v[14:15], v[16:17]
	s_mov_b64 s[14:15], 0
	s_branch .LBB59_450
.LBB59_446:
	s_waitcnt vmcnt(0)
	v_cmp_lt_i64_e32 vcc, v[18:19], v[20:21]
	s_andn2_b64 s[10:11], s[10:11], exec
	s_and_b64 s[14:15], vcc, exec
	s_or_b64 s[10:11], s[10:11], s[14:15]
	s_cbranch_execz .LBB59_439
	s_branch .LBB59_440
.LBB59_447:
                                        ; implicit-def: $sgpr10_sgpr11
	s_mov_b64 s[14:15], 0
	s_cbranch_execnz .LBB59_451
	s_branch .LBB59_452
.LBB59_448:
	s_mov_b64 s[14:15], 0
                                        ; implicit-def: $sgpr10_sgpr11
	s_cbranch_execz .LBB59_450
; %bb.449:
	s_waitcnt vmcnt(0)
	v_cmp_gt_i64_e32 vcc, v[14:15], v[16:17]
	s_andn2_b64 s[10:11], s[10:11], exec
	s_and_b64 s[16:17], vcc, exec
	s_or_b64 s[10:11], s[10:11], s[16:17]
.LBB59_450:
	s_branch .LBB59_452
.LBB59_451:
	s_cmp_lg_u32 s13, 0
	s_mov_b64 s[6:7], -1
	s_cselect_b64 s[14:15], -1, 0
.LBB59_452:
	s_andn2_b64 vcc, exec, s[14:15]
	s_cbranch_vccz .LBB59_461
; %bb.453:
	s_andn2_b64 vcc, exec, s[6:7]
	s_cbranch_vccnz .LBB59_455
.LBB59_454:
	s_waitcnt vmcnt(0)
	v_cmp_ge_i64_e32 vcc, v[14:15], v[16:17]
	s_andn2_b64 s[6:7], s[10:11], exec
	s_and_b64 s[10:11], vcc, exec
	s_or_b64 s[10:11], s[6:7], s[10:11]
.LBB59_455:
	v_cndmask_b32_e64 v18, 0, 1, s[10:11]
.LBB59_456:
	s_or_b64 exec, exec, s[4:5]
	v_or_b32_e32 v14, 0xd00, v0
	v_cmp_gt_i32_e32 vcc, s12, v14
                                        ; implicit-def: $vgpr14
	s_and_saveexec_b64 s[4:5], vcc
	s_cbranch_execz .LBB59_471
; %bb.457:
	s_cmp_lt_i32 s13, 1
	s_mov_b64 s[6:7], 0
	s_cbranch_scc1 .LBB59_462
; %bb.458:
	s_cmp_gt_i32 s13, 1
	s_cbranch_scc0 .LBB59_463
; %bb.459:
	s_cmp_eq_u32 s13, 2
	s_cbranch_scc0 .LBB59_547
; %bb.460:
	s_waitcnt vmcnt(0)
	v_cmp_le_i64_e64 s[10:11], v[10:11], v[12:13]
	s_mov_b64 s[14:15], 0
	s_branch .LBB59_465
.LBB59_461:
	s_waitcnt vmcnt(0)
	v_cmp_lt_i64_e32 vcc, v[14:15], v[16:17]
	s_andn2_b64 s[10:11], s[10:11], exec
	s_and_b64 s[14:15], vcc, exec
	s_or_b64 s[10:11], s[10:11], s[14:15]
	s_cbranch_execz .LBB59_454
	s_branch .LBB59_455
.LBB59_462:
                                        ; implicit-def: $sgpr10_sgpr11
	s_mov_b64 s[14:15], 0
	s_cbranch_execnz .LBB59_466
	s_branch .LBB59_467
.LBB59_463:
	s_mov_b64 s[14:15], 0
                                        ; implicit-def: $sgpr10_sgpr11
	s_cbranch_execz .LBB59_465
; %bb.464:
	s_waitcnt vmcnt(0)
	v_cmp_gt_i64_e32 vcc, v[10:11], v[12:13]
	s_andn2_b64 s[10:11], s[10:11], exec
	s_and_b64 s[16:17], vcc, exec
	s_or_b64 s[10:11], s[10:11], s[16:17]
.LBB59_465:
	s_branch .LBB59_467
.LBB59_466:
	s_cmp_lg_u32 s13, 0
	s_mov_b64 s[6:7], -1
	s_cselect_b64 s[14:15], -1, 0
.LBB59_467:
	s_andn2_b64 vcc, exec, s[14:15]
	s_cbranch_vccz .LBB59_476
; %bb.468:
	s_andn2_b64 vcc, exec, s[6:7]
	s_cbranch_vccnz .LBB59_470
.LBB59_469:
	s_waitcnt vmcnt(0)
	v_cmp_ge_i64_e32 vcc, v[10:11], v[12:13]
	s_andn2_b64 s[6:7], s[10:11], exec
	s_and_b64 s[10:11], vcc, exec
	s_or_b64 s[10:11], s[6:7], s[10:11]
.LBB59_470:
	v_cndmask_b32_e64 v14, 0, 1, s[10:11]
.LBB59_471:
	s_or_b64 exec, exec, s[4:5]
	v_or_b32_e32 v10, 0xe00, v0
	v_cmp_gt_i32_e32 vcc, s12, v10
                                        ; implicit-def: $vgpr10
	s_and_saveexec_b64 s[4:5], vcc
	s_cbranch_execz .LBB59_486
; %bb.472:
	s_cmp_lt_i32 s13, 1
	s_mov_b64 s[6:7], 0
	s_cbranch_scc1 .LBB59_477
; %bb.473:
	s_cmp_gt_i32 s13, 1
	s_cbranch_scc0 .LBB59_478
; %bb.474:
	s_cmp_eq_u32 s13, 2
	s_cbranch_scc0 .LBB59_548
; %bb.475:
	s_waitcnt vmcnt(0)
	v_cmp_le_i64_e64 s[10:11], v[6:7], v[8:9]
	s_mov_b64 s[14:15], 0
	s_branch .LBB59_480
.LBB59_476:
	s_waitcnt vmcnt(0)
	v_cmp_lt_i64_e32 vcc, v[10:11], v[12:13]
	s_andn2_b64 s[10:11], s[10:11], exec
	s_and_b64 s[14:15], vcc, exec
	s_or_b64 s[10:11], s[10:11], s[14:15]
	s_cbranch_execz .LBB59_469
	s_branch .LBB59_470
.LBB59_477:
                                        ; implicit-def: $sgpr10_sgpr11
	s_mov_b64 s[14:15], 0
	s_cbranch_execnz .LBB59_481
	s_branch .LBB59_482
.LBB59_478:
	s_mov_b64 s[14:15], 0
                                        ; implicit-def: $sgpr10_sgpr11
	s_cbranch_execz .LBB59_480
; %bb.479:
	s_waitcnt vmcnt(0)
	v_cmp_gt_i64_e32 vcc, v[6:7], v[8:9]
	s_andn2_b64 s[10:11], s[10:11], exec
	s_and_b64 s[16:17], vcc, exec
	s_or_b64 s[10:11], s[10:11], s[16:17]
.LBB59_480:
	s_branch .LBB59_482
.LBB59_481:
	s_cmp_lg_u32 s13, 0
	s_mov_b64 s[6:7], -1
	s_cselect_b64 s[14:15], -1, 0
.LBB59_482:
	s_andn2_b64 vcc, exec, s[14:15]
	s_cbranch_vccz .LBB59_491
; %bb.483:
	s_andn2_b64 vcc, exec, s[6:7]
	s_cbranch_vccnz .LBB59_485
.LBB59_484:
	s_waitcnt vmcnt(0)
	v_cmp_ge_i64_e32 vcc, v[6:7], v[8:9]
	s_andn2_b64 s[6:7], s[10:11], exec
	s_and_b64 s[10:11], vcc, exec
	s_or_b64 s[10:11], s[6:7], s[10:11]
.LBB59_485:
	v_cndmask_b32_e64 v10, 0, 1, s[10:11]
.LBB59_486:
	s_or_b64 exec, exec, s[4:5]
	v_or_b32_e32 v6, 0xf00, v0
	v_cmp_gt_i32_e32 vcc, s12, v6
                                        ; implicit-def: $vgpr6
	s_and_saveexec_b64 s[4:5], vcc
	s_cbranch_execz .LBB59_501
; %bb.487:
	s_cmp_lt_i32 s13, 1
	s_mov_b64 s[6:7], 0
	s_cbranch_scc1 .LBB59_492
; %bb.488:
	s_cmp_gt_i32 s13, 1
	s_cbranch_scc0 .LBB59_493
; %bb.489:
	s_cmp_eq_u32 s13, 2
	s_cbranch_scc0 .LBB59_549
; %bb.490:
	s_waitcnt vmcnt(0)
	v_cmp_le_i64_e64 s[10:11], v[2:3], v[4:5]
	s_mov_b64 s[14:15], 0
	s_branch .LBB59_495
.LBB59_491:
	s_waitcnt vmcnt(0)
	v_cmp_lt_i64_e32 vcc, v[6:7], v[8:9]
	s_andn2_b64 s[10:11], s[10:11], exec
	s_and_b64 s[14:15], vcc, exec
	s_or_b64 s[10:11], s[10:11], s[14:15]
	s_cbranch_execz .LBB59_484
	s_branch .LBB59_485
.LBB59_492:
                                        ; implicit-def: $sgpr10_sgpr11
	s_mov_b64 s[14:15], 0
	s_cbranch_execnz .LBB59_496
	s_branch .LBB59_497
.LBB59_493:
	s_mov_b64 s[14:15], 0
                                        ; implicit-def: $sgpr10_sgpr11
	s_cbranch_execz .LBB59_495
; %bb.494:
	s_waitcnt vmcnt(0)
	v_cmp_gt_i64_e32 vcc, v[2:3], v[4:5]
	s_andn2_b64 s[10:11], s[10:11], exec
	s_and_b64 s[16:17], vcc, exec
	s_or_b64 s[10:11], s[10:11], s[16:17]
.LBB59_495:
	s_branch .LBB59_497
.LBB59_496:
	s_cmp_lg_u32 s13, 0
	s_mov_b64 s[6:7], -1
	s_cselect_b64 s[14:15], -1, 0
.LBB59_497:
	s_andn2_b64 vcc, exec, s[14:15]
	s_cbranch_vccz .LBB59_534
; %bb.498:
	s_andn2_b64 vcc, exec, s[6:7]
	s_cbranch_vccnz .LBB59_500
.LBB59_499:
	s_waitcnt vmcnt(0)
	v_cmp_ge_i64_e32 vcc, v[2:3], v[4:5]
	s_andn2_b64 s[6:7], s[10:11], exec
	s_and_b64 s[10:11], vcc, exec
	s_or_b64 s[10:11], s[6:7], s[10:11]
.LBB59_500:
	v_cndmask_b32_e64 v6, 0, 1, s[10:11]
.LBB59_501:
	s_or_b64 exec, exec, s[4:5]
	s_and_saveexec_b64 s[4:5], s[0:1]
	s_xor_b64 s[0:1], exec, s[4:5]
	s_cbranch_execz .LBB59_503
; %bb.502:
	v_mov_b32_e32 v0, v62
	global_store_byte v1, v66, s[8:9]
.LBB59_503:
	s_or_b64 exec, exec, s[0:1]
	v_cmp_gt_i32_e32 vcc, s12, v0
	s_and_saveexec_b64 s[0:1], vcc
	s_cbranch_execnz .LBB59_520
; %bb.504:
	s_or_b64 exec, exec, s[0:1]
	v_cmp_gt_i32_e32 vcc, s12, v0
	s_and_saveexec_b64 s[0:1], vcc
	s_cbranch_execnz .LBB59_521
.LBB59_505:
	s_or_b64 exec, exec, s[0:1]
	v_cmp_gt_i32_e32 vcc, s12, v0
	s_and_saveexec_b64 s[0:1], vcc
	s_cbranch_execnz .LBB59_522
.LBB59_506:
	s_or_b64 exec, exec, s[0:1]
	v_cmp_gt_i32_e32 vcc, s12, v0
	s_and_saveexec_b64 s[0:1], vcc
	s_cbranch_execnz .LBB59_523
.LBB59_507:
	s_or_b64 exec, exec, s[0:1]
	v_cmp_gt_i32_e32 vcc, s12, v0
	s_and_saveexec_b64 s[0:1], vcc
	s_cbranch_execnz .LBB59_524
.LBB59_508:
	s_or_b64 exec, exec, s[0:1]
	v_cmp_gt_i32_e32 vcc, s12, v0
	s_and_saveexec_b64 s[0:1], vcc
	s_cbranch_execnz .LBB59_525
.LBB59_509:
	s_or_b64 exec, exec, s[0:1]
	v_cmp_gt_i32_e32 vcc, s12, v0
	s_and_saveexec_b64 s[0:1], vcc
	s_cbranch_execnz .LBB59_526
.LBB59_510:
	s_or_b64 exec, exec, s[0:1]
	v_cmp_gt_i32_e32 vcc, s12, v0
	s_and_saveexec_b64 s[0:1], vcc
	s_cbranch_execnz .LBB59_527
.LBB59_511:
	s_or_b64 exec, exec, s[0:1]
	v_cmp_gt_i32_e32 vcc, s12, v0
	s_and_saveexec_b64 s[0:1], vcc
	s_cbranch_execnz .LBB59_528
.LBB59_512:
	s_or_b64 exec, exec, s[0:1]
	v_cmp_gt_i32_e32 vcc, s12, v0
	s_and_saveexec_b64 s[0:1], vcc
	s_cbranch_execnz .LBB59_529
.LBB59_513:
	s_or_b64 exec, exec, s[0:1]
	v_cmp_gt_i32_e32 vcc, s12, v0
	s_and_saveexec_b64 s[0:1], vcc
	s_cbranch_execnz .LBB59_530
.LBB59_514:
	s_or_b64 exec, exec, s[0:1]
	v_cmp_gt_i32_e32 vcc, s12, v0
	s_and_saveexec_b64 s[0:1], vcc
	s_cbranch_execnz .LBB59_531
.LBB59_515:
	s_or_b64 exec, exec, s[0:1]
	v_cmp_gt_i32_e32 vcc, s12, v0
	s_and_saveexec_b64 s[0:1], vcc
	s_cbranch_execnz .LBB59_532
.LBB59_516:
	s_or_b64 exec, exec, s[0:1]
	v_cmp_gt_i32_e32 vcc, s12, v0
	s_and_saveexec_b64 s[0:1], vcc
	s_cbranch_execnz .LBB59_533
.LBB59_517:
	s_or_b64 exec, exec, s[0:1]
	v_cmp_gt_i32_e32 vcc, s12, v0
	s_and_saveexec_b64 s[0:1], vcc
	s_cbranch_execz .LBB59_519
.LBB59_518:
	v_add_u32_e32 v0, s2, v0
	global_store_byte v0, v6, s[8:9]
.LBB59_519:
	s_endpgm
.LBB59_520:
	v_add_u32_e32 v1, s2, v0
	v_add_u32_e32 v0, 0x100, v0
	global_store_byte v1, v63, s[8:9]
	s_or_b64 exec, exec, s[0:1]
	v_cmp_gt_i32_e32 vcc, s12, v0
	s_and_saveexec_b64 s[0:1], vcc
	s_cbranch_execz .LBB59_505
.LBB59_521:
	v_add_u32_e32 v1, s2, v0
	v_add_u32_e32 v0, 0x100, v0
	global_store_byte v1, v58, s[8:9]
	s_or_b64 exec, exec, s[0:1]
	v_cmp_gt_i32_e32 vcc, s12, v0
	s_and_saveexec_b64 s[0:1], vcc
	s_cbranch_execz .LBB59_506
.LBB59_522:
	v_add_u32_e32 v1, s2, v0
	v_add_u32_e32 v0, 0x100, v0
	global_store_byte v1, v54, s[8:9]
	s_or_b64 exec, exec, s[0:1]
	v_cmp_gt_i32_e32 vcc, s12, v0
	s_and_saveexec_b64 s[0:1], vcc
	s_cbranch_execz .LBB59_507
.LBB59_523:
	v_add_u32_e32 v1, s2, v0
	v_add_u32_e32 v0, 0x100, v0
	global_store_byte v1, v50, s[8:9]
	s_or_b64 exec, exec, s[0:1]
	v_cmp_gt_i32_e32 vcc, s12, v0
	s_and_saveexec_b64 s[0:1], vcc
	s_cbranch_execz .LBB59_508
.LBB59_524:
	v_add_u32_e32 v1, s2, v0
	v_add_u32_e32 v0, 0x100, v0
	global_store_byte v1, v46, s[8:9]
	s_or_b64 exec, exec, s[0:1]
	v_cmp_gt_i32_e32 vcc, s12, v0
	s_and_saveexec_b64 s[0:1], vcc
	s_cbranch_execz .LBB59_509
.LBB59_525:
	v_add_u32_e32 v1, s2, v0
	v_add_u32_e32 v0, 0x100, v0
	global_store_byte v1, v42, s[8:9]
	s_or_b64 exec, exec, s[0:1]
	v_cmp_gt_i32_e32 vcc, s12, v0
	s_and_saveexec_b64 s[0:1], vcc
	s_cbranch_execz .LBB59_510
.LBB59_526:
	v_add_u32_e32 v1, s2, v0
	v_add_u32_e32 v0, 0x100, v0
	global_store_byte v1, v38, s[8:9]
	s_or_b64 exec, exec, s[0:1]
	v_cmp_gt_i32_e32 vcc, s12, v0
	s_and_saveexec_b64 s[0:1], vcc
	s_cbranch_execz .LBB59_511
.LBB59_527:
	v_add_u32_e32 v1, s2, v0
	v_add_u32_e32 v0, 0x100, v0
	global_store_byte v1, v34, s[8:9]
	s_or_b64 exec, exec, s[0:1]
	v_cmp_gt_i32_e32 vcc, s12, v0
	s_and_saveexec_b64 s[0:1], vcc
	s_cbranch_execz .LBB59_512
.LBB59_528:
	v_add_u32_e32 v1, s2, v0
	v_add_u32_e32 v0, 0x100, v0
	global_store_byte v1, v30, s[8:9]
	s_or_b64 exec, exec, s[0:1]
	v_cmp_gt_i32_e32 vcc, s12, v0
	s_and_saveexec_b64 s[0:1], vcc
	s_cbranch_execz .LBB59_513
.LBB59_529:
	v_add_u32_e32 v1, s2, v0
	v_add_u32_e32 v0, 0x100, v0
	global_store_byte v1, v26, s[8:9]
	s_or_b64 exec, exec, s[0:1]
	v_cmp_gt_i32_e32 vcc, s12, v0
	s_and_saveexec_b64 s[0:1], vcc
	s_cbranch_execz .LBB59_514
.LBB59_530:
	v_add_u32_e32 v1, s2, v0
	v_add_u32_e32 v0, 0x100, v0
	global_store_byte v1, v22, s[8:9]
	s_or_b64 exec, exec, s[0:1]
	v_cmp_gt_i32_e32 vcc, s12, v0
	s_and_saveexec_b64 s[0:1], vcc
	s_cbranch_execz .LBB59_515
.LBB59_531:
	v_add_u32_e32 v1, s2, v0
	v_add_u32_e32 v0, 0x100, v0
	global_store_byte v1, v18, s[8:9]
	s_or_b64 exec, exec, s[0:1]
	v_cmp_gt_i32_e32 vcc, s12, v0
	s_and_saveexec_b64 s[0:1], vcc
	s_cbranch_execz .LBB59_516
.LBB59_532:
	v_add_u32_e32 v1, s2, v0
	v_add_u32_e32 v0, 0x100, v0
	global_store_byte v1, v14, s[8:9]
	s_or_b64 exec, exec, s[0:1]
	v_cmp_gt_i32_e32 vcc, s12, v0
	s_and_saveexec_b64 s[0:1], vcc
	s_cbranch_execz .LBB59_517
.LBB59_533:
	v_add_u32_e32 v1, s2, v0
	v_add_u32_e32 v0, 0x100, v0
	global_store_byte v1, v10, s[8:9]
	s_or_b64 exec, exec, s[0:1]
	v_cmp_gt_i32_e32 vcc, s12, v0
	s_and_saveexec_b64 s[0:1], vcc
	s_cbranch_execnz .LBB59_518
	s_branch .LBB59_519
.LBB59_534:
	s_waitcnt vmcnt(0)
	v_cmp_lt_i64_e32 vcc, v[2:3], v[4:5]
	s_andn2_b64 s[10:11], s[10:11], exec
	s_and_b64 s[14:15], vcc, exec
	s_or_b64 s[10:11], s[10:11], s[14:15]
	s_cbranch_execz .LBB59_499
	s_branch .LBB59_500
.LBB59_535:
	s_mov_b64 s[14:15], -1
                                        ; implicit-def: $sgpr10_sgpr11
	s_branch .LBB59_285
.LBB59_536:
	s_mov_b64 s[14:15], -1
                                        ; implicit-def: $sgpr10_sgpr11
	s_branch .LBB59_300
.LBB59_537:
	s_mov_b64 s[14:15], -1
                                        ; implicit-def: $sgpr10_sgpr11
	s_branch .LBB59_315
.LBB59_538:
	s_mov_b64 s[14:15], -1
                                        ; implicit-def: $sgpr10_sgpr11
	s_branch .LBB59_330
.LBB59_539:
	s_mov_b64 s[14:15], -1
                                        ; implicit-def: $sgpr10_sgpr11
	s_branch .LBB59_345
.LBB59_540:
	s_mov_b64 s[14:15], -1
                                        ; implicit-def: $sgpr10_sgpr11
	s_branch .LBB59_360
.LBB59_541:
	s_mov_b64 s[14:15], -1
                                        ; implicit-def: $sgpr10_sgpr11
	s_branch .LBB59_375
.LBB59_542:
	s_mov_b64 s[14:15], -1
                                        ; implicit-def: $sgpr10_sgpr11
	s_branch .LBB59_390
.LBB59_543:
	s_mov_b64 s[14:15], -1
                                        ; implicit-def: $sgpr10_sgpr11
	s_branch .LBB59_405
.LBB59_544:
	s_mov_b64 s[14:15], -1
                                        ; implicit-def: $sgpr10_sgpr11
	s_branch .LBB59_420
.LBB59_545:
	s_mov_b64 s[14:15], -1
                                        ; implicit-def: $sgpr10_sgpr11
	s_branch .LBB59_435
.LBB59_546:
	s_mov_b64 s[14:15], -1
                                        ; implicit-def: $sgpr10_sgpr11
	s_branch .LBB59_450
.LBB59_547:
	s_mov_b64 s[14:15], -1
                                        ; implicit-def: $sgpr10_sgpr11
	s_branch .LBB59_465
.LBB59_548:
	s_mov_b64 s[14:15], -1
                                        ; implicit-def: $sgpr10_sgpr11
	s_branch .LBB59_480
.LBB59_549:
	s_mov_b64 s[14:15], -1
                                        ; implicit-def: $sgpr10_sgpr11
	s_branch .LBB59_495
	.section	.rodata,"a",@progbits
	.p2align	6, 0x0
	.amdhsa_kernel _ZN2at6native29vectorized_elementwise_kernelILi2ENS0_12_GLOBAL__N_114CompareFunctorIlEESt5arrayIPcLm3EEEEviT0_T1_
		.amdhsa_group_segment_fixed_size 0
		.amdhsa_private_segment_fixed_size 0
		.amdhsa_kernarg_size 32
		.amdhsa_user_sgpr_count 6
		.amdhsa_user_sgpr_private_segment_buffer 1
		.amdhsa_user_sgpr_dispatch_ptr 0
		.amdhsa_user_sgpr_queue_ptr 0
		.amdhsa_user_sgpr_kernarg_segment_ptr 1
		.amdhsa_user_sgpr_dispatch_id 0
		.amdhsa_user_sgpr_flat_scratch_init 0
		.amdhsa_user_sgpr_private_segment_size 0
		.amdhsa_uses_dynamic_stack 0
		.amdhsa_system_sgpr_private_segment_wavefront_offset 0
		.amdhsa_system_sgpr_workgroup_id_x 1
		.amdhsa_system_sgpr_workgroup_id_y 0
		.amdhsa_system_sgpr_workgroup_id_z 0
		.amdhsa_system_sgpr_workgroup_info 0
		.amdhsa_system_vgpr_workitem_id 0
		.amdhsa_next_free_vgpr 70
		.amdhsa_next_free_sgpr 50
		.amdhsa_reserve_vcc 1
		.amdhsa_reserve_flat_scratch 0
		.amdhsa_float_round_mode_32 0
		.amdhsa_float_round_mode_16_64 0
		.amdhsa_float_denorm_mode_32 3
		.amdhsa_float_denorm_mode_16_64 3
		.amdhsa_dx10_clamp 1
		.amdhsa_ieee_mode 1
		.amdhsa_fp16_overflow 0
		.amdhsa_exception_fp_ieee_invalid_op 0
		.amdhsa_exception_fp_denorm_src 0
		.amdhsa_exception_fp_ieee_div_zero 0
		.amdhsa_exception_fp_ieee_overflow 0
		.amdhsa_exception_fp_ieee_underflow 0
		.amdhsa_exception_fp_ieee_inexact 0
		.amdhsa_exception_int_div_zero 0
	.end_amdhsa_kernel
	.section	.text._ZN2at6native29vectorized_elementwise_kernelILi2ENS0_12_GLOBAL__N_114CompareFunctorIlEESt5arrayIPcLm3EEEEviT0_T1_,"axG",@progbits,_ZN2at6native29vectorized_elementwise_kernelILi2ENS0_12_GLOBAL__N_114CompareFunctorIlEESt5arrayIPcLm3EEEEviT0_T1_,comdat
.Lfunc_end59:
	.size	_ZN2at6native29vectorized_elementwise_kernelILi2ENS0_12_GLOBAL__N_114CompareFunctorIlEESt5arrayIPcLm3EEEEviT0_T1_, .Lfunc_end59-_ZN2at6native29vectorized_elementwise_kernelILi2ENS0_12_GLOBAL__N_114CompareFunctorIlEESt5arrayIPcLm3EEEEviT0_T1_
                                        ; -- End function
	.set _ZN2at6native29vectorized_elementwise_kernelILi2ENS0_12_GLOBAL__N_114CompareFunctorIlEESt5arrayIPcLm3EEEEviT0_T1_.num_vgpr, 70
	.set _ZN2at6native29vectorized_elementwise_kernelILi2ENS0_12_GLOBAL__N_114CompareFunctorIlEESt5arrayIPcLm3EEEEviT0_T1_.num_agpr, 0
	.set _ZN2at6native29vectorized_elementwise_kernelILi2ENS0_12_GLOBAL__N_114CompareFunctorIlEESt5arrayIPcLm3EEEEviT0_T1_.numbered_sgpr, 50
	.set _ZN2at6native29vectorized_elementwise_kernelILi2ENS0_12_GLOBAL__N_114CompareFunctorIlEESt5arrayIPcLm3EEEEviT0_T1_.num_named_barrier, 0
	.set _ZN2at6native29vectorized_elementwise_kernelILi2ENS0_12_GLOBAL__N_114CompareFunctorIlEESt5arrayIPcLm3EEEEviT0_T1_.private_seg_size, 0
	.set _ZN2at6native29vectorized_elementwise_kernelILi2ENS0_12_GLOBAL__N_114CompareFunctorIlEESt5arrayIPcLm3EEEEviT0_T1_.uses_vcc, 1
	.set _ZN2at6native29vectorized_elementwise_kernelILi2ENS0_12_GLOBAL__N_114CompareFunctorIlEESt5arrayIPcLm3EEEEviT0_T1_.uses_flat_scratch, 0
	.set _ZN2at6native29vectorized_elementwise_kernelILi2ENS0_12_GLOBAL__N_114CompareFunctorIlEESt5arrayIPcLm3EEEEviT0_T1_.has_dyn_sized_stack, 0
	.set _ZN2at6native29vectorized_elementwise_kernelILi2ENS0_12_GLOBAL__N_114CompareFunctorIlEESt5arrayIPcLm3EEEEviT0_T1_.has_recursion, 0
	.set _ZN2at6native29vectorized_elementwise_kernelILi2ENS0_12_GLOBAL__N_114CompareFunctorIlEESt5arrayIPcLm3EEEEviT0_T1_.has_indirect_call, 0
	.section	.AMDGPU.csdata,"",@progbits
; Kernel info:
; codeLenInByte = 9228
; TotalNumSgprs: 54
; NumVgprs: 70
; ScratchSize: 0
; MemoryBound: 0
; FloatMode: 240
; IeeeMode: 1
; LDSByteSize: 0 bytes/workgroup (compile time only)
; SGPRBlocks: 6
; VGPRBlocks: 17
; NumSGPRsForWavesPerEU: 54
; NumVGPRsForWavesPerEU: 70
; Occupancy: 3
; WaveLimiterHint : 1
; COMPUTE_PGM_RSRC2:SCRATCH_EN: 0
; COMPUTE_PGM_RSRC2:USER_SGPR: 6
; COMPUTE_PGM_RSRC2:TRAP_HANDLER: 0
; COMPUTE_PGM_RSRC2:TGID_X_EN: 1
; COMPUTE_PGM_RSRC2:TGID_Y_EN: 0
; COMPUTE_PGM_RSRC2:TGID_Z_EN: 0
; COMPUTE_PGM_RSRC2:TIDIG_COMP_CNT: 0
	.section	.text._ZN2at6native27unrolled_elementwise_kernelINS0_12_GLOBAL__N_114CompareFunctorIlEESt5arrayIPcLm3EELi4E23TrivialOffsetCalculatorILi2EjES8_ILi1EjENS0_6memory15LoadWithoutCastENSB_16StoreWithoutCastEEEviT_T0_T2_T3_T4_T5_,"axG",@progbits,_ZN2at6native27unrolled_elementwise_kernelINS0_12_GLOBAL__N_114CompareFunctorIlEESt5arrayIPcLm3EELi4E23TrivialOffsetCalculatorILi2EjES8_ILi1EjENS0_6memory15LoadWithoutCastENSB_16StoreWithoutCastEEEviT_T0_T2_T3_T4_T5_,comdat
	.globl	_ZN2at6native27unrolled_elementwise_kernelINS0_12_GLOBAL__N_114CompareFunctorIlEESt5arrayIPcLm3EELi4E23TrivialOffsetCalculatorILi2EjES8_ILi1EjENS0_6memory15LoadWithoutCastENSB_16StoreWithoutCastEEEviT_T0_T2_T3_T4_T5_ ; -- Begin function _ZN2at6native27unrolled_elementwise_kernelINS0_12_GLOBAL__N_114CompareFunctorIlEESt5arrayIPcLm3EELi4E23TrivialOffsetCalculatorILi2EjES8_ILi1EjENS0_6memory15LoadWithoutCastENSB_16StoreWithoutCastEEEviT_T0_T2_T3_T4_T5_
	.p2align	8
	.type	_ZN2at6native27unrolled_elementwise_kernelINS0_12_GLOBAL__N_114CompareFunctorIlEESt5arrayIPcLm3EELi4E23TrivialOffsetCalculatorILi2EjES8_ILi1EjENS0_6memory15LoadWithoutCastENSB_16StoreWithoutCastEEEviT_T0_T2_T3_T4_T5_,@function
_ZN2at6native27unrolled_elementwise_kernelINS0_12_GLOBAL__N_114CompareFunctorIlEESt5arrayIPcLm3EELi4E23TrivialOffsetCalculatorILi2EjES8_ILi1EjENS0_6memory15LoadWithoutCastENSB_16StoreWithoutCastEEEviT_T0_T2_T3_T4_T5_: ; @_ZN2at6native27unrolled_elementwise_kernelINS0_12_GLOBAL__N_114CompareFunctorIlEESt5arrayIPcLm3EELi4E23TrivialOffsetCalculatorILi2EjES8_ILi1EjENS0_6memory15LoadWithoutCastENSB_16StoreWithoutCastEEEviT_T0_T2_T3_T4_T5_
; %bb.0:
	s_load_dwordx2 s[2:3], s[4:5], 0x0
	s_load_dwordx4 s[8:11], s[4:5], 0x8
	s_load_dwordx2 s[12:13], s[4:5], 0x18
	s_lshl_b32 s16, s6, 10
	v_mov_b32_e32 v10, 0
	s_waitcnt lgkmcnt(0)
	s_sub_i32 s2, s2, s16
	v_mov_b32_e32 v14, 0
	v_mov_b32_e32 v16, 0
	v_cmp_gt_i32_e64 s[0:1], s2, v0
	v_mov_b32_e32 v11, 0
	v_or_b32_e32 v1, s16, v0
	v_mov_b32_e32 v15, 0
	v_mov_b32_e32 v17, 0
	;; [unrolled: 1-line block ×3, first 2 shown]
	s_and_saveexec_b64 s[4:5], s[0:1]
	s_cbranch_execz .LBB60_2
; %bb.1:
	v_mov_b32_e32 v2, 0
	v_lshlrev_b64 v[2:3], 3, v[1:2]
	v_mov_b32_e32 v5, s11
	v_add_co_u32_e32 v4, vcc, s10, v2
	v_addc_co_u32_e32 v5, vcc, v5, v3, vcc
	v_mov_b32_e32 v6, s13
	v_add_co_u32_e32 v2, vcc, s12, v2
	v_addc_co_u32_e32 v3, vcc, v6, v3, vcc
	global_load_dwordx2 v[14:15], v[4:5], off
	global_load_dwordx2 v[16:17], v[2:3], off
	v_or_b32_e32 v18, 0x100, v0
.LBB60_2:
	s_or_b64 exec, exec, s[4:5]
	v_mov_b32_e32 v12, 0
	v_mov_b32_e32 v13, 0
	v_cmp_gt_i32_e32 vcc, s2, v18
	s_and_saveexec_b64 s[4:5], vcc
	s_cbranch_execz .LBB60_4
; %bb.3:
	v_add_u32_e32 v2, s16, v18
	v_mov_b32_e32 v3, 0
	v_lshlrev_b64 v[2:3], 3, v[2:3]
	v_mov_b32_e32 v5, s11
	v_add_co_u32_e32 v4, vcc, s10, v2
	v_addc_co_u32_e32 v5, vcc, v5, v3, vcc
	v_mov_b32_e32 v6, s13
	v_add_co_u32_e32 v2, vcc, s12, v2
	v_addc_co_u32_e32 v3, vcc, v6, v3, vcc
	global_load_dwordx2 v[10:11], v[4:5], off
	global_load_dwordx2 v[12:13], v[2:3], off
	v_add_u32_e32 v18, 0x100, v18
.LBB60_4:
	s_or_b64 exec, exec, s[4:5]
	v_mov_b32_e32 v2, 0
	v_mov_b32_e32 v6, 0
	;; [unrolled: 1-line block ×6, first 2 shown]
	v_cmp_gt_i32_e32 vcc, s2, v18
	s_and_saveexec_b64 s[4:5], vcc
	s_cbranch_execz .LBB60_6
; %bb.5:
	v_add_u32_e32 v4, s16, v18
	v_mov_b32_e32 v5, 0
	v_lshlrev_b64 v[4:5], 3, v[4:5]
	v_mov_b32_e32 v6, s11
	v_add_co_u32_e32 v19, vcc, s10, v4
	v_addc_co_u32_e32 v20, vcc, v6, v5, vcc
	v_mov_b32_e32 v6, s13
	v_add_co_u32_e32 v4, vcc, s12, v4
	v_addc_co_u32_e32 v5, vcc, v6, v5, vcc
	global_load_dwordx2 v[6:7], v[19:20], off
	global_load_dwordx2 v[8:9], v[4:5], off
	v_add_u32_e32 v18, 0x100, v18
.LBB60_6:
	s_or_b64 exec, exec, s[4:5]
	v_mov_b32_e32 v4, 0
	v_mov_b32_e32 v5, 0
	v_cmp_gt_i32_e32 vcc, s2, v18
	s_and_saveexec_b64 s[4:5], vcc
	s_cbranch_execz .LBB60_8
; %bb.7:
	v_add_u32_e32 v2, s16, v18
	v_mov_b32_e32 v3, 0
	v_lshlrev_b64 v[2:3], 3, v[2:3]
	v_mov_b32_e32 v4, s11
	v_add_co_u32_e32 v18, vcc, s10, v2
	v_addc_co_u32_e32 v19, vcc, v4, v3, vcc
	v_mov_b32_e32 v4, s13
	v_add_co_u32_e32 v20, vcc, s12, v2
	v_addc_co_u32_e32 v21, vcc, v4, v3, vcc
	global_load_dwordx2 v[2:3], v[18:19], off
	global_load_dwordx2 v[4:5], v[20:21], off
.LBB60_8:
	s_or_b64 exec, exec, s[4:5]
                                        ; implicit-def: $vgpr18
	s_and_saveexec_b64 s[4:5], s[0:1]
	s_cbranch_execz .LBB60_24
; %bb.9:
	s_cmp_lt_i32 s3, 1
	s_mov_b64 s[6:7], 0
	s_cbranch_scc1 .LBB60_13
; %bb.10:
	s_cmp_gt_i32 s3, 1
	s_cbranch_scc0 .LBB60_14
; %bb.11:
	s_cmp_eq_u32 s3, 2
	s_cbranch_scc0 .LBB60_15
; %bb.12:
	s_waitcnt vmcnt(0)
	v_cmp_le_i64_e64 s[10:11], v[14:15], v[16:17]
	s_mov_b64 s[12:13], 0
	s_branch .LBB60_16
.LBB60_13:
                                        ; implicit-def: $sgpr10_sgpr11
	s_mov_b64 s[12:13], 0
	s_cbranch_execnz .LBB60_19
	s_branch .LBB60_20
.LBB60_14:
	s_mov_b64 s[12:13], 0
                                        ; implicit-def: $sgpr10_sgpr11
	s_cbranch_execnz .LBB60_17
	s_branch .LBB60_18
.LBB60_15:
	s_mov_b64 s[12:13], -1
                                        ; implicit-def: $sgpr10_sgpr11
.LBB60_16:
	s_branch .LBB60_18
.LBB60_17:
	s_waitcnt vmcnt(0)
	v_cmp_gt_i64_e32 vcc, v[14:15], v[16:17]
	s_andn2_b64 s[10:11], s[10:11], exec
	s_and_b64 s[14:15], vcc, exec
	s_or_b64 s[10:11], s[10:11], s[14:15]
.LBB60_18:
	s_branch .LBB60_20
.LBB60_19:
	s_cmp_lg_u32 s3, 0
	s_mov_b64 s[6:7], -1
	s_cselect_b64 s[12:13], -1, 0
.LBB60_20:
	s_andn2_b64 vcc, exec, s[12:13]
	s_cbranch_vccz .LBB60_29
; %bb.21:
	s_andn2_b64 vcc, exec, s[6:7]
	s_cbranch_vccnz .LBB60_23
.LBB60_22:
	s_waitcnt vmcnt(0)
	v_cmp_ge_i64_e32 vcc, v[14:15], v[16:17]
	s_andn2_b64 s[6:7], s[10:11], exec
	s_and_b64 s[10:11], vcc, exec
	s_or_b64 s[10:11], s[6:7], s[10:11]
.LBB60_23:
	v_cndmask_b32_e64 v18, 0, 1, s[10:11]
.LBB60_24:
	s_or_b64 exec, exec, s[4:5]
	s_waitcnt vmcnt(1)
	v_or_b32_e32 v14, 0x100, v0
	v_cmp_gt_i32_e32 vcc, s2, v14
                                        ; implicit-def: $vgpr15
	s_and_saveexec_b64 s[4:5], vcc
	s_cbranch_execz .LBB60_39
; %bb.25:
	s_cmp_lt_i32 s3, 1
	s_mov_b64 s[6:7], 0
	s_cbranch_scc1 .LBB60_30
; %bb.26:
	s_cmp_gt_i32 s3, 1
	s_cbranch_scc0 .LBB60_31
; %bb.27:
	s_cmp_eq_u32 s3, 2
	s_cbranch_scc0 .LBB60_79
; %bb.28:
	s_waitcnt vmcnt(0)
	v_cmp_le_i64_e64 s[10:11], v[10:11], v[12:13]
	s_mov_b64 s[12:13], 0
	s_branch .LBB60_33
.LBB60_29:
	s_waitcnt vmcnt(0)
	v_cmp_lt_i64_e32 vcc, v[14:15], v[16:17]
	s_andn2_b64 s[10:11], s[10:11], exec
	s_and_b64 s[12:13], vcc, exec
	s_or_b64 s[10:11], s[10:11], s[12:13]
	s_cbranch_execz .LBB60_22
	s_branch .LBB60_23
.LBB60_30:
                                        ; implicit-def: $sgpr10_sgpr11
	s_mov_b64 s[12:13], 0
	s_cbranch_execnz .LBB60_34
	s_branch .LBB60_35
.LBB60_31:
	s_mov_b64 s[12:13], 0
                                        ; implicit-def: $sgpr10_sgpr11
	s_cbranch_execz .LBB60_33
; %bb.32:
	s_waitcnt vmcnt(0)
	v_cmp_gt_i64_e32 vcc, v[10:11], v[12:13]
	s_andn2_b64 s[10:11], s[10:11], exec
	s_and_b64 s[14:15], vcc, exec
	s_or_b64 s[10:11], s[10:11], s[14:15]
.LBB60_33:
	s_branch .LBB60_35
.LBB60_34:
	s_cmp_lg_u32 s3, 0
	s_mov_b64 s[6:7], -1
	s_cselect_b64 s[12:13], -1, 0
.LBB60_35:
	s_andn2_b64 vcc, exec, s[12:13]
	s_cbranch_vccz .LBB60_44
; %bb.36:
	s_andn2_b64 vcc, exec, s[6:7]
	s_cbranch_vccnz .LBB60_38
.LBB60_37:
	s_waitcnt vmcnt(0)
	v_cmp_ge_i64_e32 vcc, v[10:11], v[12:13]
	s_andn2_b64 s[6:7], s[10:11], exec
	s_and_b64 s[10:11], vcc, exec
	s_or_b64 s[10:11], s[6:7], s[10:11]
.LBB60_38:
	v_cndmask_b32_e64 v15, 0, 1, s[10:11]
.LBB60_39:
	s_or_b64 exec, exec, s[4:5]
	v_or_b32_e32 v10, 0x200, v0
	v_cmp_gt_i32_e32 vcc, s2, v10
                                        ; implicit-def: $vgpr10
	s_and_saveexec_b64 s[4:5], vcc
	s_cbranch_execz .LBB60_54
; %bb.40:
	s_cmp_lt_i32 s3, 1
	s_mov_b64 s[6:7], 0
	s_cbranch_scc1 .LBB60_45
; %bb.41:
	s_cmp_gt_i32 s3, 1
	s_cbranch_scc0 .LBB60_46
; %bb.42:
	s_cmp_eq_u32 s3, 2
	s_cbranch_scc0 .LBB60_80
; %bb.43:
	s_waitcnt vmcnt(0)
	v_cmp_le_i64_e64 s[10:11], v[6:7], v[8:9]
	s_mov_b64 s[12:13], 0
	s_branch .LBB60_48
.LBB60_44:
	s_waitcnt vmcnt(0)
	v_cmp_lt_i64_e32 vcc, v[10:11], v[12:13]
	s_andn2_b64 s[10:11], s[10:11], exec
	s_and_b64 s[12:13], vcc, exec
	s_or_b64 s[10:11], s[10:11], s[12:13]
	s_cbranch_execz .LBB60_37
	s_branch .LBB60_38
.LBB60_45:
                                        ; implicit-def: $sgpr10_sgpr11
	s_mov_b64 s[12:13], 0
	s_cbranch_execnz .LBB60_49
	s_branch .LBB60_50
.LBB60_46:
	s_mov_b64 s[12:13], 0
                                        ; implicit-def: $sgpr10_sgpr11
	s_cbranch_execz .LBB60_48
; %bb.47:
	s_waitcnt vmcnt(0)
	v_cmp_gt_i64_e32 vcc, v[6:7], v[8:9]
	s_andn2_b64 s[10:11], s[10:11], exec
	s_and_b64 s[14:15], vcc, exec
	s_or_b64 s[10:11], s[10:11], s[14:15]
.LBB60_48:
	s_branch .LBB60_50
.LBB60_49:
	s_cmp_lg_u32 s3, 0
	s_mov_b64 s[6:7], -1
	s_cselect_b64 s[12:13], -1, 0
.LBB60_50:
	s_andn2_b64 vcc, exec, s[12:13]
	s_cbranch_vccz .LBB60_59
; %bb.51:
	s_andn2_b64 vcc, exec, s[6:7]
	s_cbranch_vccnz .LBB60_53
.LBB60_52:
	s_waitcnt vmcnt(0)
	v_cmp_ge_i64_e32 vcc, v[6:7], v[8:9]
	s_andn2_b64 s[6:7], s[10:11], exec
	s_and_b64 s[10:11], vcc, exec
	s_or_b64 s[10:11], s[6:7], s[10:11]
.LBB60_53:
	v_cndmask_b32_e64 v10, 0, 1, s[10:11]
.LBB60_54:
	s_or_b64 exec, exec, s[4:5]
	v_or_b32_e32 v6, 0x300, v0
	v_cmp_gt_i32_e32 vcc, s2, v6
                                        ; implicit-def: $vgpr6
	s_and_saveexec_b64 s[4:5], vcc
	s_cbranch_execz .LBB60_69
; %bb.55:
	s_cmp_lt_i32 s3, 1
	s_mov_b64 s[6:7], 0
	s_cbranch_scc1 .LBB60_60
; %bb.56:
	s_cmp_gt_i32 s3, 1
	s_cbranch_scc0 .LBB60_61
; %bb.57:
	s_cmp_eq_u32 s3, 2
	s_cbranch_scc0 .LBB60_81
; %bb.58:
	s_waitcnt vmcnt(0)
	v_cmp_le_i64_e64 s[10:11], v[2:3], v[4:5]
	s_mov_b64 s[12:13], 0
	s_branch .LBB60_63
.LBB60_59:
	s_waitcnt vmcnt(0)
	v_cmp_lt_i64_e32 vcc, v[6:7], v[8:9]
	s_andn2_b64 s[10:11], s[10:11], exec
	s_and_b64 s[12:13], vcc, exec
	s_or_b64 s[10:11], s[10:11], s[12:13]
	s_cbranch_execz .LBB60_52
	s_branch .LBB60_53
.LBB60_60:
                                        ; implicit-def: $sgpr10_sgpr11
	s_mov_b64 s[12:13], 0
	s_cbranch_execnz .LBB60_64
	s_branch .LBB60_65
.LBB60_61:
	s_mov_b64 s[12:13], 0
                                        ; implicit-def: $sgpr10_sgpr11
	s_cbranch_execz .LBB60_63
; %bb.62:
	s_waitcnt vmcnt(0)
	v_cmp_gt_i64_e32 vcc, v[2:3], v[4:5]
	s_andn2_b64 s[10:11], s[10:11], exec
	s_and_b64 s[14:15], vcc, exec
	s_or_b64 s[10:11], s[10:11], s[14:15]
.LBB60_63:
	s_branch .LBB60_65
.LBB60_64:
	s_cmp_lg_u32 s3, 0
	s_mov_b64 s[6:7], -1
	s_cselect_b64 s[12:13], -1, 0
.LBB60_65:
	s_andn2_b64 vcc, exec, s[12:13]
	s_cbranch_vccz .LBB60_78
; %bb.66:
	s_andn2_b64 vcc, exec, s[6:7]
	s_cbranch_vccnz .LBB60_68
.LBB60_67:
	s_waitcnt vmcnt(0)
	v_cmp_ge_i64_e32 vcc, v[2:3], v[4:5]
	s_andn2_b64 s[6:7], s[10:11], exec
	s_and_b64 s[10:11], vcc, exec
	s_or_b64 s[10:11], s[6:7], s[10:11]
.LBB60_68:
	v_cndmask_b32_e64 v6, 0, 1, s[10:11]
.LBB60_69:
	s_or_b64 exec, exec, s[4:5]
	s_and_saveexec_b64 s[4:5], s[0:1]
	s_xor_b64 s[0:1], exec, s[4:5]
	s_cbranch_execz .LBB60_71
; %bb.70:
	v_mov_b32_e32 v0, v14
	global_store_byte v1, v18, s[8:9]
.LBB60_71:
	s_or_b64 exec, exec, s[0:1]
	v_cmp_gt_i32_e32 vcc, s2, v0
	s_and_saveexec_b64 s[0:1], vcc
	s_cbranch_execnz .LBB60_75
; %bb.72:
	s_or_b64 exec, exec, s[0:1]
	v_cmp_gt_i32_e32 vcc, s2, v0
	s_and_saveexec_b64 s[0:1], vcc
	s_cbranch_execnz .LBB60_76
.LBB60_73:
	s_or_b64 exec, exec, s[0:1]
	v_cmp_gt_i32_e32 vcc, s2, v0
	s_and_saveexec_b64 s[0:1], vcc
	s_cbranch_execnz .LBB60_77
.LBB60_74:
	s_endpgm
.LBB60_75:
	v_add_u32_e32 v1, 0x100, v0
	v_add_u32_e32 v0, s16, v0
	global_store_byte v0, v15, s[8:9]
	v_mov_b32_e32 v0, v1
	s_or_b64 exec, exec, s[0:1]
	v_cmp_gt_i32_e32 vcc, s2, v0
	s_and_saveexec_b64 s[0:1], vcc
	s_cbranch_execz .LBB60_73
.LBB60_76:
	v_add_u32_e32 v1, 0x100, v0
	v_add_u32_e32 v0, s16, v0
	global_store_byte v0, v10, s[8:9]
	v_mov_b32_e32 v0, v1
	s_or_b64 exec, exec, s[0:1]
	v_cmp_gt_i32_e32 vcc, s2, v0
	s_and_saveexec_b64 s[0:1], vcc
	s_cbranch_execz .LBB60_74
.LBB60_77:
	v_add_u32_e32 v0, s16, v0
	global_store_byte v0, v6, s[8:9]
	s_endpgm
.LBB60_78:
	s_waitcnt vmcnt(0)
	v_cmp_lt_i64_e32 vcc, v[2:3], v[4:5]
	s_andn2_b64 s[10:11], s[10:11], exec
	s_and_b64 s[12:13], vcc, exec
	s_or_b64 s[10:11], s[10:11], s[12:13]
	s_cbranch_execz .LBB60_67
	s_branch .LBB60_68
.LBB60_79:
	s_mov_b64 s[12:13], -1
                                        ; implicit-def: $sgpr10_sgpr11
	s_branch .LBB60_33
.LBB60_80:
	s_mov_b64 s[12:13], -1
                                        ; implicit-def: $sgpr10_sgpr11
	s_branch .LBB60_48
.LBB60_81:
	s_mov_b64 s[12:13], -1
                                        ; implicit-def: $sgpr10_sgpr11
	s_branch .LBB60_63
	.section	.rodata,"a",@progbits
	.p2align	6, 0x0
	.amdhsa_kernel _ZN2at6native27unrolled_elementwise_kernelINS0_12_GLOBAL__N_114CompareFunctorIlEESt5arrayIPcLm3EELi4E23TrivialOffsetCalculatorILi2EjES8_ILi1EjENS0_6memory15LoadWithoutCastENSB_16StoreWithoutCastEEEviT_T0_T2_T3_T4_T5_
		.amdhsa_group_segment_fixed_size 0
		.amdhsa_private_segment_fixed_size 0
		.amdhsa_kernarg_size 36
		.amdhsa_user_sgpr_count 6
		.amdhsa_user_sgpr_private_segment_buffer 1
		.amdhsa_user_sgpr_dispatch_ptr 0
		.amdhsa_user_sgpr_queue_ptr 0
		.amdhsa_user_sgpr_kernarg_segment_ptr 1
		.amdhsa_user_sgpr_dispatch_id 0
		.amdhsa_user_sgpr_flat_scratch_init 0
		.amdhsa_user_sgpr_private_segment_size 0
		.amdhsa_uses_dynamic_stack 0
		.amdhsa_system_sgpr_private_segment_wavefront_offset 0
		.amdhsa_system_sgpr_workgroup_id_x 1
		.amdhsa_system_sgpr_workgroup_id_y 0
		.amdhsa_system_sgpr_workgroup_id_z 0
		.amdhsa_system_sgpr_workgroup_info 0
		.amdhsa_system_vgpr_workitem_id 0
		.amdhsa_next_free_vgpr 22
		.amdhsa_next_free_sgpr 17
		.amdhsa_reserve_vcc 1
		.amdhsa_reserve_flat_scratch 0
		.amdhsa_float_round_mode_32 0
		.amdhsa_float_round_mode_16_64 0
		.amdhsa_float_denorm_mode_32 3
		.amdhsa_float_denorm_mode_16_64 3
		.amdhsa_dx10_clamp 1
		.amdhsa_ieee_mode 1
		.amdhsa_fp16_overflow 0
		.amdhsa_exception_fp_ieee_invalid_op 0
		.amdhsa_exception_fp_denorm_src 0
		.amdhsa_exception_fp_ieee_div_zero 0
		.amdhsa_exception_fp_ieee_overflow 0
		.amdhsa_exception_fp_ieee_underflow 0
		.amdhsa_exception_fp_ieee_inexact 0
		.amdhsa_exception_int_div_zero 0
	.end_amdhsa_kernel
	.section	.text._ZN2at6native27unrolled_elementwise_kernelINS0_12_GLOBAL__N_114CompareFunctorIlEESt5arrayIPcLm3EELi4E23TrivialOffsetCalculatorILi2EjES8_ILi1EjENS0_6memory15LoadWithoutCastENSB_16StoreWithoutCastEEEviT_T0_T2_T3_T4_T5_,"axG",@progbits,_ZN2at6native27unrolled_elementwise_kernelINS0_12_GLOBAL__N_114CompareFunctorIlEESt5arrayIPcLm3EELi4E23TrivialOffsetCalculatorILi2EjES8_ILi1EjENS0_6memory15LoadWithoutCastENSB_16StoreWithoutCastEEEviT_T0_T2_T3_T4_T5_,comdat
.Lfunc_end60:
	.size	_ZN2at6native27unrolled_elementwise_kernelINS0_12_GLOBAL__N_114CompareFunctorIlEESt5arrayIPcLm3EELi4E23TrivialOffsetCalculatorILi2EjES8_ILi1EjENS0_6memory15LoadWithoutCastENSB_16StoreWithoutCastEEEviT_T0_T2_T3_T4_T5_, .Lfunc_end60-_ZN2at6native27unrolled_elementwise_kernelINS0_12_GLOBAL__N_114CompareFunctorIlEESt5arrayIPcLm3EELi4E23TrivialOffsetCalculatorILi2EjES8_ILi1EjENS0_6memory15LoadWithoutCastENSB_16StoreWithoutCastEEEviT_T0_T2_T3_T4_T5_
                                        ; -- End function
	.set _ZN2at6native27unrolled_elementwise_kernelINS0_12_GLOBAL__N_114CompareFunctorIlEESt5arrayIPcLm3EELi4E23TrivialOffsetCalculatorILi2EjES8_ILi1EjENS0_6memory15LoadWithoutCastENSB_16StoreWithoutCastEEEviT_T0_T2_T3_T4_T5_.num_vgpr, 22
	.set _ZN2at6native27unrolled_elementwise_kernelINS0_12_GLOBAL__N_114CompareFunctorIlEESt5arrayIPcLm3EELi4E23TrivialOffsetCalculatorILi2EjES8_ILi1EjENS0_6memory15LoadWithoutCastENSB_16StoreWithoutCastEEEviT_T0_T2_T3_T4_T5_.num_agpr, 0
	.set _ZN2at6native27unrolled_elementwise_kernelINS0_12_GLOBAL__N_114CompareFunctorIlEESt5arrayIPcLm3EELi4E23TrivialOffsetCalculatorILi2EjES8_ILi1EjENS0_6memory15LoadWithoutCastENSB_16StoreWithoutCastEEEviT_T0_T2_T3_T4_T5_.numbered_sgpr, 17
	.set _ZN2at6native27unrolled_elementwise_kernelINS0_12_GLOBAL__N_114CompareFunctorIlEESt5arrayIPcLm3EELi4E23TrivialOffsetCalculatorILi2EjES8_ILi1EjENS0_6memory15LoadWithoutCastENSB_16StoreWithoutCastEEEviT_T0_T2_T3_T4_T5_.num_named_barrier, 0
	.set _ZN2at6native27unrolled_elementwise_kernelINS0_12_GLOBAL__N_114CompareFunctorIlEESt5arrayIPcLm3EELi4E23TrivialOffsetCalculatorILi2EjES8_ILi1EjENS0_6memory15LoadWithoutCastENSB_16StoreWithoutCastEEEviT_T0_T2_T3_T4_T5_.private_seg_size, 0
	.set _ZN2at6native27unrolled_elementwise_kernelINS0_12_GLOBAL__N_114CompareFunctorIlEESt5arrayIPcLm3EELi4E23TrivialOffsetCalculatorILi2EjES8_ILi1EjENS0_6memory15LoadWithoutCastENSB_16StoreWithoutCastEEEviT_T0_T2_T3_T4_T5_.uses_vcc, 1
	.set _ZN2at6native27unrolled_elementwise_kernelINS0_12_GLOBAL__N_114CompareFunctorIlEESt5arrayIPcLm3EELi4E23TrivialOffsetCalculatorILi2EjES8_ILi1EjENS0_6memory15LoadWithoutCastENSB_16StoreWithoutCastEEEviT_T0_T2_T3_T4_T5_.uses_flat_scratch, 0
	.set _ZN2at6native27unrolled_elementwise_kernelINS0_12_GLOBAL__N_114CompareFunctorIlEESt5arrayIPcLm3EELi4E23TrivialOffsetCalculatorILi2EjES8_ILi1EjENS0_6memory15LoadWithoutCastENSB_16StoreWithoutCastEEEviT_T0_T2_T3_T4_T5_.has_dyn_sized_stack, 0
	.set _ZN2at6native27unrolled_elementwise_kernelINS0_12_GLOBAL__N_114CompareFunctorIlEESt5arrayIPcLm3EELi4E23TrivialOffsetCalculatorILi2EjES8_ILi1EjENS0_6memory15LoadWithoutCastENSB_16StoreWithoutCastEEEviT_T0_T2_T3_T4_T5_.has_recursion, 0
	.set _ZN2at6native27unrolled_elementwise_kernelINS0_12_GLOBAL__N_114CompareFunctorIlEESt5arrayIPcLm3EELi4E23TrivialOffsetCalculatorILi2EjES8_ILi1EjENS0_6memory15LoadWithoutCastENSB_16StoreWithoutCastEEEviT_T0_T2_T3_T4_T5_.has_indirect_call, 0
	.section	.AMDGPU.csdata,"",@progbits
; Kernel info:
; codeLenInByte = 1420
; TotalNumSgprs: 21
; NumVgprs: 22
; ScratchSize: 0
; MemoryBound: 0
; FloatMode: 240
; IeeeMode: 1
; LDSByteSize: 0 bytes/workgroup (compile time only)
; SGPRBlocks: 2
; VGPRBlocks: 5
; NumSGPRsForWavesPerEU: 21
; NumVGPRsForWavesPerEU: 22
; Occupancy: 10
; WaveLimiterHint : 0
; COMPUTE_PGM_RSRC2:SCRATCH_EN: 0
; COMPUTE_PGM_RSRC2:USER_SGPR: 6
; COMPUTE_PGM_RSRC2:TRAP_HANDLER: 0
; COMPUTE_PGM_RSRC2:TGID_X_EN: 1
; COMPUTE_PGM_RSRC2:TGID_Y_EN: 0
; COMPUTE_PGM_RSRC2:TGID_Z_EN: 0
; COMPUTE_PGM_RSRC2:TIDIG_COMP_CNT: 0
	.section	.text._ZN2at6native32elementwise_kernel_manual_unrollILi128ELi8EZNS0_22gpu_kernel_impl_nocastINS0_12_GLOBAL__N_114CompareFunctorIlEEEEvRNS_18TensorIteratorBaseERKT_EUlibE_EEviT1_,"axG",@progbits,_ZN2at6native32elementwise_kernel_manual_unrollILi128ELi8EZNS0_22gpu_kernel_impl_nocastINS0_12_GLOBAL__N_114CompareFunctorIlEEEEvRNS_18TensorIteratorBaseERKT_EUlibE_EEviT1_,comdat
	.globl	_ZN2at6native32elementwise_kernel_manual_unrollILi128ELi8EZNS0_22gpu_kernel_impl_nocastINS0_12_GLOBAL__N_114CompareFunctorIlEEEEvRNS_18TensorIteratorBaseERKT_EUlibE_EEviT1_ ; -- Begin function _ZN2at6native32elementwise_kernel_manual_unrollILi128ELi8EZNS0_22gpu_kernel_impl_nocastINS0_12_GLOBAL__N_114CompareFunctorIlEEEEvRNS_18TensorIteratorBaseERKT_EUlibE_EEviT1_
	.p2align	8
	.type	_ZN2at6native32elementwise_kernel_manual_unrollILi128ELi8EZNS0_22gpu_kernel_impl_nocastINS0_12_GLOBAL__N_114CompareFunctorIlEEEEvRNS_18TensorIteratorBaseERKT_EUlibE_EEviT1_,@function
_ZN2at6native32elementwise_kernel_manual_unrollILi128ELi8EZNS0_22gpu_kernel_impl_nocastINS0_12_GLOBAL__N_114CompareFunctorIlEEEEvRNS_18TensorIteratorBaseERKT_EUlibE_EEviT1_: ; @_ZN2at6native32elementwise_kernel_manual_unrollILi128ELi8EZNS0_22gpu_kernel_impl_nocastINS0_12_GLOBAL__N_114CompareFunctorIlEEEEvRNS_18TensorIteratorBaseERKT_EUlibE_EEviT1_
; %bb.0:
	s_load_dword s43, s[4:5], 0x0
	s_load_dword s33, s[4:5], 0x8
	s_add_u32 s12, s4, 8
	s_addc_u32 s13, s5, 0
	v_lshl_or_b32 v21, s6, 10, v0
	v_or_b32_e32 v37, 0x380, v21
	s_waitcnt lgkmcnt(0)
	s_add_i32 s40, s33, -1
	s_cmp_gt_u32 s40, 1
	v_cmp_le_i32_e32 vcc, s43, v37
	s_cselect_b64 s[14:15], -1, 0
	s_and_saveexec_b64 s[0:1], vcc
	s_xor_b64 s[16:17], exec, s[0:1]
	s_cbranch_execz .LBB61_211
; %bb.1:
	s_load_dwordx4 s[8:11], s[12:13], 0x4
	s_load_dwordx2 s[22:23], s[12:13], 0x14
	s_load_dwordx4 s[4:7], s[12:13], 0xc4
	s_load_dwordx2 s[20:21], s[12:13], 0xd4
	s_load_dwordx2 s[18:19], s[12:13], 0x198
	s_load_dwordx4 s[0:3], s[12:13], 0x188
	s_load_dword s41, s[12:13], 0x1a0
	s_cmp_lg_u32 s33, 0
	s_cselect_b64 s[26:27], -1, 0
	s_min_u32 s42, s40, 15
	s_cmp_gt_u32 s33, 1
	s_cselect_b64 s[24:25], -1, 0
	v_cmp_gt_i32_e32 vcc, s43, v21
	s_and_saveexec_b64 s[28:29], vcc
	s_cbranch_execnz .LBB61_9
; %bb.2:
	s_or_b64 exec, exec, s[28:29]
	v_cmp_gt_i32_e32 vcc, s43, v21
	s_and_saveexec_b64 s[28:29], vcc
	s_cbranch_execnz .LBB61_35
.LBB61_3:
	s_or_b64 exec, exec, s[28:29]
	v_cmp_gt_i32_e32 vcc, s43, v21
	s_and_saveexec_b64 s[28:29], vcc
	s_cbranch_execnz .LBB61_60
.LBB61_4:
	s_or_b64 exec, exec, s[28:29]
	v_cmp_gt_i32_e32 vcc, s43, v21
	s_and_saveexec_b64 s[28:29], vcc
	s_cbranch_execnz .LBB61_85
.LBB61_5:
	s_or_b64 exec, exec, s[28:29]
	v_cmp_gt_i32_e32 vcc, s43, v21
	s_and_saveexec_b64 s[28:29], vcc
	s_cbranch_execnz .LBB61_110
.LBB61_6:
	s_or_b64 exec, exec, s[28:29]
	v_cmp_gt_i32_e32 vcc, s43, v21
	s_and_saveexec_b64 s[28:29], vcc
	s_cbranch_execnz .LBB61_135
.LBB61_7:
	s_or_b64 exec, exec, s[28:29]
	v_cmp_gt_i32_e32 vcc, s43, v21
	s_and_saveexec_b64 s[28:29], vcc
	s_cbranch_execnz .LBB61_160
.LBB61_8:
	s_or_b64 exec, exec, s[28:29]
	v_cmp_gt_i32_e32 vcc, s43, v21
	s_and_saveexec_b64 s[28:29], vcc
	s_cbranch_execnz .LBB61_185
	s_branch .LBB61_210
.LBB61_9:
	s_andn2_b64 vcc, exec, s[14:15]
	s_cbranch_vccnz .LBB61_15
; %bb.10:
	s_andn2_b64 vcc, exec, s[26:27]
	s_cbranch_vccnz .LBB61_16
; %bb.11:
	s_add_i32 s30, s42, 1
	s_and_b32 s34, s30, 30
	s_add_u32 s30, s12, 0xffffffe8
	s_addc_u32 s31, s13, -1
	v_mov_b32_e32 v2, 0
	v_mov_b32_e32 v4, 0
	;; [unrolled: 1-line block ×4, first 2 shown]
.LBB61_12:                              ; =>This Inner Loop Header: Depth=1
	s_load_dwordx4 s[36:39], s[30:31], 0x1c
	s_load_dwordx2 s[48:49], s[30:31], 0x2c
	s_load_dwordx2 s[50:51], s[30:31], 0xec
	s_load_dwordx4 s[44:47], s[30:31], 0xdc
	s_add_u32 s30, s30, 24
	s_waitcnt lgkmcnt(0)
	v_mul_hi_u32 v3, s37, v1
	s_addc_u32 s31, s31, 0
	s_add_i32 s34, s34, -2
	s_cmp_lg_u32 s34, 0
	v_add_u32_e32 v3, v1, v3
	v_lshrrev_b32_e32 v3, s38, v3
	v_mul_lo_u32 v5, v3, s36
	v_mul_hi_u32 v6, s48, v3
	v_sub_u32_e32 v5, v1, v5
	v_add_u32_e32 v1, v3, v6
	v_lshrrev_b32_e32 v1, s49, v1
	v_mul_lo_u32 v8, v1, s39
	v_mul_lo_u32 v6, v5, s44
	v_mul_lo_u32 v7, v5, s45
	v_mul_lo_u32 v5, v5, s46
	v_sub_u32_e32 v3, v3, v8
	v_mul_lo_u32 v8, v3, s47
	v_mul_lo_u32 v9, v3, s50
	;; [unrolled: 1-line block ×3, first 2 shown]
	v_add3_u32 v0, v6, v0, v8
	v_add3_u32 v4, v7, v4, v9
	;; [unrolled: 1-line block ×3, first 2 shown]
	s_cbranch_scc1 .LBB61_12
; %bb.13:
	s_bitcmp1_b32 s42, 0
	s_cselect_b64 s[34:35], -1, 0
	s_and_b64 vcc, exec, s[34:35]
	s_cbranch_vccnz .LBB61_17
; %bb.14:
	s_load_dwordx2 s[34:35], s[30:31], 0x1c
	s_load_dword s38, s[30:31], 0x24
	s_load_dwordx2 s[36:37], s[30:31], 0xdc
	s_waitcnt lgkmcnt(0)
	v_mul_hi_u32 v3, s35, v1
	v_add_u32_e32 v3, v1, v3
	v_lshrrev_b32_e32 v3, s38, v3
	v_mul_lo_u32 v3, v3, s34
	s_load_dword s34, s[30:31], 0xe4
	v_sub_u32_e32 v3, v1, v3
	v_mad_u64_u32 v[0:1], s[30:31], v3, s36, v[0:1]
	v_mad_u64_u32 v[4:5], s[30:31], v3, s37, v[4:5]
	s_waitcnt lgkmcnt(0)
	v_mad_u64_u32 v[2:3], s[30:31], v3, s34, v[2:3]
	s_cbranch_execz .LBB61_18
	s_branch .LBB61_20
.LBB61_15:
                                        ; implicit-def: $vgpr0
                                        ; implicit-def: $vgpr4
                                        ; implicit-def: $vgpr2
	s_branch .LBB61_18
.LBB61_16:
	v_mov_b32_e32 v0, 0
	v_mov_b32_e32 v4, 0
	;; [unrolled: 1-line block ×3, first 2 shown]
.LBB61_17:
	s_cbranch_execnz .LBB61_20
.LBB61_18:
	s_waitcnt lgkmcnt(0)
	v_mul_hi_u32 v0, s9, v21
	s_andn2_b64 vcc, exec, s[24:25]
	v_add_u32_e32 v0, v21, v0
	v_lshrrev_b32_e32 v1, s10, v0
	v_mul_lo_u32 v0, v1, s8
	v_sub_u32_e32 v2, v21, v0
	v_mul_lo_u32 v0, v2, s4
	v_mul_lo_u32 v4, v2, s5
	;; [unrolled: 1-line block ×3, first 2 shown]
	s_cbranch_vccnz .LBB61_20
; %bb.19:
	v_mul_hi_u32 v3, s22, v1
	v_add_u32_e32 v3, v1, v3
	v_lshrrev_b32_e32 v3, s23, v3
	v_mul_lo_u32 v3, v3, s11
	v_sub_u32_e32 v3, v1, v3
	v_mad_u64_u32 v[0:1], s[30:31], v3, s7, v[0:1]
	v_mad_u64_u32 v[4:5], s[30:31], v3, s20, v[4:5]
	v_mad_u64_u32 v[2:3], s[30:31], v3, s21, v[2:3]
.LBB61_20:
	s_waitcnt lgkmcnt(0)
	global_load_dwordx2 v[5:6], v4, s[2:3]
	global_load_dwordx2 v[7:8], v2, s[18:19]
	s_cmp_lt_i32 s41, 1
	s_mov_b64 s[30:31], 0
	s_cbranch_scc1 .LBB61_24
; %bb.21:
	s_cmp_gt_i32 s41, 1
	s_cbranch_scc0 .LBB61_25
; %bb.22:
	s_cmp_eq_u32 s41, 2
	s_cbranch_scc0 .LBB61_26
; %bb.23:
	s_waitcnt vmcnt(0)
	v_cmp_le_i64_e64 s[34:35], v[5:6], v[7:8]
	s_mov_b64 s[36:37], 0
	s_branch .LBB61_27
.LBB61_24:
                                        ; implicit-def: $sgpr34_sgpr35
	s_mov_b64 s[36:37], 0
	s_cbranch_execnz .LBB61_30
	s_branch .LBB61_31
.LBB61_25:
	s_mov_b64 s[36:37], 0
                                        ; implicit-def: $sgpr34_sgpr35
	s_cbranch_execnz .LBB61_28
	s_branch .LBB61_29
.LBB61_26:
	s_mov_b64 s[36:37], -1
                                        ; implicit-def: $sgpr34_sgpr35
.LBB61_27:
	s_branch .LBB61_29
.LBB61_28:
	s_waitcnt vmcnt(0)
	v_cmp_gt_i64_e32 vcc, v[5:6], v[7:8]
	s_andn2_b64 s[34:35], s[34:35], exec
	s_and_b64 s[38:39], vcc, exec
	s_or_b64 s[34:35], s[34:35], s[38:39]
.LBB61_29:
	s_branch .LBB61_31
.LBB61_30:
	s_cmp_lg_u32 s41, 0
	s_mov_b64 s[30:31], -1
	s_cselect_b64 s[36:37], -1, 0
.LBB61_31:
	s_andn2_b64 vcc, exec, s[36:37]
	s_cbranch_vccz .LBB61_41
; %bb.32:
	s_andn2_b64 vcc, exec, s[30:31]
	s_cbranch_vccnz .LBB61_34
.LBB61_33:
	s_waitcnt vmcnt(0)
	v_cmp_ge_i64_e32 vcc, v[5:6], v[7:8]
	s_andn2_b64 s[30:31], s[34:35], exec
	s_and_b64 s[34:35], vcc, exec
	s_or_b64 s[34:35], s[30:31], s[34:35]
.LBB61_34:
	v_cndmask_b32_e64 v1, 0, 1, s[34:35]
	v_add_u32_e32 v21, 0x80, v21
	global_store_byte v0, v1, s[0:1]
	s_or_b64 exec, exec, s[28:29]
	v_cmp_gt_i32_e32 vcc, s43, v21
	s_and_saveexec_b64 s[28:29], vcc
	s_cbranch_execz .LBB61_3
.LBB61_35:
	s_andn2_b64 vcc, exec, s[14:15]
	s_cbranch_vccnz .LBB61_42
; %bb.36:
	s_andn2_b64 vcc, exec, s[26:27]
	s_cbranch_vccnz .LBB61_43
; %bb.37:
	s_add_i32 s30, s42, 1
	s_and_b32 s34, s30, 30
	s_add_u32 s30, s12, 0xffffffe8
	s_addc_u32 s31, s13, -1
	v_mov_b32_e32 v2, 0
	v_mov_b32_e32 v4, 0
	;; [unrolled: 1-line block ×4, first 2 shown]
.LBB61_38:                              ; =>This Inner Loop Header: Depth=1
	s_load_dwordx4 s[36:39], s[30:31], 0x1c
	s_load_dwordx2 s[48:49], s[30:31], 0x2c
	s_load_dwordx2 s[50:51], s[30:31], 0xec
	s_load_dwordx4 s[44:47], s[30:31], 0xdc
	s_add_u32 s30, s30, 24
	s_waitcnt lgkmcnt(0)
	v_mul_hi_u32 v3, s37, v1
	s_addc_u32 s31, s31, 0
	s_add_i32 s34, s34, -2
	s_cmp_eq_u32 s34, 0
	v_add_u32_e32 v3, v1, v3
	v_lshrrev_b32_e32 v3, s38, v3
	s_waitcnt vmcnt(2)
	v_mul_lo_u32 v5, v3, s36
	v_mul_hi_u32 v6, s48, v3
	v_sub_u32_e32 v5, v1, v5
	v_add_u32_e32 v1, v3, v6
	v_lshrrev_b32_e32 v1, s49, v1
	s_waitcnt vmcnt(1)
	v_mul_lo_u32 v8, v1, s39
	v_mul_lo_u32 v6, v5, s44
	;; [unrolled: 1-line block ×4, first 2 shown]
	v_sub_u32_e32 v3, v3, v8
	v_mul_lo_u32 v8, v3, s47
	v_mul_lo_u32 v9, v3, s50
	;; [unrolled: 1-line block ×3, first 2 shown]
	v_add3_u32 v0, v6, v0, v8
	v_add3_u32 v4, v7, v4, v9
	;; [unrolled: 1-line block ×3, first 2 shown]
	s_cbranch_scc0 .LBB61_38
; %bb.39:
	s_bitcmp1_b32 s42, 0
	s_cselect_b64 s[34:35], -1, 0
	s_and_b64 vcc, exec, s[34:35]
	s_cbranch_vccnz .LBB61_44
; %bb.40:
	s_load_dwordx2 s[34:35], s[30:31], 0x1c
	s_load_dword s38, s[30:31], 0x24
	s_load_dwordx2 s[36:37], s[30:31], 0xdc
	s_waitcnt lgkmcnt(0)
	v_mul_hi_u32 v3, s35, v1
	v_add_u32_e32 v3, v1, v3
	v_lshrrev_b32_e32 v3, s38, v3
	v_mul_lo_u32 v3, v3, s34
	s_load_dword s34, s[30:31], 0xe4
	v_sub_u32_e32 v3, v1, v3
	v_mad_u64_u32 v[0:1], s[30:31], v3, s36, v[0:1]
	v_mad_u64_u32 v[4:5], s[30:31], v3, s37, v[4:5]
	s_waitcnt lgkmcnt(0)
	v_mad_u64_u32 v[2:3], s[30:31], v3, s34, v[2:3]
	s_branch .LBB61_44
.LBB61_41:
	s_waitcnt vmcnt(0)
	v_cmp_lt_i64_e32 vcc, v[5:6], v[7:8]
	s_andn2_b64 s[34:35], s[34:35], exec
	s_and_b64 s[36:37], vcc, exec
	s_or_b64 s[34:35], s[34:35], s[36:37]
	s_cbranch_execz .LBB61_33
	s_branch .LBB61_34
.LBB61_42:
                                        ; implicit-def: $vgpr0
                                        ; implicit-def: $vgpr4
                                        ; implicit-def: $vgpr2
	s_branch .LBB61_45
.LBB61_43:
	v_mov_b32_e32 v0, 0
	v_mov_b32_e32 v4, 0
	;; [unrolled: 1-line block ×3, first 2 shown]
.LBB61_44:
	s_cbranch_execnz .LBB61_47
.LBB61_45:
	s_waitcnt lgkmcnt(0)
	v_mul_hi_u32 v0, s9, v21
	s_andn2_b64 vcc, exec, s[24:25]
	v_add_u32_e32 v0, v21, v0
	v_lshrrev_b32_e32 v1, s10, v0
	v_mul_lo_u32 v0, v1, s8
	v_sub_u32_e32 v2, v21, v0
	v_mul_lo_u32 v0, v2, s4
	v_mul_lo_u32 v4, v2, s5
	;; [unrolled: 1-line block ×3, first 2 shown]
	s_cbranch_vccnz .LBB61_47
; %bb.46:
	v_mul_hi_u32 v3, s22, v1
	v_add_u32_e32 v3, v1, v3
	v_lshrrev_b32_e32 v3, s23, v3
	v_mul_lo_u32 v3, v3, s11
	v_sub_u32_e32 v3, v1, v3
	v_mad_u64_u32 v[0:1], s[30:31], v3, s7, v[0:1]
	s_waitcnt vmcnt(2)
	v_mad_u64_u32 v[4:5], s[30:31], v3, s20, v[4:5]
	v_mad_u64_u32 v[2:3], s[30:31], v3, s21, v[2:3]
.LBB61_47:
	s_waitcnt lgkmcnt(0)
	global_load_dwordx2 v[5:6], v4, s[2:3]
	global_load_dwordx2 v[7:8], v2, s[18:19]
	s_cmp_lt_i32 s41, 1
	s_mov_b64 s[30:31], 0
	s_cbranch_scc1 .LBB61_51
; %bb.48:
	s_cmp_gt_i32 s41, 1
	s_cbranch_scc0 .LBB61_52
; %bb.49:
	s_cmp_eq_u32 s41, 2
	s_cbranch_scc0 .LBB61_423
; %bb.50:
	s_waitcnt vmcnt(0)
	v_cmp_le_i64_e64 s[34:35], v[5:6], v[7:8]
	s_mov_b64 s[36:37], 0
	s_branch .LBB61_54
.LBB61_51:
                                        ; implicit-def: $sgpr34_sgpr35
	s_mov_b64 s[36:37], 0
	s_cbranch_execnz .LBB61_55
	s_branch .LBB61_56
.LBB61_52:
	s_mov_b64 s[36:37], 0
                                        ; implicit-def: $sgpr34_sgpr35
	s_cbranch_execz .LBB61_54
; %bb.53:
	s_waitcnt vmcnt(0)
	v_cmp_gt_i64_e32 vcc, v[5:6], v[7:8]
	s_andn2_b64 s[34:35], s[34:35], exec
	s_and_b64 s[38:39], vcc, exec
	s_or_b64 s[34:35], s[34:35], s[38:39]
.LBB61_54:
	s_branch .LBB61_56
.LBB61_55:
	s_cmp_lg_u32 s41, 0
	s_mov_b64 s[30:31], -1
	s_cselect_b64 s[36:37], -1, 0
.LBB61_56:
	s_andn2_b64 vcc, exec, s[36:37]
	s_cbranch_vccz .LBB61_66
; %bb.57:
	s_andn2_b64 vcc, exec, s[30:31]
	s_cbranch_vccnz .LBB61_59
.LBB61_58:
	s_waitcnt vmcnt(0)
	v_cmp_ge_i64_e32 vcc, v[5:6], v[7:8]
	s_andn2_b64 s[30:31], s[34:35], exec
	s_and_b64 s[34:35], vcc, exec
	s_or_b64 s[34:35], s[30:31], s[34:35]
.LBB61_59:
	v_cndmask_b32_e64 v1, 0, 1, s[34:35]
	v_add_u32_e32 v21, 0x80, v21
	global_store_byte v0, v1, s[0:1]
	s_or_b64 exec, exec, s[28:29]
	v_cmp_gt_i32_e32 vcc, s43, v21
	s_and_saveexec_b64 s[28:29], vcc
	s_cbranch_execz .LBB61_4
.LBB61_60:
	s_andn2_b64 vcc, exec, s[14:15]
	s_cbranch_vccnz .LBB61_67
; %bb.61:
	s_andn2_b64 vcc, exec, s[26:27]
	s_cbranch_vccnz .LBB61_68
; %bb.62:
	s_add_i32 s30, s42, 1
	s_and_b32 s34, s30, 30
	s_add_u32 s30, s12, 0xffffffe8
	s_addc_u32 s31, s13, -1
	v_mov_b32_e32 v2, 0
	v_mov_b32_e32 v4, 0
	;; [unrolled: 1-line block ×4, first 2 shown]
.LBB61_63:                              ; =>This Inner Loop Header: Depth=1
	s_load_dwordx4 s[36:39], s[30:31], 0x1c
	s_load_dwordx2 s[48:49], s[30:31], 0x2c
	s_load_dwordx2 s[50:51], s[30:31], 0xec
	s_load_dwordx4 s[44:47], s[30:31], 0xdc
	s_add_u32 s30, s30, 24
	s_waitcnt lgkmcnt(0)
	v_mul_hi_u32 v3, s37, v1
	s_addc_u32 s31, s31, 0
	s_add_i32 s34, s34, -2
	s_cmp_eq_u32 s34, 0
	v_add_u32_e32 v3, v1, v3
	v_lshrrev_b32_e32 v3, s38, v3
	s_waitcnt vmcnt(2)
	v_mul_lo_u32 v5, v3, s36
	v_mul_hi_u32 v6, s48, v3
	v_sub_u32_e32 v5, v1, v5
	v_add_u32_e32 v1, v3, v6
	v_lshrrev_b32_e32 v1, s49, v1
	s_waitcnt vmcnt(1)
	v_mul_lo_u32 v8, v1, s39
	v_mul_lo_u32 v6, v5, s44
	;; [unrolled: 1-line block ×4, first 2 shown]
	v_sub_u32_e32 v3, v3, v8
	v_mul_lo_u32 v8, v3, s47
	v_mul_lo_u32 v9, v3, s50
	;; [unrolled: 1-line block ×3, first 2 shown]
	v_add3_u32 v0, v6, v0, v8
	v_add3_u32 v4, v7, v4, v9
	;; [unrolled: 1-line block ×3, first 2 shown]
	s_cbranch_scc0 .LBB61_63
; %bb.64:
	s_bitcmp1_b32 s42, 0
	s_cselect_b64 s[34:35], -1, 0
	s_and_b64 vcc, exec, s[34:35]
	s_cbranch_vccnz .LBB61_69
; %bb.65:
	s_load_dwordx2 s[34:35], s[30:31], 0x1c
	s_load_dword s38, s[30:31], 0x24
	s_load_dwordx2 s[36:37], s[30:31], 0xdc
	s_waitcnt lgkmcnt(0)
	v_mul_hi_u32 v3, s35, v1
	v_add_u32_e32 v3, v1, v3
	v_lshrrev_b32_e32 v3, s38, v3
	v_mul_lo_u32 v3, v3, s34
	s_load_dword s34, s[30:31], 0xe4
	v_sub_u32_e32 v3, v1, v3
	v_mad_u64_u32 v[0:1], s[30:31], v3, s36, v[0:1]
	v_mad_u64_u32 v[4:5], s[30:31], v3, s37, v[4:5]
	s_waitcnt lgkmcnt(0)
	v_mad_u64_u32 v[2:3], s[30:31], v3, s34, v[2:3]
	s_branch .LBB61_69
.LBB61_66:
	s_waitcnt vmcnt(0)
	v_cmp_lt_i64_e32 vcc, v[5:6], v[7:8]
	s_andn2_b64 s[34:35], s[34:35], exec
	s_and_b64 s[36:37], vcc, exec
	s_or_b64 s[34:35], s[34:35], s[36:37]
	s_cbranch_execz .LBB61_58
	s_branch .LBB61_59
.LBB61_67:
                                        ; implicit-def: $vgpr0
                                        ; implicit-def: $vgpr4
                                        ; implicit-def: $vgpr2
	s_branch .LBB61_70
.LBB61_68:
	v_mov_b32_e32 v0, 0
	v_mov_b32_e32 v4, 0
	;; [unrolled: 1-line block ×3, first 2 shown]
.LBB61_69:
	s_cbranch_execnz .LBB61_72
.LBB61_70:
	s_waitcnt lgkmcnt(0)
	v_mul_hi_u32 v0, s9, v21
	s_andn2_b64 vcc, exec, s[24:25]
	v_add_u32_e32 v0, v21, v0
	v_lshrrev_b32_e32 v1, s10, v0
	v_mul_lo_u32 v0, v1, s8
	v_sub_u32_e32 v2, v21, v0
	v_mul_lo_u32 v0, v2, s4
	v_mul_lo_u32 v4, v2, s5
	;; [unrolled: 1-line block ×3, first 2 shown]
	s_cbranch_vccnz .LBB61_72
; %bb.71:
	v_mul_hi_u32 v3, s22, v1
	v_add_u32_e32 v3, v1, v3
	v_lshrrev_b32_e32 v3, s23, v3
	v_mul_lo_u32 v3, v3, s11
	v_sub_u32_e32 v3, v1, v3
	v_mad_u64_u32 v[0:1], s[30:31], v3, s7, v[0:1]
	s_waitcnt vmcnt(2)
	v_mad_u64_u32 v[4:5], s[30:31], v3, s20, v[4:5]
	v_mad_u64_u32 v[2:3], s[30:31], v3, s21, v[2:3]
.LBB61_72:
	s_waitcnt lgkmcnt(0)
	global_load_dwordx2 v[5:6], v4, s[2:3]
	global_load_dwordx2 v[7:8], v2, s[18:19]
	s_cmp_lt_i32 s41, 1
	s_mov_b64 s[30:31], 0
	s_cbranch_scc1 .LBB61_76
; %bb.73:
	s_cmp_gt_i32 s41, 1
	s_cbranch_scc0 .LBB61_77
; %bb.74:
	s_cmp_eq_u32 s41, 2
	s_cbranch_scc0 .LBB61_424
; %bb.75:
	s_waitcnt vmcnt(0)
	v_cmp_le_i64_e64 s[34:35], v[5:6], v[7:8]
	s_mov_b64 s[36:37], 0
	s_branch .LBB61_79
.LBB61_76:
                                        ; implicit-def: $sgpr34_sgpr35
	s_mov_b64 s[36:37], 0
	s_cbranch_execnz .LBB61_80
	s_branch .LBB61_81
.LBB61_77:
	s_mov_b64 s[36:37], 0
                                        ; implicit-def: $sgpr34_sgpr35
	s_cbranch_execz .LBB61_79
; %bb.78:
	s_waitcnt vmcnt(0)
	v_cmp_gt_i64_e32 vcc, v[5:6], v[7:8]
	s_andn2_b64 s[34:35], s[34:35], exec
	s_and_b64 s[38:39], vcc, exec
	s_or_b64 s[34:35], s[34:35], s[38:39]
.LBB61_79:
	s_branch .LBB61_81
.LBB61_80:
	s_cmp_lg_u32 s41, 0
	s_mov_b64 s[30:31], -1
	s_cselect_b64 s[36:37], -1, 0
.LBB61_81:
	s_andn2_b64 vcc, exec, s[36:37]
	s_cbranch_vccz .LBB61_91
; %bb.82:
	s_andn2_b64 vcc, exec, s[30:31]
	s_cbranch_vccnz .LBB61_84
.LBB61_83:
	s_waitcnt vmcnt(0)
	v_cmp_ge_i64_e32 vcc, v[5:6], v[7:8]
	s_andn2_b64 s[30:31], s[34:35], exec
	s_and_b64 s[34:35], vcc, exec
	s_or_b64 s[34:35], s[30:31], s[34:35]
.LBB61_84:
	v_cndmask_b32_e64 v1, 0, 1, s[34:35]
	v_add_u32_e32 v21, 0x80, v21
	global_store_byte v0, v1, s[0:1]
	s_or_b64 exec, exec, s[28:29]
	v_cmp_gt_i32_e32 vcc, s43, v21
	s_and_saveexec_b64 s[28:29], vcc
	s_cbranch_execz .LBB61_5
.LBB61_85:
	s_andn2_b64 vcc, exec, s[14:15]
	s_cbranch_vccnz .LBB61_92
; %bb.86:
	s_andn2_b64 vcc, exec, s[26:27]
	s_cbranch_vccnz .LBB61_93
; %bb.87:
	s_add_i32 s30, s42, 1
	s_and_b32 s34, s30, 30
	s_add_u32 s30, s12, 0xffffffe8
	s_addc_u32 s31, s13, -1
	v_mov_b32_e32 v2, 0
	v_mov_b32_e32 v4, 0
	;; [unrolled: 1-line block ×4, first 2 shown]
.LBB61_88:                              ; =>This Inner Loop Header: Depth=1
	s_load_dwordx4 s[36:39], s[30:31], 0x1c
	s_load_dwordx2 s[48:49], s[30:31], 0x2c
	s_load_dwordx2 s[50:51], s[30:31], 0xec
	s_load_dwordx4 s[44:47], s[30:31], 0xdc
	s_add_u32 s30, s30, 24
	s_waitcnt lgkmcnt(0)
	v_mul_hi_u32 v3, s37, v1
	s_addc_u32 s31, s31, 0
	s_add_i32 s34, s34, -2
	s_cmp_eq_u32 s34, 0
	v_add_u32_e32 v3, v1, v3
	v_lshrrev_b32_e32 v3, s38, v3
	s_waitcnt vmcnt(2)
	v_mul_lo_u32 v5, v3, s36
	v_mul_hi_u32 v6, s48, v3
	v_sub_u32_e32 v5, v1, v5
	v_add_u32_e32 v1, v3, v6
	v_lshrrev_b32_e32 v1, s49, v1
	s_waitcnt vmcnt(1)
	v_mul_lo_u32 v8, v1, s39
	v_mul_lo_u32 v6, v5, s44
	;; [unrolled: 1-line block ×4, first 2 shown]
	v_sub_u32_e32 v3, v3, v8
	v_mul_lo_u32 v8, v3, s47
	v_mul_lo_u32 v9, v3, s50
	;; [unrolled: 1-line block ×3, first 2 shown]
	v_add3_u32 v0, v6, v0, v8
	v_add3_u32 v4, v7, v4, v9
	;; [unrolled: 1-line block ×3, first 2 shown]
	s_cbranch_scc0 .LBB61_88
; %bb.89:
	s_bitcmp1_b32 s42, 0
	s_cselect_b64 s[34:35], -1, 0
	s_and_b64 vcc, exec, s[34:35]
	s_cbranch_vccnz .LBB61_94
; %bb.90:
	s_load_dwordx2 s[34:35], s[30:31], 0x1c
	s_load_dword s38, s[30:31], 0x24
	s_load_dwordx2 s[36:37], s[30:31], 0xdc
	s_waitcnt lgkmcnt(0)
	v_mul_hi_u32 v3, s35, v1
	v_add_u32_e32 v3, v1, v3
	v_lshrrev_b32_e32 v3, s38, v3
	v_mul_lo_u32 v3, v3, s34
	s_load_dword s34, s[30:31], 0xe4
	v_sub_u32_e32 v3, v1, v3
	v_mad_u64_u32 v[0:1], s[30:31], v3, s36, v[0:1]
	v_mad_u64_u32 v[4:5], s[30:31], v3, s37, v[4:5]
	s_waitcnt lgkmcnt(0)
	v_mad_u64_u32 v[2:3], s[30:31], v3, s34, v[2:3]
	s_branch .LBB61_94
.LBB61_91:
	s_waitcnt vmcnt(0)
	v_cmp_lt_i64_e32 vcc, v[5:6], v[7:8]
	s_andn2_b64 s[34:35], s[34:35], exec
	s_and_b64 s[36:37], vcc, exec
	s_or_b64 s[34:35], s[34:35], s[36:37]
	s_cbranch_execz .LBB61_83
	s_branch .LBB61_84
.LBB61_92:
                                        ; implicit-def: $vgpr0
                                        ; implicit-def: $vgpr4
                                        ; implicit-def: $vgpr2
	s_branch .LBB61_95
.LBB61_93:
	v_mov_b32_e32 v0, 0
	v_mov_b32_e32 v4, 0
	;; [unrolled: 1-line block ×3, first 2 shown]
.LBB61_94:
	s_cbranch_execnz .LBB61_97
.LBB61_95:
	s_waitcnt lgkmcnt(0)
	v_mul_hi_u32 v0, s9, v21
	s_andn2_b64 vcc, exec, s[24:25]
	v_add_u32_e32 v0, v21, v0
	v_lshrrev_b32_e32 v1, s10, v0
	v_mul_lo_u32 v0, v1, s8
	v_sub_u32_e32 v2, v21, v0
	v_mul_lo_u32 v0, v2, s4
	v_mul_lo_u32 v4, v2, s5
	;; [unrolled: 1-line block ×3, first 2 shown]
	s_cbranch_vccnz .LBB61_97
; %bb.96:
	v_mul_hi_u32 v3, s22, v1
	v_add_u32_e32 v3, v1, v3
	v_lshrrev_b32_e32 v3, s23, v3
	v_mul_lo_u32 v3, v3, s11
	v_sub_u32_e32 v3, v1, v3
	v_mad_u64_u32 v[0:1], s[30:31], v3, s7, v[0:1]
	s_waitcnt vmcnt(2)
	v_mad_u64_u32 v[4:5], s[30:31], v3, s20, v[4:5]
	v_mad_u64_u32 v[2:3], s[30:31], v3, s21, v[2:3]
.LBB61_97:
	s_waitcnt lgkmcnt(0)
	global_load_dwordx2 v[5:6], v4, s[2:3]
	global_load_dwordx2 v[7:8], v2, s[18:19]
	s_cmp_lt_i32 s41, 1
	s_mov_b64 s[30:31], 0
	s_cbranch_scc1 .LBB61_101
; %bb.98:
	s_cmp_gt_i32 s41, 1
	s_cbranch_scc0 .LBB61_102
; %bb.99:
	s_cmp_eq_u32 s41, 2
	s_cbranch_scc0 .LBB61_425
; %bb.100:
	s_waitcnt vmcnt(0)
	v_cmp_le_i64_e64 s[34:35], v[5:6], v[7:8]
	s_mov_b64 s[36:37], 0
	s_branch .LBB61_104
.LBB61_101:
                                        ; implicit-def: $sgpr34_sgpr35
	s_mov_b64 s[36:37], 0
	s_cbranch_execnz .LBB61_105
	s_branch .LBB61_106
.LBB61_102:
	s_mov_b64 s[36:37], 0
                                        ; implicit-def: $sgpr34_sgpr35
	s_cbranch_execz .LBB61_104
; %bb.103:
	s_waitcnt vmcnt(0)
	v_cmp_gt_i64_e32 vcc, v[5:6], v[7:8]
	s_andn2_b64 s[34:35], s[34:35], exec
	s_and_b64 s[38:39], vcc, exec
	s_or_b64 s[34:35], s[34:35], s[38:39]
.LBB61_104:
	s_branch .LBB61_106
.LBB61_105:
	s_cmp_lg_u32 s41, 0
	s_mov_b64 s[30:31], -1
	s_cselect_b64 s[36:37], -1, 0
.LBB61_106:
	s_andn2_b64 vcc, exec, s[36:37]
	s_cbranch_vccz .LBB61_116
; %bb.107:
	s_andn2_b64 vcc, exec, s[30:31]
	s_cbranch_vccnz .LBB61_109
.LBB61_108:
	s_waitcnt vmcnt(0)
	v_cmp_ge_i64_e32 vcc, v[5:6], v[7:8]
	s_andn2_b64 s[30:31], s[34:35], exec
	s_and_b64 s[34:35], vcc, exec
	s_or_b64 s[34:35], s[30:31], s[34:35]
.LBB61_109:
	v_cndmask_b32_e64 v1, 0, 1, s[34:35]
	v_add_u32_e32 v21, 0x80, v21
	global_store_byte v0, v1, s[0:1]
	s_or_b64 exec, exec, s[28:29]
	v_cmp_gt_i32_e32 vcc, s43, v21
	s_and_saveexec_b64 s[28:29], vcc
	s_cbranch_execz .LBB61_6
.LBB61_110:
	s_andn2_b64 vcc, exec, s[14:15]
	s_cbranch_vccnz .LBB61_117
; %bb.111:
	s_andn2_b64 vcc, exec, s[26:27]
	s_cbranch_vccnz .LBB61_118
; %bb.112:
	s_add_i32 s30, s42, 1
	s_and_b32 s34, s30, 30
	s_add_u32 s30, s12, 0xffffffe8
	s_addc_u32 s31, s13, -1
	v_mov_b32_e32 v2, 0
	v_mov_b32_e32 v4, 0
	v_mov_b32_e32 v0, 0
	v_mov_b32_e32 v1, v21
.LBB61_113:                             ; =>This Inner Loop Header: Depth=1
	s_load_dwordx4 s[36:39], s[30:31], 0x1c
	s_load_dwordx2 s[48:49], s[30:31], 0x2c
	s_load_dwordx2 s[50:51], s[30:31], 0xec
	s_load_dwordx4 s[44:47], s[30:31], 0xdc
	s_add_u32 s30, s30, 24
	s_waitcnt lgkmcnt(0)
	v_mul_hi_u32 v3, s37, v1
	s_addc_u32 s31, s31, 0
	s_add_i32 s34, s34, -2
	s_cmp_eq_u32 s34, 0
	v_add_u32_e32 v3, v1, v3
	v_lshrrev_b32_e32 v3, s38, v3
	s_waitcnt vmcnt(2)
	v_mul_lo_u32 v5, v3, s36
	v_mul_hi_u32 v6, s48, v3
	v_sub_u32_e32 v5, v1, v5
	v_add_u32_e32 v1, v3, v6
	v_lshrrev_b32_e32 v1, s49, v1
	s_waitcnt vmcnt(1)
	v_mul_lo_u32 v8, v1, s39
	v_mul_lo_u32 v6, v5, s44
	;; [unrolled: 1-line block ×4, first 2 shown]
	v_sub_u32_e32 v3, v3, v8
	v_mul_lo_u32 v8, v3, s47
	v_mul_lo_u32 v9, v3, s50
	;; [unrolled: 1-line block ×3, first 2 shown]
	v_add3_u32 v0, v6, v0, v8
	v_add3_u32 v4, v7, v4, v9
	v_add3_u32 v2, v5, v2, v3
	s_cbranch_scc0 .LBB61_113
; %bb.114:
	s_bitcmp1_b32 s42, 0
	s_cselect_b64 s[34:35], -1, 0
	s_and_b64 vcc, exec, s[34:35]
	s_cbranch_vccnz .LBB61_119
; %bb.115:
	s_load_dwordx2 s[34:35], s[30:31], 0x1c
	s_load_dword s38, s[30:31], 0x24
	s_load_dwordx2 s[36:37], s[30:31], 0xdc
	s_waitcnt lgkmcnt(0)
	v_mul_hi_u32 v3, s35, v1
	v_add_u32_e32 v3, v1, v3
	v_lshrrev_b32_e32 v3, s38, v3
	v_mul_lo_u32 v3, v3, s34
	s_load_dword s34, s[30:31], 0xe4
	v_sub_u32_e32 v3, v1, v3
	v_mad_u64_u32 v[0:1], s[30:31], v3, s36, v[0:1]
	v_mad_u64_u32 v[4:5], s[30:31], v3, s37, v[4:5]
	s_waitcnt lgkmcnt(0)
	v_mad_u64_u32 v[2:3], s[30:31], v3, s34, v[2:3]
	s_branch .LBB61_119
.LBB61_116:
	s_waitcnt vmcnt(0)
	v_cmp_lt_i64_e32 vcc, v[5:6], v[7:8]
	s_andn2_b64 s[34:35], s[34:35], exec
	s_and_b64 s[36:37], vcc, exec
	s_or_b64 s[34:35], s[34:35], s[36:37]
	s_cbranch_execz .LBB61_108
	s_branch .LBB61_109
.LBB61_117:
                                        ; implicit-def: $vgpr0
                                        ; implicit-def: $vgpr4
                                        ; implicit-def: $vgpr2
	s_branch .LBB61_120
.LBB61_118:
	v_mov_b32_e32 v0, 0
	v_mov_b32_e32 v4, 0
	;; [unrolled: 1-line block ×3, first 2 shown]
.LBB61_119:
	s_cbranch_execnz .LBB61_122
.LBB61_120:
	s_waitcnt lgkmcnt(0)
	v_mul_hi_u32 v0, s9, v21
	s_andn2_b64 vcc, exec, s[24:25]
	v_add_u32_e32 v0, v21, v0
	v_lshrrev_b32_e32 v1, s10, v0
	v_mul_lo_u32 v0, v1, s8
	v_sub_u32_e32 v2, v21, v0
	v_mul_lo_u32 v0, v2, s4
	v_mul_lo_u32 v4, v2, s5
	v_mul_lo_u32 v2, v2, s6
	s_cbranch_vccnz .LBB61_122
; %bb.121:
	v_mul_hi_u32 v3, s22, v1
	v_add_u32_e32 v3, v1, v3
	v_lshrrev_b32_e32 v3, s23, v3
	v_mul_lo_u32 v3, v3, s11
	v_sub_u32_e32 v3, v1, v3
	v_mad_u64_u32 v[0:1], s[30:31], v3, s7, v[0:1]
	s_waitcnt vmcnt(2)
	v_mad_u64_u32 v[4:5], s[30:31], v3, s20, v[4:5]
	v_mad_u64_u32 v[2:3], s[30:31], v3, s21, v[2:3]
.LBB61_122:
	s_waitcnt lgkmcnt(0)
	global_load_dwordx2 v[5:6], v4, s[2:3]
	global_load_dwordx2 v[7:8], v2, s[18:19]
	s_cmp_lt_i32 s41, 1
	s_mov_b64 s[30:31], 0
	s_cbranch_scc1 .LBB61_126
; %bb.123:
	s_cmp_gt_i32 s41, 1
	s_cbranch_scc0 .LBB61_127
; %bb.124:
	s_cmp_eq_u32 s41, 2
	s_cbranch_scc0 .LBB61_426
; %bb.125:
	s_waitcnt vmcnt(0)
	v_cmp_le_i64_e64 s[34:35], v[5:6], v[7:8]
	s_mov_b64 s[36:37], 0
	s_branch .LBB61_129
.LBB61_126:
                                        ; implicit-def: $sgpr34_sgpr35
	s_mov_b64 s[36:37], 0
	s_cbranch_execnz .LBB61_130
	s_branch .LBB61_131
.LBB61_127:
	s_mov_b64 s[36:37], 0
                                        ; implicit-def: $sgpr34_sgpr35
	s_cbranch_execz .LBB61_129
; %bb.128:
	s_waitcnt vmcnt(0)
	v_cmp_gt_i64_e32 vcc, v[5:6], v[7:8]
	s_andn2_b64 s[34:35], s[34:35], exec
	s_and_b64 s[38:39], vcc, exec
	s_or_b64 s[34:35], s[34:35], s[38:39]
.LBB61_129:
	s_branch .LBB61_131
.LBB61_130:
	s_cmp_lg_u32 s41, 0
	s_mov_b64 s[30:31], -1
	s_cselect_b64 s[36:37], -1, 0
.LBB61_131:
	s_andn2_b64 vcc, exec, s[36:37]
	s_cbranch_vccz .LBB61_141
; %bb.132:
	s_andn2_b64 vcc, exec, s[30:31]
	s_cbranch_vccnz .LBB61_134
.LBB61_133:
	s_waitcnt vmcnt(0)
	v_cmp_ge_i64_e32 vcc, v[5:6], v[7:8]
	s_andn2_b64 s[30:31], s[34:35], exec
	s_and_b64 s[34:35], vcc, exec
	s_or_b64 s[34:35], s[30:31], s[34:35]
.LBB61_134:
	v_cndmask_b32_e64 v1, 0, 1, s[34:35]
	v_add_u32_e32 v21, 0x80, v21
	global_store_byte v0, v1, s[0:1]
	s_or_b64 exec, exec, s[28:29]
	v_cmp_gt_i32_e32 vcc, s43, v21
	s_and_saveexec_b64 s[28:29], vcc
	s_cbranch_execz .LBB61_7
.LBB61_135:
	s_andn2_b64 vcc, exec, s[14:15]
	s_cbranch_vccnz .LBB61_142
; %bb.136:
	s_andn2_b64 vcc, exec, s[26:27]
	s_cbranch_vccnz .LBB61_143
; %bb.137:
	s_add_i32 s30, s42, 1
	s_and_b32 s34, s30, 30
	s_add_u32 s30, s12, 0xffffffe8
	s_addc_u32 s31, s13, -1
	v_mov_b32_e32 v2, 0
	v_mov_b32_e32 v4, 0
	;; [unrolled: 1-line block ×4, first 2 shown]
.LBB61_138:                             ; =>This Inner Loop Header: Depth=1
	s_load_dwordx4 s[36:39], s[30:31], 0x1c
	s_load_dwordx2 s[48:49], s[30:31], 0x2c
	s_load_dwordx2 s[50:51], s[30:31], 0xec
	s_load_dwordx4 s[44:47], s[30:31], 0xdc
	s_add_u32 s30, s30, 24
	s_waitcnt lgkmcnt(0)
	v_mul_hi_u32 v3, s37, v1
	s_addc_u32 s31, s31, 0
	s_add_i32 s34, s34, -2
	s_cmp_eq_u32 s34, 0
	v_add_u32_e32 v3, v1, v3
	v_lshrrev_b32_e32 v3, s38, v3
	s_waitcnt vmcnt(2)
	v_mul_lo_u32 v5, v3, s36
	v_mul_hi_u32 v6, s48, v3
	v_sub_u32_e32 v5, v1, v5
	v_add_u32_e32 v1, v3, v6
	v_lshrrev_b32_e32 v1, s49, v1
	s_waitcnt vmcnt(1)
	v_mul_lo_u32 v8, v1, s39
	v_mul_lo_u32 v6, v5, s44
	;; [unrolled: 1-line block ×4, first 2 shown]
	v_sub_u32_e32 v3, v3, v8
	v_mul_lo_u32 v8, v3, s47
	v_mul_lo_u32 v9, v3, s50
	;; [unrolled: 1-line block ×3, first 2 shown]
	v_add3_u32 v0, v6, v0, v8
	v_add3_u32 v4, v7, v4, v9
	v_add3_u32 v2, v5, v2, v3
	s_cbranch_scc0 .LBB61_138
; %bb.139:
	s_bitcmp1_b32 s42, 0
	s_cselect_b64 s[34:35], -1, 0
	s_and_b64 vcc, exec, s[34:35]
	s_cbranch_vccnz .LBB61_144
; %bb.140:
	s_load_dwordx2 s[34:35], s[30:31], 0x1c
	s_load_dword s38, s[30:31], 0x24
	s_load_dwordx2 s[36:37], s[30:31], 0xdc
	s_waitcnt lgkmcnt(0)
	v_mul_hi_u32 v3, s35, v1
	v_add_u32_e32 v3, v1, v3
	v_lshrrev_b32_e32 v3, s38, v3
	v_mul_lo_u32 v3, v3, s34
	s_load_dword s34, s[30:31], 0xe4
	v_sub_u32_e32 v3, v1, v3
	v_mad_u64_u32 v[0:1], s[30:31], v3, s36, v[0:1]
	v_mad_u64_u32 v[4:5], s[30:31], v3, s37, v[4:5]
	s_waitcnt lgkmcnt(0)
	v_mad_u64_u32 v[2:3], s[30:31], v3, s34, v[2:3]
	s_branch .LBB61_144
.LBB61_141:
	s_waitcnt vmcnt(0)
	v_cmp_lt_i64_e32 vcc, v[5:6], v[7:8]
	s_andn2_b64 s[34:35], s[34:35], exec
	s_and_b64 s[36:37], vcc, exec
	s_or_b64 s[34:35], s[34:35], s[36:37]
	s_cbranch_execz .LBB61_133
	s_branch .LBB61_134
.LBB61_142:
                                        ; implicit-def: $vgpr0
                                        ; implicit-def: $vgpr4
                                        ; implicit-def: $vgpr2
	s_branch .LBB61_145
.LBB61_143:
	v_mov_b32_e32 v0, 0
	v_mov_b32_e32 v4, 0
	;; [unrolled: 1-line block ×3, first 2 shown]
.LBB61_144:
	s_cbranch_execnz .LBB61_147
.LBB61_145:
	s_waitcnt lgkmcnt(0)
	v_mul_hi_u32 v0, s9, v21
	s_andn2_b64 vcc, exec, s[24:25]
	v_add_u32_e32 v0, v21, v0
	v_lshrrev_b32_e32 v1, s10, v0
	v_mul_lo_u32 v0, v1, s8
	v_sub_u32_e32 v2, v21, v0
	v_mul_lo_u32 v0, v2, s4
	v_mul_lo_u32 v4, v2, s5
	;; [unrolled: 1-line block ×3, first 2 shown]
	s_cbranch_vccnz .LBB61_147
; %bb.146:
	v_mul_hi_u32 v3, s22, v1
	v_add_u32_e32 v3, v1, v3
	v_lshrrev_b32_e32 v3, s23, v3
	v_mul_lo_u32 v3, v3, s11
	v_sub_u32_e32 v3, v1, v3
	v_mad_u64_u32 v[0:1], s[30:31], v3, s7, v[0:1]
	s_waitcnt vmcnt(2)
	v_mad_u64_u32 v[4:5], s[30:31], v3, s20, v[4:5]
	v_mad_u64_u32 v[2:3], s[30:31], v3, s21, v[2:3]
.LBB61_147:
	s_waitcnt lgkmcnt(0)
	global_load_dwordx2 v[5:6], v4, s[2:3]
	global_load_dwordx2 v[7:8], v2, s[18:19]
	s_cmp_lt_i32 s41, 1
	s_mov_b64 s[30:31], 0
	s_cbranch_scc1 .LBB61_151
; %bb.148:
	s_cmp_gt_i32 s41, 1
	s_cbranch_scc0 .LBB61_152
; %bb.149:
	s_cmp_eq_u32 s41, 2
	s_cbranch_scc0 .LBB61_427
; %bb.150:
	s_waitcnt vmcnt(0)
	v_cmp_le_i64_e64 s[34:35], v[5:6], v[7:8]
	s_mov_b64 s[36:37], 0
	s_branch .LBB61_154
.LBB61_151:
                                        ; implicit-def: $sgpr34_sgpr35
	s_mov_b64 s[36:37], 0
	s_cbranch_execnz .LBB61_155
	s_branch .LBB61_156
.LBB61_152:
	s_mov_b64 s[36:37], 0
                                        ; implicit-def: $sgpr34_sgpr35
	s_cbranch_execz .LBB61_154
; %bb.153:
	s_waitcnt vmcnt(0)
	v_cmp_gt_i64_e32 vcc, v[5:6], v[7:8]
	s_andn2_b64 s[34:35], s[34:35], exec
	s_and_b64 s[38:39], vcc, exec
	s_or_b64 s[34:35], s[34:35], s[38:39]
.LBB61_154:
	s_branch .LBB61_156
.LBB61_155:
	s_cmp_lg_u32 s41, 0
	s_mov_b64 s[30:31], -1
	s_cselect_b64 s[36:37], -1, 0
.LBB61_156:
	s_andn2_b64 vcc, exec, s[36:37]
	s_cbranch_vccz .LBB61_166
; %bb.157:
	s_andn2_b64 vcc, exec, s[30:31]
	s_cbranch_vccnz .LBB61_159
.LBB61_158:
	s_waitcnt vmcnt(0)
	v_cmp_ge_i64_e32 vcc, v[5:6], v[7:8]
	s_andn2_b64 s[30:31], s[34:35], exec
	s_and_b64 s[34:35], vcc, exec
	s_or_b64 s[34:35], s[30:31], s[34:35]
.LBB61_159:
	v_cndmask_b32_e64 v1, 0, 1, s[34:35]
	v_add_u32_e32 v21, 0x80, v21
	global_store_byte v0, v1, s[0:1]
	s_or_b64 exec, exec, s[28:29]
	v_cmp_gt_i32_e32 vcc, s43, v21
	s_and_saveexec_b64 s[28:29], vcc
	s_cbranch_execz .LBB61_8
.LBB61_160:
	s_andn2_b64 vcc, exec, s[14:15]
	s_cbranch_vccnz .LBB61_167
; %bb.161:
	s_andn2_b64 vcc, exec, s[26:27]
	s_cbranch_vccnz .LBB61_168
; %bb.162:
	s_add_i32 s30, s42, 1
	s_and_b32 s34, s30, 30
	s_add_u32 s30, s12, 0xffffffe8
	s_addc_u32 s31, s13, -1
	v_mov_b32_e32 v2, 0
	v_mov_b32_e32 v4, 0
	;; [unrolled: 1-line block ×4, first 2 shown]
.LBB61_163:                             ; =>This Inner Loop Header: Depth=1
	s_load_dwordx4 s[36:39], s[30:31], 0x1c
	s_load_dwordx2 s[48:49], s[30:31], 0x2c
	s_load_dwordx2 s[50:51], s[30:31], 0xec
	s_load_dwordx4 s[44:47], s[30:31], 0xdc
	s_add_u32 s30, s30, 24
	s_waitcnt lgkmcnt(0)
	v_mul_hi_u32 v3, s37, v1
	s_addc_u32 s31, s31, 0
	s_add_i32 s34, s34, -2
	s_cmp_eq_u32 s34, 0
	v_add_u32_e32 v3, v1, v3
	v_lshrrev_b32_e32 v3, s38, v3
	s_waitcnt vmcnt(2)
	v_mul_lo_u32 v5, v3, s36
	v_mul_hi_u32 v6, s48, v3
	v_sub_u32_e32 v5, v1, v5
	v_add_u32_e32 v1, v3, v6
	v_lshrrev_b32_e32 v1, s49, v1
	s_waitcnt vmcnt(1)
	v_mul_lo_u32 v8, v1, s39
	v_mul_lo_u32 v6, v5, s44
	;; [unrolled: 1-line block ×4, first 2 shown]
	v_sub_u32_e32 v3, v3, v8
	v_mul_lo_u32 v8, v3, s47
	v_mul_lo_u32 v9, v3, s50
	;; [unrolled: 1-line block ×3, first 2 shown]
	v_add3_u32 v0, v6, v0, v8
	v_add3_u32 v4, v7, v4, v9
	;; [unrolled: 1-line block ×3, first 2 shown]
	s_cbranch_scc0 .LBB61_163
; %bb.164:
	s_bitcmp1_b32 s42, 0
	s_cselect_b64 s[34:35], -1, 0
	s_and_b64 vcc, exec, s[34:35]
	s_cbranch_vccnz .LBB61_169
; %bb.165:
	s_load_dwordx2 s[34:35], s[30:31], 0x1c
	s_load_dword s38, s[30:31], 0x24
	s_load_dwordx2 s[36:37], s[30:31], 0xdc
	s_waitcnt lgkmcnt(0)
	v_mul_hi_u32 v3, s35, v1
	v_add_u32_e32 v3, v1, v3
	v_lshrrev_b32_e32 v3, s38, v3
	v_mul_lo_u32 v3, v3, s34
	s_load_dword s34, s[30:31], 0xe4
	v_sub_u32_e32 v3, v1, v3
	v_mad_u64_u32 v[0:1], s[30:31], v3, s36, v[0:1]
	v_mad_u64_u32 v[4:5], s[30:31], v3, s37, v[4:5]
	s_waitcnt lgkmcnt(0)
	v_mad_u64_u32 v[2:3], s[30:31], v3, s34, v[2:3]
	s_branch .LBB61_169
.LBB61_166:
	s_waitcnt vmcnt(0)
	v_cmp_lt_i64_e32 vcc, v[5:6], v[7:8]
	s_andn2_b64 s[34:35], s[34:35], exec
	s_and_b64 s[36:37], vcc, exec
	s_or_b64 s[34:35], s[34:35], s[36:37]
	s_cbranch_execz .LBB61_158
	s_branch .LBB61_159
.LBB61_167:
                                        ; implicit-def: $vgpr0
                                        ; implicit-def: $vgpr4
                                        ; implicit-def: $vgpr2
	s_branch .LBB61_170
.LBB61_168:
	v_mov_b32_e32 v0, 0
	v_mov_b32_e32 v4, 0
	;; [unrolled: 1-line block ×3, first 2 shown]
.LBB61_169:
	s_cbranch_execnz .LBB61_172
.LBB61_170:
	s_waitcnt lgkmcnt(0)
	v_mul_hi_u32 v0, s9, v21
	s_andn2_b64 vcc, exec, s[24:25]
	v_add_u32_e32 v0, v21, v0
	v_lshrrev_b32_e32 v1, s10, v0
	v_mul_lo_u32 v0, v1, s8
	v_sub_u32_e32 v2, v21, v0
	v_mul_lo_u32 v0, v2, s4
	v_mul_lo_u32 v4, v2, s5
	v_mul_lo_u32 v2, v2, s6
	s_cbranch_vccnz .LBB61_172
; %bb.171:
	v_mul_hi_u32 v3, s22, v1
	v_add_u32_e32 v3, v1, v3
	v_lshrrev_b32_e32 v3, s23, v3
	v_mul_lo_u32 v3, v3, s11
	v_sub_u32_e32 v3, v1, v3
	v_mad_u64_u32 v[0:1], s[30:31], v3, s7, v[0:1]
	s_waitcnt vmcnt(2)
	v_mad_u64_u32 v[4:5], s[30:31], v3, s20, v[4:5]
	v_mad_u64_u32 v[2:3], s[30:31], v3, s21, v[2:3]
.LBB61_172:
	s_waitcnt lgkmcnt(0)
	global_load_dwordx2 v[5:6], v4, s[2:3]
	global_load_dwordx2 v[7:8], v2, s[18:19]
	s_cmp_lt_i32 s41, 1
	s_mov_b64 s[30:31], 0
	s_cbranch_scc1 .LBB61_176
; %bb.173:
	s_cmp_gt_i32 s41, 1
	s_cbranch_scc0 .LBB61_177
; %bb.174:
	s_cmp_eq_u32 s41, 2
	s_cbranch_scc0 .LBB61_428
; %bb.175:
	s_waitcnt vmcnt(0)
	v_cmp_le_i64_e64 s[34:35], v[5:6], v[7:8]
	s_mov_b64 s[36:37], 0
	s_branch .LBB61_179
.LBB61_176:
                                        ; implicit-def: $sgpr34_sgpr35
	s_mov_b64 s[36:37], 0
	s_cbranch_execnz .LBB61_180
	s_branch .LBB61_181
.LBB61_177:
	s_mov_b64 s[36:37], 0
                                        ; implicit-def: $sgpr34_sgpr35
	s_cbranch_execz .LBB61_179
; %bb.178:
	s_waitcnt vmcnt(0)
	v_cmp_gt_i64_e32 vcc, v[5:6], v[7:8]
	s_andn2_b64 s[34:35], s[34:35], exec
	s_and_b64 s[38:39], vcc, exec
	s_or_b64 s[34:35], s[34:35], s[38:39]
.LBB61_179:
	s_branch .LBB61_181
.LBB61_180:
	s_cmp_lg_u32 s41, 0
	s_mov_b64 s[30:31], -1
	s_cselect_b64 s[36:37], -1, 0
.LBB61_181:
	s_andn2_b64 vcc, exec, s[36:37]
	s_cbranch_vccz .LBB61_191
; %bb.182:
	s_andn2_b64 vcc, exec, s[30:31]
	s_cbranch_vccnz .LBB61_184
.LBB61_183:
	s_waitcnt vmcnt(0)
	v_cmp_ge_i64_e32 vcc, v[5:6], v[7:8]
	s_andn2_b64 s[30:31], s[34:35], exec
	s_and_b64 s[34:35], vcc, exec
	s_or_b64 s[34:35], s[30:31], s[34:35]
.LBB61_184:
	v_cndmask_b32_e64 v1, 0, 1, s[34:35]
	v_add_u32_e32 v21, 0x80, v21
	global_store_byte v0, v1, s[0:1]
	s_or_b64 exec, exec, s[28:29]
	v_cmp_gt_i32_e32 vcc, s43, v21
	s_and_saveexec_b64 s[28:29], vcc
	s_cbranch_execz .LBB61_210
.LBB61_185:
	s_andn2_b64 vcc, exec, s[14:15]
	s_cbranch_vccnz .LBB61_192
; %bb.186:
	s_andn2_b64 vcc, exec, s[26:27]
	s_cbranch_vccnz .LBB61_193
; %bb.187:
	s_add_i32 s26, s42, 1
	s_and_b32 s30, s26, 30
	s_add_u32 s26, s12, 0xffffffe8
	s_addc_u32 s27, s13, -1
	v_mov_b32_e32 v2, 0
	v_mov_b32_e32 v4, 0
	;; [unrolled: 1-line block ×4, first 2 shown]
.LBB61_188:                             ; =>This Inner Loop Header: Depth=1
	s_load_dwordx4 s[36:39], s[26:27], 0x1c
	s_load_dwordx2 s[34:35], s[26:27], 0x2c
	s_load_dwordx2 s[48:49], s[26:27], 0xec
	s_load_dwordx4 s[44:47], s[26:27], 0xdc
	s_add_u32 s26, s26, 24
	s_waitcnt lgkmcnt(0)
	v_mul_hi_u32 v3, s37, v1
	s_addc_u32 s27, s27, 0
	s_add_i32 s30, s30, -2
	s_cmp_eq_u32 s30, 0
	v_add_u32_e32 v3, v1, v3
	v_lshrrev_b32_e32 v3, s38, v3
	s_waitcnt vmcnt(2)
	v_mul_lo_u32 v5, v3, s36
	v_mul_hi_u32 v6, s34, v3
	v_sub_u32_e32 v5, v1, v5
	v_add_u32_e32 v1, v3, v6
	v_lshrrev_b32_e32 v1, s35, v1
	s_waitcnt vmcnt(1)
	v_mul_lo_u32 v8, v1, s39
	v_mul_lo_u32 v6, v5, s44
	;; [unrolled: 1-line block ×4, first 2 shown]
	v_sub_u32_e32 v3, v3, v8
	v_mul_lo_u32 v8, v3, s47
	v_mul_lo_u32 v9, v3, s48
	;; [unrolled: 1-line block ×3, first 2 shown]
	v_add3_u32 v0, v6, v0, v8
	v_add3_u32 v4, v7, v4, v9
	v_add3_u32 v2, v5, v2, v3
	s_cbranch_scc0 .LBB61_188
; %bb.189:
	s_bitcmp1_b32 s42, 0
	s_cselect_b64 s[30:31], -1, 0
	s_and_b64 vcc, exec, s[30:31]
	s_cbranch_vccnz .LBB61_194
; %bb.190:
	s_load_dwordx2 s[30:31], s[26:27], 0x1c
	s_load_dword s36, s[26:27], 0x24
	s_load_dwordx2 s[34:35], s[26:27], 0xdc
	s_waitcnt lgkmcnt(0)
	v_mul_hi_u32 v3, s31, v1
	v_add_u32_e32 v3, v1, v3
	v_lshrrev_b32_e32 v3, s36, v3
	v_mul_lo_u32 v3, v3, s30
	s_load_dword s30, s[26:27], 0xe4
	v_sub_u32_e32 v3, v1, v3
	v_mad_u64_u32 v[0:1], s[26:27], v3, s34, v[0:1]
	v_mad_u64_u32 v[4:5], s[26:27], v3, s35, v[4:5]
	s_waitcnt lgkmcnt(0)
	v_mad_u64_u32 v[2:3], s[26:27], v3, s30, v[2:3]
	s_branch .LBB61_194
.LBB61_191:
	s_waitcnt vmcnt(0)
	v_cmp_lt_i64_e32 vcc, v[5:6], v[7:8]
	s_andn2_b64 s[34:35], s[34:35], exec
	s_and_b64 s[36:37], vcc, exec
	s_or_b64 s[34:35], s[34:35], s[36:37]
	s_cbranch_execz .LBB61_183
	s_branch .LBB61_184
.LBB61_192:
                                        ; implicit-def: $vgpr0
                                        ; implicit-def: $vgpr4
                                        ; implicit-def: $vgpr2
	s_branch .LBB61_195
.LBB61_193:
	v_mov_b32_e32 v0, 0
	v_mov_b32_e32 v4, 0
	;; [unrolled: 1-line block ×3, first 2 shown]
.LBB61_194:
	s_cbranch_execnz .LBB61_197
.LBB61_195:
	s_waitcnt lgkmcnt(0)
	v_mul_hi_u32 v0, s9, v21
	s_andn2_b64 vcc, exec, s[24:25]
	v_add_u32_e32 v0, v21, v0
	v_lshrrev_b32_e32 v1, s10, v0
	v_mul_lo_u32 v0, v1, s8
	v_sub_u32_e32 v2, v21, v0
	v_mul_lo_u32 v0, v2, s4
	v_mul_lo_u32 v4, v2, s5
	;; [unrolled: 1-line block ×3, first 2 shown]
	s_cbranch_vccnz .LBB61_197
; %bb.196:
	v_mul_hi_u32 v3, s22, v1
	v_add_u32_e32 v3, v1, v3
	v_lshrrev_b32_e32 v3, s23, v3
	v_mul_lo_u32 v3, v3, s11
	v_sub_u32_e32 v3, v1, v3
	v_mad_u64_u32 v[0:1], s[4:5], v3, s7, v[0:1]
	s_waitcnt vmcnt(2)
	v_mad_u64_u32 v[4:5], s[4:5], v3, s20, v[4:5]
	v_mad_u64_u32 v[2:3], s[4:5], v3, s21, v[2:3]
.LBB61_197:
	s_waitcnt lgkmcnt(0)
	global_load_dwordx2 v[5:6], v4, s[2:3]
	global_load_dwordx2 v[7:8], v2, s[18:19]
	s_cmp_lt_i32 s41, 1
	s_mov_b64 s[2:3], 0
	s_cbranch_scc1 .LBB61_201
; %bb.198:
	s_cmp_gt_i32 s41, 1
	s_cbranch_scc0 .LBB61_202
; %bb.199:
	s_cmp_eq_u32 s41, 2
	s_cbranch_scc0 .LBB61_429
; %bb.200:
	s_waitcnt vmcnt(0)
	v_cmp_le_i64_e64 s[4:5], v[5:6], v[7:8]
	s_mov_b64 s[6:7], 0
	s_branch .LBB61_204
.LBB61_201:
                                        ; implicit-def: $sgpr4_sgpr5
	s_mov_b64 s[6:7], 0
	s_cbranch_execnz .LBB61_205
	s_branch .LBB61_206
.LBB61_202:
	s_mov_b64 s[6:7], 0
                                        ; implicit-def: $sgpr4_sgpr5
	s_cbranch_execz .LBB61_204
; %bb.203:
	s_waitcnt vmcnt(0)
	v_cmp_gt_i64_e32 vcc, v[5:6], v[7:8]
	s_andn2_b64 s[4:5], s[4:5], exec
	s_and_b64 s[8:9], vcc, exec
	s_or_b64 s[4:5], s[4:5], s[8:9]
.LBB61_204:
	s_branch .LBB61_206
.LBB61_205:
	s_cmp_lg_u32 s41, 0
	s_mov_b64 s[2:3], -1
	s_cselect_b64 s[6:7], -1, 0
.LBB61_206:
	s_andn2_b64 vcc, exec, s[6:7]
	s_cbranch_vccz .LBB61_220
; %bb.207:
	s_andn2_b64 vcc, exec, s[2:3]
	s_cbranch_vccnz .LBB61_209
.LBB61_208:
	s_waitcnt vmcnt(0)
	v_cmp_ge_i64_e32 vcc, v[5:6], v[7:8]
	s_andn2_b64 s[2:3], s[4:5], exec
	s_and_b64 s[4:5], vcc, exec
	s_or_b64 s[4:5], s[2:3], s[4:5]
.LBB61_209:
	v_cndmask_b32_e64 v1, 0, 1, s[4:5]
	global_store_byte v0, v1, s[0:1]
.LBB61_210:
	s_or_b64 exec, exec, s[28:29]
                                        ; implicit-def: $vgpr37
                                        ; implicit-def: $vgpr21
.LBB61_211:
	s_waitcnt lgkmcnt(0)
	s_andn2_saveexec_b64 s[0:1], s[16:17]
	s_cbranch_execz .LBB61_218
; %bb.212:
	v_cndmask_b32_e64 v0, 0, 1, s[14:15]
	v_cmp_ne_u32_e64 s[0:1], 1, v0
	s_andn2_b64 vcc, exec, s[14:15]
	s_cbranch_vccnz .LBB61_219
; %bb.213:
	s_cmp_lg_u32 s33, 0
	s_cbranch_scc0 .LBB61_221
; %bb.214:
	s_min_u32 s4, s40, 15
	s_add_i32 s2, s4, 1
	s_and_b32 s5, s2, 30
	s_add_u32 s2, s12, 0xffffffe8
	s_addc_u32 s3, s13, -1
	s_waitcnt vmcnt(2)
	v_mov_b32_e32 v6, 0
	s_waitcnt vmcnt(1)
	v_mov_b32_e32 v8, 0
	v_mov_b32_e32 v0, 0
	;; [unrolled: 1-line block ×3, first 2 shown]
.LBB61_215:                             ; =>This Inner Loop Header: Depth=1
	s_load_dwordx4 s[8:11], s[2:3], 0x1c
	s_load_dwordx2 s[6:7], s[2:3], 0x2c
	s_load_dwordx2 s[14:15], s[2:3], 0xec
	s_load_dwordx4 s[16:19], s[2:3], 0xdc
	s_add_u32 s2, s2, 24
	s_waitcnt lgkmcnt(0)
	v_mul_hi_u32 v2, s9, v1
	s_addc_u32 s3, s3, 0
	s_add_i32 s5, s5, -2
	s_cmp_lg_u32 s5, 0
	v_add_u32_e32 v2, v1, v2
	v_lshrrev_b32_e32 v2, s10, v2
	v_mul_lo_u32 v3, v2, s8
	v_mul_hi_u32 v4, s6, v2
	v_sub_u32_e32 v3, v1, v3
	v_add_u32_e32 v1, v2, v4
	v_lshrrev_b32_e32 v1, s7, v1
	v_mul_lo_u32 v7, v1, s11
	v_mul_lo_u32 v4, v3, s16
	;; [unrolled: 1-line block ×4, first 2 shown]
	v_sub_u32_e32 v2, v2, v7
	v_mul_lo_u32 v7, v2, s19
	v_mul_lo_u32 v9, v2, s14
	;; [unrolled: 1-line block ×3, first 2 shown]
	v_add3_u32 v0, v4, v0, v7
	v_add3_u32 v8, v5, v8, v9
	;; [unrolled: 1-line block ×3, first 2 shown]
	s_cbranch_scc1 .LBB61_215
; %bb.216:
	s_bitcmp1_b32 s4, 0
	s_cselect_b64 s[4:5], -1, 0
	s_and_b64 vcc, exec, s[4:5]
	s_cbranch_vccnz .LBB61_222
; %bb.217:
	s_load_dwordx2 s[4:5], s[2:3], 0x1c
	s_load_dword s8, s[2:3], 0x24
	s_load_dwordx2 s[6:7], s[2:3], 0xdc
	s_waitcnt lgkmcnt(0)
	v_mul_hi_u32 v2, s5, v1
	v_add_u32_e32 v2, v1, v2
	v_lshrrev_b32_e32 v2, s8, v2
	v_mul_lo_u32 v2, v2, s4
	s_load_dword s4, s[2:3], 0xe4
	v_sub_u32_e32 v2, v1, v2
	v_mad_u64_u32 v[0:1], s[2:3], v2, s6, v[0:1]
	v_mad_u64_u32 v[8:9], s[2:3], v2, s7, v[8:9]
	s_waitcnt lgkmcnt(0)
	v_mad_u64_u32 v[6:7], s[2:3], v2, s4, v[6:7]
	s_cbranch_execz .LBB61_223
	s_branch .LBB61_225
.LBB61_218:
	s_endpgm
.LBB61_219:
                                        ; implicit-def: $vgpr0
                                        ; implicit-def: $vgpr8
                                        ; implicit-def: $vgpr6
	s_branch .LBB61_223
.LBB61_220:
	s_waitcnt vmcnt(0)
	v_cmp_lt_i64_e32 vcc, v[5:6], v[7:8]
	s_andn2_b64 s[4:5], s[4:5], exec
	s_and_b64 s[6:7], vcc, exec
	s_or_b64 s[4:5], s[4:5], s[6:7]
	s_cbranch_execz .LBB61_208
	s_branch .LBB61_209
.LBB61_221:
	v_mov_b32_e32 v0, 0
	s_waitcnt vmcnt(1)
	v_mov_b32_e32 v8, 0
	v_mov_b32_e32 v6, 0
.LBB61_222:
	s_cbranch_execnz .LBB61_225
.LBB61_223:
	s_load_dwordx4 s[4:7], s[12:13], 0x4
	s_load_dwordx4 s[8:11], s[12:13], 0xc4
	s_cmp_lt_u32 s33, 2
	s_waitcnt lgkmcnt(0)
	v_mul_hi_u32 v0, s5, v21
	v_add_u32_e32 v0, v21, v0
	v_lshrrev_b32_e32 v1, s6, v0
	v_mul_lo_u32 v0, v1, s4
	v_sub_u32_e32 v2, v21, v0
	v_mul_lo_u32 v0, v2, s8
	s_waitcnt vmcnt(1)
	v_mul_lo_u32 v8, v2, s9
	v_mul_lo_u32 v6, v2, s10
	s_cbranch_scc1 .LBB61_225
; %bb.224:
	s_load_dwordx4 s[4:7], s[12:13], 0x10
	s_load_dwordx4 s[8:11], s[12:13], 0xd0
	s_waitcnt lgkmcnt(0)
	v_mul_hi_u32 v2, s5, v1
	v_add_u32_e32 v2, v1, v2
	v_lshrrev_b32_e32 v2, s6, v2
	v_mul_lo_u32 v2, v2, s4
	v_sub_u32_e32 v2, v1, v2
	v_mad_u64_u32 v[0:1], s[2:3], v2, s8, v[0:1]
	v_mad_u64_u32 v[8:9], s[2:3], v2, s9, v[8:9]
	;; [unrolled: 1-line block ×3, first 2 shown]
.LBB61_225:
	s_and_b64 vcc, exec, s[0:1]
	v_add_u32_e32 v3, 0x80, v21
	s_cbranch_vccnz .LBB61_231
; %bb.226:
	s_cmp_lg_u32 s33, 0
	s_cbranch_scc0 .LBB61_232
; %bb.227:
	s_min_u32 s4, s40, 15
	s_add_i32 s2, s4, 1
	s_and_b32 s5, s2, 30
	s_add_u32 s2, s12, 0xffffffe8
	s_addc_u32 s3, s13, -1
	v_mov_b32_e32 v9, 0
	v_mov_b32_e32 v11, 0
	;; [unrolled: 1-line block ×4, first 2 shown]
.LBB61_228:                             ; =>This Inner Loop Header: Depth=1
	s_load_dwordx4 s[8:11], s[2:3], 0x1c
	s_load_dwordx2 s[6:7], s[2:3], 0x2c
	s_load_dwordx2 s[14:15], s[2:3], 0xec
	s_load_dwordx4 s[16:19], s[2:3], 0xdc
	s_add_u32 s2, s2, 24
	s_waitcnt lgkmcnt(0)
	v_mul_hi_u32 v4, s9, v2
	s_addc_u32 s3, s3, 0
	s_add_i32 s5, s5, -2
	s_cmp_lg_u32 s5, 0
	v_add_u32_e32 v4, v2, v4
	v_lshrrev_b32_e32 v4, s10, v4
	s_waitcnt vmcnt(2)
	v_mul_lo_u32 v5, v4, s8
	s_waitcnt vmcnt(1)
	v_mul_hi_u32 v7, s6, v4
	v_sub_u32_e32 v5, v2, v5
	v_add_u32_e32 v2, v4, v7
	v_lshrrev_b32_e32 v2, s7, v2
	v_mul_lo_u32 v12, v2, s11
	v_mul_lo_u32 v7, v5, s16
	;; [unrolled: 1-line block ×4, first 2 shown]
	v_sub_u32_e32 v4, v4, v12
	v_mul_lo_u32 v12, v4, s19
	v_mul_lo_u32 v13, v4, s14
	;; [unrolled: 1-line block ×3, first 2 shown]
	v_add3_u32 v1, v7, v1, v12
	v_add3_u32 v11, v10, v11, v13
	v_add3_u32 v9, v5, v9, v4
	s_cbranch_scc1 .LBB61_228
; %bb.229:
	s_bitcmp1_b32 s4, 0
	s_cselect_b64 s[4:5], -1, 0
	s_and_b64 vcc, exec, s[4:5]
	s_cbranch_vccnz .LBB61_233
; %bb.230:
	s_load_dwordx2 s[4:5], s[2:3], 0x1c
	s_load_dword s8, s[2:3], 0x24
	s_load_dwordx2 s[6:7], s[2:3], 0xdc
	s_waitcnt lgkmcnt(0)
	v_mul_hi_u32 v4, s5, v2
	v_add_u32_e32 v4, v2, v4
	v_lshrrev_b32_e32 v4, s8, v4
	v_mul_lo_u32 v4, v4, s4
	s_load_dword s4, s[2:3], 0xe4
	v_sub_u32_e32 v4, v2, v4
	v_mad_u64_u32 v[1:2], s[2:3], v4, s6, v[1:2]
	v_mad_u64_u32 v[11:12], s[2:3], v4, s7, v[11:12]
	s_waitcnt lgkmcnt(0)
	v_mad_u64_u32 v[9:10], s[2:3], v4, s4, v[9:10]
	s_cbranch_execz .LBB61_234
	s_branch .LBB61_236
.LBB61_231:
                                        ; implicit-def: $vgpr1
                                        ; implicit-def: $vgpr11
                                        ; implicit-def: $vgpr9
	s_branch .LBB61_234
.LBB61_232:
	v_mov_b32_e32 v1, 0
	v_mov_b32_e32 v11, 0
	;; [unrolled: 1-line block ×3, first 2 shown]
.LBB61_233:
	s_cbranch_execnz .LBB61_236
.LBB61_234:
	s_load_dwordx4 s[4:7], s[12:13], 0x4
	s_load_dwordx4 s[8:11], s[12:13], 0xc4
	s_cmp_lt_u32 s33, 2
	s_waitcnt lgkmcnt(0)
	v_mul_hi_u32 v1, s5, v3
	v_add_u32_e32 v1, v3, v1
	v_lshrrev_b32_e32 v2, s6, v1
	v_mul_lo_u32 v1, v2, s4
	v_sub_u32_e32 v3, v3, v1
	v_mul_lo_u32 v1, v3, s8
	v_mul_lo_u32 v11, v3, s9
	;; [unrolled: 1-line block ×3, first 2 shown]
	s_cbranch_scc1 .LBB61_236
; %bb.235:
	s_load_dwordx4 s[4:7], s[12:13], 0x10
	s_load_dwordx4 s[8:11], s[12:13], 0xd0
	s_waitcnt lgkmcnt(0)
	v_mul_hi_u32 v3, s5, v2
	v_add_u32_e32 v3, v2, v3
	v_lshrrev_b32_e32 v3, s6, v3
	v_mul_lo_u32 v3, v3, s4
	v_sub_u32_e32 v3, v2, v3
	v_mad_u64_u32 v[1:2], s[2:3], v3, s8, v[1:2]
	v_mad_u64_u32 v[11:12], s[2:3], v3, s9, v[11:12]
	;; [unrolled: 1-line block ×3, first 2 shown]
.LBB61_236:
	s_and_b64 vcc, exec, s[0:1]
	v_add_u32_e32 v4, 0x100, v21
	s_cbranch_vccnz .LBB61_242
; %bb.237:
	s_cmp_lg_u32 s33, 0
	s_cbranch_scc0 .LBB61_243
; %bb.238:
	s_min_u32 s4, s40, 15
	s_add_i32 s2, s4, 1
	s_and_b32 s5, s2, 30
	s_add_u32 s2, s12, 0xffffffe8
	s_addc_u32 s3, s13, -1
	v_mov_b32_e32 v14, 0
	v_mov_b32_e32 v16, 0
	;; [unrolled: 1-line block ×4, first 2 shown]
.LBB61_239:                             ; =>This Inner Loop Header: Depth=1
	s_load_dwordx4 s[8:11], s[2:3], 0x1c
	s_load_dwordx2 s[6:7], s[2:3], 0x2c
	s_load_dwordx2 s[14:15], s[2:3], 0xec
	s_load_dwordx4 s[16:19], s[2:3], 0xdc
	s_add_u32 s2, s2, 24
	s_waitcnt vmcnt(2) lgkmcnt(0)
	v_mul_hi_u32 v5, s9, v3
	s_addc_u32 s3, s3, 0
	s_add_i32 s5, s5, -2
	s_cmp_lg_u32 s5, 0
	v_add_u32_e32 v5, v3, v5
	v_lshrrev_b32_e32 v5, s10, v5
	s_waitcnt vmcnt(1)
	v_mul_lo_u32 v7, v5, s8
	v_mul_hi_u32 v10, s6, v5
	v_sub_u32_e32 v7, v3, v7
	v_add_u32_e32 v3, v5, v10
	v_lshrrev_b32_e32 v3, s7, v3
	v_mul_lo_u32 v13, v3, s11
	v_mul_lo_u32 v10, v7, s16
	;; [unrolled: 1-line block ×4, first 2 shown]
	v_sub_u32_e32 v5, v5, v13
	v_mul_lo_u32 v13, v5, s19
	v_mul_lo_u32 v15, v5, s14
	;; [unrolled: 1-line block ×3, first 2 shown]
	v_add3_u32 v2, v10, v2, v13
	v_add3_u32 v16, v12, v16, v15
	;; [unrolled: 1-line block ×3, first 2 shown]
	s_cbranch_scc1 .LBB61_239
; %bb.240:
	s_bitcmp1_b32 s4, 0
	s_cselect_b64 s[4:5], -1, 0
	s_and_b64 vcc, exec, s[4:5]
	s_cbranch_vccnz .LBB61_244
; %bb.241:
	s_load_dwordx2 s[4:5], s[2:3], 0x1c
	s_load_dword s8, s[2:3], 0x24
	s_load_dwordx2 s[6:7], s[2:3], 0xdc
	s_waitcnt lgkmcnt(0)
	v_mul_hi_u32 v5, s5, v3
	v_add_u32_e32 v5, v3, v5
	v_lshrrev_b32_e32 v5, s8, v5
	v_mul_lo_u32 v5, v5, s4
	s_load_dword s4, s[2:3], 0xe4
	v_sub_u32_e32 v5, v3, v5
	v_mad_u64_u32 v[2:3], s[2:3], v5, s6, v[2:3]
	v_mad_u64_u32 v[16:17], s[2:3], v5, s7, v[16:17]
	s_waitcnt lgkmcnt(0)
	v_mad_u64_u32 v[14:15], s[2:3], v5, s4, v[14:15]
	s_cbranch_execz .LBB61_245
	s_branch .LBB61_247
.LBB61_242:
                                        ; implicit-def: $vgpr2
                                        ; implicit-def: $vgpr16
                                        ; implicit-def: $vgpr14
	s_branch .LBB61_245
.LBB61_243:
	v_mov_b32_e32 v2, 0
	v_mov_b32_e32 v16, 0
	;; [unrolled: 1-line block ×3, first 2 shown]
.LBB61_244:
	s_cbranch_execnz .LBB61_247
.LBB61_245:
	s_load_dwordx4 s[4:7], s[12:13], 0x4
	s_load_dwordx4 s[8:11], s[12:13], 0xc4
	s_cmp_lt_u32 s33, 2
	s_waitcnt lgkmcnt(0)
	v_mul_hi_u32 v2, s5, v4
	v_add_u32_e32 v2, v4, v2
	v_lshrrev_b32_e32 v3, s6, v2
	v_mul_lo_u32 v2, v3, s4
	v_sub_u32_e32 v4, v4, v2
	v_mul_lo_u32 v2, v4, s8
	v_mul_lo_u32 v16, v4, s9
	;; [unrolled: 1-line block ×3, first 2 shown]
	s_cbranch_scc1 .LBB61_247
; %bb.246:
	s_load_dwordx4 s[4:7], s[12:13], 0x10
	s_load_dwordx4 s[8:11], s[12:13], 0xd0
	s_waitcnt lgkmcnt(0)
	v_mul_hi_u32 v4, s5, v3
	v_add_u32_e32 v4, v3, v4
	v_lshrrev_b32_e32 v4, s6, v4
	v_mul_lo_u32 v4, v4, s4
	v_sub_u32_e32 v4, v3, v4
	v_mad_u64_u32 v[2:3], s[2:3], v4, s8, v[2:3]
	v_mad_u64_u32 v[16:17], s[2:3], v4, s9, v[16:17]
	;; [unrolled: 1-line block ×3, first 2 shown]
.LBB61_247:
	s_and_b64 vcc, exec, s[0:1]
	s_waitcnt vmcnt(2)
	v_add_u32_e32 v5, 0x180, v21
	s_cbranch_vccnz .LBB61_253
; %bb.248:
	s_cmp_lg_u32 s33, 0
	s_cbranch_scc0 .LBB61_254
; %bb.249:
	s_min_u32 s4, s40, 15
	s_add_i32 s2, s4, 1
	s_and_b32 s5, s2, 30
	s_add_u32 s2, s12, 0xffffffe8
	s_addc_u32 s3, s13, -1
	v_mov_b32_e32 v17, 0
	v_mov_b32_e32 v19, 0
	;; [unrolled: 1-line block ×4, first 2 shown]
.LBB61_250:                             ; =>This Inner Loop Header: Depth=1
	s_load_dwordx4 s[8:11], s[2:3], 0x1c
	s_load_dwordx2 s[6:7], s[2:3], 0x2c
	s_load_dwordx2 s[14:15], s[2:3], 0xec
	s_load_dwordx4 s[16:19], s[2:3], 0xdc
	s_add_u32 s2, s2, 24
	s_waitcnt vmcnt(1) lgkmcnt(0)
	v_mul_hi_u32 v7, s9, v4
	s_addc_u32 s3, s3, 0
	s_add_i32 s5, s5, -2
	s_cmp_lg_u32 s5, 0
	v_add_u32_e32 v7, v4, v7
	v_lshrrev_b32_e32 v7, s10, v7
	v_mul_lo_u32 v10, v7, s8
	v_mul_hi_u32 v12, s6, v7
	v_sub_u32_e32 v10, v4, v10
	v_add_u32_e32 v4, v7, v12
	v_lshrrev_b32_e32 v4, s7, v4
	v_mul_lo_u32 v15, v4, s11
	v_mul_lo_u32 v12, v10, s16
	;; [unrolled: 1-line block ×4, first 2 shown]
	v_sub_u32_e32 v7, v7, v15
	v_mul_lo_u32 v15, v7, s19
	v_mul_lo_u32 v18, v7, s14
	;; [unrolled: 1-line block ×3, first 2 shown]
	v_add3_u32 v3, v12, v3, v15
	v_add3_u32 v19, v13, v19, v18
	;; [unrolled: 1-line block ×3, first 2 shown]
	s_cbranch_scc1 .LBB61_250
; %bb.251:
	s_bitcmp1_b32 s4, 0
	s_cselect_b64 s[4:5], -1, 0
	s_and_b64 vcc, exec, s[4:5]
	s_cbranch_vccnz .LBB61_255
; %bb.252:
	s_load_dwordx2 s[4:5], s[2:3], 0x1c
	s_load_dword s8, s[2:3], 0x24
	s_load_dwordx2 s[6:7], s[2:3], 0xdc
	s_waitcnt lgkmcnt(0)
	v_mul_hi_u32 v7, s5, v4
	v_add_u32_e32 v7, v4, v7
	v_lshrrev_b32_e32 v7, s8, v7
	v_mul_lo_u32 v7, v7, s4
	s_load_dword s4, s[2:3], 0xe4
	v_sub_u32_e32 v7, v4, v7
	v_mad_u64_u32 v[3:4], s[2:3], v7, s6, v[3:4]
	v_mad_u64_u32 v[19:20], s[2:3], v7, s7, v[19:20]
	s_waitcnt lgkmcnt(0)
	v_mad_u64_u32 v[17:18], s[2:3], v7, s4, v[17:18]
	s_cbranch_execz .LBB61_256
	s_branch .LBB61_258
.LBB61_253:
                                        ; implicit-def: $vgpr3
                                        ; implicit-def: $vgpr19
                                        ; implicit-def: $vgpr17
	s_branch .LBB61_256
.LBB61_254:
	v_mov_b32_e32 v3, 0
	v_mov_b32_e32 v19, 0
	;; [unrolled: 1-line block ×3, first 2 shown]
.LBB61_255:
	s_cbranch_execnz .LBB61_258
.LBB61_256:
	s_load_dwordx4 s[4:7], s[12:13], 0x4
	s_load_dwordx4 s[8:11], s[12:13], 0xc4
	s_cmp_lt_u32 s33, 2
	s_waitcnt lgkmcnt(0)
	v_mul_hi_u32 v3, s5, v5
	v_add_u32_e32 v3, v5, v3
	v_lshrrev_b32_e32 v4, s6, v3
	v_mul_lo_u32 v3, v4, s4
	v_sub_u32_e32 v5, v5, v3
	v_mul_lo_u32 v3, v5, s8
	v_mul_lo_u32 v19, v5, s9
	;; [unrolled: 1-line block ×3, first 2 shown]
	s_cbranch_scc1 .LBB61_258
; %bb.257:
	s_load_dwordx4 s[4:7], s[12:13], 0x10
	s_load_dwordx4 s[8:11], s[12:13], 0xd0
	s_waitcnt lgkmcnt(0)
	v_mul_hi_u32 v5, s5, v4
	v_add_u32_e32 v5, v4, v5
	v_lshrrev_b32_e32 v5, s6, v5
	v_mul_lo_u32 v5, v5, s4
	v_sub_u32_e32 v5, v4, v5
	v_mad_u64_u32 v[3:4], s[2:3], v5, s8, v[3:4]
	v_mad_u64_u32 v[19:20], s[2:3], v5, s9, v[19:20]
	;; [unrolled: 1-line block ×3, first 2 shown]
.LBB61_258:
	s_and_b64 vcc, exec, s[0:1]
	s_waitcnt vmcnt(1)
	v_add_u32_e32 v7, 0x200, v21
	s_cbranch_vccnz .LBB61_264
; %bb.259:
	s_cmp_lg_u32 s33, 0
	s_cbranch_scc0 .LBB61_265
; %bb.260:
	s_min_u32 s4, s40, 15
	s_add_i32 s2, s4, 1
	s_and_b32 s5, s2, 30
	s_add_u32 s2, s12, 0xffffffe8
	s_addc_u32 s3, s13, -1
	v_mov_b32_e32 v22, 0
	v_mov_b32_e32 v24, 0
	;; [unrolled: 1-line block ×4, first 2 shown]
.LBB61_261:                             ; =>This Inner Loop Header: Depth=1
	s_load_dwordx4 s[8:11], s[2:3], 0x1c
	s_load_dwordx2 s[6:7], s[2:3], 0x2c
	s_load_dwordx2 s[14:15], s[2:3], 0xec
	s_load_dwordx4 s[16:19], s[2:3], 0xdc
	s_add_u32 s2, s2, 24
	s_waitcnt lgkmcnt(0)
	v_mul_hi_u32 v10, s9, v5
	s_addc_u32 s3, s3, 0
	s_add_i32 s5, s5, -2
	s_cmp_lg_u32 s5, 0
	v_add_u32_e32 v10, v5, v10
	v_lshrrev_b32_e32 v10, s10, v10
	v_mul_lo_u32 v12, v10, s8
	v_mul_hi_u32 v13, s6, v10
	v_sub_u32_e32 v12, v5, v12
	v_add_u32_e32 v5, v10, v13
	v_lshrrev_b32_e32 v5, s7, v5
	v_mul_lo_u32 v18, v5, s11
	v_mul_lo_u32 v13, v12, s16
	;; [unrolled: 1-line block ×4, first 2 shown]
	v_sub_u32_e32 v10, v10, v18
	v_mul_lo_u32 v18, v10, s19
	v_mul_lo_u32 v20, v10, s14
	;; [unrolled: 1-line block ×3, first 2 shown]
	v_add3_u32 v4, v13, v4, v18
	v_add3_u32 v24, v15, v24, v20
	;; [unrolled: 1-line block ×3, first 2 shown]
	s_cbranch_scc1 .LBB61_261
; %bb.262:
	s_bitcmp1_b32 s4, 0
	s_cselect_b64 s[4:5], -1, 0
	s_and_b64 vcc, exec, s[4:5]
	s_cbranch_vccnz .LBB61_266
; %bb.263:
	s_load_dwordx2 s[4:5], s[2:3], 0x1c
	s_load_dword s8, s[2:3], 0x24
	s_load_dwordx2 s[6:7], s[2:3], 0xdc
	s_waitcnt lgkmcnt(0)
	v_mul_hi_u32 v10, s5, v5
	v_add_u32_e32 v10, v5, v10
	v_lshrrev_b32_e32 v10, s8, v10
	v_mul_lo_u32 v10, v10, s4
	s_load_dword s4, s[2:3], 0xe4
	v_sub_u32_e32 v10, v5, v10
	v_mad_u64_u32 v[4:5], s[2:3], v10, s6, v[4:5]
	v_mad_u64_u32 v[24:25], s[2:3], v10, s7, v[24:25]
	s_waitcnt lgkmcnt(0)
	v_mad_u64_u32 v[22:23], s[2:3], v10, s4, v[22:23]
	s_cbranch_execz .LBB61_267
	s_branch .LBB61_269
.LBB61_264:
                                        ; implicit-def: $vgpr4
                                        ; implicit-def: $vgpr24
                                        ; implicit-def: $vgpr22
	s_branch .LBB61_267
.LBB61_265:
	v_mov_b32_e32 v4, 0
	v_mov_b32_e32 v24, 0
	;; [unrolled: 1-line block ×3, first 2 shown]
.LBB61_266:
	s_cbranch_execnz .LBB61_269
.LBB61_267:
	s_load_dwordx4 s[4:7], s[12:13], 0x4
	s_load_dwordx4 s[8:11], s[12:13], 0xc4
	s_cmp_lt_u32 s33, 2
	s_waitcnt lgkmcnt(0)
	v_mul_hi_u32 v4, s5, v7
	v_add_u32_e32 v4, v7, v4
	v_lshrrev_b32_e32 v5, s6, v4
	v_mul_lo_u32 v4, v5, s4
	v_sub_u32_e32 v7, v7, v4
	v_mul_lo_u32 v4, v7, s8
	v_mul_lo_u32 v24, v7, s9
	;; [unrolled: 1-line block ×3, first 2 shown]
	s_cbranch_scc1 .LBB61_269
; %bb.268:
	s_load_dwordx4 s[4:7], s[12:13], 0x10
	s_load_dwordx4 s[8:11], s[12:13], 0xd0
	s_waitcnt lgkmcnt(0)
	v_mul_hi_u32 v7, s5, v5
	v_add_u32_e32 v7, v5, v7
	v_lshrrev_b32_e32 v7, s6, v7
	v_mul_lo_u32 v7, v7, s4
	v_sub_u32_e32 v7, v5, v7
	v_mad_u64_u32 v[4:5], s[2:3], v7, s8, v[4:5]
	v_mad_u64_u32 v[24:25], s[2:3], v7, s9, v[24:25]
	;; [unrolled: 1-line block ×3, first 2 shown]
.LBB61_269:
	s_and_b64 vcc, exec, s[0:1]
	v_add_u32_e32 v5, 0x280, v21
	s_cbranch_vccnz .LBB61_275
; %bb.270:
	s_cmp_lg_u32 s33, 0
	s_cbranch_scc0 .LBB61_276
; %bb.271:
	s_min_u32 s4, s40, 15
	s_add_i32 s2, s4, 1
	s_and_b32 s5, s2, 30
	s_add_u32 s2, s12, 0xffffffe8
	s_addc_u32 s3, s13, -1
	v_mov_b32_e32 v25, 0
	v_mov_b32_e32 v27, 0
	;; [unrolled: 1-line block ×4, first 2 shown]
.LBB61_272:                             ; =>This Inner Loop Header: Depth=1
	s_load_dwordx4 s[8:11], s[2:3], 0x1c
	s_load_dwordx2 s[6:7], s[2:3], 0x2c
	s_load_dwordx2 s[14:15], s[2:3], 0xec
	s_load_dwordx4 s[16:19], s[2:3], 0xdc
	s_add_u32 s2, s2, 24
	s_waitcnt lgkmcnt(0)
	v_mul_hi_u32 v10, s9, v7
	s_addc_u32 s3, s3, 0
	s_add_i32 s5, s5, -2
	s_cmp_lg_u32 s5, 0
	v_add_u32_e32 v10, v7, v10
	v_lshrrev_b32_e32 v10, s10, v10
	v_mul_lo_u32 v13, v10, s8
	v_mul_hi_u32 v15, s6, v10
	v_sub_u32_e32 v13, v7, v13
	v_add_u32_e32 v7, v10, v15
	v_lshrrev_b32_e32 v7, s7, v7
	v_mul_lo_u32 v20, v7, s11
	v_mul_lo_u32 v15, v13, s16
	;; [unrolled: 1-line block ×4, first 2 shown]
	v_sub_u32_e32 v10, v10, v20
	v_mul_lo_u32 v20, v10, s19
	v_mul_lo_u32 v23, v10, s14
	;; [unrolled: 1-line block ×3, first 2 shown]
	v_add3_u32 v12, v15, v12, v20
	v_add3_u32 v27, v18, v27, v23
	;; [unrolled: 1-line block ×3, first 2 shown]
	s_cbranch_scc1 .LBB61_272
; %bb.273:
	s_bitcmp1_b32 s4, 0
	s_cselect_b64 s[4:5], -1, 0
	s_and_b64 vcc, exec, s[4:5]
	s_cbranch_vccnz .LBB61_277
; %bb.274:
	s_load_dwordx2 s[4:5], s[2:3], 0x1c
	s_load_dword s8, s[2:3], 0x24
	s_load_dwordx2 s[6:7], s[2:3], 0xdc
	s_waitcnt lgkmcnt(0)
	v_mul_hi_u32 v10, s5, v7
	v_add_u32_e32 v10, v7, v10
	v_lshrrev_b32_e32 v10, s8, v10
	v_mul_lo_u32 v10, v10, s4
	s_load_dword s4, s[2:3], 0xe4
	v_sub_u32_e32 v7, v7, v10
	v_mad_u64_u32 v[12:13], s[2:3], v7, s6, v[12:13]
	v_mad_u64_u32 v[27:28], s[2:3], v7, s7, v[27:28]
	s_waitcnt lgkmcnt(0)
	v_mad_u64_u32 v[25:26], s[2:3], v7, s4, v[25:26]
	s_cbranch_execz .LBB61_278
	s_branch .LBB61_280
.LBB61_275:
                                        ; implicit-def: $vgpr12
                                        ; implicit-def: $vgpr27
                                        ; implicit-def: $vgpr25
	s_branch .LBB61_278
.LBB61_276:
	v_mov_b32_e32 v12, 0
	v_mov_b32_e32 v27, 0
	;; [unrolled: 1-line block ×3, first 2 shown]
.LBB61_277:
	s_cbranch_execnz .LBB61_280
.LBB61_278:
	s_load_dwordx4 s[4:7], s[12:13], 0x4
	s_load_dwordx4 s[8:11], s[12:13], 0xc4
	s_cmp_lt_u32 s33, 2
	s_waitcnt lgkmcnt(0)
	v_mul_hi_u32 v7, s5, v5
	v_add_u32_e32 v7, v5, v7
	v_lshrrev_b32_e32 v7, s6, v7
	v_mul_lo_u32 v10, v7, s4
	v_sub_u32_e32 v5, v5, v10
	v_mul_lo_u32 v12, v5, s8
	v_mul_lo_u32 v27, v5, s9
	;; [unrolled: 1-line block ×3, first 2 shown]
	s_cbranch_scc1 .LBB61_280
; %bb.279:
	s_load_dwordx4 s[4:7], s[12:13], 0x10
	s_load_dwordx4 s[8:11], s[12:13], 0xd0
	s_waitcnt lgkmcnt(0)
	v_mul_hi_u32 v5, s5, v7
	v_add_u32_e32 v5, v7, v5
	v_lshrrev_b32_e32 v5, s6, v5
	v_mul_lo_u32 v5, v5, s4
	v_sub_u32_e32 v5, v7, v5
	v_mad_u64_u32 v[12:13], s[2:3], v5, s8, v[12:13]
	v_mad_u64_u32 v[27:28], s[2:3], v5, s9, v[27:28]
	;; [unrolled: 1-line block ×3, first 2 shown]
.LBB61_280:
	s_and_b64 vcc, exec, s[0:1]
	v_add_u32_e32 v5, 0x300, v21
	s_cbranch_vccnz .LBB61_286
; %bb.281:
	s_cmp_lg_u32 s33, 0
	s_cbranch_scc0 .LBB61_287
; %bb.282:
	s_min_u32 s4, s40, 15
	s_add_i32 s2, s4, 1
	s_and_b32 s5, s2, 30
	s_add_u32 s2, s12, 0xffffffe8
	s_addc_u32 s3, s13, -1
	v_mov_b32_e32 v30, 0
	v_mov_b32_e32 v32, 0
	;; [unrolled: 1-line block ×4, first 2 shown]
.LBB61_283:                             ; =>This Inner Loop Header: Depth=1
	s_load_dwordx4 s[8:11], s[2:3], 0x1c
	s_load_dwordx2 s[6:7], s[2:3], 0x2c
	s_load_dwordx2 s[14:15], s[2:3], 0xec
	s_load_dwordx4 s[16:19], s[2:3], 0xdc
	s_add_u32 s2, s2, 24
	s_waitcnt lgkmcnt(0)
	v_mul_hi_u32 v10, s9, v7
	s_addc_u32 s3, s3, 0
	s_add_i32 s5, s5, -2
	s_cmp_lg_u32 s5, 0
	v_add_u32_e32 v10, v7, v10
	v_lshrrev_b32_e32 v10, s10, v10
	v_mul_lo_u32 v13, v10, s8
	v_mul_hi_u32 v15, s6, v10
	v_sub_u32_e32 v13, v7, v13
	v_add_u32_e32 v7, v10, v15
	v_lshrrev_b32_e32 v7, s7, v7
	v_mul_lo_u32 v21, v7, s11
	v_mul_lo_u32 v15, v13, s16
	;; [unrolled: 1-line block ×4, first 2 shown]
	v_sub_u32_e32 v10, v10, v21
	v_mul_lo_u32 v21, v10, s19
	v_mul_lo_u32 v23, v10, s14
	;; [unrolled: 1-line block ×3, first 2 shown]
	v_add3_u32 v20, v15, v20, v21
	v_add3_u32 v32, v18, v32, v23
	;; [unrolled: 1-line block ×3, first 2 shown]
	s_cbranch_scc1 .LBB61_283
; %bb.284:
	s_bitcmp1_b32 s4, 0
	s_cselect_b64 s[4:5], -1, 0
	s_and_b64 vcc, exec, s[4:5]
	s_cbranch_vccnz .LBB61_288
; %bb.285:
	s_load_dwordx2 s[4:5], s[2:3], 0x1c
	s_load_dword s8, s[2:3], 0x24
	s_load_dwordx2 s[6:7], s[2:3], 0xdc
	s_waitcnt lgkmcnt(0)
	v_mul_hi_u32 v10, s5, v7
	v_add_u32_e32 v10, v7, v10
	v_lshrrev_b32_e32 v10, s8, v10
	v_mul_lo_u32 v10, v10, s4
	s_load_dword s4, s[2:3], 0xe4
	v_sub_u32_e32 v7, v7, v10
	v_mad_u64_u32 v[20:21], s[2:3], v7, s6, v[20:21]
	v_mad_u64_u32 v[32:33], s[2:3], v7, s7, v[32:33]
	s_waitcnt lgkmcnt(0)
	v_mad_u64_u32 v[30:31], s[2:3], v7, s4, v[30:31]
	s_cbranch_execz .LBB61_289
	s_branch .LBB61_291
.LBB61_286:
                                        ; implicit-def: $vgpr20
                                        ; implicit-def: $vgpr32
                                        ; implicit-def: $vgpr30
	s_branch .LBB61_289
.LBB61_287:
	v_mov_b32_e32 v20, 0
	v_mov_b32_e32 v32, 0
	;; [unrolled: 1-line block ×3, first 2 shown]
.LBB61_288:
	s_cbranch_execnz .LBB61_291
.LBB61_289:
	s_load_dwordx4 s[4:7], s[12:13], 0x4
	s_load_dwordx4 s[8:11], s[12:13], 0xc4
	s_cmp_lt_u32 s33, 2
	s_waitcnt lgkmcnt(0)
	v_mul_hi_u32 v7, s5, v5
	v_add_u32_e32 v7, v5, v7
	v_lshrrev_b32_e32 v7, s6, v7
	v_mul_lo_u32 v10, v7, s4
	v_sub_u32_e32 v5, v5, v10
	v_mul_lo_u32 v20, v5, s8
	v_mul_lo_u32 v32, v5, s9
	;; [unrolled: 1-line block ×3, first 2 shown]
	s_cbranch_scc1 .LBB61_291
; %bb.290:
	s_load_dwordx4 s[4:7], s[12:13], 0x10
	s_load_dwordx4 s[8:11], s[12:13], 0xd0
	s_waitcnt lgkmcnt(0)
	v_mul_hi_u32 v5, s5, v7
	v_add_u32_e32 v5, v7, v5
	v_lshrrev_b32_e32 v5, s6, v5
	v_mul_lo_u32 v5, v5, s4
	v_sub_u32_e32 v5, v7, v5
	v_mad_u64_u32 v[20:21], s[2:3], v5, s8, v[20:21]
	v_mad_u64_u32 v[32:33], s[2:3], v5, s9, v[32:33]
	;; [unrolled: 1-line block ×3, first 2 shown]
.LBB61_291:
	s_and_b64 vcc, exec, s[0:1]
	s_cbranch_vccnz .LBB61_297
; %bb.292:
	s_cmp_lg_u32 s33, 0
	s_cbranch_scc0 .LBB61_298
; %bb.293:
	s_min_u32 s2, s40, 15
	s_add_i32 s0, s2, 1
	s_and_b32 s3, s0, 30
	s_add_u32 s0, s12, 0xffffffe8
	s_addc_u32 s1, s13, -1
	v_mov_b32_e32 v35, 0
	v_mov_b32_e32 v33, 0
	;; [unrolled: 1-line block ×4, first 2 shown]
.LBB61_294:                             ; =>This Inner Loop Header: Depth=1
	s_load_dwordx4 s[4:7], s[0:1], 0x1c
	s_load_dwordx2 s[14:15], s[0:1], 0x2c
	s_load_dwordx2 s[16:17], s[0:1], 0xec
	s_load_dwordx4 s[8:11], s[0:1], 0xdc
	s_add_u32 s0, s0, 24
	s_waitcnt lgkmcnt(0)
	v_mul_hi_u32 v7, s5, v5
	s_addc_u32 s1, s1, 0
	s_add_i32 s3, s3, -2
	s_cmp_lg_u32 s3, 0
	v_add_u32_e32 v7, v5, v7
	v_lshrrev_b32_e32 v7, s6, v7
	v_mul_lo_u32 v10, v7, s4
	v_mul_hi_u32 v13, s14, v7
	v_sub_u32_e32 v10, v5, v10
	v_add_u32_e32 v5, v7, v13
	v_lshrrev_b32_e32 v5, s15, v5
	v_mul_lo_u32 v18, v5, s7
	v_mul_lo_u32 v13, v10, s8
	;; [unrolled: 1-line block ×4, first 2 shown]
	v_sub_u32_e32 v7, v7, v18
	v_mul_lo_u32 v18, v7, s11
	v_mul_lo_u32 v21, v7, s16
	;; [unrolled: 1-line block ×3, first 2 shown]
	v_add3_u32 v28, v13, v28, v18
	v_add3_u32 v33, v15, v33, v21
	;; [unrolled: 1-line block ×3, first 2 shown]
	s_cbranch_scc1 .LBB61_294
; %bb.295:
	s_bitcmp1_b32 s2, 0
	s_cselect_b64 s[2:3], -1, 0
	s_and_b64 vcc, exec, s[2:3]
	s_cbranch_vccnz .LBB61_299
; %bb.296:
	s_load_dwordx2 s[2:3], s[0:1], 0x1c
	s_load_dword s6, s[0:1], 0x24
	s_load_dwordx2 s[4:5], s[0:1], 0xdc
	s_waitcnt lgkmcnt(0)
	v_mul_hi_u32 v7, s3, v5
	v_add_u32_e32 v7, v5, v7
	v_lshrrev_b32_e32 v7, s6, v7
	v_mul_lo_u32 v7, v7, s2
	s_load_dword s2, s[0:1], 0xe4
	v_sub_u32_e32 v5, v5, v7
	v_mad_u64_u32 v[28:29], s[0:1], v5, s4, v[28:29]
	v_mad_u64_u32 v[33:34], s[0:1], v5, s5, v[33:34]
	s_waitcnt lgkmcnt(0)
	v_mad_u64_u32 v[35:36], s[0:1], v5, s2, v[35:36]
	s_cbranch_execz .LBB61_300
	s_branch .LBB61_302
.LBB61_297:
                                        ; implicit-def: $vgpr28
                                        ; implicit-def: $vgpr33
                                        ; implicit-def: $vgpr35
	s_branch .LBB61_300
.LBB61_298:
	v_mov_b32_e32 v28, 0
	v_mov_b32_e32 v33, 0
	;; [unrolled: 1-line block ×3, first 2 shown]
.LBB61_299:
	s_cbranch_execnz .LBB61_302
.LBB61_300:
	s_load_dwordx4 s[0:3], s[12:13], 0x4
	s_load_dwordx4 s[4:7], s[12:13], 0xc4
	s_cmp_lt_u32 s33, 2
	s_waitcnt lgkmcnt(0)
	v_mul_hi_u32 v5, s1, v37
	v_add_u32_e32 v5, v37, v5
	v_lshrrev_b32_e32 v5, s2, v5
	v_mul_lo_u32 v7, v5, s0
	v_sub_u32_e32 v7, v37, v7
	v_mul_lo_u32 v28, v7, s4
	v_mul_lo_u32 v33, v7, s5
	;; [unrolled: 1-line block ×3, first 2 shown]
	s_cbranch_scc1 .LBB61_302
; %bb.301:
	s_load_dwordx4 s[0:3], s[12:13], 0x10
	s_load_dwordx4 s[4:7], s[12:13], 0xd0
	s_waitcnt lgkmcnt(0)
	v_mul_hi_u32 v7, s1, v5
	v_add_u32_e32 v7, v5, v7
	v_lshrrev_b32_e32 v7, s2, v7
	v_mul_lo_u32 v7, v7, s0
	v_sub_u32_e32 v5, v5, v7
	v_mad_u64_u32 v[28:29], s[0:1], v5, s4, v[28:29]
	v_mad_u64_u32 v[33:34], s[0:1], v5, s5, v[33:34]
	;; [unrolled: 1-line block ×3, first 2 shown]
.LBB61_302:
	s_load_dwordx4 s[0:3], s[12:13], 0x188
	s_load_dwordx2 s[6:7], s[12:13], 0x198
	s_load_dword s26, s[12:13], 0x1a0
	s_mov_b64 s[8:9], 0
	s_waitcnt lgkmcnt(0)
	global_load_dwordx2 v[36:37], v8, s[2:3]
	global_load_dwordx2 v[38:39], v6, s[6:7]
	s_cmp_lt_i32 s26, 1
	s_cbranch_scc1 .LBB61_306
; %bb.303:
	s_cmp_gt_i32 s26, 1
	s_cbranch_scc0 .LBB61_307
; %bb.304:
	s_cmp_eq_u32 s26, 2
	s_cbranch_scc0 .LBB61_308
; %bb.305:
	s_waitcnt vmcnt(0)
	v_cmp_le_i64_e64 s[4:5], v[36:37], v[38:39]
	s_mov_b64 s[10:11], 0
	s_branch .LBB61_309
.LBB61_306:
                                        ; implicit-def: $sgpr4_sgpr5
	s_mov_b64 s[10:11], 0
	s_cbranch_execnz .LBB61_312
	s_branch .LBB61_313
.LBB61_307:
	s_mov_b64 s[10:11], 0
                                        ; implicit-def: $sgpr4_sgpr5
	s_cbranch_execnz .LBB61_310
	s_branch .LBB61_311
.LBB61_308:
	s_mov_b64 s[10:11], -1
                                        ; implicit-def: $sgpr4_sgpr5
.LBB61_309:
	s_branch .LBB61_311
.LBB61_310:
	s_waitcnt vmcnt(0)
	v_cmp_gt_i64_e32 vcc, v[36:37], v[38:39]
	s_andn2_b64 s[4:5], s[4:5], exec
	s_and_b64 s[12:13], vcc, exec
	s_or_b64 s[4:5], s[4:5], s[12:13]
.LBB61_311:
	s_branch .LBB61_313
.LBB61_312:
	s_cmp_lg_u32 s26, 0
	s_mov_b64 s[8:9], -1
	s_cselect_b64 s[10:11], -1, 0
.LBB61_313:
	s_andn2_b64 vcc, exec, s[10:11]
	s_cbranch_vccz .LBB61_320
; %bb.314:
	s_andn2_b64 vcc, exec, s[8:9]
	s_cbranch_vccnz .LBB61_316
.LBB61_315:
	s_waitcnt vmcnt(0)
	v_cmp_ge_i64_e32 vcc, v[36:37], v[38:39]
	s_andn2_b64 s[4:5], s[4:5], exec
	s_and_b64 s[8:9], vcc, exec
	s_or_b64 s[4:5], s[4:5], s[8:9]
.LBB61_316:
	global_load_dwordx2 v[5:6], v11, s[2:3]
	global_load_dwordx2 v[7:8], v9, s[6:7]
	s_cmp_lt_i32 s26, 1
	s_mov_b64 s[10:11], 0
	s_cbranch_scc1 .LBB61_321
; %bb.317:
	s_cmp_gt_i32 s26, 1
	s_cbranch_scc0 .LBB61_322
; %bb.318:
	s_cmp_eq_u32 s26, 2
	s_cbranch_scc0 .LBB61_323
; %bb.319:
	s_waitcnt vmcnt(0)
	v_cmp_le_i64_e64 s[8:9], v[5:6], v[7:8]
	s_mov_b64 s[12:13], 0
	s_branch .LBB61_324
.LBB61_320:
	s_waitcnt vmcnt(0)
	v_cmp_lt_i64_e32 vcc, v[36:37], v[38:39]
	s_andn2_b64 s[4:5], s[4:5], exec
	s_and_b64 s[10:11], vcc, exec
	s_or_b64 s[4:5], s[4:5], s[10:11]
	s_cbranch_execz .LBB61_315
	s_branch .LBB61_316
.LBB61_321:
                                        ; implicit-def: $sgpr8_sgpr9
	s_mov_b64 s[12:13], 0
	s_cbranch_execnz .LBB61_327
	s_branch .LBB61_328
.LBB61_322:
	s_mov_b64 s[12:13], 0
                                        ; implicit-def: $sgpr8_sgpr9
	s_cbranch_execnz .LBB61_325
	s_branch .LBB61_326
.LBB61_323:
	s_mov_b64 s[12:13], -1
                                        ; implicit-def: $sgpr8_sgpr9
.LBB61_324:
	s_branch .LBB61_326
.LBB61_325:
	s_waitcnt vmcnt(0)
	v_cmp_gt_i64_e32 vcc, v[5:6], v[7:8]
	s_andn2_b64 s[8:9], s[8:9], exec
	s_and_b64 s[14:15], vcc, exec
	s_or_b64 s[8:9], s[8:9], s[14:15]
.LBB61_326:
	s_branch .LBB61_328
.LBB61_327:
	s_cmp_lg_u32 s26, 0
	s_mov_b64 s[10:11], -1
	s_cselect_b64 s[12:13], -1, 0
.LBB61_328:
	s_andn2_b64 vcc, exec, s[12:13]
	s_cbranch_vccz .LBB61_335
; %bb.329:
	s_andn2_b64 vcc, exec, s[10:11]
	s_cbranch_vccnz .LBB61_331
.LBB61_330:
	s_waitcnt vmcnt(0)
	v_cmp_ge_i64_e32 vcc, v[5:6], v[7:8]
	s_andn2_b64 s[8:9], s[8:9], exec
	s_and_b64 s[10:11], vcc, exec
	s_or_b64 s[8:9], s[8:9], s[10:11]
.LBB61_331:
	global_load_dwordx2 v[5:6], v16, s[2:3]
	global_load_dwordx2 v[7:8], v14, s[6:7]
	s_cmp_lt_i32 s26, 1
	s_mov_b64 s[12:13], 0
	s_cbranch_scc1 .LBB61_336
; %bb.332:
	s_cmp_gt_i32 s26, 1
	s_cbranch_scc0 .LBB61_337
; %bb.333:
	s_cmp_eq_u32 s26, 2
	s_cbranch_scc0 .LBB61_338
; %bb.334:
	s_waitcnt vmcnt(0)
	v_cmp_le_i64_e64 s[10:11], v[5:6], v[7:8]
	s_mov_b64 s[14:15], 0
	s_branch .LBB61_339
.LBB61_335:
	s_waitcnt vmcnt(0)
	v_cmp_lt_i64_e32 vcc, v[5:6], v[7:8]
	s_andn2_b64 s[8:9], s[8:9], exec
	s_and_b64 s[12:13], vcc, exec
	s_or_b64 s[8:9], s[8:9], s[12:13]
	s_cbranch_execz .LBB61_330
	s_branch .LBB61_331
.LBB61_336:
                                        ; implicit-def: $sgpr10_sgpr11
	s_mov_b64 s[14:15], 0
	s_cbranch_execnz .LBB61_342
	s_branch .LBB61_343
.LBB61_337:
	s_mov_b64 s[14:15], 0
                                        ; implicit-def: $sgpr10_sgpr11
	s_cbranch_execnz .LBB61_340
	s_branch .LBB61_341
.LBB61_338:
	s_mov_b64 s[14:15], -1
                                        ; implicit-def: $sgpr10_sgpr11
.LBB61_339:
	s_branch .LBB61_341
.LBB61_340:
	s_waitcnt vmcnt(0)
	v_cmp_gt_i64_e32 vcc, v[5:6], v[7:8]
	s_andn2_b64 s[10:11], s[10:11], exec
	s_and_b64 s[16:17], vcc, exec
	s_or_b64 s[10:11], s[10:11], s[16:17]
.LBB61_341:
	s_branch .LBB61_343
.LBB61_342:
	s_cmp_lg_u32 s26, 0
	s_mov_b64 s[12:13], -1
	s_cselect_b64 s[14:15], -1, 0
.LBB61_343:
	s_andn2_b64 vcc, exec, s[14:15]
	s_cbranch_vccz .LBB61_350
; %bb.344:
	s_andn2_b64 vcc, exec, s[12:13]
	s_cbranch_vccnz .LBB61_346
.LBB61_345:
	s_waitcnt vmcnt(0)
	v_cmp_ge_i64_e32 vcc, v[5:6], v[7:8]
	s_andn2_b64 s[10:11], s[10:11], exec
	s_and_b64 s[12:13], vcc, exec
	s_or_b64 s[10:11], s[10:11], s[12:13]
.LBB61_346:
	global_load_dwordx2 v[5:6], v19, s[2:3]
	global_load_dwordx2 v[7:8], v17, s[6:7]
	s_cmp_lt_i32 s26, 1
	s_mov_b64 s[14:15], 0
	s_cbranch_scc1 .LBB61_351
; %bb.347:
	s_cmp_gt_i32 s26, 1
	s_cbranch_scc0 .LBB61_352
; %bb.348:
	s_cmp_eq_u32 s26, 2
	s_cbranch_scc0 .LBB61_353
; %bb.349:
	s_waitcnt vmcnt(0)
	v_cmp_le_i64_e64 s[12:13], v[5:6], v[7:8]
	s_mov_b64 s[16:17], 0
	s_branch .LBB61_354
.LBB61_350:
	s_waitcnt vmcnt(0)
	v_cmp_lt_i64_e32 vcc, v[5:6], v[7:8]
	s_andn2_b64 s[10:11], s[10:11], exec
	s_and_b64 s[14:15], vcc, exec
	s_or_b64 s[10:11], s[10:11], s[14:15]
	s_cbranch_execz .LBB61_345
	s_branch .LBB61_346
.LBB61_351:
                                        ; implicit-def: $sgpr12_sgpr13
	s_mov_b64 s[16:17], 0
	s_cbranch_execnz .LBB61_357
	s_branch .LBB61_358
.LBB61_352:
	s_mov_b64 s[16:17], 0
                                        ; implicit-def: $sgpr12_sgpr13
	s_cbranch_execnz .LBB61_355
	s_branch .LBB61_356
.LBB61_353:
	s_mov_b64 s[16:17], -1
                                        ; implicit-def: $sgpr12_sgpr13
.LBB61_354:
	s_branch .LBB61_356
.LBB61_355:
	s_waitcnt vmcnt(0)
	v_cmp_gt_i64_e32 vcc, v[5:6], v[7:8]
	s_andn2_b64 s[12:13], s[12:13], exec
	s_and_b64 s[18:19], vcc, exec
	s_or_b64 s[12:13], s[12:13], s[18:19]
.LBB61_356:
	s_branch .LBB61_358
.LBB61_357:
	s_cmp_lg_u32 s26, 0
	s_mov_b64 s[14:15], -1
	s_cselect_b64 s[16:17], -1, 0
.LBB61_358:
	s_andn2_b64 vcc, exec, s[16:17]
	s_cbranch_vccz .LBB61_365
; %bb.359:
	s_andn2_b64 vcc, exec, s[14:15]
	s_cbranch_vccnz .LBB61_361
.LBB61_360:
	s_waitcnt vmcnt(0)
	v_cmp_ge_i64_e32 vcc, v[5:6], v[7:8]
	s_andn2_b64 s[12:13], s[12:13], exec
	s_and_b64 s[14:15], vcc, exec
	s_or_b64 s[12:13], s[12:13], s[14:15]
.LBB61_361:
	global_load_dwordx2 v[5:6], v24, s[2:3]
	global_load_dwordx2 v[7:8], v22, s[6:7]
	s_cmp_lt_i32 s26, 1
	s_mov_b64 s[16:17], 0
	s_cbranch_scc1 .LBB61_366
; %bb.362:
	s_cmp_gt_i32 s26, 1
	s_cbranch_scc0 .LBB61_367
; %bb.363:
	s_cmp_eq_u32 s26, 2
	s_cbranch_scc0 .LBB61_368
; %bb.364:
	s_waitcnt vmcnt(0)
	v_cmp_le_i64_e64 s[14:15], v[5:6], v[7:8]
	s_mov_b64 s[18:19], 0
	s_branch .LBB61_369
.LBB61_365:
	s_waitcnt vmcnt(0)
	v_cmp_lt_i64_e32 vcc, v[5:6], v[7:8]
	s_andn2_b64 s[12:13], s[12:13], exec
	s_and_b64 s[16:17], vcc, exec
	s_or_b64 s[12:13], s[12:13], s[16:17]
	s_cbranch_execz .LBB61_360
	s_branch .LBB61_361
.LBB61_366:
                                        ; implicit-def: $sgpr14_sgpr15
	s_mov_b64 s[18:19], 0
	s_cbranch_execnz .LBB61_372
	s_branch .LBB61_373
.LBB61_367:
	s_mov_b64 s[18:19], 0
                                        ; implicit-def: $sgpr14_sgpr15
	s_cbranch_execnz .LBB61_370
	s_branch .LBB61_371
.LBB61_368:
	s_mov_b64 s[18:19], -1
                                        ; implicit-def: $sgpr14_sgpr15
.LBB61_369:
	s_branch .LBB61_371
.LBB61_370:
	s_waitcnt vmcnt(0)
	v_cmp_gt_i64_e32 vcc, v[5:6], v[7:8]
	s_andn2_b64 s[14:15], s[14:15], exec
	s_and_b64 s[20:21], vcc, exec
	s_or_b64 s[14:15], s[14:15], s[20:21]
.LBB61_371:
	s_branch .LBB61_373
.LBB61_372:
	s_cmp_lg_u32 s26, 0
	s_mov_b64 s[16:17], -1
	s_cselect_b64 s[18:19], -1, 0
.LBB61_373:
	s_andn2_b64 vcc, exec, s[18:19]
	s_cbranch_vccz .LBB61_380
; %bb.374:
	s_andn2_b64 vcc, exec, s[16:17]
	s_cbranch_vccnz .LBB61_376
.LBB61_375:
	s_waitcnt vmcnt(0)
	v_cmp_ge_i64_e32 vcc, v[5:6], v[7:8]
	s_andn2_b64 s[14:15], s[14:15], exec
	s_and_b64 s[16:17], vcc, exec
	s_or_b64 s[14:15], s[14:15], s[16:17]
.LBB61_376:
	global_load_dwordx2 v[5:6], v27, s[2:3]
	global_load_dwordx2 v[7:8], v25, s[6:7]
	s_cmp_lt_i32 s26, 1
	s_mov_b64 s[18:19], 0
	s_cbranch_scc1 .LBB61_381
; %bb.377:
	s_cmp_gt_i32 s26, 1
	s_cbranch_scc0 .LBB61_382
; %bb.378:
	s_cmp_eq_u32 s26, 2
	s_cbranch_scc0 .LBB61_383
; %bb.379:
	s_waitcnt vmcnt(0)
	v_cmp_le_i64_e64 s[16:17], v[5:6], v[7:8]
	s_mov_b64 s[20:21], 0
	s_branch .LBB61_384
.LBB61_380:
	s_waitcnt vmcnt(0)
	v_cmp_lt_i64_e32 vcc, v[5:6], v[7:8]
	s_andn2_b64 s[14:15], s[14:15], exec
	s_and_b64 s[18:19], vcc, exec
	s_or_b64 s[14:15], s[14:15], s[18:19]
	s_cbranch_execz .LBB61_375
	s_branch .LBB61_376
.LBB61_381:
                                        ; implicit-def: $sgpr16_sgpr17
	s_mov_b64 s[20:21], 0
	s_cbranch_execnz .LBB61_387
	s_branch .LBB61_388
.LBB61_382:
	s_mov_b64 s[20:21], 0
                                        ; implicit-def: $sgpr16_sgpr17
	s_cbranch_execnz .LBB61_385
	s_branch .LBB61_386
.LBB61_383:
	s_mov_b64 s[20:21], -1
                                        ; implicit-def: $sgpr16_sgpr17
.LBB61_384:
	s_branch .LBB61_386
.LBB61_385:
	s_waitcnt vmcnt(0)
	v_cmp_gt_i64_e32 vcc, v[5:6], v[7:8]
	s_andn2_b64 s[16:17], s[16:17], exec
	s_and_b64 s[22:23], vcc, exec
	s_or_b64 s[16:17], s[16:17], s[22:23]
.LBB61_386:
	s_branch .LBB61_388
.LBB61_387:
	s_cmp_lg_u32 s26, 0
	s_mov_b64 s[18:19], -1
	s_cselect_b64 s[20:21], -1, 0
.LBB61_388:
	s_andn2_b64 vcc, exec, s[20:21]
	s_cbranch_vccz .LBB61_395
; %bb.389:
	s_andn2_b64 vcc, exec, s[18:19]
	s_cbranch_vccnz .LBB61_391
.LBB61_390:
	s_waitcnt vmcnt(0)
	v_cmp_ge_i64_e32 vcc, v[5:6], v[7:8]
	s_andn2_b64 s[16:17], s[16:17], exec
	s_and_b64 s[18:19], vcc, exec
	s_or_b64 s[16:17], s[16:17], s[18:19]
.LBB61_391:
	global_load_dwordx2 v[5:6], v32, s[2:3]
	global_load_dwordx2 v[7:8], v30, s[6:7]
	s_cmp_lt_i32 s26, 1
	s_mov_b64 s[20:21], 0
	s_cbranch_scc1 .LBB61_396
; %bb.392:
	s_cmp_gt_i32 s26, 1
	s_cbranch_scc0 .LBB61_397
; %bb.393:
	s_cmp_eq_u32 s26, 2
	s_cbranch_scc0 .LBB61_398
; %bb.394:
	s_waitcnt vmcnt(0)
	v_cmp_le_i64_e64 s[18:19], v[5:6], v[7:8]
	s_mov_b64 s[22:23], 0
	s_branch .LBB61_399
.LBB61_395:
	s_waitcnt vmcnt(0)
	v_cmp_lt_i64_e32 vcc, v[5:6], v[7:8]
	s_andn2_b64 s[16:17], s[16:17], exec
	s_and_b64 s[20:21], vcc, exec
	s_or_b64 s[16:17], s[16:17], s[20:21]
	s_cbranch_execz .LBB61_390
	s_branch .LBB61_391
.LBB61_396:
                                        ; implicit-def: $sgpr18_sgpr19
	s_mov_b64 s[22:23], 0
	s_cbranch_execnz .LBB61_402
	s_branch .LBB61_403
.LBB61_397:
	s_mov_b64 s[22:23], 0
                                        ; implicit-def: $sgpr18_sgpr19
	s_cbranch_execnz .LBB61_400
	s_branch .LBB61_401
.LBB61_398:
	s_mov_b64 s[22:23], -1
                                        ; implicit-def: $sgpr18_sgpr19
.LBB61_399:
	s_branch .LBB61_401
.LBB61_400:
	s_waitcnt vmcnt(0)
	v_cmp_gt_i64_e32 vcc, v[5:6], v[7:8]
	s_andn2_b64 s[18:19], s[18:19], exec
	s_and_b64 s[24:25], vcc, exec
	s_or_b64 s[18:19], s[18:19], s[24:25]
.LBB61_401:
	s_branch .LBB61_403
.LBB61_402:
	s_cmp_lg_u32 s26, 0
	s_mov_b64 s[20:21], -1
	s_cselect_b64 s[22:23], -1, 0
.LBB61_403:
	s_andn2_b64 vcc, exec, s[22:23]
	s_cbranch_vccz .LBB61_410
; %bb.404:
	s_andn2_b64 vcc, exec, s[20:21]
	s_cbranch_vccnz .LBB61_406
.LBB61_405:
	s_waitcnt vmcnt(0)
	v_cmp_ge_i64_e32 vcc, v[5:6], v[7:8]
	s_andn2_b64 s[18:19], s[18:19], exec
	s_and_b64 s[20:21], vcc, exec
	s_or_b64 s[18:19], s[18:19], s[20:21]
.LBB61_406:
	global_load_dwordx2 v[5:6], v33, s[2:3]
	global_load_dwordx2 v[7:8], v35, s[6:7]
	s_cmp_lt_i32 s26, 1
	s_mov_b64 s[6:7], 0
	s_cbranch_scc1 .LBB61_411
; %bb.407:
	s_cmp_gt_i32 s26, 1
	s_cbranch_scc0 .LBB61_412
; %bb.408:
	s_cmp_eq_u32 s26, 2
	s_cbranch_scc0 .LBB61_413
; %bb.409:
	s_waitcnt vmcnt(0)
	v_cmp_le_i64_e64 s[2:3], v[5:6], v[7:8]
	s_mov_b64 s[20:21], 0
	s_branch .LBB61_414
.LBB61_410:
	s_waitcnt vmcnt(0)
	v_cmp_lt_i64_e32 vcc, v[5:6], v[7:8]
	s_andn2_b64 s[18:19], s[18:19], exec
	s_and_b64 s[22:23], vcc, exec
	s_or_b64 s[18:19], s[18:19], s[22:23]
	s_cbranch_execz .LBB61_405
	s_branch .LBB61_406
.LBB61_411:
                                        ; implicit-def: $sgpr2_sgpr3
	s_mov_b64 s[20:21], 0
	s_cbranch_execnz .LBB61_417
	s_branch .LBB61_418
.LBB61_412:
	s_mov_b64 s[20:21], 0
                                        ; implicit-def: $sgpr2_sgpr3
	s_cbranch_execnz .LBB61_415
	s_branch .LBB61_416
.LBB61_413:
	s_mov_b64 s[20:21], -1
                                        ; implicit-def: $sgpr2_sgpr3
.LBB61_414:
	s_branch .LBB61_416
.LBB61_415:
	s_waitcnt vmcnt(0)
	v_cmp_gt_i64_e32 vcc, v[5:6], v[7:8]
	s_andn2_b64 s[2:3], s[2:3], exec
	s_and_b64 s[22:23], vcc, exec
	s_or_b64 s[2:3], s[2:3], s[22:23]
.LBB61_416:
	s_branch .LBB61_418
.LBB61_417:
	s_cmp_lg_u32 s26, 0
	s_mov_b64 s[6:7], -1
	s_cselect_b64 s[20:21], -1, 0
.LBB61_418:
	s_andn2_b64 vcc, exec, s[20:21]
	s_cbranch_vccz .LBB61_422
; %bb.419:
	s_andn2_b64 vcc, exec, s[6:7]
	s_cbranch_vccnz .LBB61_421
.LBB61_420:
	s_waitcnt vmcnt(0)
	v_cmp_ge_i64_e32 vcc, v[5:6], v[7:8]
	s_andn2_b64 s[2:3], s[2:3], exec
	s_and_b64 s[6:7], vcc, exec
	s_or_b64 s[2:3], s[2:3], s[6:7]
.LBB61_421:
	v_cndmask_b32_e64 v11, 0, 1, s[4:5]
	s_waitcnt vmcnt(1)
	v_cndmask_b32_e64 v5, 0, 1, s[18:19]
	v_cndmask_b32_e64 v6, 0, 1, s[16:17]
	s_waitcnt vmcnt(0)
	v_cndmask_b32_e64 v7, 0, 1, s[14:15]
	v_cndmask_b32_e64 v8, 0, 1, s[12:13]
	;; [unrolled: 1-line block ×5, first 2 shown]
	global_store_byte v0, v11, s[0:1]
	global_store_byte v1, v10, s[0:1]
	;; [unrolled: 1-line block ×8, first 2 shown]
	s_endpgm
.LBB61_422:
	s_waitcnt vmcnt(0)
	v_cmp_lt_i64_e32 vcc, v[5:6], v[7:8]
	s_andn2_b64 s[2:3], s[2:3], exec
	s_and_b64 s[20:21], vcc, exec
	s_or_b64 s[2:3], s[2:3], s[20:21]
	s_cbranch_execz .LBB61_420
	s_branch .LBB61_421
.LBB61_423:
	s_mov_b64 s[36:37], -1
                                        ; implicit-def: $sgpr34_sgpr35
	s_branch .LBB61_54
.LBB61_424:
	s_mov_b64 s[36:37], -1
                                        ; implicit-def: $sgpr34_sgpr35
	s_branch .LBB61_79
.LBB61_425:
	s_mov_b64 s[36:37], -1
                                        ; implicit-def: $sgpr34_sgpr35
	s_branch .LBB61_104
.LBB61_426:
	s_mov_b64 s[36:37], -1
                                        ; implicit-def: $sgpr34_sgpr35
	s_branch .LBB61_129
.LBB61_427:
	s_mov_b64 s[36:37], -1
                                        ; implicit-def: $sgpr34_sgpr35
	s_branch .LBB61_154
.LBB61_428:
	s_mov_b64 s[36:37], -1
                                        ; implicit-def: $sgpr34_sgpr35
	s_branch .LBB61_179
.LBB61_429:
	s_mov_b64 s[6:7], -1
                                        ; implicit-def: $sgpr4_sgpr5
	s_branch .LBB61_204
	.section	.rodata,"a",@progbits
	.p2align	6, 0x0
	.amdhsa_kernel _ZN2at6native32elementwise_kernel_manual_unrollILi128ELi8EZNS0_22gpu_kernel_impl_nocastINS0_12_GLOBAL__N_114CompareFunctorIlEEEEvRNS_18TensorIteratorBaseERKT_EUlibE_EEviT1_
		.amdhsa_group_segment_fixed_size 0
		.amdhsa_private_segment_fixed_size 0
		.amdhsa_kernarg_size 432
		.amdhsa_user_sgpr_count 6
		.amdhsa_user_sgpr_private_segment_buffer 1
		.amdhsa_user_sgpr_dispatch_ptr 0
		.amdhsa_user_sgpr_queue_ptr 0
		.amdhsa_user_sgpr_kernarg_segment_ptr 1
		.amdhsa_user_sgpr_dispatch_id 0
		.amdhsa_user_sgpr_flat_scratch_init 0
		.amdhsa_user_sgpr_private_segment_size 0
		.amdhsa_uses_dynamic_stack 0
		.amdhsa_system_sgpr_private_segment_wavefront_offset 0
		.amdhsa_system_sgpr_workgroup_id_x 1
		.amdhsa_system_sgpr_workgroup_id_y 0
		.amdhsa_system_sgpr_workgroup_id_z 0
		.amdhsa_system_sgpr_workgroup_info 0
		.amdhsa_system_vgpr_workitem_id 0
		.amdhsa_next_free_vgpr 40
		.amdhsa_next_free_sgpr 52
		.amdhsa_reserve_vcc 1
		.amdhsa_reserve_flat_scratch 0
		.amdhsa_float_round_mode_32 0
		.amdhsa_float_round_mode_16_64 0
		.amdhsa_float_denorm_mode_32 3
		.amdhsa_float_denorm_mode_16_64 3
		.amdhsa_dx10_clamp 1
		.amdhsa_ieee_mode 1
		.amdhsa_fp16_overflow 0
		.amdhsa_exception_fp_ieee_invalid_op 0
		.amdhsa_exception_fp_denorm_src 0
		.amdhsa_exception_fp_ieee_div_zero 0
		.amdhsa_exception_fp_ieee_overflow 0
		.amdhsa_exception_fp_ieee_underflow 0
		.amdhsa_exception_fp_ieee_inexact 0
		.amdhsa_exception_int_div_zero 0
	.end_amdhsa_kernel
	.section	.text._ZN2at6native32elementwise_kernel_manual_unrollILi128ELi8EZNS0_22gpu_kernel_impl_nocastINS0_12_GLOBAL__N_114CompareFunctorIlEEEEvRNS_18TensorIteratorBaseERKT_EUlibE_EEviT1_,"axG",@progbits,_ZN2at6native32elementwise_kernel_manual_unrollILi128ELi8EZNS0_22gpu_kernel_impl_nocastINS0_12_GLOBAL__N_114CompareFunctorIlEEEEvRNS_18TensorIteratorBaseERKT_EUlibE_EEviT1_,comdat
.Lfunc_end61:
	.size	_ZN2at6native32elementwise_kernel_manual_unrollILi128ELi8EZNS0_22gpu_kernel_impl_nocastINS0_12_GLOBAL__N_114CompareFunctorIlEEEEvRNS_18TensorIteratorBaseERKT_EUlibE_EEviT1_, .Lfunc_end61-_ZN2at6native32elementwise_kernel_manual_unrollILi128ELi8EZNS0_22gpu_kernel_impl_nocastINS0_12_GLOBAL__N_114CompareFunctorIlEEEEvRNS_18TensorIteratorBaseERKT_EUlibE_EEviT1_
                                        ; -- End function
	.set _ZN2at6native32elementwise_kernel_manual_unrollILi128ELi8EZNS0_22gpu_kernel_impl_nocastINS0_12_GLOBAL__N_114CompareFunctorIlEEEEvRNS_18TensorIteratorBaseERKT_EUlibE_EEviT1_.num_vgpr, 40
	.set _ZN2at6native32elementwise_kernel_manual_unrollILi128ELi8EZNS0_22gpu_kernel_impl_nocastINS0_12_GLOBAL__N_114CompareFunctorIlEEEEvRNS_18TensorIteratorBaseERKT_EUlibE_EEviT1_.num_agpr, 0
	.set _ZN2at6native32elementwise_kernel_manual_unrollILi128ELi8EZNS0_22gpu_kernel_impl_nocastINS0_12_GLOBAL__N_114CompareFunctorIlEEEEvRNS_18TensorIteratorBaseERKT_EUlibE_EEviT1_.numbered_sgpr, 52
	.set _ZN2at6native32elementwise_kernel_manual_unrollILi128ELi8EZNS0_22gpu_kernel_impl_nocastINS0_12_GLOBAL__N_114CompareFunctorIlEEEEvRNS_18TensorIteratorBaseERKT_EUlibE_EEviT1_.num_named_barrier, 0
	.set _ZN2at6native32elementwise_kernel_manual_unrollILi128ELi8EZNS0_22gpu_kernel_impl_nocastINS0_12_GLOBAL__N_114CompareFunctorIlEEEEvRNS_18TensorIteratorBaseERKT_EUlibE_EEviT1_.private_seg_size, 0
	.set _ZN2at6native32elementwise_kernel_manual_unrollILi128ELi8EZNS0_22gpu_kernel_impl_nocastINS0_12_GLOBAL__N_114CompareFunctorIlEEEEvRNS_18TensorIteratorBaseERKT_EUlibE_EEviT1_.uses_vcc, 1
	.set _ZN2at6native32elementwise_kernel_manual_unrollILi128ELi8EZNS0_22gpu_kernel_impl_nocastINS0_12_GLOBAL__N_114CompareFunctorIlEEEEvRNS_18TensorIteratorBaseERKT_EUlibE_EEviT1_.uses_flat_scratch, 0
	.set _ZN2at6native32elementwise_kernel_manual_unrollILi128ELi8EZNS0_22gpu_kernel_impl_nocastINS0_12_GLOBAL__N_114CompareFunctorIlEEEEvRNS_18TensorIteratorBaseERKT_EUlibE_EEviT1_.has_dyn_sized_stack, 0
	.set _ZN2at6native32elementwise_kernel_manual_unrollILi128ELi8EZNS0_22gpu_kernel_impl_nocastINS0_12_GLOBAL__N_114CompareFunctorIlEEEEvRNS_18TensorIteratorBaseERKT_EUlibE_EEviT1_.has_recursion, 0
	.set _ZN2at6native32elementwise_kernel_manual_unrollILi128ELi8EZNS0_22gpu_kernel_impl_nocastINS0_12_GLOBAL__N_114CompareFunctorIlEEEEvRNS_18TensorIteratorBaseERKT_EUlibE_EEviT1_.has_indirect_call, 0
	.section	.AMDGPU.csdata,"",@progbits
; Kernel info:
; codeLenInByte = 12184
; TotalNumSgprs: 56
; NumVgprs: 40
; ScratchSize: 0
; MemoryBound: 0
; FloatMode: 240
; IeeeMode: 1
; LDSByteSize: 0 bytes/workgroup (compile time only)
; SGPRBlocks: 6
; VGPRBlocks: 9
; NumSGPRsForWavesPerEU: 56
; NumVGPRsForWavesPerEU: 40
; Occupancy: 6
; WaveLimiterHint : 1
; COMPUTE_PGM_RSRC2:SCRATCH_EN: 0
; COMPUTE_PGM_RSRC2:USER_SGPR: 6
; COMPUTE_PGM_RSRC2:TRAP_HANDLER: 0
; COMPUTE_PGM_RSRC2:TGID_X_EN: 1
; COMPUTE_PGM_RSRC2:TGID_Y_EN: 0
; COMPUTE_PGM_RSRC2:TGID_Z_EN: 0
; COMPUTE_PGM_RSRC2:TIDIG_COMP_CNT: 0
	.section	.text._ZN2at6native32elementwise_kernel_manual_unrollILi128ELi4EZNS0_15gpu_kernel_implINS0_12_GLOBAL__N_114CompareFunctorIlEEEEvRNS_18TensorIteratorBaseERKT_EUlibE_EEviT1_,"axG",@progbits,_ZN2at6native32elementwise_kernel_manual_unrollILi128ELi4EZNS0_15gpu_kernel_implINS0_12_GLOBAL__N_114CompareFunctorIlEEEEvRNS_18TensorIteratorBaseERKT_EUlibE_EEviT1_,comdat
	.globl	_ZN2at6native32elementwise_kernel_manual_unrollILi128ELi4EZNS0_15gpu_kernel_implINS0_12_GLOBAL__N_114CompareFunctorIlEEEEvRNS_18TensorIteratorBaseERKT_EUlibE_EEviT1_ ; -- Begin function _ZN2at6native32elementwise_kernel_manual_unrollILi128ELi4EZNS0_15gpu_kernel_implINS0_12_GLOBAL__N_114CompareFunctorIlEEEEvRNS_18TensorIteratorBaseERKT_EUlibE_EEviT1_
	.p2align	8
	.type	_ZN2at6native32elementwise_kernel_manual_unrollILi128ELi4EZNS0_15gpu_kernel_implINS0_12_GLOBAL__N_114CompareFunctorIlEEEEvRNS_18TensorIteratorBaseERKT_EUlibE_EEviT1_,@function
_ZN2at6native32elementwise_kernel_manual_unrollILi128ELi4EZNS0_15gpu_kernel_implINS0_12_GLOBAL__N_114CompareFunctorIlEEEEvRNS_18TensorIteratorBaseERKT_EUlibE_EEviT1_: ; @_ZN2at6native32elementwise_kernel_manual_unrollILi128ELi4EZNS0_15gpu_kernel_implINS0_12_GLOBAL__N_114CompareFunctorIlEEEEvRNS_18TensorIteratorBaseERKT_EUlibE_EEviT1_
; %bb.0:
	s_load_dword s33, s[4:5], 0x30
	s_load_dword s48, s[4:5], 0x0
	s_load_dwordx4 s[8:11], s[4:5], 0x8
	s_load_dwordx2 s[2:3], s[4:5], 0x18
	s_load_dwordx4 s[12:15], s[4:5], 0x20
	v_lshl_or_b32 v6, s6, 9, v0
	v_or_b32_e32 v0, 0x180, v6
	s_waitcnt lgkmcnt(0)
	s_lshr_b32 s55, s33, 8
	s_lshr_b32 s54, s33, 16
	v_cmp_le_i32_e32 vcc, s48, v0
	s_mov_b64 s[4:5], 0
	s_mov_b64 s[16:17], 0
	s_and_saveexec_b64 s[0:1], vcc
	s_xor_b64 s[6:7], exec, s[0:1]
	s_cbranch_execz .LBB62_1578
; %bb.1:
	v_cmp_gt_i32_e32 vcc, s48, v6
	s_mov_b64 s[0:1], -1
	s_mov_b64 s[26:27], 0
	s_mov_b64 s[20:21], 0
	;; [unrolled: 1-line block ×3, first 2 shown]
	s_and_saveexec_b64 s[22:23], vcc
	s_cbranch_execz .LBB62_391
; %bb.2:
	v_mul_lo_u32 v0, v6, s13
	v_mov_b32_e32 v1, s11
	s_and_b32 s18, s55, 0xff
	s_cmp_lt_i32 s18, 11
	v_ashrrev_i32_e32 v3, 31, v0
	v_add_co_u32_e32 v2, vcc, s10, v0
	v_addc_co_u32_e32 v3, vcc, v1, v3, vcc
	s_cbranch_scc1 .LBB62_9
; %bb.3:
	s_and_b32 s19, 0xffff, s18
	s_cmp_gt_i32 s19, 25
	s_cbranch_scc0 .LBB62_18
; %bb.4:
	s_cmp_gt_i32 s19, 28
	s_cbranch_scc0 .LBB62_25
; %bb.5:
	;; [unrolled: 3-line block ×4, first 2 shown]
	s_cmp_eq_u32 s19, 46
	s_cbranch_scc0 .LBB62_53
; %bb.8:
	global_load_dword v0, v[2:3], off
	s_mov_b32 s0, 0x2f800000
	s_mov_b32 s1, 0xcf800000
	s_waitcnt vmcnt(0)
	v_lshlrev_b32_e32 v0, 16, v0
	v_trunc_f32_e32 v0, v0
	v_mul_f32_e64 v1, |v0|, s0
	v_floor_f32_e32 v1, v1
	v_fma_f32 v4, v1, s1, |v0|
	v_cvt_u32_f32_e32 v4, v4
	v_cvt_u32_f32_e32 v1, v1
	v_ashrrev_i32_e32 v5, 31, v0
	s_mov_b64 s[0:1], -1
	v_xor_b32_e32 v0, v4, v5
	v_xor_b32_e32 v1, v1, v5
	v_sub_co_u32_e32 v0, vcc, v0, v5
	v_subb_co_u32_e32 v1, vcc, v1, v5, vcc
	s_branch .LBB62_55
.LBB62_9:
                                        ; implicit-def: $vgpr0_vgpr1
	s_mov_b64 s[0:1], 0
	s_cbranch_execnz .LBB62_117
.LBB62_10:
	s_andn2_b64 vcc, exec, s[0:1]
	s_cbranch_vccnz .LBB62_164
.LBB62_11:
	v_mul_lo_u32 v2, v6, s14
	v_mov_b32_e32 v3, s3
	s_and_b32 s24, s54, 0xff
	s_cmp_lt_i32 s24, 11
	v_ashrrev_i32_e32 v4, 31, v2
	v_add_co_u32_e32 v2, vcc, s2, v2
	v_addc_co_u32_e32 v3, vcc, v3, v4, vcc
	s_cbranch_scc1 .LBB62_19
; %bb.12:
	s_and_b32 s25, 0xffff, s24
	s_cmp_gt_i32 s25, 25
	s_cbranch_scc0 .LBB62_26
; %bb.13:
	s_cmp_gt_i32 s25, 28
	s_cbranch_scc0 .LBB62_31
; %bb.14:
	;; [unrolled: 3-line block ×4, first 2 shown]
	s_cmp_eq_u32 s25, 46
	s_mov_b64 s[16:17], 0
	s_cbranch_scc0 .LBB62_165
; %bb.17:
	global_load_dword v4, v[2:3], off
	s_mov_b32 s0, 0x2f800000
	s_mov_b32 s1, 0xcf800000
	s_mov_b64 s[18:19], 0
	s_waitcnt vmcnt(0)
	v_lshlrev_b32_e32 v4, 16, v4
	v_trunc_f32_e32 v4, v4
	v_mul_f32_e64 v5, |v4|, s0
	v_floor_f32_e32 v5, v5
	v_fma_f32 v7, v5, s1, |v4|
	v_cvt_u32_f32_e32 v7, v7
	v_cvt_u32_f32_e32 v5, v5
	v_ashrrev_i32_e32 v8, 31, v4
	s_mov_b64 s[0:1], -1
	v_xor_b32_e32 v4, v7, v8
	v_xor_b32_e32 v5, v5, v8
	v_sub_co_u32_e32 v4, vcc, v4, v8
	v_subb_co_u32_e32 v5, vcc, v5, v8, vcc
	s_branch .LBB62_167
.LBB62_18:
	s_mov_b64 s[0:1], 0
                                        ; implicit-def: $vgpr0_vgpr1
	s_cbranch_execnz .LBB62_86
	s_branch .LBB62_116
.LBB62_19:
	s_mov_b64 s[18:19], 0
                                        ; implicit-def: $vgpr4_vgpr5
	s_mov_b64 s[0:1], 0
	s_cbranch_execnz .LBB62_340
.LBB62_20:
	s_andn2_b64 vcc, exec, s[0:1]
	s_cbranch_vccnz .LBB62_388
.LBB62_21:
	s_cmp_lt_i32 s15, 1
	s_mov_b64 s[0:1], 0
	s_cbranch_scc1 .LBB62_27
; %bb.22:
	s_cmp_gt_i32 s15, 1
	s_cbranch_scc0 .LBB62_32
; %bb.23:
	s_cmp_eq_u32 s15, 2
	s_cbranch_scc0 .LBB62_35
; %bb.24:
	s_waitcnt vmcnt(0)
	v_cmp_le_i64_e64 s[16:17], v[0:1], v[4:5]
	s_mov_b64 s[24:25], 0
	s_branch .LBB62_36
.LBB62_25:
	s_mov_b64 s[16:17], -1
	s_mov_b64 s[0:1], 0
                                        ; implicit-def: $vgpr0_vgpr1
	s_branch .LBB62_67
.LBB62_26:
	s_mov_b64 s[16:17], -1
	s_mov_b64 s[18:19], 0
	s_mov_b64 s[0:1], 0
                                        ; implicit-def: $vgpr4_vgpr5
	s_branch .LBB62_308
.LBB62_27:
                                        ; implicit-def: $sgpr16_sgpr17
	s_mov_b64 s[24:25], 0
	s_cbranch_execnz .LBB62_40
.LBB62_28:
	s_andn2_b64 vcc, exec, s[24:25]
	s_cbranch_vccnz .LBB62_41
.LBB62_29:
	s_waitcnt vmcnt(0)
	v_cmp_lt_i64_e32 vcc, v[0:1], v[4:5]
	s_andn2_b64 s[16:17], s[16:17], exec
	s_and_b64 s[24:25], vcc, exec
	s_or_b64 s[16:17], s[16:17], s[24:25]
	s_cbranch_execz .LBB62_42
	s_branch .LBB62_43
.LBB62_30:
	s_mov_b64 s[16:17], -1
	s_mov_b64 s[0:1], 0
                                        ; implicit-def: $vgpr0_vgpr1
	s_branch .LBB62_62
.LBB62_31:
	s_mov_b64 s[16:17], -1
	s_mov_b64 s[18:19], 0
	s_mov_b64 s[0:1], 0
                                        ; implicit-def: $vgpr4_vgpr5
	s_branch .LBB62_289
.LBB62_32:
	s_mov_b64 s[28:29], -1
	s_mov_b64 s[24:25], 0
                                        ; implicit-def: $sgpr16_sgpr17
	s_branch .LBB62_37
.LBB62_33:
	s_mov_b64 s[16:17], -1
	s_branch .LBB62_54
.LBB62_34:
	s_mov_b64 s[16:17], -1
	s_mov_b64 s[18:19], 0
	s_mov_b64 s[0:1], 0
                                        ; implicit-def: $vgpr4_vgpr5
	s_branch .LBB62_284
.LBB62_35:
	s_mov_b64 s[24:25], -1
                                        ; implicit-def: $sgpr16_sgpr17
.LBB62_36:
	s_mov_b64 s[28:29], 0
.LBB62_37:
	s_and_b64 vcc, exec, s[28:29]
	s_cbranch_vccz .LBB62_39
; %bb.38:
	s_waitcnt vmcnt(0)
	v_cmp_gt_i64_e32 vcc, v[0:1], v[4:5]
	s_andn2_b64 s[16:17], s[16:17], exec
	s_and_b64 s[28:29], vcc, exec
	s_or_b64 s[16:17], s[16:17], s[28:29]
.LBB62_39:
	s_branch .LBB62_28
.LBB62_40:
	s_cmp_lg_u32 s15, 0
	s_mov_b64 s[0:1], -1
	s_cselect_b64 s[24:25], -1, 0
	s_andn2_b64 vcc, exec, s[24:25]
	s_cbranch_vccz .LBB62_29
.LBB62_41:
	s_andn2_b64 vcc, exec, s[0:1]
	s_cbranch_vccnz .LBB62_43
.LBB62_42:
	s_waitcnt vmcnt(0)
	v_cmp_ge_i64_e32 vcc, v[0:1], v[4:5]
	s_andn2_b64 s[0:1], s[16:17], exec
	s_and_b64 s[16:17], vcc, exec
	s_or_b64 s[16:17], s[0:1], s[16:17]
.LBB62_43:
	s_waitcnt vmcnt(0)
	v_mul_lo_u32 v0, v6, s12
	v_mov_b32_e32 v1, s9
	s_and_b32 s34, s33, 0xff
	s_cmp_lt_i32 s34, 11
	v_ashrrev_i32_e32 v2, 31, v0
	v_add_co_u32_e32 v0, vcc, s8, v0
	v_addc_co_u32_e32 v1, vcc, v1, v2, vcc
	s_cbranch_scc1 .LBB62_50
; %bb.44:
	s_and_b32 s35, 0xffff, s34
	s_cmp_gt_i32 s35, 25
	s_cbranch_scc0 .LBB62_51
; %bb.45:
	s_cmp_gt_i32 s35, 28
	s_cbranch_scc0 .LBB62_52
; %bb.46:
	;; [unrolled: 3-line block ×4, first 2 shown]
	s_mov_b64 s[28:29], 0
	s_mov_b64 s[0:1], -1
	s_cmp_eq_u32 s35, 46
	s_mov_b64 s[24:25], 0
	s_cbranch_scc0 .LBB62_171
; %bb.49:
	v_cndmask_b32_e64 v2, 0, 1.0, s[16:17]
	v_bfe_u32 v3, v2, 16, 1
	s_movk_i32 s0, 0x7fff
	v_add3_u32 v2, v2, v3, s0
	v_lshrrev_b32_e32 v2, 16, v2
	global_store_dword v[0:1], v2, off
	s_mov_b64 s[24:25], -1
	s_mov_b64 s[0:1], 0
	s_branch .LBB62_171
.LBB62_50:
	s_mov_b64 s[28:29], -1
	s_mov_b64 s[0:1], 0
	s_mov_b64 s[24:25], 0
	s_branch .LBB62_240
.LBB62_51:
	s_mov_b64 s[28:29], -1
	s_mov_b64 s[0:1], 0
	s_mov_b64 s[24:25], 0
	s_branch .LBB62_198
.LBB62_52:
	s_mov_b64 s[28:29], -1
	s_mov_b64 s[0:1], 0
	s_mov_b64 s[24:25], 0
	s_branch .LBB62_181
.LBB62_53:
	s_mov_b64 s[20:21], -1
.LBB62_54:
	s_mov_b64 s[0:1], 0
                                        ; implicit-def: $vgpr0_vgpr1
.LBB62_55:
	s_and_b64 vcc, exec, s[16:17]
	s_cbranch_vccz .LBB62_61
; %bb.56:
	s_cmp_eq_u32 s19, 44
	s_cbranch_scc0 .LBB62_60
; %bb.57:
	global_load_ubyte v0, v[2:3], off
	s_mov_b32 s0, 0x2f800000
	s_mov_b32 s1, 0xcf800000
	s_mov_b64 s[20:21], 0
	s_waitcnt vmcnt(0)
	v_lshlrev_b32_e32 v1, 23, v0
	v_trunc_f32_e32 v1, v1
	v_mul_f32_e64 v4, |v1|, s0
	v_floor_f32_e32 v4, v4
	v_fma_f32 v5, v4, s1, |v1|
	v_cvt_u32_f32_e32 v5, v5
	v_cvt_u32_f32_e32 v4, v4
	v_ashrrev_i32_e32 v1, 31, v1
	s_mov_b64 s[0:1], -1
	v_xor_b32_e32 v5, v5, v1
	v_xor_b32_e32 v4, v4, v1
	v_sub_co_u32_e32 v5, vcc, v5, v1
	v_subb_co_u32_e32 v1, vcc, v4, v1, vcc
	v_cmp_ne_u32_e32 vcc, 0, v0
	v_cndmask_b32_e32 v1, 0, v1, vcc
	v_cndmask_b32_e32 v0, 0, v5, vcc
	s_branch .LBB62_61
.LBB62_58:
	s_mov_b64 s[16:17], -1
	s_mov_b64 s[18:19], 0
	s_branch .LBB62_166
.LBB62_59:
	s_mov_b64 s[28:29], -1
	s_mov_b64 s[0:1], 0
	s_mov_b64 s[24:25], 0
	s_branch .LBB62_177
.LBB62_60:
	s_mov_b64 s[20:21], -1
                                        ; implicit-def: $vgpr0_vgpr1
.LBB62_61:
	s_mov_b64 s[16:17], 0
.LBB62_62:
	s_and_b64 vcc, exec, s[16:17]
	s_cbranch_vccz .LBB62_66
; %bb.63:
	s_cmp_eq_u32 s19, 29
	s_cbranch_scc0 .LBB62_65
; %bb.64:
	global_load_dwordx2 v[0:1], v[2:3], off
	s_mov_b64 s[0:1], -1
	s_mov_b64 s[20:21], 0
	s_branch .LBB62_66
.LBB62_65:
	s_mov_b64 s[20:21], -1
                                        ; implicit-def: $vgpr0_vgpr1
.LBB62_66:
	s_mov_b64 s[16:17], 0
.LBB62_67:
	s_and_b64 vcc, exec, s[16:17]
	s_cbranch_vccz .LBB62_85
; %bb.68:
	s_cmp_lt_i32 s19, 27
	s_cbranch_scc1 .LBB62_71
; %bb.69:
	s_cmp_gt_i32 s19, 27
	s_cbranch_scc0 .LBB62_72
; %bb.70:
	global_load_dword v0, v[2:3], off
	s_waitcnt vmcnt(1)
	v_mov_b32_e32 v1, 0
	s_mov_b64 s[0:1], 0
	s_branch .LBB62_73
.LBB62_71:
	s_mov_b64 s[0:1], -1
                                        ; implicit-def: $vgpr0_vgpr1
	s_branch .LBB62_76
.LBB62_72:
	s_mov_b64 s[0:1], -1
                                        ; implicit-def: $vgpr0_vgpr1
.LBB62_73:
	s_andn2_b64 vcc, exec, s[0:1]
	s_cbranch_vccnz .LBB62_75
; %bb.74:
	global_load_ushort v0, v[2:3], off
	s_mov_b32 s0, 0
	s_waitcnt vmcnt(1)
	v_mov_b32_e32 v1, s0
	s_waitcnt vmcnt(0)
	v_and_b32_e32 v0, 0xffff, v0
.LBB62_75:
	s_mov_b64 s[0:1], 0
.LBB62_76:
	s_andn2_b64 vcc, exec, s[0:1]
	s_cbranch_vccnz .LBB62_84
; %bb.77:
	global_load_ubyte v4, v[2:3], off
	s_movk_i32 s0, 0x7f
	s_mov_b64 s[16:17], 0
	s_waitcnt vmcnt(0)
	v_cmp_lt_i16_e32 vcc, s0, v4
	s_and_saveexec_b64 s[0:1], vcc
	s_xor_b64 s[0:1], exec, s[0:1]
; %bb.78:
	s_movk_i32 s16, 0x80
	v_cmp_ne_u16_e32 vcc, s16, v4
	s_and_b64 s[16:17], vcc, exec
; %bb.79:
	s_andn2_saveexec_b64 s[0:1], s[0:1]
; %bb.80:
	v_cmp_ne_u16_e32 vcc, 0, v4
	s_andn2_b64 s[16:17], s[16:17], exec
	s_and_b64 s[24:25], vcc, exec
	s_or_b64 s[16:17], s[16:17], s[24:25]
; %bb.81:
	s_or_b64 exec, exec, s[0:1]
	v_mov_b32_e32 v0, 0
	v_mov_b32_e32 v1, 0
	s_and_saveexec_b64 s[0:1], s[16:17]
	s_cbranch_execz .LBB62_83
; %bb.82:
	v_and_b32_e32 v1, 0xffff, v4
	v_lshlrev_b32_e32 v0, 24, v4
	v_and_b32_e32 v4, 7, v1
	v_ffbh_u32_e32 v7, v4
	v_min_u32_e32 v7, 32, v7
	v_subrev_u32_e32 v8, 28, v7
	v_bfe_u32 v5, v1, 3, 4
	v_lshlrev_b32_e32 v1, v8, v1
	v_sub_u32_e32 v7, 29, v7
	v_and_b32_e32 v1, 7, v1
	v_cmp_eq_u32_e32 vcc, 0, v5
	v_cndmask_b32_e32 v5, v5, v7, vcc
	v_cndmask_b32_e32 v1, v4, v1, vcc
	v_mov_b32_e32 v4, 0x3b800000
	v_lshlrev_b32_e32 v1, 20, v1
	v_and_b32_e32 v0, 0x80000000, v0
	v_lshl_add_u32 v4, v5, 23, v4
	v_or3_b32 v0, v0, v4, v1
	v_trunc_f32_e32 v0, v0
	s_mov_b32 s16, 0x2f800000
	v_mul_f32_e64 v1, |v0|, s16
	v_floor_f32_e32 v1, v1
	s_mov_b32 s16, 0xcf800000
	v_fma_f32 v4, v1, s16, |v0|
	v_cvt_u32_f32_e32 v4, v4
	v_cvt_u32_f32_e32 v1, v1
	v_ashrrev_i32_e32 v5, 31, v0
	v_xor_b32_e32 v0, v4, v5
	v_xor_b32_e32 v1, v1, v5
	v_sub_co_u32_e32 v0, vcc, v0, v5
	v_subb_co_u32_e32 v1, vcc, v1, v5, vcc
.LBB62_83:
	s_or_b64 exec, exec, s[0:1]
.LBB62_84:
	s_mov_b64 s[0:1], -1
.LBB62_85:
	s_branch .LBB62_116
.LBB62_86:
	s_cmp_gt_i32 s19, 22
	s_cbranch_scc0 .LBB62_96
; %bb.87:
	s_cmp_lt_i32 s19, 24
	s_cbranch_scc1 .LBB62_97
; %bb.88:
	s_cmp_gt_i32 s19, 24
	s_cbranch_scc0 .LBB62_98
; %bb.89:
	global_load_ubyte v4, v[2:3], off
	s_movk_i32 s0, 0x7f
	s_mov_b64 s[16:17], 0
	s_waitcnt vmcnt(0)
	v_cmp_lt_i16_e32 vcc, s0, v4
	s_and_saveexec_b64 s[0:1], vcc
	s_xor_b64 s[0:1], exec, s[0:1]
; %bb.90:
	s_movk_i32 s16, 0x80
	v_cmp_ne_u16_e32 vcc, s16, v4
	s_and_b64 s[16:17], vcc, exec
; %bb.91:
	s_andn2_saveexec_b64 s[0:1], s[0:1]
; %bb.92:
	v_cmp_ne_u16_e32 vcc, 0, v4
	s_andn2_b64 s[16:17], s[16:17], exec
	s_and_b64 s[24:25], vcc, exec
	s_or_b64 s[16:17], s[16:17], s[24:25]
; %bb.93:
	s_or_b64 exec, exec, s[0:1]
	v_mov_b32_e32 v0, 0
	v_mov_b32_e32 v1, 0
	s_and_saveexec_b64 s[0:1], s[16:17]
	s_cbranch_execz .LBB62_95
; %bb.94:
	v_and_b32_e32 v1, 0xffff, v4
	v_lshlrev_b32_e32 v0, 24, v4
	v_and_b32_e32 v4, 3, v1
	v_ffbh_u32_e32 v7, v4
	v_min_u32_e32 v7, 32, v7
	v_subrev_u32_e32 v8, 29, v7
	v_bfe_u32 v5, v1, 2, 5
	v_lshlrev_b32_e32 v1, v8, v1
	v_sub_u32_e32 v7, 30, v7
	v_and_b32_e32 v1, 3, v1
	v_cmp_eq_u32_e32 vcc, 0, v5
	v_cndmask_b32_e32 v5, v5, v7, vcc
	v_cndmask_b32_e32 v1, v4, v1, vcc
	v_mov_b32_e32 v4, 0x37800000
	v_lshlrev_b32_e32 v1, 21, v1
	v_and_b32_e32 v0, 0x80000000, v0
	v_lshl_add_u32 v4, v5, 23, v4
	v_or3_b32 v0, v0, v4, v1
	v_trunc_f32_e32 v0, v0
	s_mov_b32 s16, 0x2f800000
	v_mul_f32_e64 v1, |v0|, s16
	v_floor_f32_e32 v1, v1
	s_mov_b32 s16, 0xcf800000
	v_fma_f32 v4, v1, s16, |v0|
	v_cvt_u32_f32_e32 v4, v4
	v_cvt_u32_f32_e32 v1, v1
	v_ashrrev_i32_e32 v5, 31, v0
	v_xor_b32_e32 v0, v4, v5
	v_xor_b32_e32 v1, v1, v5
	v_sub_co_u32_e32 v0, vcc, v0, v5
	v_subb_co_u32_e32 v1, vcc, v1, v5, vcc
.LBB62_95:
	s_or_b64 exec, exec, s[0:1]
	s_mov_b64 s[0:1], 0
	s_branch .LBB62_99
.LBB62_96:
	s_mov_b64 s[16:17], -1
                                        ; implicit-def: $vgpr0_vgpr1
	s_branch .LBB62_105
.LBB62_97:
	s_mov_b64 s[0:1], -1
                                        ; implicit-def: $vgpr0_vgpr1
	s_branch .LBB62_102
.LBB62_98:
	s_mov_b64 s[0:1], -1
                                        ; implicit-def: $vgpr0_vgpr1
.LBB62_99:
	s_and_b64 vcc, exec, s[0:1]
	s_cbranch_vccz .LBB62_101
; %bb.100:
	global_load_ubyte v0, v[2:3], off
	s_mov_b32 s0, 0x7f800000
	s_brev_b32 s1, 1
	s_mov_b32 s16, 0x2f800000
	s_mov_b32 s17, 0xcf800000
	s_waitcnt vmcnt(0)
	v_lshlrev_b32_e32 v0, 24, v0
	v_and_b32_e32 v1, 0x7f000000, v0
	v_ffbh_u32_e32 v4, v1
	v_min_u32_e32 v4, 32, v4
	v_sub_u32_e64 v4, v4, 4 clamp
	v_lshlrev_b32_e32 v7, v4, v1
	v_lshlrev_b32_e32 v4, 23, v4
	v_lshrrev_b32_e32 v7, 4, v7
	v_add_u32_e32 v5, 0x1000000, v1
	v_sub_u32_e32 v4, v7, v4
	v_ashrrev_i32_e32 v5, 8, v5
	v_add_u32_e32 v4, 0x3c000000, v4
	v_and_or_b32 v4, v5, s0, v4
	v_cmp_ne_u32_e32 vcc, 0, v1
	v_cndmask_b32_e32 v1, 0, v4, vcc
	v_and_or_b32 v0, v0, s1, v1
	v_trunc_f32_e32 v0, v0
	v_mul_f32_e64 v1, |v0|, s16
	v_floor_f32_e32 v1, v1
	v_fma_f32 v4, v1, s17, |v0|
	v_cvt_u32_f32_e32 v4, v4
	v_cvt_u32_f32_e32 v1, v1
	v_ashrrev_i32_e32 v5, 31, v0
	v_xor_b32_e32 v0, v4, v5
	v_xor_b32_e32 v1, v1, v5
	v_sub_co_u32_e32 v0, vcc, v0, v5
	v_subb_co_u32_e32 v1, vcc, v1, v5, vcc
.LBB62_101:
	s_mov_b64 s[0:1], 0
.LBB62_102:
	s_andn2_b64 vcc, exec, s[0:1]
	s_cbranch_vccnz .LBB62_104
; %bb.103:
	global_load_ubyte v0, v[2:3], off
	s_movk_i32 s0, 0x7f00
	s_brev_b32 s1, 16
	s_brev_b32 s16, 1
	s_mov_b32 s17, 0x2f800000
	s_mov_b32 s24, 0xcf800000
	s_waitcnt vmcnt(0)
	v_lshlrev_b16_e32 v1, 8, v0
	v_lshlrev_b32_e32 v0, 25, v0
	v_lshrrev_b32_e32 v4, 4, v0
	v_and_or_b32 v5, v1, s0, 0.5
	v_or_b32_e32 v4, 0x70000000, v4
	v_add_f32_e32 v5, -0.5, v5
	v_mul_f32_e32 v4, 0x7800000, v4
	v_cmp_gt_u32_e32 vcc, s1, v0
	v_bfe_i32 v1, v1, 0, 16
	v_cndmask_b32_e32 v0, v4, v5, vcc
	v_and_or_b32 v0, v1, s16, v0
	v_trunc_f32_e32 v0, v0
	v_mul_f32_e64 v1, |v0|, s17
	v_floor_f32_e32 v1, v1
	v_fma_f32 v4, v1, s24, |v0|
	v_cvt_u32_f32_e32 v4, v4
	v_cvt_u32_f32_e32 v1, v1
	v_ashrrev_i32_e32 v5, 31, v0
	v_xor_b32_e32 v0, v4, v5
	v_xor_b32_e32 v1, v1, v5
	v_sub_co_u32_e32 v0, vcc, v0, v5
	v_subb_co_u32_e32 v1, vcc, v1, v5, vcc
.LBB62_104:
	s_mov_b64 s[16:17], 0
	s_mov_b64 s[0:1], -1
.LBB62_105:
	s_andn2_b64 vcc, exec, s[16:17]
	s_cbranch_vccnz .LBB62_116
; %bb.106:
	s_cmp_gt_i32 s19, 14
	s_cbranch_scc0 .LBB62_109
; %bb.107:
	s_cmp_eq_u32 s19, 15
	s_cbranch_scc0 .LBB62_110
; %bb.108:
	global_load_ushort v0, v[2:3], off
	s_mov_b32 s0, 0x2f800000
	s_mov_b32 s1, 0xcf800000
	s_mov_b64 s[20:21], 0
	s_waitcnt vmcnt(0)
	v_lshlrev_b32_e32 v0, 16, v0
	v_trunc_f32_e32 v0, v0
	v_mul_f32_e64 v1, |v0|, s0
	v_floor_f32_e32 v1, v1
	v_fma_f32 v4, v1, s1, |v0|
	v_cvt_u32_f32_e32 v4, v4
	v_cvt_u32_f32_e32 v1, v1
	v_ashrrev_i32_e32 v5, 31, v0
	s_mov_b64 s[0:1], -1
	v_xor_b32_e32 v0, v4, v5
	v_xor_b32_e32 v1, v1, v5
	v_sub_co_u32_e32 v0, vcc, v0, v5
	v_subb_co_u32_e32 v1, vcc, v1, v5, vcc
	s_branch .LBB62_111
.LBB62_109:
	s_mov_b64 s[16:17], -1
                                        ; implicit-def: $vgpr0_vgpr1
	s_branch .LBB62_112
.LBB62_110:
	s_mov_b64 s[20:21], -1
                                        ; implicit-def: $vgpr0_vgpr1
.LBB62_111:
	s_mov_b64 s[16:17], 0
.LBB62_112:
	s_and_b64 vcc, exec, s[16:17]
	s_cbranch_vccz .LBB62_116
; %bb.113:
	s_cmp_eq_u32 s19, 11
	s_cbranch_scc0 .LBB62_115
; %bb.114:
	global_load_ubyte v0, v[2:3], off
	s_mov_b32 s16, 0
	s_mov_b64 s[0:1], -1
	s_waitcnt vmcnt(1)
	v_mov_b32_e32 v1, s16
	s_mov_b64 s[20:21], 0
	s_waitcnt vmcnt(0)
	v_cmp_ne_u16_e32 vcc, 0, v0
	v_cndmask_b32_e64 v0, 0, 1, vcc
	s_branch .LBB62_116
.LBB62_115:
	s_mov_b64 s[20:21], -1
                                        ; implicit-def: $vgpr0_vgpr1
.LBB62_116:
	s_branch .LBB62_10
.LBB62_117:
	s_and_b32 s16, 0xffff, s18
	s_cmp_lt_i32 s16, 5
	s_cbranch_scc1 .LBB62_122
; %bb.118:
	s_cmp_lt_i32 s16, 8
	s_cbranch_scc1 .LBB62_123
; %bb.119:
	;; [unrolled: 3-line block ×3, first 2 shown]
	s_cmp_gt_i32 s16, 9
	s_cbranch_scc0 .LBB62_125
; %bb.121:
	global_load_dwordx2 v[0:1], v[2:3], off
	s_movk_i32 s0, 0xffe0
	s_waitcnt vmcnt(0)
	v_trunc_f64_e32 v[0:1], v[0:1]
	v_ldexp_f64 v[4:5], v[0:1], s0
	s_mov_b32 s0, 0
	s_mov_b32 s1, 0xc1f00000
	v_floor_f64_e32 v[4:5], v[4:5]
	v_fma_f64 v[7:8], v[4:5], s[0:1], v[0:1]
	v_cvt_i32_f64_e32 v1, v[4:5]
	s_mov_b64 s[0:1], 0
	v_cvt_u32_f64_e32 v0, v[7:8]
	s_branch .LBB62_126
.LBB62_122:
                                        ; implicit-def: $vgpr0_vgpr1
	s_branch .LBB62_144
.LBB62_123:
	s_mov_b64 s[0:1], -1
                                        ; implicit-def: $vgpr0_vgpr1
	s_branch .LBB62_132
.LBB62_124:
	s_mov_b64 s[0:1], -1
                                        ; implicit-def: $vgpr0_vgpr1
	s_branch .LBB62_129
.LBB62_125:
	s_mov_b64 s[0:1], -1
                                        ; implicit-def: $vgpr0_vgpr1
.LBB62_126:
	s_andn2_b64 vcc, exec, s[0:1]
	s_cbranch_vccnz .LBB62_128
; %bb.127:
	global_load_dword v0, v[2:3], off
	s_mov_b32 s0, 0x2f800000
	s_mov_b32 s1, 0xcf800000
	s_waitcnt vmcnt(0)
	v_trunc_f32_e32 v0, v0
	v_mul_f32_e64 v1, |v0|, s0
	v_floor_f32_e32 v1, v1
	v_cvt_u32_f32_e32 v4, v1
	v_fma_f32 v1, v1, s1, |v0|
	v_cvt_u32_f32_e32 v1, v1
	v_ashrrev_i32_e32 v5, 31, v0
	v_xor_b32_e32 v4, v4, v5
	v_xor_b32_e32 v0, v1, v5
	v_sub_co_u32_e32 v0, vcc, v0, v5
	v_subb_co_u32_e32 v1, vcc, v4, v5, vcc
.LBB62_128:
	s_mov_b64 s[0:1], 0
.LBB62_129:
	s_andn2_b64 vcc, exec, s[0:1]
	s_cbranch_vccnz .LBB62_131
; %bb.130:
	global_load_dword v0, v[2:3], off
	s_waitcnt vmcnt(0)
	v_cvt_f32_f16_e32 v0, v0
	v_cvt_i32_f32_e32 v0, v0
	v_ashrrev_i32_e32 v1, 31, v0
.LBB62_131:
	s_mov_b64 s[0:1], 0
.LBB62_132:
	s_andn2_b64 vcc, exec, s[0:1]
	s_cbranch_vccnz .LBB62_143
; %bb.133:
	s_cmp_lt_i32 s16, 6
	s_cbranch_scc1 .LBB62_136
; %bb.134:
	s_cmp_gt_i32 s16, 6
	s_cbranch_scc0 .LBB62_137
; %bb.135:
	global_load_dwordx2 v[0:1], v[2:3], off
	s_movk_i32 s0, 0xffe0
	s_waitcnt vmcnt(0)
	v_trunc_f64_e32 v[0:1], v[0:1]
	v_ldexp_f64 v[4:5], v[0:1], s0
	s_mov_b32 s0, 0
	s_mov_b32 s1, 0xc1f00000
	v_floor_f64_e32 v[4:5], v[4:5]
	v_fma_f64 v[7:8], v[4:5], s[0:1], v[0:1]
	v_cvt_i32_f64_e32 v1, v[4:5]
	s_mov_b64 s[0:1], 0
	v_cvt_u32_f64_e32 v0, v[7:8]
	s_branch .LBB62_138
.LBB62_136:
	s_mov_b64 s[0:1], -1
                                        ; implicit-def: $vgpr0_vgpr1
	s_branch .LBB62_141
.LBB62_137:
	s_mov_b64 s[0:1], -1
                                        ; implicit-def: $vgpr0_vgpr1
.LBB62_138:
	s_andn2_b64 vcc, exec, s[0:1]
	s_cbranch_vccnz .LBB62_140
; %bb.139:
	global_load_dword v0, v[2:3], off
	s_mov_b32 s0, 0x2f800000
	s_mov_b32 s1, 0xcf800000
	s_waitcnt vmcnt(0)
	v_trunc_f32_e32 v0, v0
	v_mul_f32_e64 v1, |v0|, s0
	v_floor_f32_e32 v1, v1
	v_cvt_u32_f32_e32 v4, v1
	v_fma_f32 v1, v1, s1, |v0|
	v_cvt_u32_f32_e32 v1, v1
	v_ashrrev_i32_e32 v5, 31, v0
	v_xor_b32_e32 v4, v4, v5
	v_xor_b32_e32 v0, v1, v5
	v_sub_co_u32_e32 v0, vcc, v0, v5
	v_subb_co_u32_e32 v1, vcc, v4, v5, vcc
.LBB62_140:
	s_mov_b64 s[0:1], 0
.LBB62_141:
	s_andn2_b64 vcc, exec, s[0:1]
	s_cbranch_vccnz .LBB62_143
; %bb.142:
	global_load_ushort v0, v[2:3], off
	s_waitcnt vmcnt(0)
	v_cvt_f32_f16_e32 v0, v0
	v_cvt_i32_f32_e32 v0, v0
	v_ashrrev_i32_e32 v1, 31, v0
.LBB62_143:
	s_cbranch_execnz .LBB62_163
.LBB62_144:
	s_cmp_lt_i32 s16, 2
	s_cbranch_scc1 .LBB62_148
; %bb.145:
	s_cmp_lt_i32 s16, 3
	s_cbranch_scc1 .LBB62_149
; %bb.146:
	s_cmp_gt_i32 s16, 3
	s_cbranch_scc0 .LBB62_150
; %bb.147:
	global_load_dwordx2 v[0:1], v[2:3], off
	s_mov_b64 s[0:1], 0
	s_branch .LBB62_151
.LBB62_148:
	s_mov_b64 s[0:1], -1
                                        ; implicit-def: $vgpr0_vgpr1
	s_branch .LBB62_157
.LBB62_149:
	s_mov_b64 s[0:1], -1
                                        ; implicit-def: $vgpr0_vgpr1
	s_branch .LBB62_154
.LBB62_150:
	s_mov_b64 s[0:1], -1
                                        ; implicit-def: $vgpr0_vgpr1
.LBB62_151:
	s_andn2_b64 vcc, exec, s[0:1]
	s_cbranch_vccnz .LBB62_153
; %bb.152:
	global_load_dword v0, v[2:3], off
	s_waitcnt vmcnt(0)
	v_ashrrev_i32_e32 v1, 31, v0
.LBB62_153:
	s_mov_b64 s[0:1], 0
.LBB62_154:
	s_andn2_b64 vcc, exec, s[0:1]
	s_cbranch_vccnz .LBB62_156
; %bb.155:
	global_load_ushort v0, v[2:3], off
	s_waitcnt vmcnt(0)
	v_bfe_i32 v0, v0, 0, 16
	v_ashrrev_i32_e32 v1, 31, v0
.LBB62_156:
	s_mov_b64 s[0:1], 0
.LBB62_157:
	s_andn2_b64 vcc, exec, s[0:1]
	s_cbranch_vccnz .LBB62_163
; %bb.158:
	s_cmp_gt_i32 s16, 0
	s_cbranch_scc0 .LBB62_160
; %bb.159:
	global_load_sbyte v0, v[2:3], off
	s_mov_b64 s[0:1], 0
	s_waitcnt vmcnt(0)
	v_bfe_i32 v0, v0, 0, 16
	v_ashrrev_i32_e32 v1, 31, v0
	s_branch .LBB62_161
.LBB62_160:
	s_mov_b64 s[0:1], -1
                                        ; implicit-def: $vgpr0_vgpr1
.LBB62_161:
	s_andn2_b64 vcc, exec, s[0:1]
	s_cbranch_vccnz .LBB62_163
; %bb.162:
	global_load_ubyte v0, v[2:3], off
	s_mov_b32 s0, 0
	s_waitcnt vmcnt(1)
	v_mov_b32_e32 v1, s0
	s_waitcnt vmcnt(0)
	v_and_b32_e32 v0, 0xffff, v0
.LBB62_163:
	s_branch .LBB62_11
.LBB62_164:
	s_mov_b64 s[0:1], 0
	s_mov_b64 s[18:19], 0
	s_branch .LBB62_389
.LBB62_165:
	s_mov_b64 s[18:19], -1
.LBB62_166:
	s_mov_b64 s[0:1], 0
                                        ; implicit-def: $vgpr4_vgpr5
.LBB62_167:
	s_and_b64 vcc, exec, s[16:17]
	s_cbranch_vccz .LBB62_283
; %bb.168:
	s_cmp_eq_u32 s25, 44
	s_cbranch_scc0 .LBB62_282
; %bb.169:
	global_load_ubyte v4, v[2:3], off
	s_mov_b32 s0, 0x2f800000
	s_mov_b32 s1, 0xcf800000
	s_mov_b64 s[18:19], 0
	s_waitcnt vmcnt(0)
	v_lshlrev_b32_e32 v5, 23, v4
	v_trunc_f32_e32 v5, v5
	v_mul_f32_e64 v7, |v5|, s0
	v_floor_f32_e32 v7, v7
	v_fma_f32 v8, v7, s1, |v5|
	v_cvt_u32_f32_e32 v8, v8
	v_cvt_u32_f32_e32 v7, v7
	v_ashrrev_i32_e32 v5, 31, v5
	s_mov_b64 s[0:1], -1
	v_xor_b32_e32 v8, v8, v5
	v_xor_b32_e32 v7, v7, v5
	v_sub_co_u32_e32 v8, vcc, v8, v5
	v_subb_co_u32_e32 v5, vcc, v7, v5, vcc
	v_cmp_ne_u32_e32 vcc, 0, v4
	v_cndmask_b32_e32 v5, 0, v5, vcc
	v_cndmask_b32_e32 v4, 0, v8, vcc
	s_branch .LBB62_283
.LBB62_170:
	s_mov_b64 s[28:29], -1
	s_mov_b64 s[0:1], 0
	s_mov_b64 s[24:25], 0
.LBB62_171:
	s_and_b64 vcc, exec, s[28:29]
	s_cbranch_vccz .LBB62_176
; %bb.172:
	s_cmp_eq_u32 s35, 44
	s_mov_b64 s[0:1], -1
	s_cbranch_scc0 .LBB62_176
; %bb.173:
	v_cndmask_b32_e64 v3, 0, 1.0, s[16:17]
	v_lshrrev_b32_e32 v2, 23, v3
	s_movk_i32 s0, 0xff
	v_cmp_ne_u32_e32 vcc, s0, v2
	v_mov_b32_e32 v4, 0xff
	s_and_saveexec_b64 s[24:25], vcc
; %bb.174:
	s_mov_b32 s0, 0x3fffff
	v_and_b32_e32 v4, 0x400000, v3
	v_and_or_b32 v3, v3, s0, v2
	v_cmp_ne_u32_e32 vcc, 0, v4
	v_cmp_ne_u32_e64 s[0:1], 0, v3
	s_and_b64 s[0:1], vcc, s[0:1]
	v_cndmask_b32_e64 v3, 0, 1, s[0:1]
	v_add_u32_e32 v4, v2, v3
; %bb.175:
	s_or_b64 exec, exec, s[24:25]
	s_mov_b64 s[24:25], -1
	s_mov_b64 s[0:1], 0
	global_store_byte v[0:1], v4, off
.LBB62_176:
	s_mov_b64 s[28:29], 0
.LBB62_177:
	s_and_b64 vcc, exec, s[28:29]
	s_cbranch_vccz .LBB62_180
; %bb.178:
	s_cmp_eq_u32 s35, 29
	s_mov_b64 s[0:1], -1
	s_cbranch_scc0 .LBB62_180
; %bb.179:
	s_mov_b32 s0, 0
	v_cndmask_b32_e64 v2, 0, 1, s[16:17]
	v_mov_b32_e32 v3, s0
	global_store_dwordx2 v[0:1], v[2:3], off
	s_mov_b64 s[24:25], -1
	s_mov_b64 s[0:1], 0
.LBB62_180:
	s_mov_b64 s[28:29], 0
.LBB62_181:
	s_and_b64 vcc, exec, s[28:29]
	s_cbranch_vccz .LBB62_197
; %bb.182:
	s_cmp_lt_i32 s35, 27
	s_mov_b64 s[24:25], -1
	s_cbranch_scc1 .LBB62_188
; %bb.183:
	s_cmp_gt_i32 s35, 27
	s_cbranch_scc0 .LBB62_185
; %bb.184:
	v_cndmask_b32_e64 v2, 0, 1, s[16:17]
	s_mov_b64 s[24:25], 0
	global_store_dword v[0:1], v2, off
.LBB62_185:
	s_andn2_b64 vcc, exec, s[24:25]
	s_cbranch_vccnz .LBB62_187
; %bb.186:
	v_cndmask_b32_e64 v2, 0, 1, s[16:17]
	global_store_short v[0:1], v2, off
.LBB62_187:
	s_mov_b64 s[24:25], 0
.LBB62_188:
	s_andn2_b64 vcc, exec, s[24:25]
	s_cbranch_vccnz .LBB62_196
; %bb.189:
	v_cndmask_b32_e64 v3, 0, 1.0, s[16:17]
	s_mov_b32 s24, 0x43800000
	v_cmp_gt_u32_e32 vcc, s24, v3
	v_mov_b32_e32 v4, 0x80
	s_and_saveexec_b64 s[24:25], vcc
	s_cbranch_execz .LBB62_195
; %bb.190:
	s_mov_b32 s28, 0x3bffffff
	v_cmp_lt_u32_e32 vcc, s28, v3
	s_mov_b64 s[28:29], 0
                                        ; implicit-def: $vgpr2
	s_and_saveexec_b64 s[30:31], vcc
	s_xor_b64 s[30:31], exec, s[30:31]
	s_cbranch_execz .LBB62_420
; %bb.191:
	v_bfe_u32 v2, v3, 20, 1
	s_mov_b32 s36, 0x487ffff
	v_add3_u32 v2, v3, v2, s36
	s_mov_b64 s[28:29], exec
	v_lshrrev_b32_e32 v2, 20, v2
                                        ; implicit-def: $vgpr3
	s_andn2_saveexec_b64 s[30:31], s[30:31]
	s_cbranch_execnz .LBB62_421
.LBB62_192:
	s_or_b64 exec, exec, s[30:31]
	v_mov_b32_e32 v4, 0
	s_and_saveexec_b64 s[30:31], s[28:29]
.LBB62_193:
	v_mov_b32_e32 v4, v2
.LBB62_194:
	s_or_b64 exec, exec, s[30:31]
.LBB62_195:
	s_or_b64 exec, exec, s[24:25]
	global_store_byte v[0:1], v4, off
.LBB62_196:
	s_mov_b64 s[24:25], -1
.LBB62_197:
	s_mov_b64 s[28:29], 0
.LBB62_198:
	s_and_b64 vcc, exec, s[28:29]
	s_cbranch_vccz .LBB62_239
; %bb.199:
	s_cmp_gt_i32 s35, 22
	s_mov_b64 s[28:29], -1
	s_cbranch_scc0 .LBB62_231
; %bb.200:
	s_cmp_lt_i32 s35, 24
	s_mov_b64 s[24:25], -1
	s_cbranch_scc1 .LBB62_220
; %bb.201:
	s_cmp_gt_i32 s35, 24
	s_cbranch_scc0 .LBB62_209
; %bb.202:
	v_cndmask_b32_e64 v3, 0, 1.0, s[16:17]
	s_mov_b32 s24, 0x47800000
	v_cmp_gt_u32_e32 vcc, s24, v3
	v_mov_b32_e32 v4, 0x80
	s_and_saveexec_b64 s[24:25], vcc
	s_cbranch_execz .LBB62_208
; %bb.203:
	s_mov_b32 s28, 0x37ffffff
	v_cmp_lt_u32_e32 vcc, s28, v3
	s_mov_b64 s[28:29], 0
                                        ; implicit-def: $vgpr2
	s_and_saveexec_b64 s[30:31], vcc
	s_xor_b64 s[30:31], exec, s[30:31]
	s_cbranch_execz .LBB62_535
; %bb.204:
	v_bfe_u32 v2, v3, 21, 1
	s_mov_b32 s36, 0x88fffff
	v_add3_u32 v2, v3, v2, s36
	s_mov_b64 s[28:29], exec
	v_lshrrev_b32_e32 v2, 21, v2
                                        ; implicit-def: $vgpr3
	s_andn2_saveexec_b64 s[30:31], s[30:31]
	s_cbranch_execnz .LBB62_536
.LBB62_205:
	s_or_b64 exec, exec, s[30:31]
	v_mov_b32_e32 v4, 0
	s_and_saveexec_b64 s[30:31], s[28:29]
.LBB62_206:
	v_mov_b32_e32 v4, v2
.LBB62_207:
	s_or_b64 exec, exec, s[30:31]
.LBB62_208:
	s_or_b64 exec, exec, s[24:25]
	s_mov_b64 s[24:25], 0
	global_store_byte v[0:1], v4, off
.LBB62_209:
	s_and_b64 vcc, exec, s[24:25]
	s_cbranch_vccz .LBB62_219
; %bb.210:
	v_cndmask_b32_e64 v2, 0, 1.0, s[16:17]
	s_mov_b32 s24, 0x43f00000
	v_cmp_gt_u32_e32 vcc, s24, v2
                                        ; implicit-def: $vgpr3
	s_and_saveexec_b64 s[24:25], vcc
	s_xor_b64 s[24:25], exec, s[24:25]
	s_cbranch_execz .LBB62_216
; %bb.211:
	s_mov_b32 s28, 0x3c7fffff
	v_cmp_lt_u32_e32 vcc, s28, v2
                                        ; implicit-def: $vgpr3
	s_and_saveexec_b64 s[28:29], vcc
	s_xor_b64 s[28:29], exec, s[28:29]
; %bb.212:
	v_bfe_u32 v3, v2, 20, 1
	s_mov_b32 s30, 0x407ffff
	v_add3_u32 v2, v2, v3, s30
	v_lshrrev_b32_e32 v3, 20, v2
	v_and_b32_e32 v2, 0xff00000, v2
	s_mov_b32 s30, 0x7f00000
	v_mov_b32_e32 v4, 0x7e
	v_cmp_ne_u32_e32 vcc, s30, v2
	v_cndmask_b32_e32 v3, v4, v3, vcc
                                        ; implicit-def: $vgpr2
; %bb.213:
	s_andn2_saveexec_b64 s[28:29], s[28:29]
; %bb.214:
	v_add_f32_e32 v3, 0x46800000, v2
; %bb.215:
	s_or_b64 exec, exec, s[28:29]
                                        ; implicit-def: $vgpr2
.LBB62_216:
	s_andn2_saveexec_b64 s[24:25], s[24:25]
; %bb.217:
	s_mov_b32 s28, 0x7f800000
	v_mov_b32_e32 v3, 0x7e
	v_mov_b32_e32 v4, 0x7f
	v_cmp_lt_u32_e32 vcc, s28, v2
	v_cndmask_b32_e32 v3, v3, v4, vcc
; %bb.218:
	s_or_b64 exec, exec, s[24:25]
	global_store_byte v[0:1], v3, off
.LBB62_219:
	s_mov_b64 s[24:25], 0
.LBB62_220:
	s_andn2_b64 vcc, exec, s[24:25]
	s_cbranch_vccnz .LBB62_230
; %bb.221:
	v_cndmask_b32_e64 v2, 0, 1.0, s[16:17]
	s_mov_b32 s24, 0x47800000
	v_cmp_gt_u32_e32 vcc, s24, v2
                                        ; implicit-def: $vgpr3
	s_and_saveexec_b64 s[24:25], vcc
	s_xor_b64 s[24:25], exec, s[24:25]
	s_cbranch_execz .LBB62_227
; %bb.222:
	s_mov_b32 s28, 0x387fffff
	v_cmp_lt_u32_e32 vcc, s28, v2
                                        ; implicit-def: $vgpr3
	s_and_saveexec_b64 s[28:29], vcc
	s_xor_b64 s[28:29], exec, s[28:29]
; %bb.223:
	v_bfe_u32 v3, v2, 21, 1
	s_mov_b32 s30, 0x80fffff
	v_add3_u32 v2, v2, v3, s30
	v_lshrrev_b32_e32 v3, 21, v2
                                        ; implicit-def: $vgpr2
; %bb.224:
	s_andn2_saveexec_b64 s[28:29], s[28:29]
; %bb.225:
	v_add_f32_e32 v3, 0x43000000, v2
; %bb.226:
	s_or_b64 exec, exec, s[28:29]
                                        ; implicit-def: $vgpr2
.LBB62_227:
	s_andn2_saveexec_b64 s[24:25], s[24:25]
; %bb.228:
	s_mov_b32 s28, 0x7f800000
	v_mov_b32_e32 v3, 0x7c
	v_mov_b32_e32 v4, 0x7f
	v_cmp_lt_u32_e32 vcc, s28, v2
	v_cndmask_b32_e32 v3, v3, v4, vcc
; %bb.229:
	s_or_b64 exec, exec, s[24:25]
	global_store_byte v[0:1], v3, off
.LBB62_230:
	s_mov_b64 s[28:29], 0
	s_mov_b64 s[24:25], -1
.LBB62_231:
	s_andn2_b64 vcc, exec, s[28:29]
	s_cbranch_vccnz .LBB62_239
; %bb.232:
	s_cmp_gt_i32 s35, 14
	s_mov_b64 s[28:29], -1
	s_cbranch_scc0 .LBB62_236
; %bb.233:
	s_cmp_eq_u32 s35, 15
	s_mov_b64 s[0:1], -1
	s_cbranch_scc0 .LBB62_235
; %bb.234:
	v_cndmask_b32_e64 v2, 0, 1.0, s[16:17]
	v_bfe_u32 v3, v2, 16, 1
	s_movk_i32 s0, 0x7fff
	v_add3_u32 v2, v2, v3, s0
	global_store_short_d16_hi v[0:1], v2, off
	s_mov_b64 s[24:25], -1
	s_mov_b64 s[0:1], 0
.LBB62_235:
	s_mov_b64 s[28:29], 0
.LBB62_236:
	s_and_b64 vcc, exec, s[28:29]
	s_cbranch_vccz .LBB62_239
; %bb.237:
	s_cmp_eq_u32 s35, 11
	s_mov_b64 s[0:1], -1
	s_cbranch_scc0 .LBB62_239
; %bb.238:
	v_cndmask_b32_e64 v2, 0, 1, s[16:17]
	s_mov_b64 s[24:25], -1
	s_mov_b64 s[0:1], 0
	global_store_byte v[0:1], v2, off
.LBB62_239:
	s_mov_b64 s[28:29], 0
.LBB62_240:
	s_and_b64 vcc, exec, s[28:29]
	s_cbranch_vccz .LBB62_279
; %bb.241:
	s_and_b32 s28, 0xffff, s34
	s_cmp_lt_i32 s28, 5
	s_mov_b64 s[24:25], -1
	s_cbranch_scc1 .LBB62_262
; %bb.242:
	s_cmp_lt_i32 s28, 8
	s_cbranch_scc1 .LBB62_252
; %bb.243:
	s_cmp_lt_i32 s28, 9
	s_cbranch_scc1 .LBB62_249
; %bb.244:
	s_cmp_gt_i32 s28, 9
	s_cbranch_scc0 .LBB62_246
; %bb.245:
	v_cndmask_b32_e64 v2, 0, 1, s[16:17]
	v_cvt_f64_u32_e32 v[2:3], v2
	v_mov_b32_e32 v4, 0
	v_mov_b32_e32 v5, v4
	s_mov_b64 s[24:25], 0
	global_store_dwordx4 v[0:1], v[2:5], off
.LBB62_246:
	s_andn2_b64 vcc, exec, s[24:25]
	s_cbranch_vccnz .LBB62_248
; %bb.247:
	v_cndmask_b32_e64 v2, 0, 1.0, s[16:17]
	v_mov_b32_e32 v3, 0
	global_store_dwordx2 v[0:1], v[2:3], off
.LBB62_248:
	s_mov_b64 s[24:25], 0
.LBB62_249:
	s_andn2_b64 vcc, exec, s[24:25]
	s_cbranch_vccnz .LBB62_251
; %bb.250:
	v_cndmask_b32_e64 v2, 0, 1.0, s[16:17]
	v_cvt_f16_f32_e32 v2, v2
	global_store_dword v[0:1], v2, off
.LBB62_251:
	s_mov_b64 s[24:25], 0
.LBB62_252:
	s_andn2_b64 vcc, exec, s[24:25]
	s_cbranch_vccnz .LBB62_261
; %bb.253:
	s_cmp_lt_i32 s28, 6
	s_mov_b64 s[24:25], -1
	s_cbranch_scc1 .LBB62_259
; %bb.254:
	s_cmp_gt_i32 s28, 6
	s_cbranch_scc0 .LBB62_256
; %bb.255:
	v_cndmask_b32_e64 v2, 0, 1, s[16:17]
	v_cvt_f64_u32_e32 v[2:3], v2
	s_mov_b64 s[24:25], 0
	global_store_dwordx2 v[0:1], v[2:3], off
.LBB62_256:
	s_andn2_b64 vcc, exec, s[24:25]
	s_cbranch_vccnz .LBB62_258
; %bb.257:
	v_cndmask_b32_e64 v2, 0, 1.0, s[16:17]
	global_store_dword v[0:1], v2, off
.LBB62_258:
	s_mov_b64 s[24:25], 0
.LBB62_259:
	s_andn2_b64 vcc, exec, s[24:25]
	s_cbranch_vccnz .LBB62_261
; %bb.260:
	v_cndmask_b32_e64 v2, 0, 1.0, s[16:17]
	v_cvt_f16_f32_e32 v2, v2
	global_store_short v[0:1], v2, off
.LBB62_261:
	s_mov_b64 s[24:25], 0
.LBB62_262:
	s_andn2_b64 vcc, exec, s[24:25]
	s_cbranch_vccnz .LBB62_278
; %bb.263:
	s_cmp_lt_i32 s28, 2
	s_mov_b64 s[24:25], -1
	s_cbranch_scc1 .LBB62_273
; %bb.264:
	s_cmp_lt_i32 s28, 3
	s_cbranch_scc1 .LBB62_270
; %bb.265:
	s_cmp_gt_i32 s28, 3
	s_cbranch_scc0 .LBB62_267
; %bb.266:
	s_mov_b32 s24, 0
	v_cndmask_b32_e64 v2, 0, 1, s[16:17]
	v_mov_b32_e32 v3, s24
	global_store_dwordx2 v[0:1], v[2:3], off
	s_mov_b64 s[24:25], 0
.LBB62_267:
	s_andn2_b64 vcc, exec, s[24:25]
	s_cbranch_vccnz .LBB62_269
; %bb.268:
	v_cndmask_b32_e64 v2, 0, 1, s[16:17]
	global_store_dword v[0:1], v2, off
.LBB62_269:
	s_mov_b64 s[24:25], 0
.LBB62_270:
	s_andn2_b64 vcc, exec, s[24:25]
	s_cbranch_vccnz .LBB62_272
; %bb.271:
	v_cndmask_b32_e64 v2, 0, 1, s[16:17]
	global_store_short v[0:1], v2, off
.LBB62_272:
	s_mov_b64 s[24:25], 0
.LBB62_273:
	s_andn2_b64 vcc, exec, s[24:25]
	s_cbranch_vccnz .LBB62_278
; %bb.274:
	s_mov_b64 s[24:25], -1
	s_cmp_gt_i32 s28, 0
	v_cndmask_b32_e64 v2, 0, 1, s[16:17]
	s_cbranch_scc0 .LBB62_276
; %bb.275:
	global_store_byte v[0:1], v2, off
	s_mov_b64 s[24:25], 0
.LBB62_276:
	s_andn2_b64 vcc, exec, s[24:25]
	s_cbranch_vccnz .LBB62_278
; %bb.277:
	global_store_byte v[0:1], v2, off
.LBB62_278:
	s_mov_b64 s[24:25], -1
.LBB62_279:
	s_andn2_b64 vcc, exec, s[24:25]
	s_cbranch_vccnz .LBB62_281
; %bb.280:
	v_add_u32_e32 v6, 0x80, v6
	s_mov_b64 s[24:25], -1
	s_branch .LBB62_390
.LBB62_281:
	s_mov_b64 s[24:25], 0
                                        ; implicit-def: $vgpr6
	s_branch .LBB62_390
.LBB62_282:
	s_mov_b64 s[18:19], -1
                                        ; implicit-def: $vgpr4_vgpr5
.LBB62_283:
	s_mov_b64 s[16:17], 0
.LBB62_284:
	s_and_b64 vcc, exec, s[16:17]
	s_cbranch_vccz .LBB62_288
; %bb.285:
	s_cmp_eq_u32 s25, 29
	s_cbranch_scc0 .LBB62_287
; %bb.286:
	global_load_dwordx2 v[4:5], v[2:3], off
	s_mov_b64 s[0:1], -1
	s_mov_b64 s[18:19], 0
	s_branch .LBB62_288
.LBB62_287:
	s_mov_b64 s[18:19], -1
                                        ; implicit-def: $vgpr4_vgpr5
.LBB62_288:
	s_mov_b64 s[16:17], 0
.LBB62_289:
	s_and_b64 vcc, exec, s[16:17]
	s_cbranch_vccz .LBB62_307
; %bb.290:
	s_cmp_lt_i32 s25, 27
	s_cbranch_scc1 .LBB62_293
; %bb.291:
	s_cmp_gt_i32 s25, 27
	s_cbranch_scc0 .LBB62_294
; %bb.292:
	global_load_dword v4, v[2:3], off
	s_waitcnt vmcnt(1)
	v_mov_b32_e32 v5, 0
	s_mov_b64 s[0:1], 0
	s_branch .LBB62_295
.LBB62_293:
	s_mov_b64 s[0:1], -1
                                        ; implicit-def: $vgpr4_vgpr5
	s_branch .LBB62_298
.LBB62_294:
	s_mov_b64 s[0:1], -1
                                        ; implicit-def: $vgpr4_vgpr5
.LBB62_295:
	s_andn2_b64 vcc, exec, s[0:1]
	s_cbranch_vccnz .LBB62_297
; %bb.296:
	global_load_ushort v4, v[2:3], off
	s_mov_b32 s0, 0
	s_waitcnt vmcnt(1)
	v_mov_b32_e32 v5, s0
	s_waitcnt vmcnt(0)
	v_and_b32_e32 v4, 0xffff, v4
.LBB62_297:
	s_mov_b64 s[0:1], 0
.LBB62_298:
	s_andn2_b64 vcc, exec, s[0:1]
	s_cbranch_vccnz .LBB62_306
; %bb.299:
	global_load_ubyte v7, v[2:3], off
	s_movk_i32 s0, 0x7f
	s_mov_b64 s[16:17], 0
	s_waitcnt vmcnt(0)
	v_cmp_lt_i16_e32 vcc, s0, v7
	s_and_saveexec_b64 s[0:1], vcc
	s_xor_b64 s[0:1], exec, s[0:1]
; %bb.300:
	s_movk_i32 s16, 0x80
	v_cmp_ne_u16_e32 vcc, s16, v7
	s_and_b64 s[16:17], vcc, exec
; %bb.301:
	s_andn2_saveexec_b64 s[0:1], s[0:1]
; %bb.302:
	v_cmp_ne_u16_e32 vcc, 0, v7
	s_andn2_b64 s[16:17], s[16:17], exec
	s_and_b64 s[28:29], vcc, exec
	s_or_b64 s[16:17], s[16:17], s[28:29]
; %bb.303:
	s_or_b64 exec, exec, s[0:1]
	v_mov_b32_e32 v4, 0
	v_mov_b32_e32 v5, 0
	s_and_saveexec_b64 s[0:1], s[16:17]
	s_cbranch_execz .LBB62_305
; %bb.304:
	v_and_b32_e32 v5, 0xffff, v7
	v_lshlrev_b32_e32 v4, 24, v7
	v_and_b32_e32 v7, 7, v5
	v_ffbh_u32_e32 v9, v7
	v_min_u32_e32 v9, 32, v9
	v_subrev_u32_e32 v10, 28, v9
	v_bfe_u32 v8, v5, 3, 4
	v_lshlrev_b32_e32 v5, v10, v5
	v_sub_u32_e32 v9, 29, v9
	v_and_b32_e32 v5, 7, v5
	v_cmp_eq_u32_e32 vcc, 0, v8
	v_cndmask_b32_e32 v8, v8, v9, vcc
	v_cndmask_b32_e32 v5, v7, v5, vcc
	v_mov_b32_e32 v7, 0x3b800000
	v_lshlrev_b32_e32 v5, 20, v5
	v_and_b32_e32 v4, 0x80000000, v4
	v_lshl_add_u32 v7, v8, 23, v7
	v_or3_b32 v4, v4, v7, v5
	v_trunc_f32_e32 v4, v4
	s_mov_b32 s16, 0x2f800000
	v_mul_f32_e64 v5, |v4|, s16
	v_floor_f32_e32 v5, v5
	s_mov_b32 s16, 0xcf800000
	v_fma_f32 v7, v5, s16, |v4|
	v_cvt_u32_f32_e32 v7, v7
	v_cvt_u32_f32_e32 v5, v5
	v_ashrrev_i32_e32 v8, 31, v4
	v_xor_b32_e32 v4, v7, v8
	v_xor_b32_e32 v5, v5, v8
	v_sub_co_u32_e32 v4, vcc, v4, v8
	v_subb_co_u32_e32 v5, vcc, v5, v8, vcc
.LBB62_305:
	s_or_b64 exec, exec, s[0:1]
.LBB62_306:
	s_mov_b64 s[0:1], -1
.LBB62_307:
	s_mov_b64 s[16:17], 0
.LBB62_308:
	s_and_b64 vcc, exec, s[16:17]
	s_cbranch_vccz .LBB62_339
; %bb.309:
	s_cmp_gt_i32 s25, 22
	s_cbranch_scc0 .LBB62_319
; %bb.310:
	s_cmp_lt_i32 s25, 24
	s_cbranch_scc1 .LBB62_320
; %bb.311:
	s_cmp_gt_i32 s25, 24
	s_cbranch_scc0 .LBB62_321
; %bb.312:
	global_load_ubyte v7, v[2:3], off
	s_movk_i32 s0, 0x7f
	s_mov_b64 s[16:17], 0
	s_waitcnt vmcnt(0)
	v_cmp_lt_i16_e32 vcc, s0, v7
	s_and_saveexec_b64 s[0:1], vcc
	s_xor_b64 s[0:1], exec, s[0:1]
; %bb.313:
	s_movk_i32 s16, 0x80
	v_cmp_ne_u16_e32 vcc, s16, v7
	s_and_b64 s[16:17], vcc, exec
; %bb.314:
	s_andn2_saveexec_b64 s[0:1], s[0:1]
; %bb.315:
	v_cmp_ne_u16_e32 vcc, 0, v7
	s_andn2_b64 s[16:17], s[16:17], exec
	s_and_b64 s[28:29], vcc, exec
	s_or_b64 s[16:17], s[16:17], s[28:29]
; %bb.316:
	s_or_b64 exec, exec, s[0:1]
	v_mov_b32_e32 v4, 0
	v_mov_b32_e32 v5, 0
	s_and_saveexec_b64 s[0:1], s[16:17]
	s_cbranch_execz .LBB62_318
; %bb.317:
	v_and_b32_e32 v5, 0xffff, v7
	v_lshlrev_b32_e32 v4, 24, v7
	v_and_b32_e32 v7, 3, v5
	v_ffbh_u32_e32 v9, v7
	v_min_u32_e32 v9, 32, v9
	v_subrev_u32_e32 v10, 29, v9
	v_bfe_u32 v8, v5, 2, 5
	v_lshlrev_b32_e32 v5, v10, v5
	v_sub_u32_e32 v9, 30, v9
	v_and_b32_e32 v5, 3, v5
	v_cmp_eq_u32_e32 vcc, 0, v8
	v_cndmask_b32_e32 v8, v8, v9, vcc
	v_cndmask_b32_e32 v5, v7, v5, vcc
	v_mov_b32_e32 v7, 0x37800000
	v_lshlrev_b32_e32 v5, 21, v5
	v_and_b32_e32 v4, 0x80000000, v4
	v_lshl_add_u32 v7, v8, 23, v7
	v_or3_b32 v4, v4, v7, v5
	v_trunc_f32_e32 v4, v4
	s_mov_b32 s16, 0x2f800000
	v_mul_f32_e64 v5, |v4|, s16
	v_floor_f32_e32 v5, v5
	s_mov_b32 s16, 0xcf800000
	v_fma_f32 v7, v5, s16, |v4|
	v_cvt_u32_f32_e32 v7, v7
	v_cvt_u32_f32_e32 v5, v5
	v_ashrrev_i32_e32 v8, 31, v4
	v_xor_b32_e32 v4, v7, v8
	v_xor_b32_e32 v5, v5, v8
	v_sub_co_u32_e32 v4, vcc, v4, v8
	v_subb_co_u32_e32 v5, vcc, v5, v8, vcc
.LBB62_318:
	s_or_b64 exec, exec, s[0:1]
	s_mov_b64 s[0:1], 0
	s_branch .LBB62_322
.LBB62_319:
	s_mov_b64 s[16:17], -1
                                        ; implicit-def: $vgpr4_vgpr5
	s_branch .LBB62_328
.LBB62_320:
	s_mov_b64 s[0:1], -1
                                        ; implicit-def: $vgpr4_vgpr5
	s_branch .LBB62_325
.LBB62_321:
	s_mov_b64 s[0:1], -1
                                        ; implicit-def: $vgpr4_vgpr5
.LBB62_322:
	s_and_b64 vcc, exec, s[0:1]
	s_cbranch_vccz .LBB62_324
; %bb.323:
	global_load_ubyte v4, v[2:3], off
	s_mov_b32 s0, 0x7f800000
	s_brev_b32 s1, 1
	s_mov_b32 s16, 0x2f800000
	s_mov_b32 s17, 0xcf800000
	s_waitcnt vmcnt(0)
	v_lshlrev_b32_e32 v4, 24, v4
	v_and_b32_e32 v5, 0x7f000000, v4
	v_ffbh_u32_e32 v7, v5
	v_min_u32_e32 v7, 32, v7
	v_sub_u32_e64 v7, v7, 4 clamp
	v_lshlrev_b32_e32 v9, v7, v5
	v_lshlrev_b32_e32 v7, 23, v7
	v_lshrrev_b32_e32 v9, 4, v9
	v_add_u32_e32 v8, 0x1000000, v5
	v_sub_u32_e32 v7, v9, v7
	v_ashrrev_i32_e32 v8, 8, v8
	v_add_u32_e32 v7, 0x3c000000, v7
	v_and_or_b32 v7, v8, s0, v7
	v_cmp_ne_u32_e32 vcc, 0, v5
	v_cndmask_b32_e32 v5, 0, v7, vcc
	v_and_or_b32 v4, v4, s1, v5
	v_trunc_f32_e32 v4, v4
	v_mul_f32_e64 v5, |v4|, s16
	v_floor_f32_e32 v5, v5
	v_fma_f32 v7, v5, s17, |v4|
	v_cvt_u32_f32_e32 v7, v7
	v_cvt_u32_f32_e32 v5, v5
	v_ashrrev_i32_e32 v8, 31, v4
	v_xor_b32_e32 v4, v7, v8
	v_xor_b32_e32 v5, v5, v8
	v_sub_co_u32_e32 v4, vcc, v4, v8
	v_subb_co_u32_e32 v5, vcc, v5, v8, vcc
.LBB62_324:
	s_mov_b64 s[0:1], 0
.LBB62_325:
	s_andn2_b64 vcc, exec, s[0:1]
	s_cbranch_vccnz .LBB62_327
; %bb.326:
	global_load_ubyte v4, v[2:3], off
	s_movk_i32 s0, 0x7f00
	s_brev_b32 s1, 16
	s_brev_b32 s16, 1
	s_mov_b32 s17, 0x2f800000
	s_mov_b32 s28, 0xcf800000
	s_waitcnt vmcnt(0)
	v_lshlrev_b16_e32 v5, 8, v4
	v_lshlrev_b32_e32 v4, 25, v4
	v_lshrrev_b32_e32 v7, 4, v4
	v_and_or_b32 v8, v5, s0, 0.5
	v_or_b32_e32 v7, 0x70000000, v7
	v_add_f32_e32 v8, -0.5, v8
	v_mul_f32_e32 v7, 0x7800000, v7
	v_cmp_gt_u32_e32 vcc, s1, v4
	v_bfe_i32 v5, v5, 0, 16
	v_cndmask_b32_e32 v4, v7, v8, vcc
	v_and_or_b32 v4, v5, s16, v4
	v_trunc_f32_e32 v4, v4
	v_mul_f32_e64 v5, |v4|, s17
	v_floor_f32_e32 v5, v5
	v_fma_f32 v7, v5, s28, |v4|
	v_cvt_u32_f32_e32 v7, v7
	v_cvt_u32_f32_e32 v5, v5
	v_ashrrev_i32_e32 v8, 31, v4
	v_xor_b32_e32 v4, v7, v8
	v_xor_b32_e32 v5, v5, v8
	v_sub_co_u32_e32 v4, vcc, v4, v8
	v_subb_co_u32_e32 v5, vcc, v5, v8, vcc
.LBB62_327:
	s_mov_b64 s[16:17], 0
	s_mov_b64 s[0:1], -1
.LBB62_328:
	s_andn2_b64 vcc, exec, s[16:17]
	s_cbranch_vccnz .LBB62_339
; %bb.329:
	s_cmp_gt_i32 s25, 14
	s_cbranch_scc0 .LBB62_332
; %bb.330:
	s_cmp_eq_u32 s25, 15
	s_cbranch_scc0 .LBB62_333
; %bb.331:
	global_load_ushort v4, v[2:3], off
	s_mov_b32 s0, 0x2f800000
	s_mov_b32 s1, 0xcf800000
	s_mov_b64 s[18:19], 0
	s_waitcnt vmcnt(0)
	v_lshlrev_b32_e32 v4, 16, v4
	v_trunc_f32_e32 v4, v4
	v_mul_f32_e64 v5, |v4|, s0
	v_floor_f32_e32 v5, v5
	v_fma_f32 v7, v5, s1, |v4|
	v_cvt_u32_f32_e32 v7, v7
	v_cvt_u32_f32_e32 v5, v5
	v_ashrrev_i32_e32 v8, 31, v4
	s_mov_b64 s[0:1], -1
	v_xor_b32_e32 v4, v7, v8
	v_xor_b32_e32 v5, v5, v8
	v_sub_co_u32_e32 v4, vcc, v4, v8
	v_subb_co_u32_e32 v5, vcc, v5, v8, vcc
	s_branch .LBB62_334
.LBB62_332:
	s_mov_b64 s[16:17], -1
                                        ; implicit-def: $vgpr4_vgpr5
	s_branch .LBB62_335
.LBB62_333:
	s_mov_b64 s[18:19], -1
                                        ; implicit-def: $vgpr4_vgpr5
.LBB62_334:
	s_mov_b64 s[16:17], 0
.LBB62_335:
	s_and_b64 vcc, exec, s[16:17]
	s_cbranch_vccz .LBB62_339
; %bb.336:
	s_cmp_eq_u32 s25, 11
	s_cbranch_scc0 .LBB62_338
; %bb.337:
	global_load_ubyte v4, v[2:3], off
	s_mov_b32 s16, 0
	s_mov_b64 s[0:1], -1
	s_waitcnt vmcnt(1)
	v_mov_b32_e32 v5, s16
	s_mov_b64 s[18:19], 0
	s_waitcnt vmcnt(0)
	v_cmp_ne_u16_e32 vcc, 0, v4
	v_cndmask_b32_e64 v4, 0, 1, vcc
	s_branch .LBB62_339
.LBB62_338:
	s_mov_b64 s[18:19], -1
                                        ; implicit-def: $vgpr4_vgpr5
.LBB62_339:
	s_branch .LBB62_20
.LBB62_340:
	s_and_b32 s16, 0xffff, s24
	s_cmp_lt_i32 s16, 5
	s_cbranch_scc1 .LBB62_345
; %bb.341:
	s_cmp_lt_i32 s16, 8
	s_cbranch_scc1 .LBB62_346
; %bb.342:
	;; [unrolled: 3-line block ×3, first 2 shown]
	s_cmp_gt_i32 s16, 9
	s_cbranch_scc0 .LBB62_348
; %bb.344:
	global_load_dwordx2 v[4:5], v[2:3], off
	s_movk_i32 s0, 0xffe0
	s_waitcnt vmcnt(0)
	v_trunc_f64_e32 v[4:5], v[4:5]
	v_ldexp_f64 v[7:8], v[4:5], s0
	s_mov_b32 s0, 0
	s_mov_b32 s1, 0xc1f00000
	v_floor_f64_e32 v[7:8], v[7:8]
	v_fma_f64 v[9:10], v[7:8], s[0:1], v[4:5]
	v_cvt_i32_f64_e32 v5, v[7:8]
	s_mov_b64 s[0:1], 0
	v_cvt_u32_f64_e32 v4, v[9:10]
	s_branch .LBB62_349
.LBB62_345:
	s_mov_b64 s[0:1], -1
                                        ; implicit-def: $vgpr4_vgpr5
	s_branch .LBB62_367
.LBB62_346:
	s_mov_b64 s[0:1], -1
                                        ; implicit-def: $vgpr4_vgpr5
	s_branch .LBB62_355
.LBB62_347:
	s_mov_b64 s[0:1], -1
                                        ; implicit-def: $vgpr4_vgpr5
	s_branch .LBB62_352
.LBB62_348:
	s_mov_b64 s[0:1], -1
                                        ; implicit-def: $vgpr4_vgpr5
.LBB62_349:
	s_andn2_b64 vcc, exec, s[0:1]
	s_cbranch_vccnz .LBB62_351
; %bb.350:
	global_load_dword v4, v[2:3], off
	s_mov_b32 s0, 0x2f800000
	s_mov_b32 s1, 0xcf800000
	s_waitcnt vmcnt(0)
	v_trunc_f32_e32 v4, v4
	v_mul_f32_e64 v5, |v4|, s0
	v_floor_f32_e32 v5, v5
	v_cvt_u32_f32_e32 v7, v5
	v_fma_f32 v5, v5, s1, |v4|
	v_cvt_u32_f32_e32 v5, v5
	v_ashrrev_i32_e32 v8, 31, v4
	v_xor_b32_e32 v7, v7, v8
	v_xor_b32_e32 v4, v5, v8
	v_sub_co_u32_e32 v4, vcc, v4, v8
	v_subb_co_u32_e32 v5, vcc, v7, v8, vcc
.LBB62_351:
	s_mov_b64 s[0:1], 0
.LBB62_352:
	s_andn2_b64 vcc, exec, s[0:1]
	s_cbranch_vccnz .LBB62_354
; %bb.353:
	global_load_dword v4, v[2:3], off
	s_waitcnt vmcnt(0)
	v_cvt_f32_f16_e32 v4, v4
	v_cvt_i32_f32_e32 v4, v4
	v_ashrrev_i32_e32 v5, 31, v4
.LBB62_354:
	s_mov_b64 s[0:1], 0
.LBB62_355:
	s_andn2_b64 vcc, exec, s[0:1]
	s_cbranch_vccnz .LBB62_366
; %bb.356:
	s_cmp_lt_i32 s16, 6
	s_cbranch_scc1 .LBB62_359
; %bb.357:
	s_cmp_gt_i32 s16, 6
	s_cbranch_scc0 .LBB62_360
; %bb.358:
	global_load_dwordx2 v[4:5], v[2:3], off
	s_movk_i32 s0, 0xffe0
	s_waitcnt vmcnt(0)
	v_trunc_f64_e32 v[4:5], v[4:5]
	v_ldexp_f64 v[7:8], v[4:5], s0
	s_mov_b32 s0, 0
	s_mov_b32 s1, 0xc1f00000
	v_floor_f64_e32 v[7:8], v[7:8]
	v_fma_f64 v[9:10], v[7:8], s[0:1], v[4:5]
	v_cvt_i32_f64_e32 v5, v[7:8]
	s_mov_b64 s[0:1], 0
	v_cvt_u32_f64_e32 v4, v[9:10]
	s_branch .LBB62_361
.LBB62_359:
	s_mov_b64 s[0:1], -1
                                        ; implicit-def: $vgpr4_vgpr5
	s_branch .LBB62_364
.LBB62_360:
	s_mov_b64 s[0:1], -1
                                        ; implicit-def: $vgpr4_vgpr5
.LBB62_361:
	s_andn2_b64 vcc, exec, s[0:1]
	s_cbranch_vccnz .LBB62_363
; %bb.362:
	global_load_dword v4, v[2:3], off
	s_mov_b32 s0, 0x2f800000
	s_mov_b32 s1, 0xcf800000
	s_waitcnt vmcnt(0)
	v_trunc_f32_e32 v4, v4
	v_mul_f32_e64 v5, |v4|, s0
	v_floor_f32_e32 v5, v5
	v_cvt_u32_f32_e32 v7, v5
	v_fma_f32 v5, v5, s1, |v4|
	v_cvt_u32_f32_e32 v5, v5
	v_ashrrev_i32_e32 v8, 31, v4
	v_xor_b32_e32 v7, v7, v8
	v_xor_b32_e32 v4, v5, v8
	v_sub_co_u32_e32 v4, vcc, v4, v8
	v_subb_co_u32_e32 v5, vcc, v7, v8, vcc
.LBB62_363:
	s_mov_b64 s[0:1], 0
.LBB62_364:
	s_andn2_b64 vcc, exec, s[0:1]
	s_cbranch_vccnz .LBB62_366
; %bb.365:
	global_load_ushort v4, v[2:3], off
	s_waitcnt vmcnt(0)
	v_cvt_f32_f16_e32 v4, v4
	v_cvt_i32_f32_e32 v4, v4
	v_ashrrev_i32_e32 v5, 31, v4
.LBB62_366:
	s_mov_b64 s[0:1], 0
.LBB62_367:
	s_andn2_b64 vcc, exec, s[0:1]
	s_cbranch_vccnz .LBB62_387
; %bb.368:
	s_cmp_lt_i32 s16, 2
	s_cbranch_scc1 .LBB62_372
; %bb.369:
	s_cmp_lt_i32 s16, 3
	s_cbranch_scc1 .LBB62_373
; %bb.370:
	s_cmp_gt_i32 s16, 3
	s_cbranch_scc0 .LBB62_374
; %bb.371:
	global_load_dwordx2 v[4:5], v[2:3], off
	s_mov_b64 s[0:1], 0
	s_branch .LBB62_375
.LBB62_372:
	s_mov_b64 s[0:1], -1
                                        ; implicit-def: $vgpr4_vgpr5
	s_branch .LBB62_381
.LBB62_373:
	s_mov_b64 s[0:1], -1
                                        ; implicit-def: $vgpr4_vgpr5
	s_branch .LBB62_378
.LBB62_374:
	s_mov_b64 s[0:1], -1
                                        ; implicit-def: $vgpr4_vgpr5
.LBB62_375:
	s_andn2_b64 vcc, exec, s[0:1]
	s_cbranch_vccnz .LBB62_377
; %bb.376:
	global_load_dword v4, v[2:3], off
	s_waitcnt vmcnt(0)
	v_ashrrev_i32_e32 v5, 31, v4
.LBB62_377:
	s_mov_b64 s[0:1], 0
.LBB62_378:
	s_andn2_b64 vcc, exec, s[0:1]
	s_cbranch_vccnz .LBB62_380
; %bb.379:
	global_load_ushort v4, v[2:3], off
	s_waitcnt vmcnt(0)
	v_bfe_i32 v4, v4, 0, 16
	v_ashrrev_i32_e32 v5, 31, v4
.LBB62_380:
	s_mov_b64 s[0:1], 0
.LBB62_381:
	s_andn2_b64 vcc, exec, s[0:1]
	s_cbranch_vccnz .LBB62_387
; %bb.382:
	s_cmp_gt_i32 s16, 0
	s_cbranch_scc0 .LBB62_384
; %bb.383:
	global_load_sbyte v4, v[2:3], off
	s_mov_b64 s[0:1], 0
	s_waitcnt vmcnt(0)
	v_bfe_i32 v4, v4, 0, 16
	v_ashrrev_i32_e32 v5, 31, v4
	s_branch .LBB62_385
.LBB62_384:
	s_mov_b64 s[0:1], -1
                                        ; implicit-def: $vgpr4_vgpr5
.LBB62_385:
	s_andn2_b64 vcc, exec, s[0:1]
	s_cbranch_vccnz .LBB62_387
; %bb.386:
	global_load_ubyte v2, v[2:3], off
	s_mov_b32 s0, 0
	s_waitcnt vmcnt(1)
	v_mov_b32_e32 v5, s0
	s_waitcnt vmcnt(0)
	v_and_b32_e32 v4, 0xffff, v2
.LBB62_387:
	s_branch .LBB62_21
.LBB62_388:
	s_mov_b64 s[0:1], 0
.LBB62_389:
                                        ; implicit-def: $vgpr6
	s_mov_b64 s[24:25], 0
.LBB62_390:
	s_and_b64 s[16:17], s[0:1], exec
	s_and_b64 s[18:19], s[18:19], exec
	s_and_b64 s[20:21], s[20:21], exec
	s_orn2_b64 s[0:1], s[24:25], exec
.LBB62_391:
	s_or_b64 exec, exec, s[22:23]
	s_mov_b64 s[30:31], 0
	s_mov_b64 s[28:29], 0
                                        ; implicit-def: $sgpr56
                                        ; implicit-def: $vgpr2_vgpr3
                                        ; implicit-def: $vgpr0_vgpr1
	s_and_saveexec_b64 s[22:23], s[0:1]
	s_cbranch_execz .LBB62_400
; %bb.392:
	v_cmp_gt_i32_e32 vcc, s48, v6
	s_mov_b64 s[0:1], -1
	s_mov_b64 s[24:25], s[20:21]
	s_mov_b64 s[26:27], s[18:19]
	;; [unrolled: 1-line block ×3, first 2 shown]
	s_and_saveexec_b64 s[30:31], vcc
	s_cbranch_execz .LBB62_790
; %bb.393:
	s_waitcnt vmcnt(0)
	v_mul_lo_u32 v0, v6, s13
	v_mov_b32_e32 v1, s11
	s_and_b32 s28, s55, 0xff
	s_cmp_lt_i32 s28, 11
	v_ashrrev_i32_e32 v3, 31, v0
	v_add_co_u32_e32 v2, vcc, s10, v0
	v_addc_co_u32_e32 v3, vcc, v1, v3, vcc
	s_cbranch_scc1 .LBB62_403
; %bb.394:
	s_and_b32 s29, 0xffff, s28
	s_cmp_gt_i32 s29, 25
	s_cbranch_scc0 .LBB62_412
; %bb.395:
	s_cmp_gt_i32 s29, 28
	s_cbranch_scc0 .LBB62_414
; %bb.396:
	;; [unrolled: 3-line block ×4, first 2 shown]
	s_cmp_eq_u32 s29, 46
	s_mov_b64 s[26:27], 0
	s_cbranch_scc0 .LBB62_422
; %bb.399:
	global_load_dword v0, v[2:3], off
	s_mov_b32 s0, 0x2f800000
	s_mov_b32 s1, 0xcf800000
	s_mov_b64 s[24:25], 0
	s_waitcnt vmcnt(0)
	v_lshlrev_b32_e32 v0, 16, v0
	v_trunc_f32_e32 v0, v0
	v_mul_f32_e64 v1, |v0|, s0
	v_floor_f32_e32 v1, v1
	v_fma_f32 v4, v1, s1, |v0|
	v_cvt_u32_f32_e32 v4, v4
	v_cvt_u32_f32_e32 v1, v1
	v_ashrrev_i32_e32 v5, 31, v0
	s_mov_b64 s[0:1], -1
	v_xor_b32_e32 v0, v4, v5
	v_xor_b32_e32 v1, v1, v5
	v_sub_co_u32_e32 v0, vcc, v0, v5
	v_subb_co_u32_e32 v1, vcc, v1, v5, vcc
	s_branch .LBB62_423
.LBB62_400:
	s_or_b64 exec, exec, s[22:23]
	s_mov_b64 s[22:23], 0
	s_and_saveexec_b64 s[0:1], s[20:21]
	s_cbranch_execnz .LBB62_1270
.LBB62_401:
	s_or_b64 exec, exec, s[0:1]
	s_and_saveexec_b64 s[0:1], s[26:27]
	s_xor_b64 s[0:1], exec, s[0:1]
	s_cbranch_execz .LBB62_1271
.LBB62_402:
	global_load_ubyte v0, v[2:3], off
	s_mov_b32 s20, 0
	s_waitcnt vmcnt(1)
	v_mov_b32_e32 v1, s20
	s_or_b64 s[28:29], s[28:29], exec
	s_waitcnt vmcnt(0)
	v_cmp_ne_u16_e32 vcc, 0, v0
	v_cndmask_b32_e64 v0, 0, 1, vcc
	s_or_b64 exec, exec, s[0:1]
	s_and_saveexec_b64 s[0:1], s[30:31]
	s_cbranch_execz .LBB62_1317
	s_branch .LBB62_1272
.LBB62_403:
	s_mov_b64 s[0:1], 0
                                        ; implicit-def: $vgpr0_vgpr1
	s_mov_b64 s[24:25], s[20:21]
	s_cbranch_execnz .LBB62_485
.LBB62_404:
	s_andn2_b64 vcc, exec, s[0:1]
	s_cbranch_vccnz .LBB62_533
.LBB62_405:
	v_mul_lo_u32 v2, v6, s14
	v_mov_b32_e32 v3, s3
	s_and_b32 s34, s54, 0xff
	s_cmp_lt_i32 s34, 11
	v_ashrrev_i32_e32 v4, 31, v2
	v_add_co_u32_e32 v2, vcc, s2, v2
	v_addc_co_u32_e32 v3, vcc, v3, v4, vcc
	s_cbranch_scc1 .LBB62_413
; %bb.406:
	s_and_b32 s35, 0xffff, s34
	s_cmp_gt_i32 s35, 25
	s_cbranch_scc0 .LBB62_415
; %bb.407:
	s_cmp_gt_i32 s35, 28
	s_cbranch_scc0 .LBB62_417
; %bb.408:
	s_cmp_gt_i32 s35, 43
	s_cbranch_scc0 .LBB62_419
; %bb.409:
	s_cmp_gt_i32 s35, 45
	s_cbranch_scc0 .LBB62_426
; %bb.410:
	s_cmp_eq_u32 s35, 46
	s_mov_b64 s[28:29], 0
	s_cbranch_scc0 .LBB62_537
; %bb.411:
	global_load_dword v4, v[2:3], off
	s_mov_b32 s0, 0x2f800000
	s_mov_b32 s1, 0xcf800000
	s_mov_b64 s[26:27], 0
	s_waitcnt vmcnt(0)
	v_lshlrev_b32_e32 v4, 16, v4
	v_trunc_f32_e32 v4, v4
	v_mul_f32_e64 v5, |v4|, s0
	v_floor_f32_e32 v5, v5
	v_fma_f32 v7, v5, s1, |v4|
	v_cvt_u32_f32_e32 v7, v7
	v_cvt_u32_f32_e32 v5, v5
	v_ashrrev_i32_e32 v8, 31, v4
	s_mov_b64 s[0:1], -1
	v_xor_b32_e32 v4, v7, v8
	v_xor_b32_e32 v5, v5, v8
	v_sub_co_u32_e32 v4, vcc, v4, v8
	v_subb_co_u32_e32 v5, vcc, v5, v8, vcc
	s_branch .LBB62_538
.LBB62_412:
	s_mov_b64 s[26:27], -1
	s_mov_b64 s[0:1], 0
	s_mov_b64 s[24:25], s[20:21]
                                        ; implicit-def: $vgpr0_vgpr1
	s_branch .LBB62_453
.LBB62_413:
	s_mov_b64 s[28:29], -1
	s_mov_b64 s[0:1], 0
                                        ; implicit-def: $vgpr4_vgpr5
	s_mov_b64 s[26:27], s[18:19]
	s_branch .LBB62_599
.LBB62_414:
	s_mov_b64 s[26:27], -1
	s_mov_b64 s[0:1], 0
	s_mov_b64 s[24:25], s[20:21]
                                        ; implicit-def: $vgpr0_vgpr1
	s_branch .LBB62_434
.LBB62_415:
	s_mov_b64 s[28:29], -1
	s_mov_b64 s[0:1], 0
	s_mov_b64 s[26:27], s[18:19]
                                        ; implicit-def: $vgpr4_vgpr5
	s_branch .LBB62_567
.LBB62_416:
	s_mov_b64 s[26:27], -1
	s_mov_b64 s[0:1], 0
	s_mov_b64 s[24:25], s[20:21]
                                        ; implicit-def: $vgpr0_vgpr1
	s_branch .LBB62_429
.LBB62_417:
	s_mov_b64 s[28:29], -1
	s_mov_b64 s[0:1], 0
	s_mov_b64 s[26:27], s[18:19]
                                        ; implicit-def: $vgpr4_vgpr5
	s_branch .LBB62_548
.LBB62_418:
	s_mov_b64 s[26:27], -1
	s_mov_b64 s[0:1], 0
	s_mov_b64 s[24:25], s[20:21]
                                        ; implicit-def: $vgpr0_vgpr1
	s_branch .LBB62_423
.LBB62_419:
	s_mov_b64 s[28:29], -1
	s_mov_b64 s[0:1], 0
	s_mov_b64 s[26:27], s[18:19]
                                        ; implicit-def: $vgpr4_vgpr5
	s_branch .LBB62_543
.LBB62_420:
	s_andn2_saveexec_b64 s[30:31], s[30:31]
	s_cbranch_execz .LBB62_192
.LBB62_421:
	v_add_f32_e32 v2, 0x46000000, v3
	v_and_b32_e32 v2, 0xff, v2
	v_cmp_ne_u32_e32 vcc, 0, v2
	s_andn2_b64 s[28:29], s[28:29], exec
	s_and_b64 s[36:37], vcc, exec
	s_or_b64 s[28:29], s[28:29], s[36:37]
	s_or_b64 exec, exec, s[30:31]
	v_mov_b32_e32 v4, 0
	s_and_saveexec_b64 s[30:31], s[28:29]
	s_cbranch_execnz .LBB62_193
	s_branch .LBB62_194
.LBB62_422:
	s_mov_b64 s[24:25], -1
                                        ; implicit-def: $vgpr0_vgpr1
	s_mov_b64 s[0:1], 0
.LBB62_423:
	s_and_b64 vcc, exec, s[26:27]
	s_cbranch_vccz .LBB62_428
; %bb.424:
	s_cmp_eq_u32 s29, 44
	s_cbranch_scc0 .LBB62_427
; %bb.425:
	global_load_ubyte v0, v[2:3], off
	s_mov_b32 s0, 0x2f800000
	s_mov_b32 s1, 0xcf800000
	s_mov_b64 s[24:25], 0
	s_waitcnt vmcnt(0)
	v_lshlrev_b32_e32 v1, 23, v0
	v_trunc_f32_e32 v1, v1
	v_mul_f32_e64 v4, |v1|, s0
	v_floor_f32_e32 v4, v4
	v_fma_f32 v5, v4, s1, |v1|
	v_cvt_u32_f32_e32 v5, v5
	v_cvt_u32_f32_e32 v4, v4
	v_ashrrev_i32_e32 v1, 31, v1
	s_mov_b64 s[0:1], -1
	v_xor_b32_e32 v5, v5, v1
	v_xor_b32_e32 v4, v4, v1
	v_sub_co_u32_e32 v5, vcc, v5, v1
	v_subb_co_u32_e32 v1, vcc, v4, v1, vcc
	v_cmp_ne_u32_e32 vcc, 0, v0
	v_cndmask_b32_e32 v1, 0, v1, vcc
	v_cndmask_b32_e32 v0, 0, v5, vcc
	s_branch .LBB62_428
.LBB62_426:
	s_mov_b64 s[28:29], -1
	s_mov_b64 s[0:1], 0
	s_mov_b64 s[26:27], s[18:19]
                                        ; implicit-def: $vgpr4_vgpr5
	s_branch .LBB62_538
.LBB62_427:
	s_mov_b64 s[24:25], -1
                                        ; implicit-def: $vgpr0_vgpr1
.LBB62_428:
	s_mov_b64 s[26:27], 0
.LBB62_429:
	s_and_b64 vcc, exec, s[26:27]
	s_cbranch_vccz .LBB62_433
; %bb.430:
	s_cmp_eq_u32 s29, 29
	s_cbranch_scc0 .LBB62_432
; %bb.431:
	global_load_dwordx2 v[0:1], v[2:3], off
	s_mov_b64 s[0:1], -1
	s_mov_b64 s[24:25], 0
	s_branch .LBB62_433
.LBB62_432:
	s_mov_b64 s[24:25], -1
                                        ; implicit-def: $vgpr0_vgpr1
.LBB62_433:
	s_mov_b64 s[26:27], 0
.LBB62_434:
	s_and_b64 vcc, exec, s[26:27]
	s_cbranch_vccz .LBB62_452
; %bb.435:
	s_cmp_lt_i32 s29, 27
	s_cbranch_scc1 .LBB62_438
; %bb.436:
	s_cmp_gt_i32 s29, 27
	s_cbranch_scc0 .LBB62_439
; %bb.437:
	global_load_dword v0, v[2:3], off
	s_waitcnt vmcnt(1)
	v_mov_b32_e32 v1, 0
	s_mov_b64 s[0:1], 0
	s_branch .LBB62_440
.LBB62_438:
	s_mov_b64 s[0:1], -1
                                        ; implicit-def: $vgpr0_vgpr1
	s_branch .LBB62_443
.LBB62_439:
	s_mov_b64 s[0:1], -1
                                        ; implicit-def: $vgpr0_vgpr1
.LBB62_440:
	s_andn2_b64 vcc, exec, s[0:1]
	s_cbranch_vccnz .LBB62_442
; %bb.441:
	global_load_ushort v0, v[2:3], off
	s_mov_b32 s0, 0
	s_waitcnt vmcnt(1)
	v_mov_b32_e32 v1, s0
	s_waitcnt vmcnt(0)
	v_and_b32_e32 v0, 0xffff, v0
.LBB62_442:
	s_mov_b64 s[0:1], 0
.LBB62_443:
	s_andn2_b64 vcc, exec, s[0:1]
	s_cbranch_vccnz .LBB62_451
; %bb.444:
	global_load_ubyte v4, v[2:3], off
	s_movk_i32 s0, 0x7f
	s_mov_b64 s[26:27], 0
	s_waitcnt vmcnt(0)
	v_cmp_lt_i16_e32 vcc, s0, v4
	s_and_saveexec_b64 s[0:1], vcc
	s_xor_b64 s[0:1], exec, s[0:1]
; %bb.445:
	s_movk_i32 s26, 0x80
	v_cmp_ne_u16_e32 vcc, s26, v4
	s_and_b64 s[26:27], vcc, exec
; %bb.446:
	s_andn2_saveexec_b64 s[0:1], s[0:1]
; %bb.447:
	v_cmp_ne_u16_e32 vcc, 0, v4
	s_andn2_b64 s[26:27], s[26:27], exec
	s_and_b64 s[34:35], vcc, exec
	s_or_b64 s[26:27], s[26:27], s[34:35]
; %bb.448:
	s_or_b64 exec, exec, s[0:1]
	v_mov_b32_e32 v0, 0
	v_mov_b32_e32 v1, 0
	s_and_saveexec_b64 s[0:1], s[26:27]
	s_cbranch_execz .LBB62_450
; %bb.449:
	v_and_b32_e32 v1, 0xffff, v4
	v_lshlrev_b32_e32 v0, 24, v4
	v_and_b32_e32 v4, 7, v1
	v_ffbh_u32_e32 v7, v4
	v_min_u32_e32 v7, 32, v7
	v_subrev_u32_e32 v8, 28, v7
	v_bfe_u32 v5, v1, 3, 4
	v_lshlrev_b32_e32 v1, v8, v1
	v_sub_u32_e32 v7, 29, v7
	v_and_b32_e32 v1, 7, v1
	v_cmp_eq_u32_e32 vcc, 0, v5
	v_cndmask_b32_e32 v5, v5, v7, vcc
	v_cndmask_b32_e32 v1, v4, v1, vcc
	v_mov_b32_e32 v4, 0x3b800000
	v_lshlrev_b32_e32 v1, 20, v1
	v_and_b32_e32 v0, 0x80000000, v0
	v_lshl_add_u32 v4, v5, 23, v4
	v_or3_b32 v0, v0, v4, v1
	v_trunc_f32_e32 v0, v0
	s_mov_b32 s26, 0x2f800000
	v_mul_f32_e64 v1, |v0|, s26
	v_floor_f32_e32 v1, v1
	s_mov_b32 s26, 0xcf800000
	v_fma_f32 v4, v1, s26, |v0|
	v_cvt_u32_f32_e32 v4, v4
	v_cvt_u32_f32_e32 v1, v1
	v_ashrrev_i32_e32 v5, 31, v0
	v_xor_b32_e32 v0, v4, v5
	v_xor_b32_e32 v1, v1, v5
	v_sub_co_u32_e32 v0, vcc, v0, v5
	v_subb_co_u32_e32 v1, vcc, v1, v5, vcc
.LBB62_450:
	s_or_b64 exec, exec, s[0:1]
.LBB62_451:
	s_mov_b64 s[0:1], -1
.LBB62_452:
	s_mov_b64 s[26:27], 0
.LBB62_453:
	s_and_b64 vcc, exec, s[26:27]
	s_cbranch_vccz .LBB62_484
; %bb.454:
	s_cmp_gt_i32 s29, 22
	s_cbranch_scc0 .LBB62_464
; %bb.455:
	s_cmp_lt_i32 s29, 24
	s_cbranch_scc1 .LBB62_465
; %bb.456:
	s_cmp_gt_i32 s29, 24
	s_cbranch_scc0 .LBB62_466
; %bb.457:
	global_load_ubyte v4, v[2:3], off
	s_movk_i32 s0, 0x7f
	s_mov_b64 s[26:27], 0
	s_waitcnt vmcnt(0)
	v_cmp_lt_i16_e32 vcc, s0, v4
	s_and_saveexec_b64 s[0:1], vcc
	s_xor_b64 s[0:1], exec, s[0:1]
; %bb.458:
	s_movk_i32 s26, 0x80
	v_cmp_ne_u16_e32 vcc, s26, v4
	s_and_b64 s[26:27], vcc, exec
; %bb.459:
	s_andn2_saveexec_b64 s[0:1], s[0:1]
; %bb.460:
	v_cmp_ne_u16_e32 vcc, 0, v4
	s_andn2_b64 s[26:27], s[26:27], exec
	s_and_b64 s[34:35], vcc, exec
	s_or_b64 s[26:27], s[26:27], s[34:35]
; %bb.461:
	s_or_b64 exec, exec, s[0:1]
	v_mov_b32_e32 v0, 0
	v_mov_b32_e32 v1, 0
	s_and_saveexec_b64 s[0:1], s[26:27]
	s_cbranch_execz .LBB62_463
; %bb.462:
	v_and_b32_e32 v1, 0xffff, v4
	v_lshlrev_b32_e32 v0, 24, v4
	v_and_b32_e32 v4, 3, v1
	v_ffbh_u32_e32 v7, v4
	v_min_u32_e32 v7, 32, v7
	v_subrev_u32_e32 v8, 29, v7
	v_bfe_u32 v5, v1, 2, 5
	v_lshlrev_b32_e32 v1, v8, v1
	v_sub_u32_e32 v7, 30, v7
	v_and_b32_e32 v1, 3, v1
	v_cmp_eq_u32_e32 vcc, 0, v5
	v_cndmask_b32_e32 v5, v5, v7, vcc
	v_cndmask_b32_e32 v1, v4, v1, vcc
	v_mov_b32_e32 v4, 0x37800000
	v_lshlrev_b32_e32 v1, 21, v1
	v_and_b32_e32 v0, 0x80000000, v0
	v_lshl_add_u32 v4, v5, 23, v4
	v_or3_b32 v0, v0, v4, v1
	v_trunc_f32_e32 v0, v0
	s_mov_b32 s26, 0x2f800000
	v_mul_f32_e64 v1, |v0|, s26
	v_floor_f32_e32 v1, v1
	s_mov_b32 s26, 0xcf800000
	v_fma_f32 v4, v1, s26, |v0|
	v_cvt_u32_f32_e32 v4, v4
	v_cvt_u32_f32_e32 v1, v1
	v_ashrrev_i32_e32 v5, 31, v0
	v_xor_b32_e32 v0, v4, v5
	v_xor_b32_e32 v1, v1, v5
	v_sub_co_u32_e32 v0, vcc, v0, v5
	v_subb_co_u32_e32 v1, vcc, v1, v5, vcc
.LBB62_463:
	s_or_b64 exec, exec, s[0:1]
	s_mov_b64 s[0:1], 0
	s_branch .LBB62_467
.LBB62_464:
	s_mov_b64 s[26:27], -1
                                        ; implicit-def: $vgpr0_vgpr1
	s_branch .LBB62_473
.LBB62_465:
	s_mov_b64 s[0:1], -1
                                        ; implicit-def: $vgpr0_vgpr1
	s_branch .LBB62_470
.LBB62_466:
	s_mov_b64 s[0:1], -1
                                        ; implicit-def: $vgpr0_vgpr1
.LBB62_467:
	s_and_b64 vcc, exec, s[0:1]
	s_cbranch_vccz .LBB62_469
; %bb.468:
	global_load_ubyte v0, v[2:3], off
	s_mov_b32 s0, 0x7f800000
	s_brev_b32 s1, 1
	s_mov_b32 s26, 0x2f800000
	s_mov_b32 s27, 0xcf800000
	s_waitcnt vmcnt(0)
	v_lshlrev_b32_e32 v0, 24, v0
	v_and_b32_e32 v1, 0x7f000000, v0
	v_ffbh_u32_e32 v4, v1
	v_min_u32_e32 v4, 32, v4
	v_sub_u32_e64 v4, v4, 4 clamp
	v_lshlrev_b32_e32 v7, v4, v1
	v_lshlrev_b32_e32 v4, 23, v4
	v_lshrrev_b32_e32 v7, 4, v7
	v_add_u32_e32 v5, 0x1000000, v1
	v_sub_u32_e32 v4, v7, v4
	v_ashrrev_i32_e32 v5, 8, v5
	v_add_u32_e32 v4, 0x3c000000, v4
	v_and_or_b32 v4, v5, s0, v4
	v_cmp_ne_u32_e32 vcc, 0, v1
	v_cndmask_b32_e32 v1, 0, v4, vcc
	v_and_or_b32 v0, v0, s1, v1
	v_trunc_f32_e32 v0, v0
	v_mul_f32_e64 v1, |v0|, s26
	v_floor_f32_e32 v1, v1
	v_fma_f32 v4, v1, s27, |v0|
	v_cvt_u32_f32_e32 v4, v4
	v_cvt_u32_f32_e32 v1, v1
	v_ashrrev_i32_e32 v5, 31, v0
	v_xor_b32_e32 v0, v4, v5
	v_xor_b32_e32 v1, v1, v5
	v_sub_co_u32_e32 v0, vcc, v0, v5
	v_subb_co_u32_e32 v1, vcc, v1, v5, vcc
.LBB62_469:
	s_mov_b64 s[0:1], 0
.LBB62_470:
	s_andn2_b64 vcc, exec, s[0:1]
	s_cbranch_vccnz .LBB62_472
; %bb.471:
	global_load_ubyte v0, v[2:3], off
	s_movk_i32 s0, 0x7f00
	s_brev_b32 s1, 16
	s_brev_b32 s26, 1
	s_mov_b32 s27, 0x2f800000
	s_mov_b32 s34, 0xcf800000
	s_waitcnt vmcnt(0)
	v_lshlrev_b16_e32 v1, 8, v0
	v_lshlrev_b32_e32 v0, 25, v0
	v_lshrrev_b32_e32 v4, 4, v0
	v_and_or_b32 v5, v1, s0, 0.5
	v_or_b32_e32 v4, 0x70000000, v4
	v_add_f32_e32 v5, -0.5, v5
	v_mul_f32_e32 v4, 0x7800000, v4
	v_cmp_gt_u32_e32 vcc, s1, v0
	v_bfe_i32 v1, v1, 0, 16
	v_cndmask_b32_e32 v0, v4, v5, vcc
	v_and_or_b32 v0, v1, s26, v0
	v_trunc_f32_e32 v0, v0
	v_mul_f32_e64 v1, |v0|, s27
	v_floor_f32_e32 v1, v1
	v_fma_f32 v4, v1, s34, |v0|
	v_cvt_u32_f32_e32 v4, v4
	v_cvt_u32_f32_e32 v1, v1
	v_ashrrev_i32_e32 v5, 31, v0
	v_xor_b32_e32 v0, v4, v5
	v_xor_b32_e32 v1, v1, v5
	v_sub_co_u32_e32 v0, vcc, v0, v5
	v_subb_co_u32_e32 v1, vcc, v1, v5, vcc
.LBB62_472:
	s_mov_b64 s[26:27], 0
	s_mov_b64 s[0:1], -1
.LBB62_473:
	s_andn2_b64 vcc, exec, s[26:27]
	s_cbranch_vccnz .LBB62_484
; %bb.474:
	s_cmp_gt_i32 s29, 14
	s_cbranch_scc0 .LBB62_477
; %bb.475:
	s_cmp_eq_u32 s29, 15
	s_cbranch_scc0 .LBB62_478
; %bb.476:
	global_load_ushort v0, v[2:3], off
	s_mov_b32 s0, 0x2f800000
	s_mov_b32 s1, 0xcf800000
	s_mov_b64 s[24:25], 0
	s_waitcnt vmcnt(0)
	v_lshlrev_b32_e32 v0, 16, v0
	v_trunc_f32_e32 v0, v0
	v_mul_f32_e64 v1, |v0|, s0
	v_floor_f32_e32 v1, v1
	v_fma_f32 v4, v1, s1, |v0|
	v_cvt_u32_f32_e32 v4, v4
	v_cvt_u32_f32_e32 v1, v1
	v_ashrrev_i32_e32 v5, 31, v0
	s_mov_b64 s[0:1], -1
	v_xor_b32_e32 v0, v4, v5
	v_xor_b32_e32 v1, v1, v5
	v_sub_co_u32_e32 v0, vcc, v0, v5
	v_subb_co_u32_e32 v1, vcc, v1, v5, vcc
	s_branch .LBB62_479
.LBB62_477:
	s_mov_b64 s[26:27], -1
                                        ; implicit-def: $vgpr0_vgpr1
	s_branch .LBB62_480
.LBB62_478:
	s_mov_b64 s[24:25], -1
                                        ; implicit-def: $vgpr0_vgpr1
.LBB62_479:
	s_mov_b64 s[26:27], 0
.LBB62_480:
	s_and_b64 vcc, exec, s[26:27]
	s_cbranch_vccz .LBB62_484
; %bb.481:
	s_cmp_eq_u32 s29, 11
	s_cbranch_scc0 .LBB62_483
; %bb.482:
	global_load_ubyte v0, v[2:3], off
	s_mov_b32 s24, 0
	s_mov_b64 s[0:1], -1
	s_waitcnt vmcnt(1)
	v_mov_b32_e32 v1, s24
	s_mov_b64 s[24:25], 0
	s_waitcnt vmcnt(0)
	v_cmp_ne_u16_e32 vcc, 0, v0
	v_cndmask_b32_e64 v0, 0, 1, vcc
	s_branch .LBB62_484
.LBB62_483:
	s_mov_b64 s[24:25], -1
                                        ; implicit-def: $vgpr0_vgpr1
.LBB62_484:
	s_branch .LBB62_404
.LBB62_485:
	s_and_b32 s26, 0xffff, s28
	s_cmp_lt_i32 s26, 5
	s_cbranch_scc1 .LBB62_490
; %bb.486:
	s_cmp_lt_i32 s26, 8
	s_cbranch_scc1 .LBB62_491
; %bb.487:
	;; [unrolled: 3-line block ×3, first 2 shown]
	s_cmp_gt_i32 s26, 9
	s_cbranch_scc0 .LBB62_493
; %bb.489:
	global_load_dwordx2 v[0:1], v[2:3], off
	s_movk_i32 s0, 0xffe0
	s_waitcnt vmcnt(0)
	v_trunc_f64_e32 v[0:1], v[0:1]
	v_ldexp_f64 v[4:5], v[0:1], s0
	s_mov_b32 s0, 0
	s_mov_b32 s1, 0xc1f00000
	v_floor_f64_e32 v[4:5], v[4:5]
	v_fma_f64 v[7:8], v[4:5], s[0:1], v[0:1]
	v_cvt_i32_f64_e32 v1, v[4:5]
	s_mov_b64 s[0:1], 0
	v_cvt_u32_f64_e32 v0, v[7:8]
	s_branch .LBB62_494
.LBB62_490:
	s_mov_b64 s[0:1], -1
                                        ; implicit-def: $vgpr0_vgpr1
	s_branch .LBB62_512
.LBB62_491:
	s_mov_b64 s[0:1], -1
                                        ; implicit-def: $vgpr0_vgpr1
	s_branch .LBB62_500
.LBB62_492:
	s_mov_b64 s[0:1], -1
                                        ; implicit-def: $vgpr0_vgpr1
	s_branch .LBB62_497
.LBB62_493:
	s_mov_b64 s[0:1], -1
                                        ; implicit-def: $vgpr0_vgpr1
.LBB62_494:
	s_andn2_b64 vcc, exec, s[0:1]
	s_cbranch_vccnz .LBB62_496
; %bb.495:
	global_load_dword v0, v[2:3], off
	s_mov_b32 s0, 0x2f800000
	s_mov_b32 s1, 0xcf800000
	s_waitcnt vmcnt(0)
	v_trunc_f32_e32 v0, v0
	v_mul_f32_e64 v1, |v0|, s0
	v_floor_f32_e32 v1, v1
	v_cvt_u32_f32_e32 v4, v1
	v_fma_f32 v1, v1, s1, |v0|
	v_cvt_u32_f32_e32 v1, v1
	v_ashrrev_i32_e32 v5, 31, v0
	v_xor_b32_e32 v4, v4, v5
	v_xor_b32_e32 v0, v1, v5
	v_sub_co_u32_e32 v0, vcc, v0, v5
	v_subb_co_u32_e32 v1, vcc, v4, v5, vcc
.LBB62_496:
	s_mov_b64 s[0:1], 0
.LBB62_497:
	s_andn2_b64 vcc, exec, s[0:1]
	s_cbranch_vccnz .LBB62_499
; %bb.498:
	global_load_dword v0, v[2:3], off
	s_waitcnt vmcnt(0)
	v_cvt_f32_f16_e32 v0, v0
	v_cvt_i32_f32_e32 v0, v0
	v_ashrrev_i32_e32 v1, 31, v0
.LBB62_499:
	s_mov_b64 s[0:1], 0
.LBB62_500:
	s_andn2_b64 vcc, exec, s[0:1]
	s_cbranch_vccnz .LBB62_511
; %bb.501:
	s_cmp_lt_i32 s26, 6
	s_cbranch_scc1 .LBB62_504
; %bb.502:
	s_cmp_gt_i32 s26, 6
	s_cbranch_scc0 .LBB62_505
; %bb.503:
	global_load_dwordx2 v[0:1], v[2:3], off
	s_movk_i32 s0, 0xffe0
	s_waitcnt vmcnt(0)
	v_trunc_f64_e32 v[0:1], v[0:1]
	v_ldexp_f64 v[4:5], v[0:1], s0
	s_mov_b32 s0, 0
	s_mov_b32 s1, 0xc1f00000
	v_floor_f64_e32 v[4:5], v[4:5]
	v_fma_f64 v[7:8], v[4:5], s[0:1], v[0:1]
	v_cvt_i32_f64_e32 v1, v[4:5]
	s_mov_b64 s[0:1], 0
	v_cvt_u32_f64_e32 v0, v[7:8]
	s_branch .LBB62_506
.LBB62_504:
	s_mov_b64 s[0:1], -1
                                        ; implicit-def: $vgpr0_vgpr1
	s_branch .LBB62_509
.LBB62_505:
	s_mov_b64 s[0:1], -1
                                        ; implicit-def: $vgpr0_vgpr1
.LBB62_506:
	s_andn2_b64 vcc, exec, s[0:1]
	s_cbranch_vccnz .LBB62_508
; %bb.507:
	global_load_dword v0, v[2:3], off
	s_mov_b32 s0, 0x2f800000
	s_mov_b32 s1, 0xcf800000
	s_waitcnt vmcnt(0)
	v_trunc_f32_e32 v0, v0
	v_mul_f32_e64 v1, |v0|, s0
	v_floor_f32_e32 v1, v1
	v_cvt_u32_f32_e32 v4, v1
	v_fma_f32 v1, v1, s1, |v0|
	v_cvt_u32_f32_e32 v1, v1
	v_ashrrev_i32_e32 v5, 31, v0
	v_xor_b32_e32 v4, v4, v5
	v_xor_b32_e32 v0, v1, v5
	v_sub_co_u32_e32 v0, vcc, v0, v5
	v_subb_co_u32_e32 v1, vcc, v4, v5, vcc
.LBB62_508:
	s_mov_b64 s[0:1], 0
.LBB62_509:
	s_andn2_b64 vcc, exec, s[0:1]
	s_cbranch_vccnz .LBB62_511
; %bb.510:
	global_load_ushort v0, v[2:3], off
	s_waitcnt vmcnt(0)
	v_cvt_f32_f16_e32 v0, v0
	v_cvt_i32_f32_e32 v0, v0
	v_ashrrev_i32_e32 v1, 31, v0
.LBB62_511:
	s_mov_b64 s[0:1], 0
.LBB62_512:
	s_andn2_b64 vcc, exec, s[0:1]
	s_cbranch_vccnz .LBB62_532
; %bb.513:
	s_cmp_lt_i32 s26, 2
	s_cbranch_scc1 .LBB62_517
; %bb.514:
	s_cmp_lt_i32 s26, 3
	s_cbranch_scc1 .LBB62_518
; %bb.515:
	s_cmp_gt_i32 s26, 3
	s_cbranch_scc0 .LBB62_519
; %bb.516:
	global_load_dwordx2 v[0:1], v[2:3], off
	s_mov_b64 s[0:1], 0
	s_branch .LBB62_520
.LBB62_517:
	s_mov_b64 s[0:1], -1
                                        ; implicit-def: $vgpr0_vgpr1
	s_branch .LBB62_526
.LBB62_518:
	s_mov_b64 s[0:1], -1
                                        ; implicit-def: $vgpr0_vgpr1
	s_branch .LBB62_523
.LBB62_519:
	s_mov_b64 s[0:1], -1
                                        ; implicit-def: $vgpr0_vgpr1
.LBB62_520:
	s_andn2_b64 vcc, exec, s[0:1]
	s_cbranch_vccnz .LBB62_522
; %bb.521:
	global_load_dword v0, v[2:3], off
	s_waitcnt vmcnt(0)
	v_ashrrev_i32_e32 v1, 31, v0
.LBB62_522:
	s_mov_b64 s[0:1], 0
.LBB62_523:
	s_andn2_b64 vcc, exec, s[0:1]
	s_cbranch_vccnz .LBB62_525
; %bb.524:
	global_load_ushort v0, v[2:3], off
	s_waitcnt vmcnt(0)
	v_bfe_i32 v0, v0, 0, 16
	v_ashrrev_i32_e32 v1, 31, v0
.LBB62_525:
	s_mov_b64 s[0:1], 0
.LBB62_526:
	s_andn2_b64 vcc, exec, s[0:1]
	s_cbranch_vccnz .LBB62_532
; %bb.527:
	s_cmp_gt_i32 s26, 0
	s_cbranch_scc0 .LBB62_529
; %bb.528:
	global_load_sbyte v0, v[2:3], off
	s_mov_b64 s[0:1], 0
	s_waitcnt vmcnt(0)
	v_bfe_i32 v0, v0, 0, 16
	v_ashrrev_i32_e32 v1, 31, v0
	s_branch .LBB62_530
.LBB62_529:
	s_mov_b64 s[0:1], -1
                                        ; implicit-def: $vgpr0_vgpr1
.LBB62_530:
	s_andn2_b64 vcc, exec, s[0:1]
	s_cbranch_vccnz .LBB62_532
; %bb.531:
	global_load_ubyte v0, v[2:3], off
	s_mov_b32 s0, 0
	s_waitcnt vmcnt(1)
	v_mov_b32_e32 v1, s0
	s_waitcnt vmcnt(0)
	v_and_b32_e32 v0, 0xffff, v0
.LBB62_532:
	s_branch .LBB62_405
.LBB62_533:
	s_mov_b64 s[34:35], 0
	s_mov_b64 s[0:1], s[16:17]
	;; [unrolled: 1-line block ×3, first 2 shown]
.LBB62_534:
                                        ; implicit-def: $vgpr6
	s_branch .LBB62_789
.LBB62_535:
	s_andn2_saveexec_b64 s[30:31], s[30:31]
	s_cbranch_execz .LBB62_205
.LBB62_536:
	v_add_f32_e32 v2, 0x42800000, v3
	v_and_b32_e32 v2, 0xff, v2
	v_cmp_ne_u32_e32 vcc, 0, v2
	s_andn2_b64 s[28:29], s[28:29], exec
	s_and_b64 s[36:37], vcc, exec
	s_or_b64 s[28:29], s[28:29], s[36:37]
	s_or_b64 exec, exec, s[30:31]
	v_mov_b32_e32 v4, 0
	s_and_saveexec_b64 s[30:31], s[28:29]
	s_cbranch_execnz .LBB62_206
	s_branch .LBB62_207
.LBB62_537:
	s_mov_b64 s[26:27], -1
                                        ; implicit-def: $vgpr4_vgpr5
	s_mov_b64 s[0:1], 0
.LBB62_538:
	s_and_b64 vcc, exec, s[28:29]
	s_cbranch_vccz .LBB62_542
; %bb.539:
	s_cmp_eq_u32 s35, 44
	s_cbranch_scc0 .LBB62_541
; %bb.540:
	global_load_ubyte v4, v[2:3], off
	s_mov_b32 s0, 0x2f800000
	s_mov_b32 s1, 0xcf800000
	s_mov_b64 s[26:27], 0
	s_waitcnt vmcnt(0)
	v_lshlrev_b32_e32 v5, 23, v4
	v_trunc_f32_e32 v5, v5
	v_mul_f32_e64 v7, |v5|, s0
	v_floor_f32_e32 v7, v7
	v_fma_f32 v8, v7, s1, |v5|
	v_cvt_u32_f32_e32 v8, v8
	v_cvt_u32_f32_e32 v7, v7
	v_ashrrev_i32_e32 v5, 31, v5
	s_mov_b64 s[0:1], -1
	v_xor_b32_e32 v8, v8, v5
	v_xor_b32_e32 v7, v7, v5
	v_sub_co_u32_e32 v8, vcc, v8, v5
	v_subb_co_u32_e32 v5, vcc, v7, v5, vcc
	v_cmp_ne_u32_e32 vcc, 0, v4
	v_cndmask_b32_e32 v5, 0, v5, vcc
	v_cndmask_b32_e32 v4, 0, v8, vcc
	s_branch .LBB62_542
.LBB62_541:
	s_mov_b64 s[26:27], -1
                                        ; implicit-def: $vgpr4_vgpr5
.LBB62_542:
	s_mov_b64 s[28:29], 0
.LBB62_543:
	s_and_b64 vcc, exec, s[28:29]
	s_cbranch_vccz .LBB62_547
; %bb.544:
	s_cmp_eq_u32 s35, 29
	s_cbranch_scc0 .LBB62_546
; %bb.545:
	global_load_dwordx2 v[4:5], v[2:3], off
	s_mov_b64 s[0:1], -1
	s_mov_b64 s[26:27], 0
	s_branch .LBB62_547
.LBB62_546:
	s_mov_b64 s[26:27], -1
                                        ; implicit-def: $vgpr4_vgpr5
.LBB62_547:
	s_mov_b64 s[28:29], 0
.LBB62_548:
	s_and_b64 vcc, exec, s[28:29]
	s_cbranch_vccz .LBB62_566
; %bb.549:
	s_cmp_lt_i32 s35, 27
	s_cbranch_scc1 .LBB62_552
; %bb.550:
	s_cmp_gt_i32 s35, 27
	s_cbranch_scc0 .LBB62_553
; %bb.551:
	global_load_dword v4, v[2:3], off
	s_waitcnt vmcnt(1)
	v_mov_b32_e32 v5, 0
	s_mov_b64 s[0:1], 0
	s_branch .LBB62_554
.LBB62_552:
	s_mov_b64 s[0:1], -1
                                        ; implicit-def: $vgpr4_vgpr5
	s_branch .LBB62_557
.LBB62_553:
	s_mov_b64 s[0:1], -1
                                        ; implicit-def: $vgpr4_vgpr5
.LBB62_554:
	s_andn2_b64 vcc, exec, s[0:1]
	s_cbranch_vccnz .LBB62_556
; %bb.555:
	global_load_ushort v4, v[2:3], off
	s_mov_b32 s0, 0
	s_waitcnt vmcnt(1)
	v_mov_b32_e32 v5, s0
	s_waitcnt vmcnt(0)
	v_and_b32_e32 v4, 0xffff, v4
.LBB62_556:
	s_mov_b64 s[0:1], 0
.LBB62_557:
	s_andn2_b64 vcc, exec, s[0:1]
	s_cbranch_vccnz .LBB62_565
; %bb.558:
	global_load_ubyte v7, v[2:3], off
	s_movk_i32 s0, 0x7f
	s_mov_b64 s[28:29], 0
	s_waitcnt vmcnt(0)
	v_cmp_lt_i16_e32 vcc, s0, v7
	s_and_saveexec_b64 s[0:1], vcc
	s_xor_b64 s[0:1], exec, s[0:1]
; %bb.559:
	s_movk_i32 s28, 0x80
	v_cmp_ne_u16_e32 vcc, s28, v7
	s_and_b64 s[28:29], vcc, exec
; %bb.560:
	s_andn2_saveexec_b64 s[0:1], s[0:1]
; %bb.561:
	v_cmp_ne_u16_e32 vcc, 0, v7
	s_andn2_b64 s[28:29], s[28:29], exec
	s_and_b64 s[36:37], vcc, exec
	s_or_b64 s[28:29], s[28:29], s[36:37]
; %bb.562:
	s_or_b64 exec, exec, s[0:1]
	v_mov_b32_e32 v4, 0
	v_mov_b32_e32 v5, 0
	s_and_saveexec_b64 s[0:1], s[28:29]
	s_cbranch_execz .LBB62_564
; %bb.563:
	v_and_b32_e32 v5, 0xffff, v7
	v_lshlrev_b32_e32 v4, 24, v7
	v_and_b32_e32 v7, 7, v5
	v_ffbh_u32_e32 v9, v7
	v_min_u32_e32 v9, 32, v9
	v_subrev_u32_e32 v10, 28, v9
	v_bfe_u32 v8, v5, 3, 4
	v_lshlrev_b32_e32 v5, v10, v5
	v_sub_u32_e32 v9, 29, v9
	v_and_b32_e32 v5, 7, v5
	v_cmp_eq_u32_e32 vcc, 0, v8
	v_cndmask_b32_e32 v8, v8, v9, vcc
	v_cndmask_b32_e32 v5, v7, v5, vcc
	v_mov_b32_e32 v7, 0x3b800000
	v_lshlrev_b32_e32 v5, 20, v5
	v_and_b32_e32 v4, 0x80000000, v4
	v_lshl_add_u32 v7, v8, 23, v7
	v_or3_b32 v4, v4, v7, v5
	v_trunc_f32_e32 v4, v4
	s_mov_b32 s28, 0x2f800000
	v_mul_f32_e64 v5, |v4|, s28
	v_floor_f32_e32 v5, v5
	s_mov_b32 s28, 0xcf800000
	v_fma_f32 v7, v5, s28, |v4|
	v_cvt_u32_f32_e32 v7, v7
	v_cvt_u32_f32_e32 v5, v5
	v_ashrrev_i32_e32 v8, 31, v4
	v_xor_b32_e32 v4, v7, v8
	v_xor_b32_e32 v5, v5, v8
	v_sub_co_u32_e32 v4, vcc, v4, v8
	v_subb_co_u32_e32 v5, vcc, v5, v8, vcc
.LBB62_564:
	s_or_b64 exec, exec, s[0:1]
.LBB62_565:
	s_mov_b64 s[0:1], -1
.LBB62_566:
	s_mov_b64 s[28:29], 0
.LBB62_567:
	s_and_b64 vcc, exec, s[28:29]
	s_cbranch_vccz .LBB62_598
; %bb.568:
	s_cmp_gt_i32 s35, 22
	s_cbranch_scc0 .LBB62_578
; %bb.569:
	s_cmp_lt_i32 s35, 24
	s_cbranch_scc1 .LBB62_579
; %bb.570:
	s_cmp_gt_i32 s35, 24
	s_cbranch_scc0 .LBB62_580
; %bb.571:
	global_load_ubyte v7, v[2:3], off
	s_movk_i32 s0, 0x7f
	s_mov_b64 s[28:29], 0
	s_waitcnt vmcnt(0)
	v_cmp_lt_i16_e32 vcc, s0, v7
	s_and_saveexec_b64 s[0:1], vcc
	s_xor_b64 s[0:1], exec, s[0:1]
; %bb.572:
	s_movk_i32 s28, 0x80
	v_cmp_ne_u16_e32 vcc, s28, v7
	s_and_b64 s[28:29], vcc, exec
; %bb.573:
	s_andn2_saveexec_b64 s[0:1], s[0:1]
; %bb.574:
	v_cmp_ne_u16_e32 vcc, 0, v7
	s_andn2_b64 s[28:29], s[28:29], exec
	s_and_b64 s[36:37], vcc, exec
	s_or_b64 s[28:29], s[28:29], s[36:37]
; %bb.575:
	s_or_b64 exec, exec, s[0:1]
	v_mov_b32_e32 v4, 0
	v_mov_b32_e32 v5, 0
	s_and_saveexec_b64 s[0:1], s[28:29]
	s_cbranch_execz .LBB62_577
; %bb.576:
	v_and_b32_e32 v5, 0xffff, v7
	v_lshlrev_b32_e32 v4, 24, v7
	v_and_b32_e32 v7, 3, v5
	v_ffbh_u32_e32 v9, v7
	v_min_u32_e32 v9, 32, v9
	v_subrev_u32_e32 v10, 29, v9
	v_bfe_u32 v8, v5, 2, 5
	v_lshlrev_b32_e32 v5, v10, v5
	v_sub_u32_e32 v9, 30, v9
	v_and_b32_e32 v5, 3, v5
	v_cmp_eq_u32_e32 vcc, 0, v8
	v_cndmask_b32_e32 v8, v8, v9, vcc
	v_cndmask_b32_e32 v5, v7, v5, vcc
	v_mov_b32_e32 v7, 0x37800000
	v_lshlrev_b32_e32 v5, 21, v5
	v_and_b32_e32 v4, 0x80000000, v4
	v_lshl_add_u32 v7, v8, 23, v7
	v_or3_b32 v4, v4, v7, v5
	v_trunc_f32_e32 v4, v4
	s_mov_b32 s28, 0x2f800000
	v_mul_f32_e64 v5, |v4|, s28
	v_floor_f32_e32 v5, v5
	s_mov_b32 s28, 0xcf800000
	v_fma_f32 v7, v5, s28, |v4|
	v_cvt_u32_f32_e32 v7, v7
	v_cvt_u32_f32_e32 v5, v5
	v_ashrrev_i32_e32 v8, 31, v4
	v_xor_b32_e32 v4, v7, v8
	v_xor_b32_e32 v5, v5, v8
	v_sub_co_u32_e32 v4, vcc, v4, v8
	v_subb_co_u32_e32 v5, vcc, v5, v8, vcc
.LBB62_577:
	s_or_b64 exec, exec, s[0:1]
	s_mov_b64 s[0:1], 0
	s_branch .LBB62_581
.LBB62_578:
	s_mov_b64 s[28:29], -1
                                        ; implicit-def: $vgpr4_vgpr5
	s_branch .LBB62_587
.LBB62_579:
	s_mov_b64 s[0:1], -1
                                        ; implicit-def: $vgpr4_vgpr5
	s_branch .LBB62_584
.LBB62_580:
	s_mov_b64 s[0:1], -1
                                        ; implicit-def: $vgpr4_vgpr5
.LBB62_581:
	s_and_b64 vcc, exec, s[0:1]
	s_cbranch_vccz .LBB62_583
; %bb.582:
	global_load_ubyte v4, v[2:3], off
	s_mov_b32 s0, 0x7f800000
	s_brev_b32 s1, 1
	s_mov_b32 s28, 0x2f800000
	s_mov_b32 s29, 0xcf800000
	s_waitcnt vmcnt(0)
	v_lshlrev_b32_e32 v4, 24, v4
	v_and_b32_e32 v5, 0x7f000000, v4
	v_ffbh_u32_e32 v7, v5
	v_min_u32_e32 v7, 32, v7
	v_sub_u32_e64 v7, v7, 4 clamp
	v_lshlrev_b32_e32 v9, v7, v5
	v_lshlrev_b32_e32 v7, 23, v7
	v_lshrrev_b32_e32 v9, 4, v9
	v_add_u32_e32 v8, 0x1000000, v5
	v_sub_u32_e32 v7, v9, v7
	v_ashrrev_i32_e32 v8, 8, v8
	v_add_u32_e32 v7, 0x3c000000, v7
	v_and_or_b32 v7, v8, s0, v7
	v_cmp_ne_u32_e32 vcc, 0, v5
	v_cndmask_b32_e32 v5, 0, v7, vcc
	v_and_or_b32 v4, v4, s1, v5
	v_trunc_f32_e32 v4, v4
	v_mul_f32_e64 v5, |v4|, s28
	v_floor_f32_e32 v5, v5
	v_fma_f32 v7, v5, s29, |v4|
	v_cvt_u32_f32_e32 v7, v7
	v_cvt_u32_f32_e32 v5, v5
	v_ashrrev_i32_e32 v8, 31, v4
	v_xor_b32_e32 v4, v7, v8
	v_xor_b32_e32 v5, v5, v8
	v_sub_co_u32_e32 v4, vcc, v4, v8
	v_subb_co_u32_e32 v5, vcc, v5, v8, vcc
.LBB62_583:
	s_mov_b64 s[0:1], 0
.LBB62_584:
	s_andn2_b64 vcc, exec, s[0:1]
	s_cbranch_vccnz .LBB62_586
; %bb.585:
	global_load_ubyte v4, v[2:3], off
	s_movk_i32 s0, 0x7f00
	s_brev_b32 s1, 16
	s_brev_b32 s28, 1
	s_mov_b32 s29, 0x2f800000
	s_mov_b32 s36, 0xcf800000
	s_waitcnt vmcnt(0)
	v_lshlrev_b16_e32 v5, 8, v4
	v_lshlrev_b32_e32 v4, 25, v4
	v_lshrrev_b32_e32 v7, 4, v4
	v_and_or_b32 v8, v5, s0, 0.5
	v_or_b32_e32 v7, 0x70000000, v7
	v_add_f32_e32 v8, -0.5, v8
	v_mul_f32_e32 v7, 0x7800000, v7
	v_cmp_gt_u32_e32 vcc, s1, v4
	v_bfe_i32 v5, v5, 0, 16
	v_cndmask_b32_e32 v4, v7, v8, vcc
	v_and_or_b32 v4, v5, s28, v4
	v_trunc_f32_e32 v4, v4
	v_mul_f32_e64 v5, |v4|, s29
	v_floor_f32_e32 v5, v5
	v_fma_f32 v7, v5, s36, |v4|
	v_cvt_u32_f32_e32 v7, v7
	v_cvt_u32_f32_e32 v5, v5
	v_ashrrev_i32_e32 v8, 31, v4
	v_xor_b32_e32 v4, v7, v8
	v_xor_b32_e32 v5, v5, v8
	v_sub_co_u32_e32 v4, vcc, v4, v8
	v_subb_co_u32_e32 v5, vcc, v5, v8, vcc
.LBB62_586:
	s_mov_b64 s[28:29], 0
	s_mov_b64 s[0:1], -1
.LBB62_587:
	s_andn2_b64 vcc, exec, s[28:29]
	s_cbranch_vccnz .LBB62_598
; %bb.588:
	s_cmp_gt_i32 s35, 14
	s_cbranch_scc0 .LBB62_591
; %bb.589:
	s_cmp_eq_u32 s35, 15
	s_cbranch_scc0 .LBB62_592
; %bb.590:
	global_load_ushort v4, v[2:3], off
	s_mov_b32 s0, 0x2f800000
	s_mov_b32 s1, 0xcf800000
	s_mov_b64 s[26:27], 0
	s_waitcnt vmcnt(0)
	v_lshlrev_b32_e32 v4, 16, v4
	v_trunc_f32_e32 v4, v4
	v_mul_f32_e64 v5, |v4|, s0
	v_floor_f32_e32 v5, v5
	v_fma_f32 v7, v5, s1, |v4|
	v_cvt_u32_f32_e32 v7, v7
	v_cvt_u32_f32_e32 v5, v5
	v_ashrrev_i32_e32 v8, 31, v4
	s_mov_b64 s[0:1], -1
	v_xor_b32_e32 v4, v7, v8
	v_xor_b32_e32 v5, v5, v8
	v_sub_co_u32_e32 v4, vcc, v4, v8
	v_subb_co_u32_e32 v5, vcc, v5, v8, vcc
	s_branch .LBB62_593
.LBB62_591:
	s_mov_b64 s[28:29], -1
                                        ; implicit-def: $vgpr4_vgpr5
	s_branch .LBB62_594
.LBB62_592:
	s_mov_b64 s[26:27], -1
                                        ; implicit-def: $vgpr4_vgpr5
.LBB62_593:
	s_mov_b64 s[28:29], 0
.LBB62_594:
	s_and_b64 vcc, exec, s[28:29]
	s_cbranch_vccz .LBB62_598
; %bb.595:
	s_cmp_eq_u32 s35, 11
	s_cbranch_scc0 .LBB62_597
; %bb.596:
	global_load_ubyte v4, v[2:3], off
	s_mov_b32 s26, 0
	s_mov_b64 s[0:1], -1
	s_waitcnt vmcnt(1)
	v_mov_b32_e32 v5, s26
	s_mov_b64 s[26:27], 0
	s_waitcnt vmcnt(0)
	v_cmp_ne_u16_e32 vcc, 0, v4
	v_cndmask_b32_e64 v4, 0, 1, vcc
	s_branch .LBB62_598
.LBB62_597:
	s_mov_b64 s[26:27], -1
                                        ; implicit-def: $vgpr4_vgpr5
.LBB62_598:
	s_mov_b64 s[28:29], 0
.LBB62_599:
	s_and_b64 vcc, exec, s[28:29]
	s_cbranch_vccz .LBB62_648
; %bb.600:
	s_and_b32 s28, 0xffff, s34
	s_cmp_lt_i32 s28, 5
	s_cbranch_scc1 .LBB62_605
; %bb.601:
	s_cmp_lt_i32 s28, 8
	s_cbranch_scc1 .LBB62_606
; %bb.602:
	;; [unrolled: 3-line block ×3, first 2 shown]
	s_cmp_gt_i32 s28, 9
	s_cbranch_scc0 .LBB62_608
; %bb.604:
	global_load_dwordx2 v[4:5], v[2:3], off
	s_movk_i32 s0, 0xffe0
	s_waitcnt vmcnt(0)
	v_trunc_f64_e32 v[4:5], v[4:5]
	v_ldexp_f64 v[7:8], v[4:5], s0
	s_mov_b32 s0, 0
	s_mov_b32 s1, 0xc1f00000
	v_floor_f64_e32 v[7:8], v[7:8]
	v_fma_f64 v[9:10], v[7:8], s[0:1], v[4:5]
	v_cvt_i32_f64_e32 v5, v[7:8]
	s_mov_b64 s[0:1], 0
	v_cvt_u32_f64_e32 v4, v[9:10]
	s_branch .LBB62_609
.LBB62_605:
	s_mov_b64 s[0:1], -1
                                        ; implicit-def: $vgpr4_vgpr5
	s_branch .LBB62_627
.LBB62_606:
	s_mov_b64 s[0:1], -1
                                        ; implicit-def: $vgpr4_vgpr5
	s_branch .LBB62_615
.LBB62_607:
	s_mov_b64 s[0:1], -1
                                        ; implicit-def: $vgpr4_vgpr5
	s_branch .LBB62_612
.LBB62_608:
	s_mov_b64 s[0:1], -1
                                        ; implicit-def: $vgpr4_vgpr5
.LBB62_609:
	s_andn2_b64 vcc, exec, s[0:1]
	s_cbranch_vccnz .LBB62_611
; %bb.610:
	global_load_dword v4, v[2:3], off
	s_mov_b32 s0, 0x2f800000
	s_mov_b32 s1, 0xcf800000
	s_waitcnt vmcnt(0)
	v_trunc_f32_e32 v4, v4
	v_mul_f32_e64 v5, |v4|, s0
	v_floor_f32_e32 v5, v5
	v_cvt_u32_f32_e32 v7, v5
	v_fma_f32 v5, v5, s1, |v4|
	v_cvt_u32_f32_e32 v5, v5
	v_ashrrev_i32_e32 v8, 31, v4
	v_xor_b32_e32 v7, v7, v8
	v_xor_b32_e32 v4, v5, v8
	v_sub_co_u32_e32 v4, vcc, v4, v8
	v_subb_co_u32_e32 v5, vcc, v7, v8, vcc
.LBB62_611:
	s_mov_b64 s[0:1], 0
.LBB62_612:
	s_andn2_b64 vcc, exec, s[0:1]
	s_cbranch_vccnz .LBB62_614
; %bb.613:
	global_load_dword v4, v[2:3], off
	s_waitcnt vmcnt(0)
	v_cvt_f32_f16_e32 v4, v4
	v_cvt_i32_f32_e32 v4, v4
	v_ashrrev_i32_e32 v5, 31, v4
.LBB62_614:
	s_mov_b64 s[0:1], 0
.LBB62_615:
	s_andn2_b64 vcc, exec, s[0:1]
	s_cbranch_vccnz .LBB62_626
; %bb.616:
	s_cmp_lt_i32 s28, 6
	s_cbranch_scc1 .LBB62_619
; %bb.617:
	s_cmp_gt_i32 s28, 6
	s_cbranch_scc0 .LBB62_620
; %bb.618:
	global_load_dwordx2 v[4:5], v[2:3], off
	s_movk_i32 s0, 0xffe0
	s_waitcnt vmcnt(0)
	v_trunc_f64_e32 v[4:5], v[4:5]
	v_ldexp_f64 v[7:8], v[4:5], s0
	s_mov_b32 s0, 0
	s_mov_b32 s1, 0xc1f00000
	v_floor_f64_e32 v[7:8], v[7:8]
	v_fma_f64 v[9:10], v[7:8], s[0:1], v[4:5]
	v_cvt_i32_f64_e32 v5, v[7:8]
	s_mov_b64 s[0:1], 0
	v_cvt_u32_f64_e32 v4, v[9:10]
	s_branch .LBB62_621
.LBB62_619:
	s_mov_b64 s[0:1], -1
                                        ; implicit-def: $vgpr4_vgpr5
	s_branch .LBB62_624
.LBB62_620:
	s_mov_b64 s[0:1], -1
                                        ; implicit-def: $vgpr4_vgpr5
.LBB62_621:
	s_andn2_b64 vcc, exec, s[0:1]
	s_cbranch_vccnz .LBB62_623
; %bb.622:
	global_load_dword v4, v[2:3], off
	s_mov_b32 s0, 0x2f800000
	s_mov_b32 s1, 0xcf800000
	s_waitcnt vmcnt(0)
	v_trunc_f32_e32 v4, v4
	v_mul_f32_e64 v5, |v4|, s0
	v_floor_f32_e32 v5, v5
	v_cvt_u32_f32_e32 v7, v5
	v_fma_f32 v5, v5, s1, |v4|
	v_cvt_u32_f32_e32 v5, v5
	v_ashrrev_i32_e32 v8, 31, v4
	v_xor_b32_e32 v7, v7, v8
	v_xor_b32_e32 v4, v5, v8
	v_sub_co_u32_e32 v4, vcc, v4, v8
	v_subb_co_u32_e32 v5, vcc, v7, v8, vcc
.LBB62_623:
	s_mov_b64 s[0:1], 0
.LBB62_624:
	s_andn2_b64 vcc, exec, s[0:1]
	s_cbranch_vccnz .LBB62_626
; %bb.625:
	global_load_ushort v4, v[2:3], off
	s_waitcnt vmcnt(0)
	v_cvt_f32_f16_e32 v4, v4
	v_cvt_i32_f32_e32 v4, v4
	v_ashrrev_i32_e32 v5, 31, v4
.LBB62_626:
	s_mov_b64 s[0:1], 0
.LBB62_627:
	s_andn2_b64 vcc, exec, s[0:1]
	s_cbranch_vccnz .LBB62_647
; %bb.628:
	s_cmp_lt_i32 s28, 2
	s_cbranch_scc1 .LBB62_632
; %bb.629:
	s_cmp_lt_i32 s28, 3
	s_cbranch_scc1 .LBB62_633
; %bb.630:
	s_cmp_gt_i32 s28, 3
	s_cbranch_scc0 .LBB62_634
; %bb.631:
	global_load_dwordx2 v[4:5], v[2:3], off
	s_mov_b64 s[0:1], 0
	s_branch .LBB62_635
.LBB62_632:
	s_mov_b64 s[0:1], -1
                                        ; implicit-def: $vgpr4_vgpr5
	s_branch .LBB62_641
.LBB62_633:
	s_mov_b64 s[0:1], -1
                                        ; implicit-def: $vgpr4_vgpr5
	s_branch .LBB62_638
.LBB62_634:
	s_mov_b64 s[0:1], -1
                                        ; implicit-def: $vgpr4_vgpr5
.LBB62_635:
	s_andn2_b64 vcc, exec, s[0:1]
	s_cbranch_vccnz .LBB62_637
; %bb.636:
	global_load_dword v4, v[2:3], off
	s_waitcnt vmcnt(0)
	v_ashrrev_i32_e32 v5, 31, v4
.LBB62_637:
	s_mov_b64 s[0:1], 0
.LBB62_638:
	s_andn2_b64 vcc, exec, s[0:1]
	s_cbranch_vccnz .LBB62_640
; %bb.639:
	global_load_ushort v4, v[2:3], off
	s_waitcnt vmcnt(0)
	v_bfe_i32 v4, v4, 0, 16
	v_ashrrev_i32_e32 v5, 31, v4
.LBB62_640:
	s_mov_b64 s[0:1], 0
.LBB62_641:
	s_andn2_b64 vcc, exec, s[0:1]
	s_cbranch_vccnz .LBB62_647
; %bb.642:
	s_cmp_gt_i32 s28, 0
	s_cbranch_scc0 .LBB62_644
; %bb.643:
	global_load_sbyte v4, v[2:3], off
	s_mov_b64 s[0:1], 0
	s_waitcnt vmcnt(0)
	v_bfe_i32 v4, v4, 0, 16
	v_ashrrev_i32_e32 v5, 31, v4
	s_branch .LBB62_645
.LBB62_644:
	s_mov_b64 s[0:1], -1
                                        ; implicit-def: $vgpr4_vgpr5
.LBB62_645:
	s_andn2_b64 vcc, exec, s[0:1]
	s_cbranch_vccnz .LBB62_647
; %bb.646:
	global_load_ubyte v2, v[2:3], off
	s_mov_b32 s0, 0
	s_waitcnt vmcnt(1)
	v_mov_b32_e32 v5, s0
	s_waitcnt vmcnt(0)
	v_and_b32_e32 v4, 0xffff, v2
.LBB62_647:
	s_mov_b64 s[0:1], -1
.LBB62_648:
	s_andn2_b64 vcc, exec, s[0:1]
	s_cbranch_vccnz .LBB62_653
; %bb.649:
	s_cmp_lt_i32 s15, 1
	s_mov_b64 s[0:1], 0
	s_cbranch_scc1 .LBB62_654
; %bb.650:
	s_cmp_gt_i32 s15, 1
	s_cbranch_scc0 .LBB62_655
; %bb.651:
	s_cmp_eq_u32 s15, 2
	s_cbranch_scc0 .LBB62_656
; %bb.652:
	s_waitcnt vmcnt(0)
	v_cmp_le_i64_e64 s[28:29], v[0:1], v[4:5]
	s_mov_b64 s[34:35], 0
	s_branch .LBB62_657
.LBB62_653:
	s_mov_b64 s[34:35], 0
                                        ; implicit-def: $vgpr6
	s_mov_b64 s[0:1], s[16:17]
	s_branch .LBB62_789
.LBB62_654:
	s_mov_b64 s[36:37], -1
                                        ; implicit-def: $sgpr28_sgpr29
	s_mov_b64 s[34:35], 0
	s_branch .LBB62_661
.LBB62_655:
	s_mov_b64 s[36:37], -1
	s_mov_b64 s[34:35], 0
                                        ; implicit-def: $sgpr28_sgpr29
	s_branch .LBB62_658
.LBB62_656:
	s_mov_b64 s[34:35], -1
                                        ; implicit-def: $sgpr28_sgpr29
.LBB62_657:
	s_mov_b64 s[36:37], 0
.LBB62_658:
	s_and_b64 vcc, exec, s[36:37]
	s_cbranch_vccz .LBB62_660
; %bb.659:
	s_waitcnt vmcnt(0)
	v_cmp_gt_i64_e32 vcc, v[0:1], v[4:5]
	s_andn2_b64 s[28:29], s[28:29], exec
	s_and_b64 s[36:37], vcc, exec
	s_or_b64 s[28:29], s[28:29], s[36:37]
.LBB62_660:
	s_mov_b64 s[36:37], 0
.LBB62_661:
	s_and_b64 vcc, exec, s[36:37]
	s_cbranch_vccz .LBB62_672
; %bb.662:
	s_cmp_lg_u32 s15, 0
	s_mov_b64 s[0:1], -1
	s_cselect_b64 s[34:35], -1, 0
	s_andn2_b64 vcc, exec, s[34:35]
	s_cbranch_vccz .LBB62_673
.LBB62_663:
	s_andn2_b64 vcc, exec, s[0:1]
	s_cbranch_vccnz .LBB62_665
.LBB62_664:
	s_waitcnt vmcnt(0)
	v_cmp_ge_i64_e32 vcc, v[0:1], v[4:5]
	s_andn2_b64 s[0:1], s[28:29], exec
	s_and_b64 s[28:29], vcc, exec
	s_or_b64 s[28:29], s[0:1], s[28:29]
.LBB62_665:
	s_waitcnt vmcnt(0)
	v_mul_lo_u32 v0, v6, s12
	v_mov_b32_e32 v1, s9
	s_and_b32 s40, s33, 0xff
	s_cmp_lt_i32 s40, 11
	v_ashrrev_i32_e32 v2, 31, v0
	v_add_co_u32_e32 v0, vcc, s8, v0
	v_addc_co_u32_e32 v1, vcc, v1, v2, vcc
	s_cbranch_scc1 .LBB62_674
; %bb.666:
	s_and_b32 s41, 0xffff, s40
	s_cmp_gt_i32 s41, 25
	s_cbranch_scc0 .LBB62_675
; %bb.667:
	s_cmp_gt_i32 s41, 28
	s_cbranch_scc0 .LBB62_676
; %bb.668:
	s_cmp_gt_i32 s41, 43
	s_cbranch_scc0 .LBB62_677
; %bb.669:
	s_cmp_gt_i32 s41, 45
	s_cbranch_scc0 .LBB62_678
; %bb.670:
	s_mov_b64 s[36:37], 0
	s_mov_b64 s[0:1], -1
	s_cmp_eq_u32 s41, 46
	s_mov_b64 s[34:35], 0
	s_cbranch_scc0 .LBB62_679
; %bb.671:
	v_cndmask_b32_e64 v2, 0, 1.0, s[28:29]
	v_bfe_u32 v3, v2, 16, 1
	s_movk_i32 s0, 0x7fff
	v_add3_u32 v2, v2, v3, s0
	v_lshrrev_b32_e32 v2, 16, v2
	global_store_dword v[0:1], v2, off
	s_mov_b64 s[34:35], -1
	s_mov_b64 s[0:1], 0
	s_branch .LBB62_679
.LBB62_672:
	s_andn2_b64 vcc, exec, s[34:35]
	s_cbranch_vccnz .LBB62_663
.LBB62_673:
	s_waitcnt vmcnt(0)
	v_cmp_lt_i64_e32 vcc, v[0:1], v[4:5]
	s_andn2_b64 s[28:29], s[28:29], exec
	s_and_b64 s[34:35], vcc, exec
	s_or_b64 s[28:29], s[28:29], s[34:35]
	s_cbranch_execz .LBB62_664
	s_branch .LBB62_665
.LBB62_674:
	s_mov_b64 s[36:37], -1
	s_mov_b64 s[34:35], 0
	s_mov_b64 s[0:1], s[16:17]
	s_branch .LBB62_748
.LBB62_675:
	s_mov_b64 s[36:37], -1
	s_mov_b64 s[34:35], 0
	s_mov_b64 s[0:1], s[16:17]
	s_branch .LBB62_706
.LBB62_676:
	s_mov_b64 s[36:37], -1
	s_mov_b64 s[34:35], 0
	s_mov_b64 s[0:1], s[16:17]
	s_branch .LBB62_689
.LBB62_677:
	s_mov_b64 s[36:37], -1
	s_mov_b64 s[34:35], 0
	s_mov_b64 s[0:1], s[16:17]
	s_branch .LBB62_685
.LBB62_678:
	s_mov_b64 s[36:37], -1
	s_mov_b64 s[34:35], 0
	s_mov_b64 s[0:1], s[16:17]
.LBB62_679:
	s_and_b64 vcc, exec, s[36:37]
	s_cbranch_vccz .LBB62_684
; %bb.680:
	s_cmp_eq_u32 s41, 44
	s_mov_b64 s[0:1], -1
	s_cbranch_scc0 .LBB62_684
; %bb.681:
	v_cndmask_b32_e64 v3, 0, 1.0, s[28:29]
	v_lshrrev_b32_e32 v2, 23, v3
	s_movk_i32 s0, 0xff
	v_cmp_ne_u32_e32 vcc, s0, v2
	v_mov_b32_e32 v4, 0xff
	s_and_saveexec_b64 s[34:35], vcc
; %bb.682:
	s_mov_b32 s0, 0x3fffff
	v_and_b32_e32 v4, 0x400000, v3
	v_and_or_b32 v3, v3, s0, v2
	v_cmp_ne_u32_e32 vcc, 0, v4
	v_cmp_ne_u32_e64 s[0:1], 0, v3
	s_and_b64 s[0:1], vcc, s[0:1]
	v_cndmask_b32_e64 v3, 0, 1, s[0:1]
	v_add_u32_e32 v4, v2, v3
; %bb.683:
	s_or_b64 exec, exec, s[34:35]
	s_mov_b64 s[34:35], -1
	s_mov_b64 s[0:1], 0
	global_store_byte v[0:1], v4, off
.LBB62_684:
	s_mov_b64 s[36:37], 0
.LBB62_685:
	s_and_b64 vcc, exec, s[36:37]
	s_cbranch_vccz .LBB62_688
; %bb.686:
	s_cmp_eq_u32 s41, 29
	s_mov_b64 s[0:1], -1
	s_cbranch_scc0 .LBB62_688
; %bb.687:
	s_mov_b32 s0, 0
	v_cndmask_b32_e64 v2, 0, 1, s[28:29]
	v_mov_b32_e32 v3, s0
	global_store_dwordx2 v[0:1], v[2:3], off
	s_mov_b64 s[34:35], -1
	s_mov_b64 s[0:1], 0
.LBB62_688:
	s_mov_b64 s[36:37], 0
.LBB62_689:
	s_and_b64 vcc, exec, s[36:37]
	s_cbranch_vccz .LBB62_705
; %bb.690:
	s_cmp_lt_i32 s41, 27
	s_mov_b64 s[34:35], -1
	s_cbranch_scc1 .LBB62_696
; %bb.691:
	s_cmp_gt_i32 s41, 27
	s_cbranch_scc0 .LBB62_693
; %bb.692:
	v_cndmask_b32_e64 v2, 0, 1, s[28:29]
	s_mov_b64 s[34:35], 0
	global_store_dword v[0:1], v2, off
.LBB62_693:
	s_andn2_b64 vcc, exec, s[34:35]
	s_cbranch_vccnz .LBB62_695
; %bb.694:
	v_cndmask_b32_e64 v2, 0, 1, s[28:29]
	global_store_short v[0:1], v2, off
.LBB62_695:
	s_mov_b64 s[34:35], 0
.LBB62_696:
	s_andn2_b64 vcc, exec, s[34:35]
	s_cbranch_vccnz .LBB62_704
; %bb.697:
	v_cndmask_b32_e64 v3, 0, 1.0, s[28:29]
	s_mov_b32 s34, 0x43800000
	v_cmp_gt_u32_e32 vcc, s34, v3
	v_mov_b32_e32 v4, 0x80
	s_and_saveexec_b64 s[34:35], vcc
	s_cbranch_execz .LBB62_703
; %bb.698:
	s_mov_b32 s36, 0x3bffffff
	v_cmp_lt_u32_e32 vcc, s36, v3
	s_mov_b64 s[36:37], 0
                                        ; implicit-def: $vgpr2
	s_and_saveexec_b64 s[38:39], vcc
	s_xor_b64 s[38:39], exec, s[38:39]
	s_cbranch_execz .LBB62_805
; %bb.699:
	v_bfe_u32 v2, v3, 20, 1
	s_mov_b32 s42, 0x487ffff
	v_add3_u32 v2, v3, v2, s42
	s_mov_b64 s[36:37], exec
	v_lshrrev_b32_e32 v2, 20, v2
                                        ; implicit-def: $vgpr3
	s_andn2_saveexec_b64 s[38:39], s[38:39]
	s_cbranch_execnz .LBB62_806
.LBB62_700:
	s_or_b64 exec, exec, s[38:39]
	v_mov_b32_e32 v4, 0
	s_and_saveexec_b64 s[38:39], s[36:37]
.LBB62_701:
	v_mov_b32_e32 v4, v2
.LBB62_702:
	s_or_b64 exec, exec, s[38:39]
.LBB62_703:
	s_or_b64 exec, exec, s[34:35]
	global_store_byte v[0:1], v4, off
.LBB62_704:
	s_mov_b64 s[34:35], -1
.LBB62_705:
	s_mov_b64 s[36:37], 0
.LBB62_706:
	s_and_b64 vcc, exec, s[36:37]
	s_cbranch_vccz .LBB62_747
; %bb.707:
	s_cmp_gt_i32 s41, 22
	s_mov_b64 s[36:37], -1
	s_cbranch_scc0 .LBB62_739
; %bb.708:
	s_cmp_lt_i32 s41, 24
	s_mov_b64 s[34:35], -1
	s_cbranch_scc1 .LBB62_728
; %bb.709:
	s_cmp_gt_i32 s41, 24
	s_cbranch_scc0 .LBB62_717
; %bb.710:
	v_cndmask_b32_e64 v3, 0, 1.0, s[28:29]
	s_mov_b32 s34, 0x47800000
	v_cmp_gt_u32_e32 vcc, s34, v3
	v_mov_b32_e32 v4, 0x80
	s_and_saveexec_b64 s[34:35], vcc
	s_cbranch_execz .LBB62_716
; %bb.711:
	s_mov_b32 s36, 0x37ffffff
	v_cmp_lt_u32_e32 vcc, s36, v3
	s_mov_b64 s[36:37], 0
                                        ; implicit-def: $vgpr2
	s_and_saveexec_b64 s[38:39], vcc
	s_xor_b64 s[38:39], exec, s[38:39]
	s_cbranch_execz .LBB62_933
; %bb.712:
	v_bfe_u32 v2, v3, 21, 1
	s_mov_b32 s42, 0x88fffff
	v_add3_u32 v2, v3, v2, s42
	s_mov_b64 s[36:37], exec
	v_lshrrev_b32_e32 v2, 21, v2
                                        ; implicit-def: $vgpr3
	s_andn2_saveexec_b64 s[38:39], s[38:39]
	s_cbranch_execnz .LBB62_934
.LBB62_713:
	s_or_b64 exec, exec, s[38:39]
	v_mov_b32_e32 v4, 0
	s_and_saveexec_b64 s[38:39], s[36:37]
.LBB62_714:
	v_mov_b32_e32 v4, v2
.LBB62_715:
	s_or_b64 exec, exec, s[38:39]
.LBB62_716:
	s_or_b64 exec, exec, s[34:35]
	s_mov_b64 s[34:35], 0
	global_store_byte v[0:1], v4, off
.LBB62_717:
	s_and_b64 vcc, exec, s[34:35]
	s_cbranch_vccz .LBB62_727
; %bb.718:
	v_cndmask_b32_e64 v2, 0, 1.0, s[28:29]
	s_mov_b32 s34, 0x43f00000
	v_cmp_gt_u32_e32 vcc, s34, v2
                                        ; implicit-def: $vgpr3
	s_and_saveexec_b64 s[34:35], vcc
	s_xor_b64 s[34:35], exec, s[34:35]
	s_cbranch_execz .LBB62_724
; %bb.719:
	s_mov_b32 s36, 0x3c7fffff
	v_cmp_lt_u32_e32 vcc, s36, v2
                                        ; implicit-def: $vgpr3
	s_and_saveexec_b64 s[36:37], vcc
	s_xor_b64 s[36:37], exec, s[36:37]
; %bb.720:
	v_bfe_u32 v3, v2, 20, 1
	s_mov_b32 s38, 0x407ffff
	v_add3_u32 v2, v2, v3, s38
	v_lshrrev_b32_e32 v3, 20, v2
	v_and_b32_e32 v2, 0xff00000, v2
	s_mov_b32 s38, 0x7f00000
	v_mov_b32_e32 v4, 0x7e
	v_cmp_ne_u32_e32 vcc, s38, v2
	v_cndmask_b32_e32 v3, v4, v3, vcc
                                        ; implicit-def: $vgpr2
; %bb.721:
	s_andn2_saveexec_b64 s[36:37], s[36:37]
; %bb.722:
	v_add_f32_e32 v3, 0x46800000, v2
; %bb.723:
	s_or_b64 exec, exec, s[36:37]
                                        ; implicit-def: $vgpr2
.LBB62_724:
	s_andn2_saveexec_b64 s[34:35], s[34:35]
; %bb.725:
	s_mov_b32 s36, 0x7f800000
	v_mov_b32_e32 v3, 0x7e
	v_mov_b32_e32 v4, 0x7f
	v_cmp_lt_u32_e32 vcc, s36, v2
	v_cndmask_b32_e32 v3, v3, v4, vcc
; %bb.726:
	s_or_b64 exec, exec, s[34:35]
	global_store_byte v[0:1], v3, off
.LBB62_727:
	s_mov_b64 s[34:35], 0
.LBB62_728:
	s_andn2_b64 vcc, exec, s[34:35]
	s_cbranch_vccnz .LBB62_738
; %bb.729:
	v_cndmask_b32_e64 v2, 0, 1.0, s[28:29]
	s_mov_b32 s34, 0x47800000
	v_cmp_gt_u32_e32 vcc, s34, v2
                                        ; implicit-def: $vgpr3
	s_and_saveexec_b64 s[34:35], vcc
	s_xor_b64 s[34:35], exec, s[34:35]
	s_cbranch_execz .LBB62_735
; %bb.730:
	s_mov_b32 s36, 0x387fffff
	v_cmp_lt_u32_e32 vcc, s36, v2
                                        ; implicit-def: $vgpr3
	s_and_saveexec_b64 s[36:37], vcc
	s_xor_b64 s[36:37], exec, s[36:37]
; %bb.731:
	v_bfe_u32 v3, v2, 21, 1
	s_mov_b32 s38, 0x80fffff
	v_add3_u32 v2, v2, v3, s38
	v_lshrrev_b32_e32 v3, 21, v2
                                        ; implicit-def: $vgpr2
; %bb.732:
	s_andn2_saveexec_b64 s[36:37], s[36:37]
; %bb.733:
	v_add_f32_e32 v3, 0x43000000, v2
; %bb.734:
	s_or_b64 exec, exec, s[36:37]
                                        ; implicit-def: $vgpr2
.LBB62_735:
	s_andn2_saveexec_b64 s[34:35], s[34:35]
; %bb.736:
	s_mov_b32 s36, 0x7f800000
	v_mov_b32_e32 v3, 0x7c
	v_mov_b32_e32 v4, 0x7f
	v_cmp_lt_u32_e32 vcc, s36, v2
	v_cndmask_b32_e32 v3, v3, v4, vcc
; %bb.737:
	s_or_b64 exec, exec, s[34:35]
	global_store_byte v[0:1], v3, off
.LBB62_738:
	s_mov_b64 s[36:37], 0
	s_mov_b64 s[34:35], -1
.LBB62_739:
	s_andn2_b64 vcc, exec, s[36:37]
	s_cbranch_vccnz .LBB62_747
; %bb.740:
	s_cmp_gt_i32 s41, 14
	s_mov_b64 s[36:37], -1
	s_cbranch_scc0 .LBB62_744
; %bb.741:
	s_cmp_eq_u32 s41, 15
	s_mov_b64 s[0:1], -1
	s_cbranch_scc0 .LBB62_743
; %bb.742:
	v_cndmask_b32_e64 v2, 0, 1.0, s[28:29]
	v_bfe_u32 v3, v2, 16, 1
	s_movk_i32 s0, 0x7fff
	v_add3_u32 v2, v2, v3, s0
	global_store_short_d16_hi v[0:1], v2, off
	s_mov_b64 s[34:35], -1
	s_mov_b64 s[0:1], 0
.LBB62_743:
	s_mov_b64 s[36:37], 0
.LBB62_744:
	s_and_b64 vcc, exec, s[36:37]
	s_cbranch_vccz .LBB62_747
; %bb.745:
	s_cmp_eq_u32 s41, 11
	s_mov_b64 s[0:1], -1
	s_cbranch_scc0 .LBB62_747
; %bb.746:
	v_cndmask_b32_e64 v2, 0, 1, s[28:29]
	s_mov_b64 s[34:35], -1
	s_mov_b64 s[0:1], 0
	global_store_byte v[0:1], v2, off
.LBB62_747:
	s_mov_b64 s[36:37], 0
.LBB62_748:
	s_and_b64 vcc, exec, s[36:37]
	s_cbranch_vccz .LBB62_787
; %bb.749:
	s_and_b32 s36, 0xffff, s40
	s_cmp_lt_i32 s36, 5
	s_mov_b64 s[34:35], -1
	s_cbranch_scc1 .LBB62_770
; %bb.750:
	s_cmp_lt_i32 s36, 8
	s_cbranch_scc1 .LBB62_760
; %bb.751:
	s_cmp_lt_i32 s36, 9
	s_cbranch_scc1 .LBB62_757
; %bb.752:
	s_cmp_gt_i32 s36, 9
	s_cbranch_scc0 .LBB62_754
; %bb.753:
	v_cndmask_b32_e64 v2, 0, 1, s[28:29]
	v_cvt_f64_u32_e32 v[2:3], v2
	v_mov_b32_e32 v4, 0
	v_mov_b32_e32 v5, v4
	s_mov_b64 s[34:35], 0
	global_store_dwordx4 v[0:1], v[2:5], off
.LBB62_754:
	s_andn2_b64 vcc, exec, s[34:35]
	s_cbranch_vccnz .LBB62_756
; %bb.755:
	v_cndmask_b32_e64 v2, 0, 1.0, s[28:29]
	v_mov_b32_e32 v3, 0
	global_store_dwordx2 v[0:1], v[2:3], off
.LBB62_756:
	s_mov_b64 s[34:35], 0
.LBB62_757:
	s_andn2_b64 vcc, exec, s[34:35]
	s_cbranch_vccnz .LBB62_759
; %bb.758:
	v_cndmask_b32_e64 v2, 0, 1.0, s[28:29]
	v_cvt_f16_f32_e32 v2, v2
	global_store_dword v[0:1], v2, off
.LBB62_759:
	s_mov_b64 s[34:35], 0
.LBB62_760:
	s_andn2_b64 vcc, exec, s[34:35]
	s_cbranch_vccnz .LBB62_769
; %bb.761:
	s_cmp_lt_i32 s36, 6
	s_mov_b64 s[34:35], -1
	s_cbranch_scc1 .LBB62_767
; %bb.762:
	s_cmp_gt_i32 s36, 6
	s_cbranch_scc0 .LBB62_764
; %bb.763:
	v_cndmask_b32_e64 v2, 0, 1, s[28:29]
	v_cvt_f64_u32_e32 v[2:3], v2
	s_mov_b64 s[34:35], 0
	global_store_dwordx2 v[0:1], v[2:3], off
.LBB62_764:
	s_andn2_b64 vcc, exec, s[34:35]
	s_cbranch_vccnz .LBB62_766
; %bb.765:
	v_cndmask_b32_e64 v2, 0, 1.0, s[28:29]
	global_store_dword v[0:1], v2, off
.LBB62_766:
	s_mov_b64 s[34:35], 0
.LBB62_767:
	s_andn2_b64 vcc, exec, s[34:35]
	s_cbranch_vccnz .LBB62_769
; %bb.768:
	v_cndmask_b32_e64 v2, 0, 1.0, s[28:29]
	v_cvt_f16_f32_e32 v2, v2
	global_store_short v[0:1], v2, off
.LBB62_769:
	s_mov_b64 s[34:35], 0
.LBB62_770:
	s_andn2_b64 vcc, exec, s[34:35]
	s_cbranch_vccnz .LBB62_786
; %bb.771:
	s_cmp_lt_i32 s36, 2
	s_mov_b64 s[34:35], -1
	s_cbranch_scc1 .LBB62_781
; %bb.772:
	s_cmp_lt_i32 s36, 3
	s_cbranch_scc1 .LBB62_778
; %bb.773:
	s_cmp_gt_i32 s36, 3
	s_cbranch_scc0 .LBB62_775
; %bb.774:
	s_mov_b32 s34, 0
	v_cndmask_b32_e64 v2, 0, 1, s[28:29]
	v_mov_b32_e32 v3, s34
	s_mov_b64 s[34:35], 0
	global_store_dwordx2 v[0:1], v[2:3], off
.LBB62_775:
	s_andn2_b64 vcc, exec, s[34:35]
	s_cbranch_vccnz .LBB62_777
; %bb.776:
	v_cndmask_b32_e64 v2, 0, 1, s[28:29]
	global_store_dword v[0:1], v2, off
.LBB62_777:
	s_mov_b64 s[34:35], 0
.LBB62_778:
	s_andn2_b64 vcc, exec, s[34:35]
	s_cbranch_vccnz .LBB62_780
; %bb.779:
	v_cndmask_b32_e64 v2, 0, 1, s[28:29]
	global_store_short v[0:1], v2, off
.LBB62_780:
	s_mov_b64 s[34:35], 0
.LBB62_781:
	s_andn2_b64 vcc, exec, s[34:35]
	s_cbranch_vccnz .LBB62_786
; %bb.782:
	s_mov_b64 s[34:35], -1
	s_cmp_gt_i32 s36, 0
	v_cndmask_b32_e64 v2, 0, 1, s[28:29]
	s_cbranch_scc0 .LBB62_784
; %bb.783:
	s_mov_b64 s[34:35], 0
	global_store_byte v[0:1], v2, off
.LBB62_784:
	s_andn2_b64 vcc, exec, s[34:35]
	s_cbranch_vccnz .LBB62_786
; %bb.785:
	global_store_byte v[0:1], v2, off
.LBB62_786:
	s_mov_b64 s[34:35], -1
.LBB62_787:
	s_andn2_b64 vcc, exec, s[34:35]
	s_cbranch_vccnz .LBB62_800
; %bb.788:
	v_add_u32_e32 v6, 0x80, v6
	s_mov_b64 s[34:35], -1
.LBB62_789:
	s_andn2_b64 s[28:29], s[16:17], exec
	s_and_b64 s[0:1], s[0:1], exec
	s_or_b64 s[28:29], s[28:29], s[0:1]
	s_andn2_b64 s[0:1], s[18:19], exec
	s_and_b64 s[26:27], s[26:27], exec
	s_or_b64 s[26:27], s[0:1], s[26:27]
	;; [unrolled: 3-line block ×3, first 2 shown]
	s_orn2_b64 s[0:1], s[34:35], exec
.LBB62_790:
	s_or_b64 exec, exec, s[30:31]
	s_mov_b64 s[34:35], 0
	s_mov_b64 s[36:37], 0
	s_mov_b64 s[38:39], 0
                                        ; implicit-def: $sgpr56
                                        ; implicit-def: $vgpr2_vgpr3
                                        ; implicit-def: $vgpr0_vgpr1
	s_and_saveexec_b64 s[30:31], s[0:1]
	s_cbranch_execz .LBB62_1269
; %bb.791:
	v_cmp_gt_i32_e32 vcc, s48, v6
	s_mov_b64 s[46:47], -1
	s_mov_b64 s[0:1], s[24:25]
	s_mov_b64 s[38:39], s[26:27]
	;; [unrolled: 1-line block ×3, first 2 shown]
	s_and_saveexec_b64 s[34:35], vcc
	s_cbranch_execz .LBB62_1188
; %bb.792:
	s_waitcnt vmcnt(0)
	v_mul_lo_u32 v0, v6, s13
	v_mov_b32_e32 v1, s11
	s_and_b32 s40, s55, 0xff
	s_cmp_lt_i32 s40, 11
	v_ashrrev_i32_e32 v3, 31, v0
	v_add_co_u32_e32 v2, vcc, s10, v0
	v_addc_co_u32_e32 v3, vcc, v1, v3, vcc
	s_cbranch_scc1 .LBB62_799
; %bb.793:
	s_and_b32 s41, 0xffff, s40
	s_cmp_gt_i32 s41, 25
	s_cbranch_scc0 .LBB62_801
; %bb.794:
	s_cmp_gt_i32 s41, 28
	s_cbranch_scc0 .LBB62_802
; %bb.795:
	;; [unrolled: 3-line block ×4, first 2 shown]
	s_cmp_eq_u32 s41, 46
	s_mov_b64 s[38:39], 0
	s_cbranch_scc0 .LBB62_807
; %bb.798:
	global_load_dword v0, v[2:3], off
	s_mov_b32 s0, 0x2f800000
	s_mov_b32 s1, 0xcf800000
	s_waitcnt vmcnt(0)
	v_lshlrev_b32_e32 v0, 16, v0
	v_trunc_f32_e32 v0, v0
	v_mul_f32_e64 v1, |v0|, s0
	v_floor_f32_e32 v1, v1
	v_fma_f32 v4, v1, s1, |v0|
	v_cvt_u32_f32_e32 v4, v4
	v_cvt_u32_f32_e32 v1, v1
	v_ashrrev_i32_e32 v5, 31, v0
	s_mov_b64 s[0:1], -1
	v_xor_b32_e32 v0, v4, v5
	v_xor_b32_e32 v1, v1, v5
	v_sub_co_u32_e32 v0, vcc, v0, v5
	v_subb_co_u32_e32 v1, vcc, v1, v5, vcc
	s_branch .LBB62_808
.LBB62_799:
	s_mov_b64 s[38:39], -1
	s_mov_b64 s[0:1], 0
                                        ; implicit-def: $vgpr0_vgpr1
	s_mov_b64 s[36:37], s[24:25]
	s_branch .LBB62_869
.LBB62_800:
	s_mov_b64 s[34:35], 0
	s_branch .LBB62_534
.LBB62_801:
	s_mov_b64 s[38:39], -1
	s_mov_b64 s[0:1], 0
	s_mov_b64 s[36:37], s[24:25]
                                        ; implicit-def: $vgpr0_vgpr1
	s_branch .LBB62_837
.LBB62_802:
	s_mov_b64 s[38:39], -1
	s_mov_b64 s[0:1], 0
	s_mov_b64 s[36:37], s[24:25]
                                        ; implicit-def: $vgpr0_vgpr1
	s_branch .LBB62_818
.LBB62_803:
	s_mov_b64 s[38:39], -1
	s_mov_b64 s[0:1], 0
	s_mov_b64 s[36:37], s[24:25]
                                        ; implicit-def: $vgpr0_vgpr1
	s_branch .LBB62_813
.LBB62_804:
	s_mov_b64 s[38:39], -1
	s_mov_b64 s[0:1], 0
	s_mov_b64 s[36:37], s[24:25]
                                        ; implicit-def: $vgpr0_vgpr1
	s_branch .LBB62_808
.LBB62_805:
	s_andn2_saveexec_b64 s[38:39], s[38:39]
	s_cbranch_execz .LBB62_700
.LBB62_806:
	v_add_f32_e32 v2, 0x46000000, v3
	v_and_b32_e32 v2, 0xff, v2
	v_cmp_ne_u32_e32 vcc, 0, v2
	s_andn2_b64 s[36:37], s[36:37], exec
	s_and_b64 s[42:43], vcc, exec
	s_or_b64 s[36:37], s[36:37], s[42:43]
	s_or_b64 exec, exec, s[38:39]
	v_mov_b32_e32 v4, 0
	s_and_saveexec_b64 s[38:39], s[36:37]
	s_cbranch_execnz .LBB62_701
	s_branch .LBB62_702
.LBB62_807:
	s_mov_b64 s[36:37], -1
                                        ; implicit-def: $vgpr0_vgpr1
	s_mov_b64 s[0:1], 0
.LBB62_808:
	s_and_b64 vcc, exec, s[38:39]
	s_cbranch_vccz .LBB62_812
; %bb.809:
	s_cmp_eq_u32 s41, 44
	s_cbranch_scc0 .LBB62_811
; %bb.810:
	global_load_ubyte v0, v[2:3], off
	s_mov_b32 s0, 0x2f800000
	s_mov_b32 s1, 0xcf800000
	s_mov_b64 s[36:37], 0
	s_waitcnt vmcnt(0)
	v_lshlrev_b32_e32 v1, 23, v0
	v_trunc_f32_e32 v1, v1
	v_mul_f32_e64 v4, |v1|, s0
	v_floor_f32_e32 v4, v4
	v_fma_f32 v5, v4, s1, |v1|
	v_cvt_u32_f32_e32 v5, v5
	v_cvt_u32_f32_e32 v4, v4
	v_ashrrev_i32_e32 v1, 31, v1
	s_mov_b64 s[0:1], -1
	v_xor_b32_e32 v5, v5, v1
	v_xor_b32_e32 v4, v4, v1
	v_sub_co_u32_e32 v5, vcc, v5, v1
	v_subb_co_u32_e32 v1, vcc, v4, v1, vcc
	v_cmp_ne_u32_e32 vcc, 0, v0
	v_cndmask_b32_e32 v1, 0, v1, vcc
	v_cndmask_b32_e32 v0, 0, v5, vcc
	s_branch .LBB62_812
.LBB62_811:
	s_mov_b64 s[36:37], -1
                                        ; implicit-def: $vgpr0_vgpr1
.LBB62_812:
	s_mov_b64 s[38:39], 0
.LBB62_813:
	s_and_b64 vcc, exec, s[38:39]
	s_cbranch_vccz .LBB62_817
; %bb.814:
	s_cmp_eq_u32 s41, 29
	s_cbranch_scc0 .LBB62_816
; %bb.815:
	global_load_dwordx2 v[0:1], v[2:3], off
	s_mov_b64 s[0:1], -1
	s_mov_b64 s[36:37], 0
	s_branch .LBB62_817
.LBB62_816:
	s_mov_b64 s[36:37], -1
                                        ; implicit-def: $vgpr0_vgpr1
.LBB62_817:
	s_mov_b64 s[38:39], 0
.LBB62_818:
	s_and_b64 vcc, exec, s[38:39]
	s_cbranch_vccz .LBB62_836
; %bb.819:
	s_cmp_lt_i32 s41, 27
	s_cbranch_scc1 .LBB62_822
; %bb.820:
	s_cmp_gt_i32 s41, 27
	s_cbranch_scc0 .LBB62_823
; %bb.821:
	global_load_dword v0, v[2:3], off
	s_waitcnt vmcnt(1)
	v_mov_b32_e32 v1, 0
	s_mov_b64 s[0:1], 0
	s_branch .LBB62_824
.LBB62_822:
	s_mov_b64 s[0:1], -1
                                        ; implicit-def: $vgpr0_vgpr1
	s_branch .LBB62_827
.LBB62_823:
	s_mov_b64 s[0:1], -1
                                        ; implicit-def: $vgpr0_vgpr1
.LBB62_824:
	s_andn2_b64 vcc, exec, s[0:1]
	s_cbranch_vccnz .LBB62_826
; %bb.825:
	global_load_ushort v0, v[2:3], off
	s_mov_b32 s0, 0
	s_waitcnt vmcnt(1)
	v_mov_b32_e32 v1, s0
	s_waitcnt vmcnt(0)
	v_and_b32_e32 v0, 0xffff, v0
.LBB62_826:
	s_mov_b64 s[0:1], 0
.LBB62_827:
	s_andn2_b64 vcc, exec, s[0:1]
	s_cbranch_vccnz .LBB62_835
; %bb.828:
	global_load_ubyte v4, v[2:3], off
	s_movk_i32 s0, 0x7f
	s_mov_b64 s[38:39], 0
	s_waitcnt vmcnt(0)
	v_cmp_lt_i16_e32 vcc, s0, v4
	s_and_saveexec_b64 s[0:1], vcc
	s_xor_b64 s[0:1], exec, s[0:1]
; %bb.829:
	s_movk_i32 s38, 0x80
	v_cmp_ne_u16_e32 vcc, s38, v4
	s_and_b64 s[38:39], vcc, exec
; %bb.830:
	s_andn2_saveexec_b64 s[0:1], s[0:1]
; %bb.831:
	v_cmp_ne_u16_e32 vcc, 0, v4
	s_andn2_b64 s[38:39], s[38:39], exec
	s_and_b64 s[42:43], vcc, exec
	s_or_b64 s[38:39], s[38:39], s[42:43]
; %bb.832:
	s_or_b64 exec, exec, s[0:1]
	v_mov_b32_e32 v0, 0
	v_mov_b32_e32 v1, 0
	s_and_saveexec_b64 s[0:1], s[38:39]
	s_cbranch_execz .LBB62_834
; %bb.833:
	v_and_b32_e32 v1, 0xffff, v4
	v_lshlrev_b32_e32 v0, 24, v4
	v_and_b32_e32 v4, 7, v1
	v_ffbh_u32_e32 v7, v4
	v_min_u32_e32 v7, 32, v7
	v_subrev_u32_e32 v8, 28, v7
	v_bfe_u32 v5, v1, 3, 4
	v_lshlrev_b32_e32 v1, v8, v1
	v_sub_u32_e32 v7, 29, v7
	v_and_b32_e32 v1, 7, v1
	v_cmp_eq_u32_e32 vcc, 0, v5
	v_cndmask_b32_e32 v5, v5, v7, vcc
	v_cndmask_b32_e32 v1, v4, v1, vcc
	v_mov_b32_e32 v4, 0x3b800000
	v_lshlrev_b32_e32 v1, 20, v1
	v_and_b32_e32 v0, 0x80000000, v0
	v_lshl_add_u32 v4, v5, 23, v4
	v_or3_b32 v0, v0, v4, v1
	v_trunc_f32_e32 v0, v0
	s_mov_b32 s38, 0x2f800000
	v_mul_f32_e64 v1, |v0|, s38
	v_floor_f32_e32 v1, v1
	s_mov_b32 s38, 0xcf800000
	v_fma_f32 v4, v1, s38, |v0|
	v_cvt_u32_f32_e32 v4, v4
	v_cvt_u32_f32_e32 v1, v1
	v_ashrrev_i32_e32 v5, 31, v0
	v_xor_b32_e32 v0, v4, v5
	v_xor_b32_e32 v1, v1, v5
	v_sub_co_u32_e32 v0, vcc, v0, v5
	v_subb_co_u32_e32 v1, vcc, v1, v5, vcc
.LBB62_834:
	s_or_b64 exec, exec, s[0:1]
.LBB62_835:
	s_mov_b64 s[0:1], -1
.LBB62_836:
	s_mov_b64 s[38:39], 0
.LBB62_837:
	s_and_b64 vcc, exec, s[38:39]
	s_cbranch_vccz .LBB62_868
; %bb.838:
	s_cmp_gt_i32 s41, 22
	s_cbranch_scc0 .LBB62_848
; %bb.839:
	s_cmp_lt_i32 s41, 24
	s_cbranch_scc1 .LBB62_849
; %bb.840:
	s_cmp_gt_i32 s41, 24
	s_cbranch_scc0 .LBB62_850
; %bb.841:
	global_load_ubyte v4, v[2:3], off
	s_movk_i32 s0, 0x7f
	s_mov_b64 s[38:39], 0
	s_waitcnt vmcnt(0)
	v_cmp_lt_i16_e32 vcc, s0, v4
	s_and_saveexec_b64 s[0:1], vcc
	s_xor_b64 s[0:1], exec, s[0:1]
; %bb.842:
	s_movk_i32 s38, 0x80
	v_cmp_ne_u16_e32 vcc, s38, v4
	s_and_b64 s[38:39], vcc, exec
; %bb.843:
	s_andn2_saveexec_b64 s[0:1], s[0:1]
; %bb.844:
	v_cmp_ne_u16_e32 vcc, 0, v4
	s_andn2_b64 s[38:39], s[38:39], exec
	s_and_b64 s[42:43], vcc, exec
	s_or_b64 s[38:39], s[38:39], s[42:43]
; %bb.845:
	s_or_b64 exec, exec, s[0:1]
	v_mov_b32_e32 v0, 0
	v_mov_b32_e32 v1, 0
	s_and_saveexec_b64 s[0:1], s[38:39]
	s_cbranch_execz .LBB62_847
; %bb.846:
	v_and_b32_e32 v1, 0xffff, v4
	v_lshlrev_b32_e32 v0, 24, v4
	v_and_b32_e32 v4, 3, v1
	v_ffbh_u32_e32 v7, v4
	v_min_u32_e32 v7, 32, v7
	v_subrev_u32_e32 v8, 29, v7
	v_bfe_u32 v5, v1, 2, 5
	v_lshlrev_b32_e32 v1, v8, v1
	v_sub_u32_e32 v7, 30, v7
	v_and_b32_e32 v1, 3, v1
	v_cmp_eq_u32_e32 vcc, 0, v5
	v_cndmask_b32_e32 v5, v5, v7, vcc
	v_cndmask_b32_e32 v1, v4, v1, vcc
	v_mov_b32_e32 v4, 0x37800000
	v_lshlrev_b32_e32 v1, 21, v1
	v_and_b32_e32 v0, 0x80000000, v0
	v_lshl_add_u32 v4, v5, 23, v4
	v_or3_b32 v0, v0, v4, v1
	v_trunc_f32_e32 v0, v0
	s_mov_b32 s38, 0x2f800000
	v_mul_f32_e64 v1, |v0|, s38
	v_floor_f32_e32 v1, v1
	s_mov_b32 s38, 0xcf800000
	v_fma_f32 v4, v1, s38, |v0|
	v_cvt_u32_f32_e32 v4, v4
	v_cvt_u32_f32_e32 v1, v1
	v_ashrrev_i32_e32 v5, 31, v0
	v_xor_b32_e32 v0, v4, v5
	v_xor_b32_e32 v1, v1, v5
	v_sub_co_u32_e32 v0, vcc, v0, v5
	v_subb_co_u32_e32 v1, vcc, v1, v5, vcc
.LBB62_847:
	s_or_b64 exec, exec, s[0:1]
	s_mov_b64 s[0:1], 0
	s_branch .LBB62_851
.LBB62_848:
	s_mov_b64 s[38:39], -1
                                        ; implicit-def: $vgpr0_vgpr1
	s_branch .LBB62_857
.LBB62_849:
	s_mov_b64 s[0:1], -1
                                        ; implicit-def: $vgpr0_vgpr1
	s_branch .LBB62_854
.LBB62_850:
	s_mov_b64 s[0:1], -1
                                        ; implicit-def: $vgpr0_vgpr1
.LBB62_851:
	s_and_b64 vcc, exec, s[0:1]
	s_cbranch_vccz .LBB62_853
; %bb.852:
	global_load_ubyte v0, v[2:3], off
	s_mov_b32 s0, 0x7f800000
	s_brev_b32 s1, 1
	s_mov_b32 s38, 0x2f800000
	s_mov_b32 s39, 0xcf800000
	s_waitcnt vmcnt(0)
	v_lshlrev_b32_e32 v0, 24, v0
	v_and_b32_e32 v1, 0x7f000000, v0
	v_ffbh_u32_e32 v4, v1
	v_min_u32_e32 v4, 32, v4
	v_sub_u32_e64 v4, v4, 4 clamp
	v_lshlrev_b32_e32 v7, v4, v1
	v_lshlrev_b32_e32 v4, 23, v4
	v_lshrrev_b32_e32 v7, 4, v7
	v_add_u32_e32 v5, 0x1000000, v1
	v_sub_u32_e32 v4, v7, v4
	v_ashrrev_i32_e32 v5, 8, v5
	v_add_u32_e32 v4, 0x3c000000, v4
	v_and_or_b32 v4, v5, s0, v4
	v_cmp_ne_u32_e32 vcc, 0, v1
	v_cndmask_b32_e32 v1, 0, v4, vcc
	v_and_or_b32 v0, v0, s1, v1
	v_trunc_f32_e32 v0, v0
	v_mul_f32_e64 v1, |v0|, s38
	v_floor_f32_e32 v1, v1
	v_fma_f32 v4, v1, s39, |v0|
	v_cvt_u32_f32_e32 v4, v4
	v_cvt_u32_f32_e32 v1, v1
	v_ashrrev_i32_e32 v5, 31, v0
	v_xor_b32_e32 v0, v4, v5
	v_xor_b32_e32 v1, v1, v5
	v_sub_co_u32_e32 v0, vcc, v0, v5
	v_subb_co_u32_e32 v1, vcc, v1, v5, vcc
.LBB62_853:
	s_mov_b64 s[0:1], 0
.LBB62_854:
	s_andn2_b64 vcc, exec, s[0:1]
	s_cbranch_vccnz .LBB62_856
; %bb.855:
	global_load_ubyte v0, v[2:3], off
	s_movk_i32 s0, 0x7f00
	s_brev_b32 s1, 16
	s_brev_b32 s38, 1
	s_mov_b32 s39, 0x2f800000
	s_mov_b32 s42, 0xcf800000
	s_waitcnt vmcnt(0)
	v_lshlrev_b16_e32 v1, 8, v0
	v_lshlrev_b32_e32 v0, 25, v0
	v_lshrrev_b32_e32 v4, 4, v0
	v_and_or_b32 v5, v1, s0, 0.5
	v_or_b32_e32 v4, 0x70000000, v4
	v_add_f32_e32 v5, -0.5, v5
	v_mul_f32_e32 v4, 0x7800000, v4
	v_cmp_gt_u32_e32 vcc, s1, v0
	v_bfe_i32 v1, v1, 0, 16
	v_cndmask_b32_e32 v0, v4, v5, vcc
	v_and_or_b32 v0, v1, s38, v0
	v_trunc_f32_e32 v0, v0
	v_mul_f32_e64 v1, |v0|, s39
	v_floor_f32_e32 v1, v1
	v_fma_f32 v4, v1, s42, |v0|
	v_cvt_u32_f32_e32 v4, v4
	v_cvt_u32_f32_e32 v1, v1
	v_ashrrev_i32_e32 v5, 31, v0
	v_xor_b32_e32 v0, v4, v5
	v_xor_b32_e32 v1, v1, v5
	v_sub_co_u32_e32 v0, vcc, v0, v5
	v_subb_co_u32_e32 v1, vcc, v1, v5, vcc
.LBB62_856:
	s_mov_b64 s[38:39], 0
	s_mov_b64 s[0:1], -1
.LBB62_857:
	s_andn2_b64 vcc, exec, s[38:39]
	s_cbranch_vccnz .LBB62_868
; %bb.858:
	s_cmp_gt_i32 s41, 14
	s_cbranch_scc0 .LBB62_861
; %bb.859:
	s_cmp_eq_u32 s41, 15
	s_cbranch_scc0 .LBB62_862
; %bb.860:
	global_load_ushort v0, v[2:3], off
	s_mov_b32 s0, 0x2f800000
	s_mov_b32 s1, 0xcf800000
	s_mov_b64 s[36:37], 0
	s_waitcnt vmcnt(0)
	v_lshlrev_b32_e32 v0, 16, v0
	v_trunc_f32_e32 v0, v0
	v_mul_f32_e64 v1, |v0|, s0
	v_floor_f32_e32 v1, v1
	v_fma_f32 v4, v1, s1, |v0|
	v_cvt_u32_f32_e32 v4, v4
	v_cvt_u32_f32_e32 v1, v1
	v_ashrrev_i32_e32 v5, 31, v0
	s_mov_b64 s[0:1], -1
	v_xor_b32_e32 v0, v4, v5
	v_xor_b32_e32 v1, v1, v5
	v_sub_co_u32_e32 v0, vcc, v0, v5
	v_subb_co_u32_e32 v1, vcc, v1, v5, vcc
	s_branch .LBB62_863
.LBB62_861:
	s_mov_b64 s[38:39], -1
                                        ; implicit-def: $vgpr0_vgpr1
	s_branch .LBB62_864
.LBB62_862:
	s_mov_b64 s[36:37], -1
                                        ; implicit-def: $vgpr0_vgpr1
.LBB62_863:
	s_mov_b64 s[38:39], 0
.LBB62_864:
	s_and_b64 vcc, exec, s[38:39]
	s_cbranch_vccz .LBB62_868
; %bb.865:
	s_cmp_eq_u32 s41, 11
	s_cbranch_scc0 .LBB62_867
; %bb.866:
	global_load_ubyte v0, v[2:3], off
	s_mov_b32 s36, 0
	s_mov_b64 s[0:1], -1
	s_waitcnt vmcnt(1)
	v_mov_b32_e32 v1, s36
	s_mov_b64 s[36:37], 0
	s_waitcnt vmcnt(0)
	v_cmp_ne_u16_e32 vcc, 0, v0
	v_cndmask_b32_e64 v0, 0, 1, vcc
	s_branch .LBB62_868
.LBB62_867:
	s_mov_b64 s[36:37], -1
                                        ; implicit-def: $vgpr0_vgpr1
.LBB62_868:
	s_mov_b64 s[38:39], 0
.LBB62_869:
	s_and_b64 vcc, exec, s[38:39]
	s_cbranch_vccz .LBB62_918
; %bb.870:
	s_and_b32 s38, 0xffff, s40
	s_cmp_lt_i32 s38, 5
	s_cbranch_scc1 .LBB62_875
; %bb.871:
	s_cmp_lt_i32 s38, 8
	s_cbranch_scc1 .LBB62_876
; %bb.872:
	;; [unrolled: 3-line block ×3, first 2 shown]
	s_cmp_gt_i32 s38, 9
	s_cbranch_scc0 .LBB62_878
; %bb.874:
	global_load_dwordx2 v[0:1], v[2:3], off
	s_movk_i32 s0, 0xffe0
	s_waitcnt vmcnt(0)
	v_trunc_f64_e32 v[0:1], v[0:1]
	v_ldexp_f64 v[4:5], v[0:1], s0
	s_mov_b32 s0, 0
	s_mov_b32 s1, 0xc1f00000
	v_floor_f64_e32 v[4:5], v[4:5]
	v_fma_f64 v[7:8], v[4:5], s[0:1], v[0:1]
	v_cvt_i32_f64_e32 v1, v[4:5]
	s_mov_b64 s[0:1], 0
	v_cvt_u32_f64_e32 v0, v[7:8]
	s_branch .LBB62_879
.LBB62_875:
	s_mov_b64 s[0:1], -1
                                        ; implicit-def: $vgpr0_vgpr1
	s_branch .LBB62_897
.LBB62_876:
	s_mov_b64 s[0:1], -1
                                        ; implicit-def: $vgpr0_vgpr1
	s_branch .LBB62_885
.LBB62_877:
	s_mov_b64 s[0:1], -1
                                        ; implicit-def: $vgpr0_vgpr1
	s_branch .LBB62_882
.LBB62_878:
	s_mov_b64 s[0:1], -1
                                        ; implicit-def: $vgpr0_vgpr1
.LBB62_879:
	s_andn2_b64 vcc, exec, s[0:1]
	s_cbranch_vccnz .LBB62_881
; %bb.880:
	global_load_dword v0, v[2:3], off
	s_mov_b32 s0, 0x2f800000
	s_mov_b32 s1, 0xcf800000
	s_waitcnt vmcnt(0)
	v_trunc_f32_e32 v0, v0
	v_mul_f32_e64 v1, |v0|, s0
	v_floor_f32_e32 v1, v1
	v_cvt_u32_f32_e32 v4, v1
	v_fma_f32 v1, v1, s1, |v0|
	v_cvt_u32_f32_e32 v1, v1
	v_ashrrev_i32_e32 v5, 31, v0
	v_xor_b32_e32 v4, v4, v5
	v_xor_b32_e32 v0, v1, v5
	v_sub_co_u32_e32 v0, vcc, v0, v5
	v_subb_co_u32_e32 v1, vcc, v4, v5, vcc
.LBB62_881:
	s_mov_b64 s[0:1], 0
.LBB62_882:
	s_andn2_b64 vcc, exec, s[0:1]
	s_cbranch_vccnz .LBB62_884
; %bb.883:
	global_load_dword v0, v[2:3], off
	s_waitcnt vmcnt(0)
	v_cvt_f32_f16_e32 v0, v0
	v_cvt_i32_f32_e32 v0, v0
	v_ashrrev_i32_e32 v1, 31, v0
.LBB62_884:
	s_mov_b64 s[0:1], 0
.LBB62_885:
	s_andn2_b64 vcc, exec, s[0:1]
	s_cbranch_vccnz .LBB62_896
; %bb.886:
	s_cmp_lt_i32 s38, 6
	s_cbranch_scc1 .LBB62_889
; %bb.887:
	s_cmp_gt_i32 s38, 6
	s_cbranch_scc0 .LBB62_890
; %bb.888:
	global_load_dwordx2 v[0:1], v[2:3], off
	s_movk_i32 s0, 0xffe0
	s_waitcnt vmcnt(0)
	v_trunc_f64_e32 v[0:1], v[0:1]
	v_ldexp_f64 v[4:5], v[0:1], s0
	s_mov_b32 s0, 0
	s_mov_b32 s1, 0xc1f00000
	v_floor_f64_e32 v[4:5], v[4:5]
	v_fma_f64 v[7:8], v[4:5], s[0:1], v[0:1]
	v_cvt_i32_f64_e32 v1, v[4:5]
	s_mov_b64 s[0:1], 0
	v_cvt_u32_f64_e32 v0, v[7:8]
	s_branch .LBB62_891
.LBB62_889:
	s_mov_b64 s[0:1], -1
                                        ; implicit-def: $vgpr0_vgpr1
	s_branch .LBB62_894
.LBB62_890:
	s_mov_b64 s[0:1], -1
                                        ; implicit-def: $vgpr0_vgpr1
.LBB62_891:
	s_andn2_b64 vcc, exec, s[0:1]
	s_cbranch_vccnz .LBB62_893
; %bb.892:
	global_load_dword v0, v[2:3], off
	s_mov_b32 s0, 0x2f800000
	s_mov_b32 s1, 0xcf800000
	s_waitcnt vmcnt(0)
	v_trunc_f32_e32 v0, v0
	v_mul_f32_e64 v1, |v0|, s0
	v_floor_f32_e32 v1, v1
	v_cvt_u32_f32_e32 v4, v1
	v_fma_f32 v1, v1, s1, |v0|
	v_cvt_u32_f32_e32 v1, v1
	v_ashrrev_i32_e32 v5, 31, v0
	v_xor_b32_e32 v4, v4, v5
	v_xor_b32_e32 v0, v1, v5
	v_sub_co_u32_e32 v0, vcc, v0, v5
	v_subb_co_u32_e32 v1, vcc, v4, v5, vcc
.LBB62_893:
	s_mov_b64 s[0:1], 0
.LBB62_894:
	s_andn2_b64 vcc, exec, s[0:1]
	s_cbranch_vccnz .LBB62_896
; %bb.895:
	global_load_ushort v0, v[2:3], off
	s_waitcnt vmcnt(0)
	v_cvt_f32_f16_e32 v0, v0
	v_cvt_i32_f32_e32 v0, v0
	v_ashrrev_i32_e32 v1, 31, v0
.LBB62_896:
	s_mov_b64 s[0:1], 0
.LBB62_897:
	s_andn2_b64 vcc, exec, s[0:1]
	s_cbranch_vccnz .LBB62_917
; %bb.898:
	s_cmp_lt_i32 s38, 2
	s_cbranch_scc1 .LBB62_902
; %bb.899:
	s_cmp_lt_i32 s38, 3
	s_cbranch_scc1 .LBB62_903
; %bb.900:
	s_cmp_gt_i32 s38, 3
	s_cbranch_scc0 .LBB62_904
; %bb.901:
	global_load_dwordx2 v[0:1], v[2:3], off
	s_mov_b64 s[0:1], 0
	s_branch .LBB62_905
.LBB62_902:
	s_mov_b64 s[0:1], -1
                                        ; implicit-def: $vgpr0_vgpr1
	s_branch .LBB62_911
.LBB62_903:
	s_mov_b64 s[0:1], -1
                                        ; implicit-def: $vgpr0_vgpr1
	s_branch .LBB62_908
.LBB62_904:
	s_mov_b64 s[0:1], -1
                                        ; implicit-def: $vgpr0_vgpr1
.LBB62_905:
	s_andn2_b64 vcc, exec, s[0:1]
	s_cbranch_vccnz .LBB62_907
; %bb.906:
	global_load_dword v0, v[2:3], off
	s_waitcnt vmcnt(0)
	v_ashrrev_i32_e32 v1, 31, v0
.LBB62_907:
	s_mov_b64 s[0:1], 0
.LBB62_908:
	s_andn2_b64 vcc, exec, s[0:1]
	s_cbranch_vccnz .LBB62_910
; %bb.909:
	global_load_ushort v0, v[2:3], off
	s_waitcnt vmcnt(0)
	v_bfe_i32 v0, v0, 0, 16
	v_ashrrev_i32_e32 v1, 31, v0
.LBB62_910:
	s_mov_b64 s[0:1], 0
.LBB62_911:
	s_andn2_b64 vcc, exec, s[0:1]
	s_cbranch_vccnz .LBB62_917
; %bb.912:
	s_cmp_gt_i32 s38, 0
	s_cbranch_scc0 .LBB62_914
; %bb.913:
	global_load_sbyte v0, v[2:3], off
	s_mov_b64 s[0:1], 0
	s_waitcnt vmcnt(0)
	v_bfe_i32 v0, v0, 0, 16
	v_ashrrev_i32_e32 v1, 31, v0
	s_branch .LBB62_915
.LBB62_914:
	s_mov_b64 s[0:1], -1
                                        ; implicit-def: $vgpr0_vgpr1
.LBB62_915:
	s_andn2_b64 vcc, exec, s[0:1]
	s_cbranch_vccnz .LBB62_917
; %bb.916:
	global_load_ubyte v0, v[2:3], off
	s_mov_b32 s0, 0
	s_waitcnt vmcnt(1)
	v_mov_b32_e32 v1, s0
	s_waitcnt vmcnt(0)
	v_and_b32_e32 v0, 0xffff, v0
.LBB62_917:
	s_mov_b64 s[0:1], -1
.LBB62_918:
	s_andn2_b64 vcc, exec, s[0:1]
	s_cbranch_vccnz .LBB62_926
; %bb.919:
	v_mul_lo_u32 v2, v6, s14
	v_mov_b32_e32 v3, s3
	s_and_b32 s42, s54, 0xff
	s_cmp_lt_i32 s42, 11
	v_ashrrev_i32_e32 v4, 31, v2
	v_add_co_u32_e32 v2, vcc, s2, v2
	v_addc_co_u32_e32 v3, vcc, v3, v4, vcc
	s_cbranch_scc1 .LBB62_928
; %bb.920:
	s_and_b32 s43, 0xffff, s42
	s_cmp_gt_i32 s43, 25
	s_cbranch_scc0 .LBB62_929
; %bb.921:
	s_cmp_gt_i32 s43, 28
	s_cbranch_scc0 .LBB62_930
; %bb.922:
	;; [unrolled: 3-line block ×4, first 2 shown]
	s_cmp_eq_u32 s43, 46
	s_mov_b64 s[40:41], 0
	s_cbranch_scc0 .LBB62_935
; %bb.925:
	global_load_dword v4, v[2:3], off
	s_mov_b32 s0, 0x2f800000
	s_mov_b32 s1, 0xcf800000
	s_mov_b64 s[38:39], 0
	s_waitcnt vmcnt(0)
	v_lshlrev_b32_e32 v4, 16, v4
	v_trunc_f32_e32 v4, v4
	v_mul_f32_e64 v5, |v4|, s0
	v_floor_f32_e32 v5, v5
	v_fma_f32 v7, v5, s1, |v4|
	v_cvt_u32_f32_e32 v7, v7
	v_cvt_u32_f32_e32 v5, v5
	v_ashrrev_i32_e32 v8, 31, v4
	s_mov_b64 s[0:1], -1
	v_xor_b32_e32 v4, v7, v8
	v_xor_b32_e32 v5, v5, v8
	v_sub_co_u32_e32 v4, vcc, v4, v8
	v_subb_co_u32_e32 v5, vcc, v5, v8, vcc
	s_branch .LBB62_936
.LBB62_926:
	s_mov_b64 s[42:43], 0
	s_mov_b64 s[0:1], s[28:29]
	;; [unrolled: 1-line block ×3, first 2 shown]
.LBB62_927:
                                        ; implicit-def: $vgpr6
	s_branch .LBB62_1187
.LBB62_928:
	s_mov_b64 s[40:41], -1
	s_mov_b64 s[0:1], 0
                                        ; implicit-def: $vgpr4_vgpr5
	s_mov_b64 s[38:39], s[26:27]
	s_branch .LBB62_997
.LBB62_929:
	s_mov_b64 s[40:41], -1
	s_mov_b64 s[0:1], 0
	s_mov_b64 s[38:39], s[26:27]
                                        ; implicit-def: $vgpr4_vgpr5
	s_branch .LBB62_965
.LBB62_930:
	s_mov_b64 s[40:41], -1
	s_mov_b64 s[0:1], 0
	s_mov_b64 s[38:39], s[26:27]
                                        ; implicit-def: $vgpr4_vgpr5
	s_branch .LBB62_946
.LBB62_931:
	s_mov_b64 s[40:41], -1
	s_mov_b64 s[0:1], 0
	s_mov_b64 s[38:39], s[26:27]
                                        ; implicit-def: $vgpr4_vgpr5
	s_branch .LBB62_941
.LBB62_932:
	s_mov_b64 s[40:41], -1
	s_mov_b64 s[0:1], 0
	s_mov_b64 s[38:39], s[26:27]
                                        ; implicit-def: $vgpr4_vgpr5
	s_branch .LBB62_936
.LBB62_933:
	s_andn2_saveexec_b64 s[38:39], s[38:39]
	s_cbranch_execz .LBB62_713
.LBB62_934:
	v_add_f32_e32 v2, 0x42800000, v3
	v_and_b32_e32 v2, 0xff, v2
	v_cmp_ne_u32_e32 vcc, 0, v2
	s_andn2_b64 s[36:37], s[36:37], exec
	s_and_b64 s[42:43], vcc, exec
	s_or_b64 s[36:37], s[36:37], s[42:43]
	s_or_b64 exec, exec, s[38:39]
	v_mov_b32_e32 v4, 0
	s_and_saveexec_b64 s[38:39], s[36:37]
	s_cbranch_execnz .LBB62_714
	s_branch .LBB62_715
.LBB62_935:
	s_mov_b64 s[38:39], -1
                                        ; implicit-def: $vgpr4_vgpr5
	s_mov_b64 s[0:1], 0
.LBB62_936:
	s_and_b64 vcc, exec, s[40:41]
	s_cbranch_vccz .LBB62_940
; %bb.937:
	s_cmp_eq_u32 s43, 44
	s_cbranch_scc0 .LBB62_939
; %bb.938:
	global_load_ubyte v4, v[2:3], off
	s_mov_b32 s0, 0x2f800000
	s_mov_b32 s1, 0xcf800000
	s_mov_b64 s[38:39], 0
	s_waitcnt vmcnt(0)
	v_lshlrev_b32_e32 v5, 23, v4
	v_trunc_f32_e32 v5, v5
	v_mul_f32_e64 v7, |v5|, s0
	v_floor_f32_e32 v7, v7
	v_fma_f32 v8, v7, s1, |v5|
	v_cvt_u32_f32_e32 v8, v8
	v_cvt_u32_f32_e32 v7, v7
	v_ashrrev_i32_e32 v5, 31, v5
	s_mov_b64 s[0:1], -1
	v_xor_b32_e32 v8, v8, v5
	v_xor_b32_e32 v7, v7, v5
	v_sub_co_u32_e32 v8, vcc, v8, v5
	v_subb_co_u32_e32 v5, vcc, v7, v5, vcc
	v_cmp_ne_u32_e32 vcc, 0, v4
	v_cndmask_b32_e32 v5, 0, v5, vcc
	v_cndmask_b32_e32 v4, 0, v8, vcc
	s_branch .LBB62_940
.LBB62_939:
	s_mov_b64 s[38:39], -1
                                        ; implicit-def: $vgpr4_vgpr5
.LBB62_940:
	s_mov_b64 s[40:41], 0
.LBB62_941:
	s_and_b64 vcc, exec, s[40:41]
	s_cbranch_vccz .LBB62_945
; %bb.942:
	s_cmp_eq_u32 s43, 29
	s_cbranch_scc0 .LBB62_944
; %bb.943:
	global_load_dwordx2 v[4:5], v[2:3], off
	s_mov_b64 s[0:1], -1
	s_mov_b64 s[38:39], 0
	s_branch .LBB62_945
.LBB62_944:
	s_mov_b64 s[38:39], -1
                                        ; implicit-def: $vgpr4_vgpr5
.LBB62_945:
	s_mov_b64 s[40:41], 0
.LBB62_946:
	s_and_b64 vcc, exec, s[40:41]
	s_cbranch_vccz .LBB62_964
; %bb.947:
	s_cmp_lt_i32 s43, 27
	s_cbranch_scc1 .LBB62_950
; %bb.948:
	s_cmp_gt_i32 s43, 27
	s_cbranch_scc0 .LBB62_951
; %bb.949:
	global_load_dword v4, v[2:3], off
	s_waitcnt vmcnt(1)
	v_mov_b32_e32 v5, 0
	s_mov_b64 s[0:1], 0
	s_branch .LBB62_952
.LBB62_950:
	s_mov_b64 s[0:1], -1
                                        ; implicit-def: $vgpr4_vgpr5
	s_branch .LBB62_955
.LBB62_951:
	s_mov_b64 s[0:1], -1
                                        ; implicit-def: $vgpr4_vgpr5
.LBB62_952:
	s_andn2_b64 vcc, exec, s[0:1]
	s_cbranch_vccnz .LBB62_954
; %bb.953:
	global_load_ushort v4, v[2:3], off
	s_mov_b32 s0, 0
	s_waitcnt vmcnt(1)
	v_mov_b32_e32 v5, s0
	s_waitcnt vmcnt(0)
	v_and_b32_e32 v4, 0xffff, v4
.LBB62_954:
	s_mov_b64 s[0:1], 0
.LBB62_955:
	s_andn2_b64 vcc, exec, s[0:1]
	s_cbranch_vccnz .LBB62_963
; %bb.956:
	global_load_ubyte v7, v[2:3], off
	s_movk_i32 s0, 0x7f
	s_mov_b64 s[40:41], 0
	s_waitcnt vmcnt(0)
	v_cmp_lt_i16_e32 vcc, s0, v7
	s_and_saveexec_b64 s[0:1], vcc
	s_xor_b64 s[0:1], exec, s[0:1]
; %bb.957:
	s_movk_i32 s40, 0x80
	v_cmp_ne_u16_e32 vcc, s40, v7
	s_and_b64 s[40:41], vcc, exec
; %bb.958:
	s_andn2_saveexec_b64 s[0:1], s[0:1]
; %bb.959:
	v_cmp_ne_u16_e32 vcc, 0, v7
	s_andn2_b64 s[40:41], s[40:41], exec
	s_and_b64 s[44:45], vcc, exec
	s_or_b64 s[40:41], s[40:41], s[44:45]
; %bb.960:
	s_or_b64 exec, exec, s[0:1]
	v_mov_b32_e32 v4, 0
	v_mov_b32_e32 v5, 0
	s_and_saveexec_b64 s[0:1], s[40:41]
	s_cbranch_execz .LBB62_962
; %bb.961:
	v_and_b32_e32 v5, 0xffff, v7
	v_lshlrev_b32_e32 v4, 24, v7
	v_and_b32_e32 v7, 7, v5
	v_ffbh_u32_e32 v9, v7
	v_min_u32_e32 v9, 32, v9
	v_subrev_u32_e32 v10, 28, v9
	v_bfe_u32 v8, v5, 3, 4
	v_lshlrev_b32_e32 v5, v10, v5
	v_sub_u32_e32 v9, 29, v9
	v_and_b32_e32 v5, 7, v5
	v_cmp_eq_u32_e32 vcc, 0, v8
	v_cndmask_b32_e32 v8, v8, v9, vcc
	v_cndmask_b32_e32 v5, v7, v5, vcc
	v_mov_b32_e32 v7, 0x3b800000
	v_lshlrev_b32_e32 v5, 20, v5
	v_and_b32_e32 v4, 0x80000000, v4
	v_lshl_add_u32 v7, v8, 23, v7
	v_or3_b32 v4, v4, v7, v5
	v_trunc_f32_e32 v4, v4
	s_mov_b32 s40, 0x2f800000
	v_mul_f32_e64 v5, |v4|, s40
	v_floor_f32_e32 v5, v5
	s_mov_b32 s40, 0xcf800000
	v_fma_f32 v7, v5, s40, |v4|
	v_cvt_u32_f32_e32 v7, v7
	v_cvt_u32_f32_e32 v5, v5
	v_ashrrev_i32_e32 v8, 31, v4
	v_xor_b32_e32 v4, v7, v8
	v_xor_b32_e32 v5, v5, v8
	v_sub_co_u32_e32 v4, vcc, v4, v8
	v_subb_co_u32_e32 v5, vcc, v5, v8, vcc
.LBB62_962:
	s_or_b64 exec, exec, s[0:1]
.LBB62_963:
	s_mov_b64 s[0:1], -1
.LBB62_964:
	s_mov_b64 s[40:41], 0
.LBB62_965:
	s_and_b64 vcc, exec, s[40:41]
	s_cbranch_vccz .LBB62_996
; %bb.966:
	s_cmp_gt_i32 s43, 22
	s_cbranch_scc0 .LBB62_976
; %bb.967:
	s_cmp_lt_i32 s43, 24
	s_cbranch_scc1 .LBB62_977
; %bb.968:
	s_cmp_gt_i32 s43, 24
	s_cbranch_scc0 .LBB62_978
; %bb.969:
	global_load_ubyte v7, v[2:3], off
	s_movk_i32 s0, 0x7f
	s_mov_b64 s[40:41], 0
	s_waitcnt vmcnt(0)
	v_cmp_lt_i16_e32 vcc, s0, v7
	s_and_saveexec_b64 s[0:1], vcc
	s_xor_b64 s[0:1], exec, s[0:1]
; %bb.970:
	s_movk_i32 s40, 0x80
	v_cmp_ne_u16_e32 vcc, s40, v7
	s_and_b64 s[40:41], vcc, exec
; %bb.971:
	s_andn2_saveexec_b64 s[0:1], s[0:1]
; %bb.972:
	v_cmp_ne_u16_e32 vcc, 0, v7
	s_andn2_b64 s[40:41], s[40:41], exec
	s_and_b64 s[44:45], vcc, exec
	s_or_b64 s[40:41], s[40:41], s[44:45]
; %bb.973:
	s_or_b64 exec, exec, s[0:1]
	v_mov_b32_e32 v4, 0
	v_mov_b32_e32 v5, 0
	s_and_saveexec_b64 s[0:1], s[40:41]
	s_cbranch_execz .LBB62_975
; %bb.974:
	v_and_b32_e32 v5, 0xffff, v7
	v_lshlrev_b32_e32 v4, 24, v7
	v_and_b32_e32 v7, 3, v5
	v_ffbh_u32_e32 v9, v7
	v_min_u32_e32 v9, 32, v9
	v_subrev_u32_e32 v10, 29, v9
	v_bfe_u32 v8, v5, 2, 5
	v_lshlrev_b32_e32 v5, v10, v5
	v_sub_u32_e32 v9, 30, v9
	v_and_b32_e32 v5, 3, v5
	v_cmp_eq_u32_e32 vcc, 0, v8
	v_cndmask_b32_e32 v8, v8, v9, vcc
	v_cndmask_b32_e32 v5, v7, v5, vcc
	v_mov_b32_e32 v7, 0x37800000
	v_lshlrev_b32_e32 v5, 21, v5
	v_and_b32_e32 v4, 0x80000000, v4
	v_lshl_add_u32 v7, v8, 23, v7
	v_or3_b32 v4, v4, v7, v5
	v_trunc_f32_e32 v4, v4
	s_mov_b32 s40, 0x2f800000
	v_mul_f32_e64 v5, |v4|, s40
	v_floor_f32_e32 v5, v5
	s_mov_b32 s40, 0xcf800000
	v_fma_f32 v7, v5, s40, |v4|
	v_cvt_u32_f32_e32 v7, v7
	v_cvt_u32_f32_e32 v5, v5
	v_ashrrev_i32_e32 v8, 31, v4
	v_xor_b32_e32 v4, v7, v8
	v_xor_b32_e32 v5, v5, v8
	v_sub_co_u32_e32 v4, vcc, v4, v8
	v_subb_co_u32_e32 v5, vcc, v5, v8, vcc
.LBB62_975:
	s_or_b64 exec, exec, s[0:1]
	s_mov_b64 s[0:1], 0
	s_branch .LBB62_979
.LBB62_976:
	s_mov_b64 s[40:41], -1
                                        ; implicit-def: $vgpr4_vgpr5
	s_branch .LBB62_985
.LBB62_977:
	s_mov_b64 s[0:1], -1
                                        ; implicit-def: $vgpr4_vgpr5
	s_branch .LBB62_982
.LBB62_978:
	s_mov_b64 s[0:1], -1
                                        ; implicit-def: $vgpr4_vgpr5
.LBB62_979:
	s_and_b64 vcc, exec, s[0:1]
	s_cbranch_vccz .LBB62_981
; %bb.980:
	global_load_ubyte v4, v[2:3], off
	s_mov_b32 s0, 0x7f800000
	s_brev_b32 s1, 1
	s_mov_b32 s40, 0x2f800000
	s_mov_b32 s41, 0xcf800000
	s_waitcnt vmcnt(0)
	v_lshlrev_b32_e32 v4, 24, v4
	v_and_b32_e32 v5, 0x7f000000, v4
	v_ffbh_u32_e32 v7, v5
	v_min_u32_e32 v7, 32, v7
	v_sub_u32_e64 v7, v7, 4 clamp
	v_lshlrev_b32_e32 v9, v7, v5
	v_lshlrev_b32_e32 v7, 23, v7
	v_lshrrev_b32_e32 v9, 4, v9
	v_add_u32_e32 v8, 0x1000000, v5
	v_sub_u32_e32 v7, v9, v7
	v_ashrrev_i32_e32 v8, 8, v8
	v_add_u32_e32 v7, 0x3c000000, v7
	v_and_or_b32 v7, v8, s0, v7
	v_cmp_ne_u32_e32 vcc, 0, v5
	v_cndmask_b32_e32 v5, 0, v7, vcc
	v_and_or_b32 v4, v4, s1, v5
	v_trunc_f32_e32 v4, v4
	v_mul_f32_e64 v5, |v4|, s40
	v_floor_f32_e32 v5, v5
	v_fma_f32 v7, v5, s41, |v4|
	v_cvt_u32_f32_e32 v7, v7
	v_cvt_u32_f32_e32 v5, v5
	v_ashrrev_i32_e32 v8, 31, v4
	v_xor_b32_e32 v4, v7, v8
	v_xor_b32_e32 v5, v5, v8
	v_sub_co_u32_e32 v4, vcc, v4, v8
	v_subb_co_u32_e32 v5, vcc, v5, v8, vcc
.LBB62_981:
	s_mov_b64 s[0:1], 0
.LBB62_982:
	s_andn2_b64 vcc, exec, s[0:1]
	s_cbranch_vccnz .LBB62_984
; %bb.983:
	global_load_ubyte v4, v[2:3], off
	s_movk_i32 s0, 0x7f00
	s_brev_b32 s1, 16
	s_brev_b32 s40, 1
	s_mov_b32 s41, 0x2f800000
	s_mov_b32 s44, 0xcf800000
	s_waitcnt vmcnt(0)
	v_lshlrev_b16_e32 v5, 8, v4
	v_lshlrev_b32_e32 v4, 25, v4
	v_lshrrev_b32_e32 v7, 4, v4
	v_and_or_b32 v8, v5, s0, 0.5
	v_or_b32_e32 v7, 0x70000000, v7
	v_add_f32_e32 v8, -0.5, v8
	v_mul_f32_e32 v7, 0x7800000, v7
	v_cmp_gt_u32_e32 vcc, s1, v4
	v_bfe_i32 v5, v5, 0, 16
	v_cndmask_b32_e32 v4, v7, v8, vcc
	v_and_or_b32 v4, v5, s40, v4
	v_trunc_f32_e32 v4, v4
	v_mul_f32_e64 v5, |v4|, s41
	v_floor_f32_e32 v5, v5
	v_fma_f32 v7, v5, s44, |v4|
	v_cvt_u32_f32_e32 v7, v7
	v_cvt_u32_f32_e32 v5, v5
	v_ashrrev_i32_e32 v8, 31, v4
	v_xor_b32_e32 v4, v7, v8
	v_xor_b32_e32 v5, v5, v8
	v_sub_co_u32_e32 v4, vcc, v4, v8
	v_subb_co_u32_e32 v5, vcc, v5, v8, vcc
.LBB62_984:
	s_mov_b64 s[40:41], 0
	s_mov_b64 s[0:1], -1
.LBB62_985:
	s_andn2_b64 vcc, exec, s[40:41]
	s_cbranch_vccnz .LBB62_996
; %bb.986:
	s_cmp_gt_i32 s43, 14
	s_cbranch_scc0 .LBB62_989
; %bb.987:
	s_cmp_eq_u32 s43, 15
	s_cbranch_scc0 .LBB62_990
; %bb.988:
	global_load_ushort v4, v[2:3], off
	s_mov_b32 s0, 0x2f800000
	s_mov_b32 s1, 0xcf800000
	s_mov_b64 s[38:39], 0
	s_waitcnt vmcnt(0)
	v_lshlrev_b32_e32 v4, 16, v4
	v_trunc_f32_e32 v4, v4
	v_mul_f32_e64 v5, |v4|, s0
	v_floor_f32_e32 v5, v5
	v_fma_f32 v7, v5, s1, |v4|
	v_cvt_u32_f32_e32 v7, v7
	v_cvt_u32_f32_e32 v5, v5
	v_ashrrev_i32_e32 v8, 31, v4
	s_mov_b64 s[0:1], -1
	v_xor_b32_e32 v4, v7, v8
	v_xor_b32_e32 v5, v5, v8
	v_sub_co_u32_e32 v4, vcc, v4, v8
	v_subb_co_u32_e32 v5, vcc, v5, v8, vcc
	s_branch .LBB62_991
.LBB62_989:
	s_mov_b64 s[40:41], -1
                                        ; implicit-def: $vgpr4_vgpr5
	s_branch .LBB62_992
.LBB62_990:
	s_mov_b64 s[38:39], -1
                                        ; implicit-def: $vgpr4_vgpr5
.LBB62_991:
	s_mov_b64 s[40:41], 0
.LBB62_992:
	s_and_b64 vcc, exec, s[40:41]
	s_cbranch_vccz .LBB62_996
; %bb.993:
	s_cmp_eq_u32 s43, 11
	s_cbranch_scc0 .LBB62_995
; %bb.994:
	global_load_ubyte v4, v[2:3], off
	s_mov_b32 s38, 0
	s_mov_b64 s[0:1], -1
	s_waitcnt vmcnt(1)
	v_mov_b32_e32 v5, s38
	s_mov_b64 s[38:39], 0
	s_waitcnt vmcnt(0)
	v_cmp_ne_u16_e32 vcc, 0, v4
	v_cndmask_b32_e64 v4, 0, 1, vcc
	s_branch .LBB62_996
.LBB62_995:
	s_mov_b64 s[38:39], -1
                                        ; implicit-def: $vgpr4_vgpr5
.LBB62_996:
	s_mov_b64 s[40:41], 0
.LBB62_997:
	s_and_b64 vcc, exec, s[40:41]
	s_cbranch_vccz .LBB62_1046
; %bb.998:
	s_and_b32 s40, 0xffff, s42
	s_cmp_lt_i32 s40, 5
	s_cbranch_scc1 .LBB62_1003
; %bb.999:
	s_cmp_lt_i32 s40, 8
	s_cbranch_scc1 .LBB62_1004
; %bb.1000:
	;; [unrolled: 3-line block ×3, first 2 shown]
	s_cmp_gt_i32 s40, 9
	s_cbranch_scc0 .LBB62_1006
; %bb.1002:
	global_load_dwordx2 v[4:5], v[2:3], off
	s_movk_i32 s0, 0xffe0
	s_waitcnt vmcnt(0)
	v_trunc_f64_e32 v[4:5], v[4:5]
	v_ldexp_f64 v[7:8], v[4:5], s0
	s_mov_b32 s0, 0
	s_mov_b32 s1, 0xc1f00000
	v_floor_f64_e32 v[7:8], v[7:8]
	v_fma_f64 v[9:10], v[7:8], s[0:1], v[4:5]
	v_cvt_i32_f64_e32 v5, v[7:8]
	s_mov_b64 s[0:1], 0
	v_cvt_u32_f64_e32 v4, v[9:10]
	s_branch .LBB62_1007
.LBB62_1003:
	s_mov_b64 s[0:1], -1
                                        ; implicit-def: $vgpr4_vgpr5
	s_branch .LBB62_1025
.LBB62_1004:
	s_mov_b64 s[0:1], -1
                                        ; implicit-def: $vgpr4_vgpr5
	s_branch .LBB62_1013
.LBB62_1005:
	s_mov_b64 s[0:1], -1
                                        ; implicit-def: $vgpr4_vgpr5
	s_branch .LBB62_1010
.LBB62_1006:
	s_mov_b64 s[0:1], -1
                                        ; implicit-def: $vgpr4_vgpr5
.LBB62_1007:
	s_andn2_b64 vcc, exec, s[0:1]
	s_cbranch_vccnz .LBB62_1009
; %bb.1008:
	global_load_dword v4, v[2:3], off
	s_mov_b32 s0, 0x2f800000
	s_mov_b32 s1, 0xcf800000
	s_waitcnt vmcnt(0)
	v_trunc_f32_e32 v4, v4
	v_mul_f32_e64 v5, |v4|, s0
	v_floor_f32_e32 v5, v5
	v_cvt_u32_f32_e32 v7, v5
	v_fma_f32 v5, v5, s1, |v4|
	v_cvt_u32_f32_e32 v5, v5
	v_ashrrev_i32_e32 v8, 31, v4
	v_xor_b32_e32 v7, v7, v8
	v_xor_b32_e32 v4, v5, v8
	v_sub_co_u32_e32 v4, vcc, v4, v8
	v_subb_co_u32_e32 v5, vcc, v7, v8, vcc
.LBB62_1009:
	s_mov_b64 s[0:1], 0
.LBB62_1010:
	s_andn2_b64 vcc, exec, s[0:1]
	s_cbranch_vccnz .LBB62_1012
; %bb.1011:
	global_load_dword v4, v[2:3], off
	s_waitcnt vmcnt(0)
	v_cvt_f32_f16_e32 v4, v4
	v_cvt_i32_f32_e32 v4, v4
	v_ashrrev_i32_e32 v5, 31, v4
.LBB62_1012:
	s_mov_b64 s[0:1], 0
.LBB62_1013:
	s_andn2_b64 vcc, exec, s[0:1]
	s_cbranch_vccnz .LBB62_1024
; %bb.1014:
	s_cmp_lt_i32 s40, 6
	s_cbranch_scc1 .LBB62_1017
; %bb.1015:
	s_cmp_gt_i32 s40, 6
	s_cbranch_scc0 .LBB62_1018
; %bb.1016:
	global_load_dwordx2 v[4:5], v[2:3], off
	s_movk_i32 s0, 0xffe0
	s_waitcnt vmcnt(0)
	v_trunc_f64_e32 v[4:5], v[4:5]
	v_ldexp_f64 v[7:8], v[4:5], s0
	s_mov_b32 s0, 0
	s_mov_b32 s1, 0xc1f00000
	v_floor_f64_e32 v[7:8], v[7:8]
	v_fma_f64 v[9:10], v[7:8], s[0:1], v[4:5]
	v_cvt_i32_f64_e32 v5, v[7:8]
	s_mov_b64 s[0:1], 0
	v_cvt_u32_f64_e32 v4, v[9:10]
	s_branch .LBB62_1019
.LBB62_1017:
	s_mov_b64 s[0:1], -1
                                        ; implicit-def: $vgpr4_vgpr5
	s_branch .LBB62_1022
.LBB62_1018:
	s_mov_b64 s[0:1], -1
                                        ; implicit-def: $vgpr4_vgpr5
.LBB62_1019:
	s_andn2_b64 vcc, exec, s[0:1]
	s_cbranch_vccnz .LBB62_1021
; %bb.1020:
	global_load_dword v4, v[2:3], off
	s_mov_b32 s0, 0x2f800000
	s_mov_b32 s1, 0xcf800000
	s_waitcnt vmcnt(0)
	v_trunc_f32_e32 v4, v4
	v_mul_f32_e64 v5, |v4|, s0
	v_floor_f32_e32 v5, v5
	v_cvt_u32_f32_e32 v7, v5
	v_fma_f32 v5, v5, s1, |v4|
	v_cvt_u32_f32_e32 v5, v5
	v_ashrrev_i32_e32 v8, 31, v4
	v_xor_b32_e32 v7, v7, v8
	v_xor_b32_e32 v4, v5, v8
	v_sub_co_u32_e32 v4, vcc, v4, v8
	v_subb_co_u32_e32 v5, vcc, v7, v8, vcc
.LBB62_1021:
	s_mov_b64 s[0:1], 0
.LBB62_1022:
	s_andn2_b64 vcc, exec, s[0:1]
	s_cbranch_vccnz .LBB62_1024
; %bb.1023:
	global_load_ushort v4, v[2:3], off
	s_waitcnt vmcnt(0)
	v_cvt_f32_f16_e32 v4, v4
	v_cvt_i32_f32_e32 v4, v4
	v_ashrrev_i32_e32 v5, 31, v4
.LBB62_1024:
	s_mov_b64 s[0:1], 0
.LBB62_1025:
	s_andn2_b64 vcc, exec, s[0:1]
	s_cbranch_vccnz .LBB62_1045
; %bb.1026:
	s_cmp_lt_i32 s40, 2
	s_cbranch_scc1 .LBB62_1030
; %bb.1027:
	s_cmp_lt_i32 s40, 3
	s_cbranch_scc1 .LBB62_1031
; %bb.1028:
	s_cmp_gt_i32 s40, 3
	s_cbranch_scc0 .LBB62_1032
; %bb.1029:
	global_load_dwordx2 v[4:5], v[2:3], off
	s_mov_b64 s[0:1], 0
	s_branch .LBB62_1033
.LBB62_1030:
	s_mov_b64 s[0:1], -1
                                        ; implicit-def: $vgpr4_vgpr5
	s_branch .LBB62_1039
.LBB62_1031:
	s_mov_b64 s[0:1], -1
                                        ; implicit-def: $vgpr4_vgpr5
	s_branch .LBB62_1036
.LBB62_1032:
	s_mov_b64 s[0:1], -1
                                        ; implicit-def: $vgpr4_vgpr5
.LBB62_1033:
	s_andn2_b64 vcc, exec, s[0:1]
	s_cbranch_vccnz .LBB62_1035
; %bb.1034:
	global_load_dword v4, v[2:3], off
	s_waitcnt vmcnt(0)
	v_ashrrev_i32_e32 v5, 31, v4
.LBB62_1035:
	s_mov_b64 s[0:1], 0
.LBB62_1036:
	s_andn2_b64 vcc, exec, s[0:1]
	s_cbranch_vccnz .LBB62_1038
; %bb.1037:
	global_load_ushort v4, v[2:3], off
	s_waitcnt vmcnt(0)
	v_bfe_i32 v4, v4, 0, 16
	v_ashrrev_i32_e32 v5, 31, v4
.LBB62_1038:
	s_mov_b64 s[0:1], 0
.LBB62_1039:
	s_andn2_b64 vcc, exec, s[0:1]
	s_cbranch_vccnz .LBB62_1045
; %bb.1040:
	s_cmp_gt_i32 s40, 0
	s_cbranch_scc0 .LBB62_1042
; %bb.1041:
	global_load_sbyte v4, v[2:3], off
	s_mov_b64 s[0:1], 0
	s_waitcnt vmcnt(0)
	v_bfe_i32 v4, v4, 0, 16
	v_ashrrev_i32_e32 v5, 31, v4
	s_branch .LBB62_1043
.LBB62_1042:
	s_mov_b64 s[0:1], -1
                                        ; implicit-def: $vgpr4_vgpr5
.LBB62_1043:
	s_andn2_b64 vcc, exec, s[0:1]
	s_cbranch_vccnz .LBB62_1045
; %bb.1044:
	global_load_ubyte v2, v[2:3], off
	s_mov_b32 s0, 0
	s_waitcnt vmcnt(1)
	v_mov_b32_e32 v5, s0
	s_waitcnt vmcnt(0)
	v_and_b32_e32 v4, 0xffff, v2
.LBB62_1045:
	s_mov_b64 s[0:1], -1
.LBB62_1046:
	s_andn2_b64 vcc, exec, s[0:1]
	s_cbranch_vccnz .LBB62_1051
; %bb.1047:
	s_cmp_lt_i32 s15, 1
	s_mov_b64 s[0:1], 0
	s_cbranch_scc1 .LBB62_1052
; %bb.1048:
	s_cmp_gt_i32 s15, 1
	s_cbranch_scc0 .LBB62_1053
; %bb.1049:
	s_cmp_eq_u32 s15, 2
	s_cbranch_scc0 .LBB62_1054
; %bb.1050:
	s_waitcnt vmcnt(0)
	v_cmp_le_i64_e64 s[40:41], v[0:1], v[4:5]
	s_mov_b64 s[42:43], 0
	s_branch .LBB62_1055
.LBB62_1051:
	s_mov_b64 s[42:43], 0
                                        ; implicit-def: $vgpr6
	s_mov_b64 s[0:1], s[28:29]
	s_branch .LBB62_1187
.LBB62_1052:
	s_mov_b64 s[44:45], -1
                                        ; implicit-def: $sgpr40_sgpr41
	s_mov_b64 s[42:43], 0
	s_branch .LBB62_1059
.LBB62_1053:
	s_mov_b64 s[44:45], -1
	s_mov_b64 s[42:43], 0
                                        ; implicit-def: $sgpr40_sgpr41
	s_branch .LBB62_1056
.LBB62_1054:
	s_mov_b64 s[42:43], -1
                                        ; implicit-def: $sgpr40_sgpr41
.LBB62_1055:
	s_mov_b64 s[44:45], 0
.LBB62_1056:
	s_and_b64 vcc, exec, s[44:45]
	s_cbranch_vccz .LBB62_1058
; %bb.1057:
	s_waitcnt vmcnt(0)
	v_cmp_gt_i64_e32 vcc, v[0:1], v[4:5]
	s_andn2_b64 s[40:41], s[40:41], exec
	s_and_b64 s[44:45], vcc, exec
	s_or_b64 s[40:41], s[40:41], s[44:45]
.LBB62_1058:
	s_mov_b64 s[44:45], 0
.LBB62_1059:
	s_and_b64 vcc, exec, s[44:45]
	s_cbranch_vccz .LBB62_1070
; %bb.1060:
	s_cmp_lg_u32 s15, 0
	s_mov_b64 s[0:1], -1
	s_cselect_b64 s[42:43], -1, 0
	s_andn2_b64 vcc, exec, s[42:43]
	s_cbranch_vccz .LBB62_1071
.LBB62_1061:
	s_andn2_b64 vcc, exec, s[0:1]
	s_cbranch_vccnz .LBB62_1063
.LBB62_1062:
	s_waitcnt vmcnt(0)
	v_cmp_ge_i64_e32 vcc, v[0:1], v[4:5]
	s_andn2_b64 s[0:1], s[40:41], exec
	s_and_b64 s[40:41], vcc, exec
	s_or_b64 s[40:41], s[0:1], s[40:41]
.LBB62_1063:
	s_waitcnt vmcnt(0)
	v_mul_lo_u32 v0, v6, s12
	v_mov_b32_e32 v1, s9
	s_and_b32 s49, s33, 0xff
	s_cmp_lt_i32 s49, 11
	v_ashrrev_i32_e32 v2, 31, v0
	v_add_co_u32_e32 v0, vcc, s8, v0
	v_addc_co_u32_e32 v1, vcc, v1, v2, vcc
	s_cbranch_scc1 .LBB62_1072
; %bb.1064:
	s_and_b32 s50, 0xffff, s49
	s_cmp_gt_i32 s50, 25
	s_cbranch_scc0 .LBB62_1073
; %bb.1065:
	s_cmp_gt_i32 s50, 28
	s_cbranch_scc0 .LBB62_1074
; %bb.1066:
	;; [unrolled: 3-line block ×4, first 2 shown]
	s_mov_b64 s[44:45], 0
	s_mov_b64 s[0:1], -1
	s_cmp_eq_u32 s50, 46
	s_mov_b64 s[42:43], 0
	s_cbranch_scc0 .LBB62_1077
; %bb.1069:
	v_cndmask_b32_e64 v2, 0, 1.0, s[40:41]
	v_bfe_u32 v3, v2, 16, 1
	s_movk_i32 s0, 0x7fff
	v_add3_u32 v2, v2, v3, s0
	v_lshrrev_b32_e32 v2, 16, v2
	global_store_dword v[0:1], v2, off
	s_mov_b64 s[42:43], -1
	s_mov_b64 s[0:1], 0
	s_branch .LBB62_1077
.LBB62_1070:
	s_andn2_b64 vcc, exec, s[42:43]
	s_cbranch_vccnz .LBB62_1061
.LBB62_1071:
	s_waitcnt vmcnt(0)
	v_cmp_lt_i64_e32 vcc, v[0:1], v[4:5]
	s_andn2_b64 s[40:41], s[40:41], exec
	s_and_b64 s[42:43], vcc, exec
	s_or_b64 s[40:41], s[40:41], s[42:43]
	s_cbranch_execz .LBB62_1062
	s_branch .LBB62_1063
.LBB62_1072:
	s_mov_b64 s[44:45], -1
	s_mov_b64 s[42:43], 0
	s_mov_b64 s[0:1], s[28:29]
	s_branch .LBB62_1146
.LBB62_1073:
	s_mov_b64 s[44:45], -1
	s_mov_b64 s[42:43], 0
	s_mov_b64 s[0:1], s[28:29]
	s_branch .LBB62_1104
.LBB62_1074:
	s_mov_b64 s[44:45], -1
	s_mov_b64 s[42:43], 0
	s_mov_b64 s[0:1], s[28:29]
	s_branch .LBB62_1087
.LBB62_1075:
	s_mov_b64 s[44:45], -1
	s_mov_b64 s[42:43], 0
	s_mov_b64 s[0:1], s[28:29]
	s_branch .LBB62_1083
.LBB62_1076:
	s_mov_b64 s[44:45], -1
	s_mov_b64 s[42:43], 0
	s_mov_b64 s[0:1], s[28:29]
.LBB62_1077:
	s_and_b64 vcc, exec, s[44:45]
	s_cbranch_vccz .LBB62_1082
; %bb.1078:
	s_cmp_eq_u32 s50, 44
	s_mov_b64 s[0:1], -1
	s_cbranch_scc0 .LBB62_1082
; %bb.1079:
	v_cndmask_b32_e64 v3, 0, 1.0, s[40:41]
	v_lshrrev_b32_e32 v2, 23, v3
	s_movk_i32 s0, 0xff
	v_cmp_ne_u32_e32 vcc, s0, v2
	v_mov_b32_e32 v4, 0xff
	s_and_saveexec_b64 s[42:43], vcc
; %bb.1080:
	s_mov_b32 s0, 0x3fffff
	v_and_b32_e32 v4, 0x400000, v3
	v_and_or_b32 v3, v3, s0, v2
	v_cmp_ne_u32_e32 vcc, 0, v4
	v_cmp_ne_u32_e64 s[0:1], 0, v3
	s_and_b64 s[0:1], vcc, s[0:1]
	v_cndmask_b32_e64 v3, 0, 1, s[0:1]
	v_add_u32_e32 v4, v2, v3
; %bb.1081:
	s_or_b64 exec, exec, s[42:43]
	s_mov_b64 s[42:43], -1
	s_mov_b64 s[0:1], 0
	global_store_byte v[0:1], v4, off
.LBB62_1082:
	s_mov_b64 s[44:45], 0
.LBB62_1083:
	s_and_b64 vcc, exec, s[44:45]
	s_cbranch_vccz .LBB62_1086
; %bb.1084:
	s_cmp_eq_u32 s50, 29
	s_mov_b64 s[0:1], -1
	s_cbranch_scc0 .LBB62_1086
; %bb.1085:
	s_mov_b32 s0, 0
	v_cndmask_b32_e64 v2, 0, 1, s[40:41]
	v_mov_b32_e32 v3, s0
	global_store_dwordx2 v[0:1], v[2:3], off
	s_mov_b64 s[42:43], -1
	s_mov_b64 s[0:1], 0
.LBB62_1086:
	s_mov_b64 s[44:45], 0
.LBB62_1087:
	s_and_b64 vcc, exec, s[44:45]
	s_cbranch_vccz .LBB62_1103
; %bb.1088:
	s_cmp_lt_i32 s50, 27
	s_mov_b64 s[42:43], -1
	s_cbranch_scc1 .LBB62_1094
; %bb.1089:
	s_cmp_gt_i32 s50, 27
	s_cbranch_scc0 .LBB62_1091
; %bb.1090:
	v_cndmask_b32_e64 v2, 0, 1, s[40:41]
	s_mov_b64 s[42:43], 0
	global_store_dword v[0:1], v2, off
.LBB62_1091:
	s_andn2_b64 vcc, exec, s[42:43]
	s_cbranch_vccnz .LBB62_1093
; %bb.1092:
	v_cndmask_b32_e64 v2, 0, 1, s[40:41]
	global_store_short v[0:1], v2, off
.LBB62_1093:
	s_mov_b64 s[42:43], 0
.LBB62_1094:
	s_andn2_b64 vcc, exec, s[42:43]
	s_cbranch_vccnz .LBB62_1102
; %bb.1095:
	v_cndmask_b32_e64 v3, 0, 1.0, s[40:41]
	s_mov_b32 s42, 0x43800000
	v_cmp_gt_u32_e32 vcc, s42, v3
	v_mov_b32_e32 v4, 0x80
	s_and_saveexec_b64 s[42:43], vcc
	s_cbranch_execz .LBB62_1101
; %bb.1096:
	s_mov_b32 s44, 0x3bffffff
	v_cmp_lt_u32_e32 vcc, s44, v3
	s_mov_b64 s[44:45], 0
                                        ; implicit-def: $vgpr2
	s_and_saveexec_b64 s[46:47], vcc
	s_xor_b64 s[46:47], exec, s[46:47]
	s_cbranch_execz .LBB62_1203
; %bb.1097:
	v_bfe_u32 v2, v3, 20, 1
	s_mov_b32 s51, 0x487ffff
	v_add3_u32 v2, v3, v2, s51
	s_mov_b64 s[44:45], exec
	v_lshrrev_b32_e32 v2, 20, v2
                                        ; implicit-def: $vgpr3
	s_andn2_saveexec_b64 s[46:47], s[46:47]
	s_cbranch_execnz .LBB62_1204
.LBB62_1098:
	s_or_b64 exec, exec, s[46:47]
	v_mov_b32_e32 v4, 0
	s_and_saveexec_b64 s[46:47], s[44:45]
.LBB62_1099:
	v_mov_b32_e32 v4, v2
.LBB62_1100:
	s_or_b64 exec, exec, s[46:47]
.LBB62_1101:
	s_or_b64 exec, exec, s[42:43]
	global_store_byte v[0:1], v4, off
.LBB62_1102:
	s_mov_b64 s[42:43], -1
.LBB62_1103:
	s_mov_b64 s[44:45], 0
.LBB62_1104:
	s_and_b64 vcc, exec, s[44:45]
	s_cbranch_vccz .LBB62_1145
; %bb.1105:
	s_cmp_gt_i32 s50, 22
	s_mov_b64 s[44:45], -1
	s_cbranch_scc0 .LBB62_1137
; %bb.1106:
	s_cmp_lt_i32 s50, 24
	s_mov_b64 s[42:43], -1
	s_cbranch_scc1 .LBB62_1126
; %bb.1107:
	s_cmp_gt_i32 s50, 24
	s_cbranch_scc0 .LBB62_1115
; %bb.1108:
	v_cndmask_b32_e64 v3, 0, 1.0, s[40:41]
	s_mov_b32 s42, 0x47800000
	v_cmp_gt_u32_e32 vcc, s42, v3
	v_mov_b32_e32 v4, 0x80
	s_and_saveexec_b64 s[42:43], vcc
	s_cbranch_execz .LBB62_1114
; %bb.1109:
	s_mov_b32 s44, 0x37ffffff
	v_cmp_lt_u32_e32 vcc, s44, v3
	s_mov_b64 s[44:45], 0
                                        ; implicit-def: $vgpr2
	s_and_saveexec_b64 s[46:47], vcc
	s_xor_b64 s[46:47], exec, s[46:47]
	s_cbranch_execz .LBB62_2246
; %bb.1110:
	v_bfe_u32 v2, v3, 21, 1
	s_mov_b32 s51, 0x88fffff
	v_add3_u32 v2, v3, v2, s51
	s_mov_b64 s[44:45], exec
	v_lshrrev_b32_e32 v2, 21, v2
                                        ; implicit-def: $vgpr3
	s_andn2_saveexec_b64 s[46:47], s[46:47]
	s_cbranch_execnz .LBB62_2247
.LBB62_1111:
	s_or_b64 exec, exec, s[46:47]
	v_mov_b32_e32 v4, 0
	s_and_saveexec_b64 s[46:47], s[44:45]
.LBB62_1112:
	v_mov_b32_e32 v4, v2
.LBB62_1113:
	s_or_b64 exec, exec, s[46:47]
.LBB62_1114:
	s_or_b64 exec, exec, s[42:43]
	s_mov_b64 s[42:43], 0
	global_store_byte v[0:1], v4, off
.LBB62_1115:
	s_and_b64 vcc, exec, s[42:43]
	s_cbranch_vccz .LBB62_1125
; %bb.1116:
	v_cndmask_b32_e64 v2, 0, 1.0, s[40:41]
	s_mov_b32 s42, 0x43f00000
	v_cmp_gt_u32_e32 vcc, s42, v2
                                        ; implicit-def: $vgpr3
	s_and_saveexec_b64 s[42:43], vcc
	s_xor_b64 s[42:43], exec, s[42:43]
	s_cbranch_execz .LBB62_1122
; %bb.1117:
	s_mov_b32 s44, 0x3c7fffff
	v_cmp_lt_u32_e32 vcc, s44, v2
                                        ; implicit-def: $vgpr3
	s_and_saveexec_b64 s[44:45], vcc
	s_xor_b64 s[44:45], exec, s[44:45]
; %bb.1118:
	v_bfe_u32 v3, v2, 20, 1
	s_mov_b32 s46, 0x407ffff
	v_add3_u32 v2, v2, v3, s46
	v_lshrrev_b32_e32 v3, 20, v2
	v_and_b32_e32 v2, 0xff00000, v2
	s_mov_b32 s46, 0x7f00000
	v_mov_b32_e32 v4, 0x7e
	v_cmp_ne_u32_e32 vcc, s46, v2
	v_cndmask_b32_e32 v3, v4, v3, vcc
                                        ; implicit-def: $vgpr2
; %bb.1119:
	s_andn2_saveexec_b64 s[44:45], s[44:45]
; %bb.1120:
	v_add_f32_e32 v3, 0x46800000, v2
; %bb.1121:
	s_or_b64 exec, exec, s[44:45]
                                        ; implicit-def: $vgpr2
.LBB62_1122:
	s_andn2_saveexec_b64 s[42:43], s[42:43]
; %bb.1123:
	s_mov_b32 s44, 0x7f800000
	v_mov_b32_e32 v3, 0x7e
	v_mov_b32_e32 v4, 0x7f
	v_cmp_lt_u32_e32 vcc, s44, v2
	v_cndmask_b32_e32 v3, v3, v4, vcc
; %bb.1124:
	s_or_b64 exec, exec, s[42:43]
	global_store_byte v[0:1], v3, off
.LBB62_1125:
	s_mov_b64 s[42:43], 0
.LBB62_1126:
	s_andn2_b64 vcc, exec, s[42:43]
	s_cbranch_vccnz .LBB62_1136
; %bb.1127:
	v_cndmask_b32_e64 v2, 0, 1.0, s[40:41]
	s_mov_b32 s42, 0x47800000
	v_cmp_gt_u32_e32 vcc, s42, v2
                                        ; implicit-def: $vgpr3
	s_and_saveexec_b64 s[42:43], vcc
	s_xor_b64 s[42:43], exec, s[42:43]
	s_cbranch_execz .LBB62_1133
; %bb.1128:
	s_mov_b32 s44, 0x387fffff
	v_cmp_lt_u32_e32 vcc, s44, v2
                                        ; implicit-def: $vgpr3
	s_and_saveexec_b64 s[44:45], vcc
	s_xor_b64 s[44:45], exec, s[44:45]
; %bb.1129:
	v_bfe_u32 v3, v2, 21, 1
	s_mov_b32 s46, 0x80fffff
	v_add3_u32 v2, v2, v3, s46
	v_lshrrev_b32_e32 v3, 21, v2
                                        ; implicit-def: $vgpr2
; %bb.1130:
	s_andn2_saveexec_b64 s[44:45], s[44:45]
; %bb.1131:
	v_add_f32_e32 v3, 0x43000000, v2
; %bb.1132:
	s_or_b64 exec, exec, s[44:45]
                                        ; implicit-def: $vgpr2
.LBB62_1133:
	s_andn2_saveexec_b64 s[42:43], s[42:43]
; %bb.1134:
	s_mov_b32 s44, 0x7f800000
	v_mov_b32_e32 v3, 0x7c
	v_mov_b32_e32 v4, 0x7f
	v_cmp_lt_u32_e32 vcc, s44, v2
	v_cndmask_b32_e32 v3, v3, v4, vcc
; %bb.1135:
	s_or_b64 exec, exec, s[42:43]
	global_store_byte v[0:1], v3, off
.LBB62_1136:
	s_mov_b64 s[44:45], 0
	s_mov_b64 s[42:43], -1
.LBB62_1137:
	s_andn2_b64 vcc, exec, s[44:45]
	s_cbranch_vccnz .LBB62_1145
; %bb.1138:
	s_cmp_gt_i32 s50, 14
	s_mov_b64 s[44:45], -1
	s_cbranch_scc0 .LBB62_1142
; %bb.1139:
	s_cmp_eq_u32 s50, 15
	s_mov_b64 s[0:1], -1
	s_cbranch_scc0 .LBB62_1141
; %bb.1140:
	v_cndmask_b32_e64 v2, 0, 1.0, s[40:41]
	v_bfe_u32 v3, v2, 16, 1
	s_movk_i32 s0, 0x7fff
	v_add3_u32 v2, v2, v3, s0
	global_store_short_d16_hi v[0:1], v2, off
	s_mov_b64 s[42:43], -1
	s_mov_b64 s[0:1], 0
.LBB62_1141:
	s_mov_b64 s[44:45], 0
.LBB62_1142:
	s_and_b64 vcc, exec, s[44:45]
	s_cbranch_vccz .LBB62_1145
; %bb.1143:
	s_cmp_eq_u32 s50, 11
	s_mov_b64 s[0:1], -1
	s_cbranch_scc0 .LBB62_1145
; %bb.1144:
	v_cndmask_b32_e64 v2, 0, 1, s[40:41]
	s_mov_b64 s[42:43], -1
	s_mov_b64 s[0:1], 0
	global_store_byte v[0:1], v2, off
.LBB62_1145:
	s_mov_b64 s[44:45], 0
.LBB62_1146:
	s_and_b64 vcc, exec, s[44:45]
	s_cbranch_vccz .LBB62_1185
; %bb.1147:
	s_and_b32 s44, 0xffff, s49
	s_cmp_lt_i32 s44, 5
	s_mov_b64 s[42:43], -1
	s_cbranch_scc1 .LBB62_1168
; %bb.1148:
	s_cmp_lt_i32 s44, 8
	s_cbranch_scc1 .LBB62_1158
; %bb.1149:
	s_cmp_lt_i32 s44, 9
	s_cbranch_scc1 .LBB62_1155
; %bb.1150:
	s_cmp_gt_i32 s44, 9
	s_cbranch_scc0 .LBB62_1152
; %bb.1151:
	v_cndmask_b32_e64 v2, 0, 1, s[40:41]
	v_cvt_f64_u32_e32 v[2:3], v2
	v_mov_b32_e32 v4, 0
	v_mov_b32_e32 v5, v4
	s_mov_b64 s[42:43], 0
	global_store_dwordx4 v[0:1], v[2:5], off
.LBB62_1152:
	s_andn2_b64 vcc, exec, s[42:43]
	s_cbranch_vccnz .LBB62_1154
; %bb.1153:
	v_cndmask_b32_e64 v2, 0, 1.0, s[40:41]
	v_mov_b32_e32 v3, 0
	global_store_dwordx2 v[0:1], v[2:3], off
.LBB62_1154:
	s_mov_b64 s[42:43], 0
.LBB62_1155:
	s_andn2_b64 vcc, exec, s[42:43]
	s_cbranch_vccnz .LBB62_1157
; %bb.1156:
	v_cndmask_b32_e64 v2, 0, 1.0, s[40:41]
	v_cvt_f16_f32_e32 v2, v2
	global_store_dword v[0:1], v2, off
.LBB62_1157:
	s_mov_b64 s[42:43], 0
.LBB62_1158:
	s_andn2_b64 vcc, exec, s[42:43]
	s_cbranch_vccnz .LBB62_1167
; %bb.1159:
	s_cmp_lt_i32 s44, 6
	s_mov_b64 s[42:43], -1
	s_cbranch_scc1 .LBB62_1165
; %bb.1160:
	s_cmp_gt_i32 s44, 6
	s_cbranch_scc0 .LBB62_1162
; %bb.1161:
	v_cndmask_b32_e64 v2, 0, 1, s[40:41]
	v_cvt_f64_u32_e32 v[2:3], v2
	s_mov_b64 s[42:43], 0
	global_store_dwordx2 v[0:1], v[2:3], off
.LBB62_1162:
	s_andn2_b64 vcc, exec, s[42:43]
	s_cbranch_vccnz .LBB62_1164
; %bb.1163:
	v_cndmask_b32_e64 v2, 0, 1.0, s[40:41]
	global_store_dword v[0:1], v2, off
.LBB62_1164:
	s_mov_b64 s[42:43], 0
.LBB62_1165:
	s_andn2_b64 vcc, exec, s[42:43]
	s_cbranch_vccnz .LBB62_1167
; %bb.1166:
	v_cndmask_b32_e64 v2, 0, 1.0, s[40:41]
	v_cvt_f16_f32_e32 v2, v2
	global_store_short v[0:1], v2, off
.LBB62_1167:
	s_mov_b64 s[42:43], 0
.LBB62_1168:
	s_andn2_b64 vcc, exec, s[42:43]
	s_cbranch_vccnz .LBB62_1184
; %bb.1169:
	s_cmp_lt_i32 s44, 2
	s_mov_b64 s[42:43], -1
	s_cbranch_scc1 .LBB62_1179
; %bb.1170:
	s_cmp_lt_i32 s44, 3
	s_cbranch_scc1 .LBB62_1176
; %bb.1171:
	s_cmp_gt_i32 s44, 3
	s_cbranch_scc0 .LBB62_1173
; %bb.1172:
	s_mov_b32 s42, 0
	v_cndmask_b32_e64 v2, 0, 1, s[40:41]
	v_mov_b32_e32 v3, s42
	s_mov_b64 s[42:43], 0
	global_store_dwordx2 v[0:1], v[2:3], off
.LBB62_1173:
	s_andn2_b64 vcc, exec, s[42:43]
	s_cbranch_vccnz .LBB62_1175
; %bb.1174:
	v_cndmask_b32_e64 v2, 0, 1, s[40:41]
	global_store_dword v[0:1], v2, off
.LBB62_1175:
	s_mov_b64 s[42:43], 0
.LBB62_1176:
	s_andn2_b64 vcc, exec, s[42:43]
	s_cbranch_vccnz .LBB62_1178
; %bb.1177:
	v_cndmask_b32_e64 v2, 0, 1, s[40:41]
	global_store_short v[0:1], v2, off
.LBB62_1178:
	s_mov_b64 s[42:43], 0
.LBB62_1179:
	s_andn2_b64 vcc, exec, s[42:43]
	s_cbranch_vccnz .LBB62_1184
; %bb.1180:
	s_mov_b64 s[42:43], -1
	s_cmp_gt_i32 s44, 0
	v_cndmask_b32_e64 v2, 0, 1, s[40:41]
	s_cbranch_scc0 .LBB62_1182
; %bb.1181:
	s_mov_b64 s[42:43], 0
	global_store_byte v[0:1], v2, off
.LBB62_1182:
	s_andn2_b64 vcc, exec, s[42:43]
	s_cbranch_vccnz .LBB62_1184
; %bb.1183:
	global_store_byte v[0:1], v2, off
.LBB62_1184:
	s_mov_b64 s[42:43], -1
.LBB62_1185:
	s_andn2_b64 vcc, exec, s[42:43]
	s_cbranch_vccnz .LBB62_1198
; %bb.1186:
	v_add_u32_e32 v6, 0x80, v6
	s_mov_b64 s[42:43], -1
.LBB62_1187:
	s_andn2_b64 s[40:41], s[28:29], exec
	s_and_b64 s[0:1], s[0:1], exec
	s_or_b64 s[40:41], s[40:41], s[0:1]
	s_andn2_b64 s[0:1], s[26:27], exec
	s_and_b64 s[38:39], s[38:39], exec
	s_or_b64 s[38:39], s[0:1], s[38:39]
	;; [unrolled: 3-line block ×3, first 2 shown]
	s_orn2_b64 s[46:47], s[42:43], exec
.LBB62_1188:
	s_or_b64 exec, exec, s[34:35]
	s_mov_b64 s[42:43], 0
	s_mov_b64 s[36:37], 0
	;; [unrolled: 1-line block ×3, first 2 shown]
                                        ; implicit-def: $sgpr56
                                        ; implicit-def: $vgpr2_vgpr3
                                        ; implicit-def: $vgpr0_vgpr1
	s_and_saveexec_b64 s[34:35], s[46:47]
	s_cbranch_execz .LBB62_1268
; %bb.1189:
	v_cmp_gt_i32_e32 vcc, s48, v6
	s_mov_b64 s[46:47], 0
	s_mov_b64 s[48:49], s[0:1]
	;; [unrolled: 1-line block ×4, first 2 shown]
                                        ; implicit-def: $sgpr56
                                        ; implicit-def: $vgpr2_vgpr3
                                        ; implicit-def: $vgpr0_vgpr1
	s_and_saveexec_b64 s[36:37], vcc
	s_cbranch_execz .LBB62_1267
; %bb.1190:
	s_waitcnt vmcnt(0)
	v_mul_lo_u32 v0, v6, s13
	v_mov_b32_e32 v1, s11
	s_and_b32 s56, s55, 0xff
	s_cmp_lt_i32 s56, 11
	v_ashrrev_i32_e32 v3, 31, v0
	v_add_co_u32_e32 v2, vcc, s10, v0
	v_addc_co_u32_e32 v3, vcc, v1, v3, vcc
	s_cbranch_scc1 .LBB62_1197
; %bb.1191:
	s_and_b32 s50, 0xffff, s56
	s_cmp_gt_i32 s50, 25
	s_cbranch_scc0 .LBB62_1199
; %bb.1192:
	s_cmp_gt_i32 s50, 28
	s_cbranch_scc0 .LBB62_1200
; %bb.1193:
	;; [unrolled: 3-line block ×4, first 2 shown]
	s_cmp_eq_u32 s50, 46
	s_mov_b64 s[48:49], 0
	s_cbranch_scc0 .LBB62_1205
; %bb.1196:
	global_load_dword v0, v[2:3], off
	s_mov_b32 s42, 0x2f800000
	s_mov_b32 s43, 0xcf800000
	s_mov_b64 s[46:47], -1
	s_waitcnt vmcnt(0)
	v_lshlrev_b32_e32 v0, 16, v0
	v_trunc_f32_e32 v0, v0
	v_mul_f32_e64 v1, |v0|, s42
	v_floor_f32_e32 v1, v1
	v_fma_f32 v4, v1, s43, |v0|
	v_cvt_u32_f32_e32 v4, v4
	v_cvt_u32_f32_e32 v1, v1
	v_ashrrev_i32_e32 v5, 31, v0
	s_mov_b64 s[42:43], 0
	v_xor_b32_e32 v0, v4, v5
	v_xor_b32_e32 v1, v1, v5
	v_sub_co_u32_e32 v0, vcc, v0, v5
	v_subb_co_u32_e32 v1, vcc, v1, v5, vcc
	s_branch .LBB62_1207
.LBB62_1197:
	s_mov_b64 s[48:49], -1
                                        ; implicit-def: $vgpr0_vgpr1
	s_mov_b64 s[42:43], s[0:1]
	s_branch .LBB62_1266
.LBB62_1198:
	s_mov_b64 s[42:43], 0
	s_branch .LBB62_927
.LBB62_1199:
	s_mov_b64 s[48:49], -1
	s_mov_b64 s[42:43], s[0:1]
                                        ; implicit-def: $vgpr0_vgpr1
	s_branch .LBB62_1236
.LBB62_1200:
	s_mov_b64 s[48:49], -1
	s_mov_b64 s[42:43], s[0:1]
                                        ; implicit-def: $vgpr0_vgpr1
	s_branch .LBB62_1217
.LBB62_1201:
	s_mov_b64 s[48:49], -1
	s_mov_b64 s[42:43], s[0:1]
                                        ; implicit-def: $vgpr0_vgpr1
	s_branch .LBB62_1212
.LBB62_1202:
	s_mov_b64 s[48:49], -1
	s_mov_b64 s[42:43], s[0:1]
	s_branch .LBB62_1206
.LBB62_1203:
	s_andn2_saveexec_b64 s[46:47], s[46:47]
	s_cbranch_execz .LBB62_1098
.LBB62_1204:
	v_add_f32_e32 v2, 0x46000000, v3
	v_and_b32_e32 v2, 0xff, v2
	v_cmp_ne_u32_e32 vcc, 0, v2
	s_andn2_b64 s[44:45], s[44:45], exec
	s_and_b64 s[52:53], vcc, exec
	s_or_b64 s[44:45], s[44:45], s[52:53]
	s_or_b64 exec, exec, s[46:47]
	v_mov_b32_e32 v4, 0
	s_and_saveexec_b64 s[46:47], s[44:45]
	s_cbranch_execnz .LBB62_1099
	s_branch .LBB62_1100
.LBB62_1205:
	s_mov_b64 s[42:43], -1
.LBB62_1206:
                                        ; implicit-def: $vgpr0_vgpr1
.LBB62_1207:
	s_and_b64 vcc, exec, s[48:49]
	s_cbranch_vccz .LBB62_1211
; %bb.1208:
	s_cmp_eq_u32 s50, 44
	s_cbranch_scc0 .LBB62_1210
; %bb.1209:
	global_load_ubyte v0, v[2:3], off
	s_mov_b32 s42, 0x2f800000
	s_mov_b32 s43, 0xcf800000
	s_mov_b64 s[46:47], -1
	s_waitcnt vmcnt(0)
	v_lshlrev_b32_e32 v1, 23, v0
	v_trunc_f32_e32 v1, v1
	v_mul_f32_e64 v4, |v1|, s42
	v_floor_f32_e32 v4, v4
	v_fma_f32 v5, v4, s43, |v1|
	v_cvt_u32_f32_e32 v5, v5
	v_cvt_u32_f32_e32 v4, v4
	v_ashrrev_i32_e32 v1, 31, v1
	s_mov_b64 s[42:43], 0
	v_xor_b32_e32 v5, v5, v1
	v_xor_b32_e32 v4, v4, v1
	v_sub_co_u32_e32 v5, vcc, v5, v1
	v_subb_co_u32_e32 v1, vcc, v4, v1, vcc
	v_cmp_ne_u32_e32 vcc, 0, v0
	v_cndmask_b32_e32 v1, 0, v1, vcc
	v_cndmask_b32_e32 v0, 0, v5, vcc
	s_branch .LBB62_1211
.LBB62_1210:
	s_mov_b64 s[42:43], -1
                                        ; implicit-def: $vgpr0_vgpr1
.LBB62_1211:
	s_mov_b64 s[48:49], 0
.LBB62_1212:
	s_and_b64 vcc, exec, s[48:49]
	s_cbranch_vccz .LBB62_1216
; %bb.1213:
	s_cmp_eq_u32 s50, 29
	s_cbranch_scc0 .LBB62_1215
; %bb.1214:
	global_load_dwordx2 v[0:1], v[2:3], off
	s_mov_b64 s[42:43], 0
	s_mov_b64 s[46:47], -1
	s_branch .LBB62_1216
.LBB62_1215:
	s_mov_b64 s[42:43], -1
                                        ; implicit-def: $vgpr0_vgpr1
.LBB62_1216:
	s_mov_b64 s[48:49], 0
.LBB62_1217:
	s_and_b64 vcc, exec, s[48:49]
	s_cbranch_vccz .LBB62_1235
; %bb.1218:
	s_cmp_lt_i32 s50, 27
	s_cbranch_scc1 .LBB62_1221
; %bb.1219:
	s_cmp_gt_i32 s50, 27
	s_cbranch_scc0 .LBB62_1222
; %bb.1220:
	global_load_dword v0, v[2:3], off
	s_waitcnt vmcnt(1)
	v_mov_b32_e32 v1, 0
	s_mov_b64 s[46:47], 0
	s_branch .LBB62_1223
.LBB62_1221:
	s_mov_b64 s[46:47], -1
                                        ; implicit-def: $vgpr0_vgpr1
	s_branch .LBB62_1226
.LBB62_1222:
	s_mov_b64 s[46:47], -1
                                        ; implicit-def: $vgpr0_vgpr1
.LBB62_1223:
	s_andn2_b64 vcc, exec, s[46:47]
	s_cbranch_vccnz .LBB62_1225
; %bb.1224:
	global_load_ushort v0, v[2:3], off
	s_mov_b32 s46, 0
	s_waitcnt vmcnt(1)
	v_mov_b32_e32 v1, s46
	s_waitcnt vmcnt(0)
	v_and_b32_e32 v0, 0xffff, v0
.LBB62_1225:
	s_mov_b64 s[46:47], 0
.LBB62_1226:
	s_andn2_b64 vcc, exec, s[46:47]
	s_cbranch_vccnz .LBB62_1234
; %bb.1227:
	global_load_ubyte v4, v[2:3], off
	s_movk_i32 s46, 0x7f
	s_mov_b64 s[48:49], 0
	s_waitcnt vmcnt(0)
	v_cmp_lt_i16_e32 vcc, s46, v4
	s_and_saveexec_b64 s[46:47], vcc
	s_xor_b64 s[46:47], exec, s[46:47]
; %bb.1228:
	s_movk_i32 s48, 0x80
	v_cmp_ne_u16_e32 vcc, s48, v4
	s_and_b64 s[48:49], vcc, exec
; %bb.1229:
	s_andn2_saveexec_b64 s[46:47], s[46:47]
; %bb.1230:
	v_cmp_ne_u16_e32 vcc, 0, v4
	s_andn2_b64 s[48:49], s[48:49], exec
	s_and_b64 s[52:53], vcc, exec
	s_or_b64 s[48:49], s[48:49], s[52:53]
; %bb.1231:
	s_or_b64 exec, exec, s[46:47]
	v_mov_b32_e32 v0, 0
	v_mov_b32_e32 v1, 0
	s_and_saveexec_b64 s[46:47], s[48:49]
	s_cbranch_execz .LBB62_1233
; %bb.1232:
	v_and_b32_e32 v1, 0xffff, v4
	v_lshlrev_b32_e32 v0, 24, v4
	v_and_b32_e32 v4, 7, v1
	v_ffbh_u32_e32 v7, v4
	v_min_u32_e32 v7, 32, v7
	v_subrev_u32_e32 v8, 28, v7
	v_bfe_u32 v5, v1, 3, 4
	v_lshlrev_b32_e32 v1, v8, v1
	v_sub_u32_e32 v7, 29, v7
	v_and_b32_e32 v1, 7, v1
	v_cmp_eq_u32_e32 vcc, 0, v5
	v_cndmask_b32_e32 v5, v5, v7, vcc
	v_cndmask_b32_e32 v1, v4, v1, vcc
	v_mov_b32_e32 v4, 0x3b800000
	v_lshlrev_b32_e32 v1, 20, v1
	v_and_b32_e32 v0, 0x80000000, v0
	v_lshl_add_u32 v4, v5, 23, v4
	v_or3_b32 v0, v0, v4, v1
	v_trunc_f32_e32 v0, v0
	s_mov_b32 s48, 0x2f800000
	v_mul_f32_e64 v1, |v0|, s48
	v_floor_f32_e32 v1, v1
	s_mov_b32 s48, 0xcf800000
	v_fma_f32 v4, v1, s48, |v0|
	v_cvt_u32_f32_e32 v4, v4
	v_cvt_u32_f32_e32 v1, v1
	v_ashrrev_i32_e32 v5, 31, v0
	v_xor_b32_e32 v0, v4, v5
	v_xor_b32_e32 v1, v1, v5
	v_sub_co_u32_e32 v0, vcc, v0, v5
	v_subb_co_u32_e32 v1, vcc, v1, v5, vcc
.LBB62_1233:
	s_or_b64 exec, exec, s[46:47]
.LBB62_1234:
	s_mov_b64 s[46:47], -1
.LBB62_1235:
	s_mov_b64 s[48:49], 0
.LBB62_1236:
	s_and_b64 vcc, exec, s[48:49]
	s_cbranch_vccz .LBB62_1265
; %bb.1237:
	s_cmp_gt_i32 s50, 22
	s_cbranch_scc0 .LBB62_1247
; %bb.1238:
	s_cmp_lt_i32 s50, 24
	s_cbranch_scc1 .LBB62_1248
; %bb.1239:
	s_cmp_gt_i32 s50, 24
	s_cbranch_scc0 .LBB62_1249
; %bb.1240:
	global_load_ubyte v4, v[2:3], off
	s_movk_i32 s44, 0x7f
	s_mov_b64 s[46:47], 0
	s_waitcnt vmcnt(0)
	v_cmp_lt_i16_e32 vcc, s44, v4
	s_and_saveexec_b64 s[44:45], vcc
	s_xor_b64 s[44:45], exec, s[44:45]
; %bb.1241:
	s_movk_i32 s46, 0x80
	v_cmp_ne_u16_e32 vcc, s46, v4
	s_and_b64 s[46:47], vcc, exec
; %bb.1242:
	s_andn2_saveexec_b64 s[44:45], s[44:45]
; %bb.1243:
	v_cmp_ne_u16_e32 vcc, 0, v4
	s_andn2_b64 s[46:47], s[46:47], exec
	s_and_b64 s[48:49], vcc, exec
	s_or_b64 s[46:47], s[46:47], s[48:49]
; %bb.1244:
	s_or_b64 exec, exec, s[44:45]
	v_mov_b32_e32 v0, 0
	v_mov_b32_e32 v1, 0
	s_and_saveexec_b64 s[44:45], s[46:47]
	s_cbranch_execz .LBB62_1246
; %bb.1245:
	v_and_b32_e32 v1, 0xffff, v4
	v_lshlrev_b32_e32 v0, 24, v4
	v_and_b32_e32 v4, 3, v1
	v_ffbh_u32_e32 v7, v4
	v_min_u32_e32 v7, 32, v7
	v_subrev_u32_e32 v8, 29, v7
	v_bfe_u32 v5, v1, 2, 5
	v_lshlrev_b32_e32 v1, v8, v1
	v_sub_u32_e32 v7, 30, v7
	v_and_b32_e32 v1, 3, v1
	v_cmp_eq_u32_e32 vcc, 0, v5
	v_cndmask_b32_e32 v5, v5, v7, vcc
	v_cndmask_b32_e32 v1, v4, v1, vcc
	v_mov_b32_e32 v4, 0x37800000
	v_lshlrev_b32_e32 v1, 21, v1
	v_and_b32_e32 v0, 0x80000000, v0
	v_lshl_add_u32 v4, v5, 23, v4
	v_or3_b32 v0, v0, v4, v1
	v_trunc_f32_e32 v0, v0
	s_mov_b32 s46, 0x2f800000
	v_mul_f32_e64 v1, |v0|, s46
	v_floor_f32_e32 v1, v1
	s_mov_b32 s46, 0xcf800000
	v_fma_f32 v4, v1, s46, |v0|
	v_cvt_u32_f32_e32 v4, v4
	v_cvt_u32_f32_e32 v1, v1
	v_ashrrev_i32_e32 v5, 31, v0
	v_xor_b32_e32 v0, v4, v5
	v_xor_b32_e32 v1, v1, v5
	v_sub_co_u32_e32 v0, vcc, v0, v5
	v_subb_co_u32_e32 v1, vcc, v1, v5, vcc
.LBB62_1246:
	s_or_b64 exec, exec, s[44:45]
	s_mov_b64 s[44:45], 0
	s_branch .LBB62_1250
.LBB62_1247:
	s_mov_b64 s[44:45], -1
                                        ; implicit-def: $vgpr0_vgpr1
	s_branch .LBB62_1256
.LBB62_1248:
	s_mov_b64 s[44:45], -1
                                        ; implicit-def: $vgpr0_vgpr1
	s_branch .LBB62_1253
.LBB62_1249:
	s_mov_b64 s[44:45], -1
                                        ; implicit-def: $vgpr0_vgpr1
.LBB62_1250:
	s_and_b64 vcc, exec, s[44:45]
	s_cbranch_vccz .LBB62_1252
; %bb.1251:
	global_load_ubyte v0, v[2:3], off
	s_mov_b32 s44, 0x7f800000
	s_brev_b32 s45, 1
	s_mov_b32 s46, 0x2f800000
	s_mov_b32 s47, 0xcf800000
	s_waitcnt vmcnt(0)
	v_lshlrev_b32_e32 v0, 24, v0
	v_and_b32_e32 v1, 0x7f000000, v0
	v_ffbh_u32_e32 v4, v1
	v_min_u32_e32 v4, 32, v4
	v_sub_u32_e64 v4, v4, 4 clamp
	v_lshlrev_b32_e32 v7, v4, v1
	v_lshlrev_b32_e32 v4, 23, v4
	v_lshrrev_b32_e32 v7, 4, v7
	v_add_u32_e32 v5, 0x1000000, v1
	v_sub_u32_e32 v4, v7, v4
	v_ashrrev_i32_e32 v5, 8, v5
	v_add_u32_e32 v4, 0x3c000000, v4
	v_and_or_b32 v4, v5, s44, v4
	v_cmp_ne_u32_e32 vcc, 0, v1
	v_cndmask_b32_e32 v1, 0, v4, vcc
	v_and_or_b32 v0, v0, s45, v1
	v_trunc_f32_e32 v0, v0
	v_mul_f32_e64 v1, |v0|, s46
	v_floor_f32_e32 v1, v1
	v_fma_f32 v4, v1, s47, |v0|
	v_cvt_u32_f32_e32 v4, v4
	v_cvt_u32_f32_e32 v1, v1
	v_ashrrev_i32_e32 v5, 31, v0
	v_xor_b32_e32 v0, v4, v5
	v_xor_b32_e32 v1, v1, v5
	v_sub_co_u32_e32 v0, vcc, v0, v5
	v_subb_co_u32_e32 v1, vcc, v1, v5, vcc
.LBB62_1252:
	s_mov_b64 s[44:45], 0
.LBB62_1253:
	s_andn2_b64 vcc, exec, s[44:45]
	s_cbranch_vccnz .LBB62_1255
; %bb.1254:
	global_load_ubyte v0, v[2:3], off
	s_movk_i32 s44, 0x7f00
	s_brev_b32 s45, 16
	s_brev_b32 s46, 1
	s_mov_b32 s47, 0x2f800000
	s_mov_b32 s48, 0xcf800000
	s_waitcnt vmcnt(0)
	v_lshlrev_b16_e32 v1, 8, v0
	v_lshlrev_b32_e32 v0, 25, v0
	v_lshrrev_b32_e32 v4, 4, v0
	v_and_or_b32 v5, v1, s44, 0.5
	v_or_b32_e32 v4, 0x70000000, v4
	v_add_f32_e32 v5, -0.5, v5
	v_mul_f32_e32 v4, 0x7800000, v4
	v_cmp_gt_u32_e32 vcc, s45, v0
	v_bfe_i32 v1, v1, 0, 16
	v_cndmask_b32_e32 v0, v4, v5, vcc
	v_and_or_b32 v0, v1, s46, v0
	v_trunc_f32_e32 v0, v0
	v_mul_f32_e64 v1, |v0|, s47
	v_floor_f32_e32 v1, v1
	v_fma_f32 v4, v1, s48, |v0|
	v_cvt_u32_f32_e32 v4, v4
	v_cvt_u32_f32_e32 v1, v1
	v_ashrrev_i32_e32 v5, 31, v0
	v_xor_b32_e32 v0, v4, v5
	v_xor_b32_e32 v1, v1, v5
	v_sub_co_u32_e32 v0, vcc, v0, v5
	v_subb_co_u32_e32 v1, vcc, v1, v5, vcc
.LBB62_1255:
	s_mov_b64 s[44:45], 0
	s_mov_b64 s[46:47], -1
.LBB62_1256:
	s_andn2_b64 vcc, exec, s[44:45]
	s_mov_b64 s[44:45], 0
	s_cbranch_vccnz .LBB62_1265
; %bb.1257:
	s_cmp_gt_i32 s50, 14
	s_cbranch_scc0 .LBB62_1260
; %bb.1258:
	s_cmp_eq_u32 s50, 15
	s_cbranch_scc0 .LBB62_1261
; %bb.1259:
	global_load_ushort v0, v[2:3], off
	s_mov_b32 s42, 0x2f800000
	s_mov_b32 s43, 0xcf800000
	s_mov_b64 s[46:47], -1
	s_waitcnt vmcnt(0)
	v_lshlrev_b32_e32 v0, 16, v0
	v_trunc_f32_e32 v0, v0
	v_mul_f32_e64 v1, |v0|, s42
	v_floor_f32_e32 v1, v1
	v_fma_f32 v4, v1, s43, |v0|
	v_cvt_u32_f32_e32 v4, v4
	v_cvt_u32_f32_e32 v1, v1
	v_ashrrev_i32_e32 v5, 31, v0
	s_mov_b64 s[42:43], 0
	v_xor_b32_e32 v0, v4, v5
	v_xor_b32_e32 v1, v1, v5
	v_sub_co_u32_e32 v0, vcc, v0, v5
	v_subb_co_u32_e32 v1, vcc, v1, v5, vcc
	s_branch .LBB62_1262
.LBB62_1260:
	s_mov_b64 s[48:49], -1
                                        ; implicit-def: $vgpr0_vgpr1
	s_branch .LBB62_1263
.LBB62_1261:
	s_mov_b64 s[42:43], -1
                                        ; implicit-def: $vgpr0_vgpr1
.LBB62_1262:
	s_mov_b64 s[48:49], 0
.LBB62_1263:
	s_and_b64 vcc, exec, s[48:49]
	s_cbranch_vccz .LBB62_1265
; %bb.1264:
	s_cmp_lg_u32 s50, 11
	s_cselect_b64 s[48:49], -1, 0
	s_andn2_b64 s[42:43], s[42:43], exec
	s_and_b64 s[48:49], s[48:49], exec
	s_mov_b64 s[44:45], -1
	s_or_b64 s[42:43], s[42:43], s[48:49]
.LBB62_1265:
	s_mov_b64 s[48:49], 0
.LBB62_1266:
	s_and_b64 s[52:53], s[46:47], exec
	s_and_b64 s[46:47], s[44:45], exec
	s_andn2_b64 s[44:45], s[0:1], exec
	s_and_b64 s[42:43], s[42:43], exec
	s_and_b64 s[50:51], s[48:49], exec
	s_or_b64 s[48:49], s[44:45], s[42:43]
.LBB62_1267:
	s_or_b64 exec, exec, s[36:37]
	s_and_b64 s[42:43], s[46:47], exec
	s_andn2_b64 s[0:1], s[0:1], exec
	s_and_b64 s[46:47], s[48:49], exec
	s_and_b64 s[44:45], s[52:53], exec
	;; [unrolled: 1-line block ×3, first 2 shown]
	s_or_b64 s[0:1], s[0:1], s[46:47]
.LBB62_1268:
	s_or_b64 exec, exec, s[34:35]
	s_andn2_b64 s[28:29], s[28:29], exec
	s_and_b64 s[34:35], s[40:41], exec
	s_or_b64 s[28:29], s[28:29], s[34:35]
	s_andn2_b64 s[26:27], s[26:27], exec
	s_and_b64 s[34:35], s[38:39], exec
	s_andn2_b64 s[24:25], s[24:25], exec
	s_and_b64 s[0:1], s[0:1], exec
	s_or_b64 s[26:27], s[26:27], s[34:35]
	s_and_b64 s[38:39], s[44:45], exec
	s_and_b64 s[36:37], s[36:37], exec
	;; [unrolled: 1-line block ×3, first 2 shown]
	s_or_b64 s[24:25], s[24:25], s[0:1]
.LBB62_1269:
	s_or_b64 exec, exec, s[30:31]
	s_andn2_b64 s[0:1], s[16:17], exec
	s_and_b64 s[16:17], s[28:29], exec
	s_or_b64 s[16:17], s[0:1], s[16:17]
	s_andn2_b64 s[0:1], s[18:19], exec
	s_and_b64 s[18:19], s[26:27], exec
	s_or_b64 s[18:19], s[0:1], s[18:19]
	s_andn2_b64 s[0:1], s[20:21], exec
	s_and_b64 s[20:21], s[24:25], exec
	s_and_b64 s[28:29], s[38:39], exec
	;; [unrolled: 1-line block ×4, first 2 shown]
	s_or_b64 s[20:21], s[0:1], s[20:21]
	s_or_b64 exec, exec, s[22:23]
	s_mov_b64 s[22:23], 0
	s_and_saveexec_b64 s[0:1], s[20:21]
	s_cbranch_execz .LBB62_401
.LBB62_1270:
	s_mov_b64 s[22:23], exec
	s_andn2_b64 s[26:27], s[26:27], exec
	s_trap 2
	s_or_b64 exec, exec, s[0:1]
	s_and_saveexec_b64 s[0:1], s[26:27]
	s_xor_b64 s[0:1], exec, s[0:1]
	s_cbranch_execnz .LBB62_402
.LBB62_1271:
	s_or_b64 exec, exec, s[0:1]
	s_and_saveexec_b64 s[0:1], s[30:31]
	s_cbranch_execz .LBB62_1317
.LBB62_1272:
	s_sext_i32_i16 s20, s56
	s_cmp_lt_i32 s20, 5
	s_cbranch_scc1 .LBB62_1277
; %bb.1273:
	s_cmp_lt_i32 s20, 8
	s_cbranch_scc1 .LBB62_1278
; %bb.1274:
	s_cmp_lt_i32 s20, 9
	s_cbranch_scc1 .LBB62_1279
; %bb.1275:
	s_cmp_gt_i32 s20, 9
	s_cbranch_scc0 .LBB62_1280
; %bb.1276:
	global_load_dwordx2 v[0:1], v[2:3], off
	s_movk_i32 s20, 0xffe0
	s_waitcnt vmcnt(0)
	v_trunc_f64_e32 v[0:1], v[0:1]
	v_ldexp_f64 v[4:5], v[0:1], s20
	s_mov_b32 s20, 0
	s_mov_b32 s21, 0xc1f00000
	v_floor_f64_e32 v[4:5], v[4:5]
	v_fma_f64 v[7:8], v[4:5], s[20:21], v[0:1]
	v_cvt_i32_f64_e32 v1, v[4:5]
	s_mov_b64 s[20:21], 0
	v_cvt_u32_f64_e32 v0, v[7:8]
	s_branch .LBB62_1281
.LBB62_1277:
                                        ; implicit-def: $vgpr0_vgpr1
	s_branch .LBB62_1298
.LBB62_1278:
                                        ; implicit-def: $vgpr0_vgpr1
	s_branch .LBB62_1287
.LBB62_1279:
	s_mov_b64 s[20:21], -1
                                        ; implicit-def: $vgpr0_vgpr1
	s_branch .LBB62_1284
.LBB62_1280:
	s_mov_b64 s[20:21], -1
                                        ; implicit-def: $vgpr0_vgpr1
.LBB62_1281:
	s_andn2_b64 vcc, exec, s[20:21]
	s_cbranch_vccnz .LBB62_1283
; %bb.1282:
	global_load_dword v0, v[2:3], off
	s_mov_b32 s20, 0x2f800000
	s_mov_b32 s21, 0xcf800000
	s_waitcnt vmcnt(0)
	v_trunc_f32_e32 v0, v0
	v_mul_f32_e64 v1, |v0|, s20
	v_floor_f32_e32 v1, v1
	v_cvt_u32_f32_e32 v4, v1
	v_fma_f32 v1, v1, s21, |v0|
	v_cvt_u32_f32_e32 v1, v1
	v_ashrrev_i32_e32 v5, 31, v0
	v_xor_b32_e32 v4, v4, v5
	v_xor_b32_e32 v0, v1, v5
	v_sub_co_u32_e32 v0, vcc, v0, v5
	v_subb_co_u32_e32 v1, vcc, v4, v5, vcc
.LBB62_1283:
	s_mov_b64 s[20:21], 0
.LBB62_1284:
	s_andn2_b64 vcc, exec, s[20:21]
	s_cbranch_vccnz .LBB62_1286
; %bb.1285:
	global_load_dword v0, v[2:3], off
	s_waitcnt vmcnt(0)
	v_cvt_f32_f16_e32 v0, v0
	v_cvt_i32_f32_e32 v0, v0
	v_ashrrev_i32_e32 v1, 31, v0
.LBB62_1286:
	s_cbranch_execnz .LBB62_1297
.LBB62_1287:
	s_sext_i32_i16 s20, s56
	s_cmp_lt_i32 s20, 6
	s_cbranch_scc1 .LBB62_1290
; %bb.1288:
	s_cmp_gt_i32 s20, 6
	s_cbranch_scc0 .LBB62_1291
; %bb.1289:
	global_load_dwordx2 v[0:1], v[2:3], off
	s_movk_i32 s20, 0xffe0
	s_waitcnt vmcnt(0)
	v_trunc_f64_e32 v[0:1], v[0:1]
	v_ldexp_f64 v[4:5], v[0:1], s20
	s_mov_b32 s20, 0
	s_mov_b32 s21, 0xc1f00000
	v_floor_f64_e32 v[4:5], v[4:5]
	v_fma_f64 v[7:8], v[4:5], s[20:21], v[0:1]
	v_cvt_i32_f64_e32 v1, v[4:5]
	s_mov_b64 s[20:21], 0
	v_cvt_u32_f64_e32 v0, v[7:8]
	s_branch .LBB62_1292
.LBB62_1290:
	s_mov_b64 s[20:21], -1
                                        ; implicit-def: $vgpr0_vgpr1
	s_branch .LBB62_1295
.LBB62_1291:
	s_mov_b64 s[20:21], -1
                                        ; implicit-def: $vgpr0_vgpr1
.LBB62_1292:
	s_andn2_b64 vcc, exec, s[20:21]
	s_cbranch_vccnz .LBB62_1294
; %bb.1293:
	global_load_dword v0, v[2:3], off
	s_mov_b32 s20, 0x2f800000
	s_mov_b32 s21, 0xcf800000
	s_waitcnt vmcnt(0)
	v_trunc_f32_e32 v0, v0
	v_mul_f32_e64 v1, |v0|, s20
	v_floor_f32_e32 v1, v1
	v_cvt_u32_f32_e32 v4, v1
	v_fma_f32 v1, v1, s21, |v0|
	v_cvt_u32_f32_e32 v1, v1
	v_ashrrev_i32_e32 v5, 31, v0
	v_xor_b32_e32 v4, v4, v5
	v_xor_b32_e32 v0, v1, v5
	v_sub_co_u32_e32 v0, vcc, v0, v5
	v_subb_co_u32_e32 v1, vcc, v4, v5, vcc
.LBB62_1294:
	s_mov_b64 s[20:21], 0
.LBB62_1295:
	s_andn2_b64 vcc, exec, s[20:21]
	s_cbranch_vccnz .LBB62_1297
; %bb.1296:
	global_load_ushort v0, v[2:3], off
	s_waitcnt vmcnt(0)
	v_cvt_f32_f16_e32 v0, v0
	v_cvt_i32_f32_e32 v0, v0
	v_ashrrev_i32_e32 v1, 31, v0
.LBB62_1297:
	s_cbranch_execnz .LBB62_1316
.LBB62_1298:
	s_sext_i32_i16 s20, s56
	s_cmp_lt_i32 s20, 2
	s_cbranch_scc1 .LBB62_1302
; %bb.1299:
	s_cmp_lt_i32 s20, 3
	s_cbranch_scc1 .LBB62_1303
; %bb.1300:
	s_cmp_gt_i32 s20, 3
	s_cbranch_scc0 .LBB62_1304
; %bb.1301:
	global_load_dwordx2 v[0:1], v[2:3], off
	s_mov_b64 s[20:21], 0
	s_branch .LBB62_1305
.LBB62_1302:
                                        ; implicit-def: $vgpr0_vgpr1
	s_branch .LBB62_1311
.LBB62_1303:
	s_mov_b64 s[20:21], -1
                                        ; implicit-def: $vgpr0_vgpr1
	s_branch .LBB62_1308
.LBB62_1304:
	s_mov_b64 s[20:21], -1
                                        ; implicit-def: $vgpr0_vgpr1
.LBB62_1305:
	s_andn2_b64 vcc, exec, s[20:21]
	s_cbranch_vccnz .LBB62_1307
; %bb.1306:
	global_load_dword v0, v[2:3], off
	s_waitcnt vmcnt(0)
	v_ashrrev_i32_e32 v1, 31, v0
.LBB62_1307:
	s_mov_b64 s[20:21], 0
.LBB62_1308:
	s_andn2_b64 vcc, exec, s[20:21]
	s_cbranch_vccnz .LBB62_1310
; %bb.1309:
	global_load_ushort v0, v[2:3], off
	s_waitcnt vmcnt(0)
	v_bfe_i32 v0, v0, 0, 16
	v_ashrrev_i32_e32 v1, 31, v0
.LBB62_1310:
	s_cbranch_execnz .LBB62_1316
.LBB62_1311:
	s_sext_i32_i16 s20, s56
	s_cmp_gt_i32 s20, 0
	s_cbranch_scc0 .LBB62_1313
; %bb.1312:
	global_load_sbyte v0, v[2:3], off
	s_mov_b64 s[20:21], 0
	s_waitcnt vmcnt(0)
	v_bfe_i32 v0, v0, 0, 16
	v_ashrrev_i32_e32 v1, 31, v0
	s_branch .LBB62_1314
.LBB62_1313:
	s_mov_b64 s[20:21], -1
                                        ; implicit-def: $vgpr0_vgpr1
.LBB62_1314:
	s_andn2_b64 vcc, exec, s[20:21]
	s_cbranch_vccnz .LBB62_1316
; %bb.1315:
	global_load_ubyte v0, v[2:3], off
	s_mov_b32 s20, 0
	s_waitcnt vmcnt(1)
	v_mov_b32_e32 v1, s20
	s_waitcnt vmcnt(0)
	v_and_b32_e32 v0, 0xffff, v0
.LBB62_1316:
	s_or_b64 s[28:29], s[28:29], exec
.LBB62_1317:
	s_or_b64 exec, exec, s[0:1]
	s_mov_b64 s[26:27], 0
	s_mov_b64 s[30:31], 0
	;; [unrolled: 1-line block ×3, first 2 shown]
                                        ; implicit-def: $sgpr34
                                        ; implicit-def: $vgpr2_vgpr3
                                        ; implicit-def: $vgpr4_vgpr5
	s_and_saveexec_b64 s[0:1], s[28:29]
	s_cbranch_execz .LBB62_1325
; %bb.1318:
	v_mul_lo_u32 v2, v6, s14
	v_mov_b32_e32 v3, s3
	s_and_b32 s34, s54, 0xff
	s_cmp_lt_i32 s34, 11
	s_waitcnt vmcnt(0)
	v_ashrrev_i32_e32 v4, 31, v2
	v_add_co_u32_e32 v2, vcc, s2, v2
	v_addc_co_u32_e32 v3, vcc, v3, v4, vcc
	s_cbranch_scc1 .LBB62_1328
; %bb.1319:
	s_and_b32 s30, 0xffff, s34
	s_cmp_gt_i32 s30, 25
	s_cbranch_scc0 .LBB62_1329
; %bb.1320:
	s_cmp_gt_i32 s30, 28
	s_cbranch_scc0 .LBB62_1330
; %bb.1321:
	;; [unrolled: 3-line block ×4, first 2 shown]
	s_cmp_eq_u32 s30, 46
	s_mov_b64 s[28:29], 0
	s_cbranch_scc0 .LBB62_1333
; %bb.1324:
	global_load_dword v4, v[2:3], off
	s_mov_b32 s20, 0x2f800000
	s_mov_b32 s21, 0xcf800000
	s_mov_b64 s[24:25], -1
	s_waitcnt vmcnt(0)
	v_lshlrev_b32_e32 v4, 16, v4
	v_trunc_f32_e32 v4, v4
	v_mul_f32_e64 v5, |v4|, s20
	v_floor_f32_e32 v5, v5
	v_fma_f32 v7, v5, s21, |v4|
	v_cvt_u32_f32_e32 v7, v7
	v_cvt_u32_f32_e32 v5, v5
	v_ashrrev_i32_e32 v8, 31, v4
	s_mov_b64 s[20:21], 0
	v_xor_b32_e32 v4, v7, v8
	v_xor_b32_e32 v5, v5, v8
	v_sub_co_u32_e32 v4, vcc, v4, v8
	v_subb_co_u32_e32 v5, vcc, v5, v8, vcc
	s_branch .LBB62_1335
.LBB62_1325:
	s_or_b64 exec, exec, s[0:1]
	s_and_saveexec_b64 s[0:1], s[18:19]
	s_cbranch_execnz .LBB62_1394
.LBB62_1326:
	s_or_b64 exec, exec, s[0:1]
	s_and_saveexec_b64 s[0:1], s[26:27]
	s_xor_b64 s[0:1], exec, s[0:1]
	s_cbranch_execz .LBB62_1395
.LBB62_1327:
	global_load_ubyte v4, v[2:3], off
	s_mov_b32 s18, 0
	s_waitcnt vmcnt(1)
	v_mov_b32_e32 v5, s18
	s_or_b64 s[24:25], s[24:25], exec
	s_waitcnt vmcnt(0)
	v_cmp_ne_u16_e32 vcc, 0, v4
	v_cndmask_b32_e64 v4, 0, 1, vcc
	s_or_b64 exec, exec, s[0:1]
	s_and_saveexec_b64 s[0:1], s[30:31]
	s_cbranch_execz .LBB62_1441
	s_branch .LBB62_1396
.LBB62_1328:
	s_mov_b64 s[28:29], -1
                                        ; implicit-def: $vgpr4_vgpr5
	s_mov_b64 s[20:21], s[18:19]
	s_branch .LBB62_1393
.LBB62_1329:
	s_mov_b64 s[20:21], s[18:19]
                                        ; implicit-def: $vgpr4_vgpr5
	s_cbranch_execnz .LBB62_1364
	s_branch .LBB62_1392
.LBB62_1330:
	s_mov_b64 s[28:29], -1
	s_mov_b64 s[20:21], s[18:19]
                                        ; implicit-def: $vgpr4_vgpr5
	s_branch .LBB62_1345
.LBB62_1331:
	s_mov_b64 s[28:29], -1
	s_mov_b64 s[20:21], s[18:19]
                                        ; implicit-def: $vgpr4_vgpr5
	s_branch .LBB62_1340
.LBB62_1332:
	s_mov_b64 s[28:29], -1
	s_mov_b64 s[20:21], s[18:19]
	s_branch .LBB62_1334
.LBB62_1333:
	s_mov_b64 s[20:21], -1
.LBB62_1334:
                                        ; implicit-def: $vgpr4_vgpr5
.LBB62_1335:
	s_and_b64 vcc, exec, s[28:29]
	s_cbranch_vccz .LBB62_1339
; %bb.1336:
	s_cmp_eq_u32 s30, 44
	s_cbranch_scc0 .LBB62_1338
; %bb.1337:
	global_load_ubyte v4, v[2:3], off
	s_mov_b32 s20, 0x2f800000
	s_mov_b32 s21, 0xcf800000
	s_mov_b64 s[24:25], -1
	s_waitcnt vmcnt(0)
	v_lshlrev_b32_e32 v5, 23, v4
	v_trunc_f32_e32 v5, v5
	v_mul_f32_e64 v7, |v5|, s20
	v_floor_f32_e32 v7, v7
	v_fma_f32 v8, v7, s21, |v5|
	v_cvt_u32_f32_e32 v8, v8
	v_cvt_u32_f32_e32 v7, v7
	v_ashrrev_i32_e32 v5, 31, v5
	s_mov_b64 s[20:21], 0
	v_xor_b32_e32 v8, v8, v5
	v_xor_b32_e32 v7, v7, v5
	v_sub_co_u32_e32 v8, vcc, v8, v5
	v_subb_co_u32_e32 v5, vcc, v7, v5, vcc
	v_cmp_ne_u32_e32 vcc, 0, v4
	v_cndmask_b32_e32 v5, 0, v5, vcc
	v_cndmask_b32_e32 v4, 0, v8, vcc
	s_branch .LBB62_1339
.LBB62_1338:
	s_mov_b64 s[20:21], -1
                                        ; implicit-def: $vgpr4_vgpr5
.LBB62_1339:
	s_mov_b64 s[28:29], 0
.LBB62_1340:
	s_and_b64 vcc, exec, s[28:29]
	s_cbranch_vccz .LBB62_1344
; %bb.1341:
	s_cmp_eq_u32 s30, 29
	s_cbranch_scc0 .LBB62_1343
; %bb.1342:
	global_load_dwordx2 v[4:5], v[2:3], off
	s_mov_b64 s[20:21], 0
	s_mov_b64 s[24:25], -1
	s_branch .LBB62_1344
.LBB62_1343:
	s_mov_b64 s[20:21], -1
                                        ; implicit-def: $vgpr4_vgpr5
.LBB62_1344:
	s_mov_b64 s[28:29], 0
.LBB62_1345:
	s_and_b64 vcc, exec, s[28:29]
	s_cbranch_vccz .LBB62_1363
; %bb.1346:
	s_cmp_lt_i32 s30, 27
	s_cbranch_scc1 .LBB62_1349
; %bb.1347:
	s_cmp_gt_i32 s30, 27
	s_cbranch_scc0 .LBB62_1350
; %bb.1348:
	global_load_dword v4, v[2:3], off
	s_waitcnt vmcnt(1)
	v_mov_b32_e32 v5, 0
	s_mov_b64 s[24:25], 0
	s_branch .LBB62_1351
.LBB62_1349:
	s_mov_b64 s[24:25], -1
                                        ; implicit-def: $vgpr4_vgpr5
	s_branch .LBB62_1354
.LBB62_1350:
	s_mov_b64 s[24:25], -1
                                        ; implicit-def: $vgpr4_vgpr5
.LBB62_1351:
	s_andn2_b64 vcc, exec, s[24:25]
	s_cbranch_vccnz .LBB62_1353
; %bb.1352:
	global_load_ushort v4, v[2:3], off
	s_mov_b32 s24, 0
	s_waitcnt vmcnt(1)
	v_mov_b32_e32 v5, s24
	s_waitcnt vmcnt(0)
	v_and_b32_e32 v4, 0xffff, v4
.LBB62_1353:
	s_mov_b64 s[24:25], 0
.LBB62_1354:
	s_andn2_b64 vcc, exec, s[24:25]
	s_cbranch_vccnz .LBB62_1362
; %bb.1355:
	global_load_ubyte v7, v[2:3], off
	s_movk_i32 s24, 0x7f
	s_mov_b64 s[28:29], 0
	s_waitcnt vmcnt(0)
	v_cmp_lt_i16_e32 vcc, s24, v7
	s_and_saveexec_b64 s[24:25], vcc
	s_xor_b64 s[24:25], exec, s[24:25]
; %bb.1356:
	s_movk_i32 s28, 0x80
	v_cmp_ne_u16_e32 vcc, s28, v7
	s_and_b64 s[28:29], vcc, exec
; %bb.1357:
	s_andn2_saveexec_b64 s[24:25], s[24:25]
; %bb.1358:
	v_cmp_ne_u16_e32 vcc, 0, v7
	s_andn2_b64 s[28:29], s[28:29], exec
	s_and_b64 s[36:37], vcc, exec
	s_or_b64 s[28:29], s[28:29], s[36:37]
; %bb.1359:
	s_or_b64 exec, exec, s[24:25]
	v_mov_b32_e32 v4, 0
	v_mov_b32_e32 v5, 0
	s_and_saveexec_b64 s[24:25], s[28:29]
	s_cbranch_execz .LBB62_1361
; %bb.1360:
	v_and_b32_e32 v5, 0xffff, v7
	v_lshlrev_b32_e32 v4, 24, v7
	v_and_b32_e32 v7, 7, v5
	v_ffbh_u32_e32 v9, v7
	v_min_u32_e32 v9, 32, v9
	v_subrev_u32_e32 v10, 28, v9
	v_bfe_u32 v8, v5, 3, 4
	v_lshlrev_b32_e32 v5, v10, v5
	v_sub_u32_e32 v9, 29, v9
	v_and_b32_e32 v5, 7, v5
	v_cmp_eq_u32_e32 vcc, 0, v8
	v_cndmask_b32_e32 v8, v8, v9, vcc
	v_cndmask_b32_e32 v5, v7, v5, vcc
	v_mov_b32_e32 v7, 0x3b800000
	v_lshlrev_b32_e32 v5, 20, v5
	v_and_b32_e32 v4, 0x80000000, v4
	v_lshl_add_u32 v7, v8, 23, v7
	v_or3_b32 v4, v4, v7, v5
	v_trunc_f32_e32 v4, v4
	s_mov_b32 s28, 0x2f800000
	v_mul_f32_e64 v5, |v4|, s28
	v_floor_f32_e32 v5, v5
	s_mov_b32 s28, 0xcf800000
	v_fma_f32 v7, v5, s28, |v4|
	v_cvt_u32_f32_e32 v7, v7
	v_cvt_u32_f32_e32 v5, v5
	v_ashrrev_i32_e32 v8, 31, v4
	v_xor_b32_e32 v4, v7, v8
	v_xor_b32_e32 v5, v5, v8
	v_sub_co_u32_e32 v4, vcc, v4, v8
	v_subb_co_u32_e32 v5, vcc, v5, v8, vcc
.LBB62_1361:
	s_or_b64 exec, exec, s[24:25]
.LBB62_1362:
	s_mov_b64 s[24:25], -1
.LBB62_1363:
	s_branch .LBB62_1392
.LBB62_1364:
	s_cmp_gt_i32 s30, 22
	s_cbranch_scc0 .LBB62_1374
; %bb.1365:
	s_cmp_lt_i32 s30, 24
	s_cbranch_scc1 .LBB62_1375
; %bb.1366:
	s_cmp_gt_i32 s30, 24
	s_cbranch_scc0 .LBB62_1376
; %bb.1367:
	global_load_ubyte v7, v[2:3], off
	s_movk_i32 s24, 0x7f
	s_waitcnt vmcnt(0)
	v_cmp_lt_i16_e32 vcc, s24, v7
	s_and_saveexec_b64 s[24:25], vcc
	s_xor_b64 s[24:25], exec, s[24:25]
; %bb.1368:
	s_movk_i32 s26, 0x80
	v_cmp_ne_u16_e32 vcc, s26, v7
	s_and_b64 s[26:27], vcc, exec
; %bb.1369:
	s_andn2_saveexec_b64 s[24:25], s[24:25]
; %bb.1370:
	v_cmp_ne_u16_e32 vcc, 0, v7
	s_andn2_b64 s[26:27], s[26:27], exec
	s_and_b64 s[28:29], vcc, exec
	s_or_b64 s[26:27], s[26:27], s[28:29]
; %bb.1371:
	s_or_b64 exec, exec, s[24:25]
	v_mov_b32_e32 v4, 0
	v_mov_b32_e32 v5, 0
	s_and_saveexec_b64 s[24:25], s[26:27]
	s_cbranch_execz .LBB62_1373
; %bb.1372:
	v_and_b32_e32 v5, 0xffff, v7
	v_lshlrev_b32_e32 v4, 24, v7
	v_and_b32_e32 v7, 3, v5
	v_ffbh_u32_e32 v9, v7
	v_min_u32_e32 v9, 32, v9
	v_subrev_u32_e32 v10, 29, v9
	v_bfe_u32 v8, v5, 2, 5
	v_lshlrev_b32_e32 v5, v10, v5
	v_sub_u32_e32 v9, 30, v9
	v_and_b32_e32 v5, 3, v5
	v_cmp_eq_u32_e32 vcc, 0, v8
	v_cndmask_b32_e32 v8, v8, v9, vcc
	v_cndmask_b32_e32 v5, v7, v5, vcc
	v_mov_b32_e32 v7, 0x37800000
	v_lshlrev_b32_e32 v5, 21, v5
	v_and_b32_e32 v4, 0x80000000, v4
	v_lshl_add_u32 v7, v8, 23, v7
	v_or3_b32 v4, v4, v7, v5
	v_trunc_f32_e32 v4, v4
	s_mov_b32 s26, 0x2f800000
	v_mul_f32_e64 v5, |v4|, s26
	v_floor_f32_e32 v5, v5
	s_mov_b32 s26, 0xcf800000
	v_fma_f32 v7, v5, s26, |v4|
	v_cvt_u32_f32_e32 v7, v7
	v_cvt_u32_f32_e32 v5, v5
	v_ashrrev_i32_e32 v8, 31, v4
	v_xor_b32_e32 v4, v7, v8
	v_xor_b32_e32 v5, v5, v8
	v_sub_co_u32_e32 v4, vcc, v4, v8
	v_subb_co_u32_e32 v5, vcc, v5, v8, vcc
.LBB62_1373:
	s_or_b64 exec, exec, s[24:25]
	s_mov_b64 s[24:25], 0
	s_branch .LBB62_1377
.LBB62_1374:
	s_mov_b64 s[26:27], -1
                                        ; implicit-def: $vgpr4_vgpr5
	s_branch .LBB62_1383
.LBB62_1375:
	s_mov_b64 s[24:25], -1
                                        ; implicit-def: $vgpr4_vgpr5
	s_branch .LBB62_1380
.LBB62_1376:
	s_mov_b64 s[24:25], -1
                                        ; implicit-def: $vgpr4_vgpr5
.LBB62_1377:
	s_and_b64 vcc, exec, s[24:25]
	s_cbranch_vccz .LBB62_1379
; %bb.1378:
	global_load_ubyte v4, v[2:3], off
	s_mov_b32 s24, 0x7f800000
	s_brev_b32 s25, 1
	s_mov_b32 s26, 0x2f800000
	s_mov_b32 s27, 0xcf800000
	s_waitcnt vmcnt(0)
	v_lshlrev_b32_e32 v4, 24, v4
	v_and_b32_e32 v5, 0x7f000000, v4
	v_ffbh_u32_e32 v7, v5
	v_min_u32_e32 v7, 32, v7
	v_sub_u32_e64 v7, v7, 4 clamp
	v_lshlrev_b32_e32 v9, v7, v5
	v_lshlrev_b32_e32 v7, 23, v7
	v_lshrrev_b32_e32 v9, 4, v9
	v_add_u32_e32 v8, 0x1000000, v5
	v_sub_u32_e32 v7, v9, v7
	v_ashrrev_i32_e32 v8, 8, v8
	v_add_u32_e32 v7, 0x3c000000, v7
	v_and_or_b32 v7, v8, s24, v7
	v_cmp_ne_u32_e32 vcc, 0, v5
	v_cndmask_b32_e32 v5, 0, v7, vcc
	v_and_or_b32 v4, v4, s25, v5
	v_trunc_f32_e32 v4, v4
	v_mul_f32_e64 v5, |v4|, s26
	v_floor_f32_e32 v5, v5
	v_fma_f32 v7, v5, s27, |v4|
	v_cvt_u32_f32_e32 v7, v7
	v_cvt_u32_f32_e32 v5, v5
	v_ashrrev_i32_e32 v8, 31, v4
	v_xor_b32_e32 v4, v7, v8
	v_xor_b32_e32 v5, v5, v8
	v_sub_co_u32_e32 v4, vcc, v4, v8
	v_subb_co_u32_e32 v5, vcc, v5, v8, vcc
.LBB62_1379:
	s_mov_b64 s[24:25], 0
.LBB62_1380:
	s_andn2_b64 vcc, exec, s[24:25]
	s_cbranch_vccnz .LBB62_1382
; %bb.1381:
	global_load_ubyte v4, v[2:3], off
	s_movk_i32 s24, 0x7f00
	s_brev_b32 s25, 16
	s_brev_b32 s26, 1
	s_mov_b32 s27, 0x2f800000
	s_mov_b32 s28, 0xcf800000
	s_waitcnt vmcnt(0)
	v_lshlrev_b16_e32 v5, 8, v4
	v_lshlrev_b32_e32 v4, 25, v4
	v_lshrrev_b32_e32 v7, 4, v4
	v_and_or_b32 v8, v5, s24, 0.5
	v_or_b32_e32 v7, 0x70000000, v7
	v_add_f32_e32 v8, -0.5, v8
	v_mul_f32_e32 v7, 0x7800000, v7
	v_cmp_gt_u32_e32 vcc, s25, v4
	v_bfe_i32 v5, v5, 0, 16
	v_cndmask_b32_e32 v4, v7, v8, vcc
	v_and_or_b32 v4, v5, s26, v4
	v_trunc_f32_e32 v4, v4
	v_mul_f32_e64 v5, |v4|, s27
	v_floor_f32_e32 v5, v5
	v_fma_f32 v7, v5, s28, |v4|
	v_cvt_u32_f32_e32 v7, v7
	v_cvt_u32_f32_e32 v5, v5
	v_ashrrev_i32_e32 v8, 31, v4
	v_xor_b32_e32 v4, v7, v8
	v_xor_b32_e32 v5, v5, v8
	v_sub_co_u32_e32 v4, vcc, v4, v8
	v_subb_co_u32_e32 v5, vcc, v5, v8, vcc
.LBB62_1382:
	s_mov_b64 s[26:27], 0
	s_mov_b64 s[24:25], -1
.LBB62_1383:
	s_andn2_b64 vcc, exec, s[26:27]
	s_mov_b64 s[26:27], 0
	s_cbranch_vccnz .LBB62_1392
; %bb.1384:
	s_cmp_gt_i32 s30, 14
	s_cbranch_scc0 .LBB62_1387
; %bb.1385:
	s_cmp_eq_u32 s30, 15
	s_cbranch_scc0 .LBB62_1388
; %bb.1386:
	global_load_ushort v4, v[2:3], off
	s_mov_b32 s20, 0x2f800000
	s_mov_b32 s21, 0xcf800000
	s_mov_b64 s[24:25], -1
	s_waitcnt vmcnt(0)
	v_lshlrev_b32_e32 v4, 16, v4
	v_trunc_f32_e32 v4, v4
	v_mul_f32_e64 v5, |v4|, s20
	v_floor_f32_e32 v5, v5
	v_fma_f32 v7, v5, s21, |v4|
	v_cvt_u32_f32_e32 v7, v7
	v_cvt_u32_f32_e32 v5, v5
	v_ashrrev_i32_e32 v8, 31, v4
	s_mov_b64 s[20:21], 0
	v_xor_b32_e32 v4, v7, v8
	v_xor_b32_e32 v5, v5, v8
	v_sub_co_u32_e32 v4, vcc, v4, v8
	v_subb_co_u32_e32 v5, vcc, v5, v8, vcc
	s_branch .LBB62_1389
.LBB62_1387:
	s_mov_b64 s[28:29], -1
                                        ; implicit-def: $vgpr4_vgpr5
	s_branch .LBB62_1390
.LBB62_1388:
	s_mov_b64 s[20:21], -1
                                        ; implicit-def: $vgpr4_vgpr5
.LBB62_1389:
	s_mov_b64 s[28:29], 0
.LBB62_1390:
	s_and_b64 vcc, exec, s[28:29]
	s_cbranch_vccz .LBB62_1392
; %bb.1391:
	s_cmp_lg_u32 s30, 11
	s_cselect_b64 s[28:29], -1, 0
	s_andn2_b64 s[20:21], s[20:21], exec
	s_and_b64 s[28:29], s[28:29], exec
	s_mov_b64 s[26:27], -1
	s_or_b64 s[20:21], s[20:21], s[28:29]
.LBB62_1392:
	s_mov_b64 s[28:29], 0
.LBB62_1393:
	s_andn2_b64 s[18:19], s[18:19], exec
	s_and_b64 s[20:21], s[20:21], exec
	s_and_b64 s[24:25], s[24:25], exec
	;; [unrolled: 1-line block ×4, first 2 shown]
	s_or_b64 s[18:19], s[18:19], s[20:21]
	s_or_b64 exec, exec, s[0:1]
	s_and_saveexec_b64 s[0:1], s[18:19]
	s_cbranch_execz .LBB62_1326
.LBB62_1394:
	s_or_b64 s[22:23], s[22:23], exec
	s_andn2_b64 s[26:27], s[26:27], exec
	s_trap 2
	s_or_b64 exec, exec, s[0:1]
	s_and_saveexec_b64 s[0:1], s[26:27]
	s_xor_b64 s[0:1], exec, s[0:1]
	s_cbranch_execnz .LBB62_1327
.LBB62_1395:
	s_or_b64 exec, exec, s[0:1]
	s_and_saveexec_b64 s[0:1], s[30:31]
	s_cbranch_execz .LBB62_1441
.LBB62_1396:
	s_sext_i32_i16 s18, s34
	s_cmp_lt_i32 s18, 5
	s_cbranch_scc1 .LBB62_1401
; %bb.1397:
	s_cmp_lt_i32 s18, 8
	s_cbranch_scc1 .LBB62_1402
; %bb.1398:
	;; [unrolled: 3-line block ×3, first 2 shown]
	s_cmp_gt_i32 s18, 9
	s_cbranch_scc0 .LBB62_1404
; %bb.1400:
	global_load_dwordx2 v[4:5], v[2:3], off
	s_movk_i32 s18, 0xffe0
	s_waitcnt vmcnt(0)
	v_trunc_f64_e32 v[4:5], v[4:5]
	v_ldexp_f64 v[7:8], v[4:5], s18
	s_mov_b32 s18, 0
	s_mov_b32 s19, 0xc1f00000
	v_floor_f64_e32 v[7:8], v[7:8]
	v_fma_f64 v[9:10], v[7:8], s[18:19], v[4:5]
	v_cvt_i32_f64_e32 v5, v[7:8]
	s_mov_b64 s[18:19], 0
	v_cvt_u32_f64_e32 v4, v[9:10]
	s_branch .LBB62_1405
.LBB62_1401:
                                        ; implicit-def: $vgpr4_vgpr5
	s_branch .LBB62_1422
.LBB62_1402:
                                        ; implicit-def: $vgpr4_vgpr5
	s_branch .LBB62_1411
.LBB62_1403:
	s_mov_b64 s[18:19], -1
                                        ; implicit-def: $vgpr4_vgpr5
	s_branch .LBB62_1408
.LBB62_1404:
	s_mov_b64 s[18:19], -1
                                        ; implicit-def: $vgpr4_vgpr5
.LBB62_1405:
	s_andn2_b64 vcc, exec, s[18:19]
	s_cbranch_vccnz .LBB62_1407
; %bb.1406:
	global_load_dword v4, v[2:3], off
	s_mov_b32 s18, 0x2f800000
	s_mov_b32 s19, 0xcf800000
	s_waitcnt vmcnt(0)
	v_trunc_f32_e32 v4, v4
	v_mul_f32_e64 v5, |v4|, s18
	v_floor_f32_e32 v5, v5
	v_cvt_u32_f32_e32 v7, v5
	v_fma_f32 v5, v5, s19, |v4|
	v_cvt_u32_f32_e32 v5, v5
	v_ashrrev_i32_e32 v8, 31, v4
	v_xor_b32_e32 v7, v7, v8
	v_xor_b32_e32 v4, v5, v8
	v_sub_co_u32_e32 v4, vcc, v4, v8
	v_subb_co_u32_e32 v5, vcc, v7, v8, vcc
.LBB62_1407:
	s_mov_b64 s[18:19], 0
.LBB62_1408:
	s_andn2_b64 vcc, exec, s[18:19]
	s_cbranch_vccnz .LBB62_1410
; %bb.1409:
	global_load_dword v4, v[2:3], off
	s_waitcnt vmcnt(0)
	v_cvt_f32_f16_e32 v4, v4
	v_cvt_i32_f32_e32 v4, v4
	v_ashrrev_i32_e32 v5, 31, v4
.LBB62_1410:
	s_cbranch_execnz .LBB62_1421
.LBB62_1411:
	s_sext_i32_i16 s18, s34
	s_cmp_lt_i32 s18, 6
	s_cbranch_scc1 .LBB62_1414
; %bb.1412:
	s_cmp_gt_i32 s18, 6
	s_cbranch_scc0 .LBB62_1415
; %bb.1413:
	global_load_dwordx2 v[4:5], v[2:3], off
	s_movk_i32 s18, 0xffe0
	s_waitcnt vmcnt(0)
	v_trunc_f64_e32 v[4:5], v[4:5]
	v_ldexp_f64 v[7:8], v[4:5], s18
	s_mov_b32 s18, 0
	s_mov_b32 s19, 0xc1f00000
	v_floor_f64_e32 v[7:8], v[7:8]
	v_fma_f64 v[9:10], v[7:8], s[18:19], v[4:5]
	v_cvt_i32_f64_e32 v5, v[7:8]
	s_mov_b64 s[18:19], 0
	v_cvt_u32_f64_e32 v4, v[9:10]
	s_branch .LBB62_1416
.LBB62_1414:
	s_mov_b64 s[18:19], -1
                                        ; implicit-def: $vgpr4_vgpr5
	s_branch .LBB62_1419
.LBB62_1415:
	s_mov_b64 s[18:19], -1
                                        ; implicit-def: $vgpr4_vgpr5
.LBB62_1416:
	s_andn2_b64 vcc, exec, s[18:19]
	s_cbranch_vccnz .LBB62_1418
; %bb.1417:
	global_load_dword v4, v[2:3], off
	s_mov_b32 s18, 0x2f800000
	s_mov_b32 s19, 0xcf800000
	s_waitcnt vmcnt(0)
	v_trunc_f32_e32 v4, v4
	v_mul_f32_e64 v5, |v4|, s18
	v_floor_f32_e32 v5, v5
	v_cvt_u32_f32_e32 v7, v5
	v_fma_f32 v5, v5, s19, |v4|
	v_cvt_u32_f32_e32 v5, v5
	v_ashrrev_i32_e32 v8, 31, v4
	v_xor_b32_e32 v7, v7, v8
	v_xor_b32_e32 v4, v5, v8
	v_sub_co_u32_e32 v4, vcc, v4, v8
	v_subb_co_u32_e32 v5, vcc, v7, v8, vcc
.LBB62_1418:
	s_mov_b64 s[18:19], 0
.LBB62_1419:
	s_andn2_b64 vcc, exec, s[18:19]
	s_cbranch_vccnz .LBB62_1421
; %bb.1420:
	global_load_ushort v4, v[2:3], off
	s_waitcnt vmcnt(0)
	v_cvt_f32_f16_e32 v4, v4
	v_cvt_i32_f32_e32 v4, v4
	v_ashrrev_i32_e32 v5, 31, v4
.LBB62_1421:
	s_cbranch_execnz .LBB62_1440
.LBB62_1422:
	s_sext_i32_i16 s18, s34
	s_cmp_lt_i32 s18, 2
	s_cbranch_scc1 .LBB62_1426
; %bb.1423:
	s_cmp_lt_i32 s18, 3
	s_cbranch_scc1 .LBB62_1427
; %bb.1424:
	s_cmp_gt_i32 s18, 3
	s_cbranch_scc0 .LBB62_1428
; %bb.1425:
	global_load_dwordx2 v[4:5], v[2:3], off
	s_mov_b64 s[18:19], 0
	s_branch .LBB62_1429
.LBB62_1426:
                                        ; implicit-def: $vgpr4_vgpr5
	s_branch .LBB62_1435
.LBB62_1427:
	s_mov_b64 s[18:19], -1
                                        ; implicit-def: $vgpr4_vgpr5
	s_branch .LBB62_1432
.LBB62_1428:
	s_mov_b64 s[18:19], -1
                                        ; implicit-def: $vgpr4_vgpr5
.LBB62_1429:
	s_andn2_b64 vcc, exec, s[18:19]
	s_cbranch_vccnz .LBB62_1431
; %bb.1430:
	global_load_dword v4, v[2:3], off
	s_waitcnt vmcnt(0)
	v_ashrrev_i32_e32 v5, 31, v4
.LBB62_1431:
	s_mov_b64 s[18:19], 0
.LBB62_1432:
	s_andn2_b64 vcc, exec, s[18:19]
	s_cbranch_vccnz .LBB62_1434
; %bb.1433:
	global_load_ushort v4, v[2:3], off
	s_waitcnt vmcnt(0)
	v_bfe_i32 v4, v4, 0, 16
	v_ashrrev_i32_e32 v5, 31, v4
.LBB62_1434:
	s_cbranch_execnz .LBB62_1440
.LBB62_1435:
	s_sext_i32_i16 s18, s34
	s_cmp_gt_i32 s18, 0
	s_cbranch_scc0 .LBB62_1437
; %bb.1436:
	global_load_sbyte v4, v[2:3], off
	s_mov_b64 s[18:19], 0
	s_waitcnt vmcnt(0)
	v_bfe_i32 v4, v4, 0, 16
	v_ashrrev_i32_e32 v5, 31, v4
	s_branch .LBB62_1438
.LBB62_1437:
	s_mov_b64 s[18:19], -1
                                        ; implicit-def: $vgpr4_vgpr5
.LBB62_1438:
	s_andn2_b64 vcc, exec, s[18:19]
	s_cbranch_vccnz .LBB62_1440
; %bb.1439:
	global_load_ubyte v2, v[2:3], off
	s_mov_b32 s18, 0
	s_waitcnt vmcnt(1)
	v_mov_b32_e32 v5, s18
	s_waitcnt vmcnt(0)
	v_and_b32_e32 v4, 0xffff, v2
.LBB62_1440:
	s_or_b64 s[24:25], s[24:25], exec
.LBB62_1441:
	s_or_b64 exec, exec, s[0:1]
	s_mov_b64 s[28:29], 0
	s_mov_b64 s[26:27], 0
                                        ; implicit-def: $sgpr18_sgpr19
                                        ; implicit-def: $sgpr34
                                        ; implicit-def: $vgpr2_vgpr3
	s_and_saveexec_b64 s[20:21], s[24:25]
	s_cbranch_execz .LBB62_1446
; %bb.1442:
	s_cmp_lt_i32 s15, 1
	s_mov_b64 s[0:1], 0
	s_cbranch_scc1 .LBB62_1449
; %bb.1443:
	s_cmp_gt_i32 s15, 1
	s_cbranch_scc0 .LBB62_1450
; %bb.1444:
	s_cmp_eq_u32 s15, 2
	s_cbranch_scc0 .LBB62_1451
; %bb.1445:
	s_waitcnt vmcnt(0)
	v_cmp_le_i64_e64 s[18:19], v[0:1], v[4:5]
	s_mov_b64 s[24:25], 0
	s_branch .LBB62_1453
.LBB62_1446:
	s_or_b64 exec, exec, s[20:21]
	s_and_saveexec_b64 s[0:1], s[16:17]
	s_cbranch_execnz .LBB62_1538
.LBB62_1447:
	s_or_b64 exec, exec, s[0:1]
	s_and_saveexec_b64 s[0:1], s[28:29]
	s_xor_b64 s[0:1], exec, s[0:1]
	s_cbranch_execz .LBB62_1539
.LBB62_1448:
	s_waitcnt vmcnt(0)
	v_cndmask_b32_e64 v0, 0, 1, s[18:19]
	global_store_byte v[2:3], v0, off
	s_or_b64 exec, exec, s[0:1]
	s_and_saveexec_b64 s[0:1], s[26:27]
	s_xor_b64 s[0:1], exec, s[0:1]
	s_cbranch_execz .LBB62_1577
	s_branch .LBB62_1540
.LBB62_1449:
                                        ; implicit-def: $sgpr18_sgpr19
	s_mov_b64 s[24:25], 0
	s_cbranch_execnz .LBB62_1456
	s_branch .LBB62_1457
.LBB62_1450:
	s_mov_b64 s[26:27], -1
	s_mov_b64 s[24:25], 0
	s_branch .LBB62_1452
.LBB62_1451:
	s_mov_b64 s[24:25], -1
.LBB62_1452:
                                        ; implicit-def: $sgpr18_sgpr19
.LBB62_1453:
	s_and_b64 vcc, exec, s[26:27]
	s_cbranch_vccz .LBB62_1455
; %bb.1454:
	s_waitcnt vmcnt(0)
	v_cmp_gt_i64_e32 vcc, v[0:1], v[4:5]
	s_andn2_b64 s[18:19], s[18:19], exec
	s_and_b64 s[26:27], vcc, exec
	s_or_b64 s[18:19], s[18:19], s[26:27]
.LBB62_1455:
	s_branch .LBB62_1457
.LBB62_1456:
	s_cmp_lg_u32 s15, 0
	s_mov_b64 s[0:1], -1
	s_cselect_b64 s[24:25], -1, 0
.LBB62_1457:
	s_andn2_b64 vcc, exec, s[24:25]
	s_cbranch_vccnz .LBB62_1459
; %bb.1458:
	s_waitcnt vmcnt(0)
	v_cmp_lt_i64_e32 vcc, v[0:1], v[4:5]
	s_andn2_b64 s[18:19], s[18:19], exec
	s_and_b64 s[24:25], vcc, exec
	s_or_b64 s[18:19], s[18:19], s[24:25]
	s_cbranch_execz .LBB62_1460
	s_branch .LBB62_1461
.LBB62_1459:
	s_andn2_b64 vcc, exec, s[0:1]
	s_cbranch_vccnz .LBB62_1461
.LBB62_1460:
	s_waitcnt vmcnt(0)
	v_cmp_ge_i64_e32 vcc, v[0:1], v[4:5]
	s_andn2_b64 s[0:1], s[18:19], exec
	s_and_b64 s[18:19], vcc, exec
	s_or_b64 s[18:19], s[0:1], s[18:19]
.LBB62_1461:
	s_waitcnt vmcnt(0)
	v_mul_lo_u32 v0, v6, s12
	v_mov_b32_e32 v1, s9
	s_and_b32 s34, s33, 0xff
	s_cmp_lt_i32 s34, 11
	v_ashrrev_i32_e32 v3, 31, v0
	v_add_co_u32_e32 v2, vcc, s8, v0
	v_addc_co_u32_e32 v3, vcc, v1, v3, vcc
	s_cbranch_scc1 .LBB62_1535
; %bb.1462:
	s_and_b32 s35, 0xffff, s34
	s_mov_b64 s[26:27], -1
	s_cmp_gt_i32 s35, 25
	s_mov_b64 s[0:1], s[16:17]
	s_cbranch_scc0 .LBB62_1495
; %bb.1463:
	s_mov_b64 s[24:25], -1
	s_cmp_gt_i32 s35, 28
	s_mov_b64 s[0:1], s[16:17]
	s_cbranch_scc0 .LBB62_1479
; %bb.1464:
	s_cmp_gt_i32 s35, 43
	s_mov_b64 s[0:1], s[16:17]
	s_cbranch_scc0 .LBB62_1475
; %bb.1465:
	;; [unrolled: 4-line block ×3, first 2 shown]
	s_cmp_eq_u32 s35, 46
	s_mov_b64 s[0:1], -1
	s_cbranch_scc0 .LBB62_1468
; %bb.1467:
	v_cndmask_b32_e64 v0, 0, 1.0, s[18:19]
	v_bfe_u32 v1, v0, 16, 1
	s_movk_i32 s0, 0x7fff
	v_add3_u32 v0, v0, v1, s0
	v_lshrrev_b32_e32 v0, 16, v0
	global_store_dword v[2:3], v0, off
	s_mov_b64 s[0:1], 0
.LBB62_1468:
	s_mov_b64 s[24:25], 0
.LBB62_1469:
	s_and_b64 vcc, exec, s[24:25]
	s_cbranch_vccz .LBB62_1474
; %bb.1470:
	s_cmp_eq_u32 s35, 44
	s_mov_b64 s[0:1], -1
	s_cbranch_scc0 .LBB62_1474
; %bb.1471:
	v_cndmask_b32_e64 v1, 0, 1.0, s[18:19]
	v_lshrrev_b32_e32 v0, 23, v1
	s_movk_i32 s0, 0xff
	v_cmp_ne_u32_e32 vcc, s0, v0
	v_mov_b32_e32 v4, 0xff
	s_and_saveexec_b64 s[24:25], vcc
; %bb.1472:
	s_mov_b32 s0, 0x3fffff
	v_and_b32_e32 v4, 0x400000, v1
	v_and_or_b32 v1, v1, s0, v0
	v_cmp_ne_u32_e32 vcc, 0, v4
	v_cmp_ne_u32_e64 s[0:1], 0, v1
	s_and_b64 s[0:1], vcc, s[0:1]
	v_cndmask_b32_e64 v1, 0, 1, s[0:1]
	v_add_u32_e32 v4, v0, v1
; %bb.1473:
	s_or_b64 exec, exec, s[24:25]
	s_mov_b64 s[0:1], 0
	global_store_byte v[2:3], v4, off
.LBB62_1474:
	s_mov_b64 s[24:25], 0
.LBB62_1475:
	s_and_b64 vcc, exec, s[24:25]
	s_cbranch_vccz .LBB62_1478
; %bb.1476:
	s_cmp_eq_u32 s35, 29
	s_mov_b64 s[0:1], -1
	s_cbranch_scc0 .LBB62_1478
; %bb.1477:
	s_mov_b32 s0, 0
	v_cndmask_b32_e64 v0, 0, 1, s[18:19]
	v_mov_b32_e32 v1, s0
	global_store_dwordx2 v[2:3], v[0:1], off
	s_mov_b64 s[0:1], 0
.LBB62_1478:
	s_mov_b64 s[24:25], 0
.LBB62_1479:
	s_and_b64 vcc, exec, s[24:25]
	s_cbranch_vccz .LBB62_1494
; %bb.1480:
	s_cmp_lt_i32 s35, 27
	s_mov_b64 s[24:25], -1
	s_cbranch_scc1 .LBB62_1486
; %bb.1481:
	s_cmp_gt_i32 s35, 27
	v_cndmask_b32_e64 v0, 0, 1, s[18:19]
	s_cbranch_scc0 .LBB62_1483
; %bb.1482:
	s_mov_b64 s[24:25], 0
	global_store_dword v[2:3], v0, off
.LBB62_1483:
	s_andn2_b64 vcc, exec, s[24:25]
	s_cbranch_vccnz .LBB62_1485
; %bb.1484:
	global_store_short v[2:3], v0, off
.LBB62_1485:
	s_mov_b64 s[24:25], 0
.LBB62_1486:
	s_andn2_b64 vcc, exec, s[24:25]
	s_cbranch_vccnz .LBB62_1494
; %bb.1487:
	v_cndmask_b32_e64 v1, 0, 1.0, s[18:19]
	s_mov_b32 s24, 0x43800000
	v_cmp_gt_u32_e32 vcc, s24, v1
	v_mov_b32_e32 v4, 0x80
	s_and_saveexec_b64 s[24:25], vcc
	s_cbranch_execz .LBB62_1493
; %bb.1488:
	s_mov_b32 s26, 0x3bffffff
	v_cmp_lt_u32_e32 vcc, s26, v1
	s_mov_b64 s[26:27], 0
                                        ; implicit-def: $vgpr0
	s_and_saveexec_b64 s[28:29], vcc
	s_xor_b64 s[28:29], exec, s[28:29]
	s_cbranch_execz .LBB62_1592
; %bb.1489:
	v_bfe_u32 v0, v1, 20, 1
	s_mov_b32 s30, 0x487ffff
	v_add3_u32 v0, v1, v0, s30
	s_mov_b64 s[26:27], exec
	v_lshrrev_b32_e32 v0, 20, v0
                                        ; implicit-def: $vgpr1
	s_andn2_saveexec_b64 s[28:29], s[28:29]
	s_cbranch_execnz .LBB62_1593
.LBB62_1490:
	s_or_b64 exec, exec, s[28:29]
	v_mov_b32_e32 v4, 0
	s_and_saveexec_b64 s[28:29], s[26:27]
.LBB62_1491:
	v_mov_b32_e32 v4, v0
.LBB62_1492:
	s_or_b64 exec, exec, s[28:29]
.LBB62_1493:
	s_or_b64 exec, exec, s[24:25]
	global_store_byte v[2:3], v4, off
.LBB62_1494:
	s_mov_b64 s[26:27], 0
.LBB62_1495:
	s_mov_b64 s[24:25], 0
	s_and_b64 vcc, exec, s[26:27]
	s_cbranch_vccz .LBB62_1536
; %bb.1496:
	s_cmp_gt_i32 s35, 22
	s_mov_b64 s[26:27], -1
	s_cbranch_scc0 .LBB62_1528
; %bb.1497:
	s_cmp_lt_i32 s35, 24
	s_cbranch_scc1 .LBB62_1517
; %bb.1498:
	s_cmp_gt_i32 s35, 24
	s_cbranch_scc0 .LBB62_1506
; %bb.1499:
	v_cndmask_b32_e64 v1, 0, 1.0, s[18:19]
	s_mov_b32 s26, 0x47800000
	v_cmp_gt_u32_e32 vcc, s26, v1
	v_mov_b32_e32 v4, 0x80
	s_and_saveexec_b64 s[26:27], vcc
	s_cbranch_execz .LBB62_1505
; %bb.1500:
	s_mov_b32 s28, 0x37ffffff
	v_cmp_lt_u32_e32 vcc, s28, v1
	s_mov_b64 s[28:29], 0
                                        ; implicit-def: $vgpr0
	s_and_saveexec_b64 s[30:31], vcc
	s_xor_b64 s[30:31], exec, s[30:31]
	s_cbranch_execz .LBB62_1712
; %bb.1501:
	v_bfe_u32 v0, v1, 21, 1
	s_mov_b32 s36, 0x88fffff
	v_add3_u32 v0, v1, v0, s36
	s_mov_b64 s[28:29], exec
	v_lshrrev_b32_e32 v0, 21, v0
                                        ; implicit-def: $vgpr1
	s_andn2_saveexec_b64 s[30:31], s[30:31]
	s_cbranch_execnz .LBB62_1713
.LBB62_1502:
	s_or_b64 exec, exec, s[30:31]
	v_mov_b32_e32 v4, 0
	s_and_saveexec_b64 s[30:31], s[28:29]
.LBB62_1503:
	v_mov_b32_e32 v4, v0
.LBB62_1504:
	s_or_b64 exec, exec, s[30:31]
.LBB62_1505:
	s_or_b64 exec, exec, s[26:27]
	s_mov_b64 s[26:27], 0
	global_store_byte v[2:3], v4, off
.LBB62_1506:
	s_and_b64 vcc, exec, s[26:27]
	s_cbranch_vccz .LBB62_1516
; %bb.1507:
	v_cndmask_b32_e64 v0, 0, 1.0, s[18:19]
	s_mov_b32 s26, 0x43f00000
	v_cmp_gt_u32_e32 vcc, s26, v0
                                        ; implicit-def: $vgpr1
	s_and_saveexec_b64 s[26:27], vcc
	s_xor_b64 s[26:27], exec, s[26:27]
	s_cbranch_execz .LBB62_1513
; %bb.1508:
	s_mov_b32 s28, 0x3c7fffff
	v_cmp_lt_u32_e32 vcc, s28, v0
                                        ; implicit-def: $vgpr1
	s_and_saveexec_b64 s[28:29], vcc
	s_xor_b64 s[28:29], exec, s[28:29]
; %bb.1509:
	v_bfe_u32 v1, v0, 20, 1
	s_mov_b32 s30, 0x407ffff
	v_add3_u32 v0, v0, v1, s30
	v_lshrrev_b32_e32 v1, 20, v0
	v_and_b32_e32 v0, 0xff00000, v0
	s_mov_b32 s30, 0x7f00000
	v_mov_b32_e32 v4, 0x7e
	v_cmp_ne_u32_e32 vcc, s30, v0
	v_cndmask_b32_e32 v1, v4, v1, vcc
                                        ; implicit-def: $vgpr0
; %bb.1510:
	s_andn2_saveexec_b64 s[28:29], s[28:29]
; %bb.1511:
	v_add_f32_e32 v1, 0x46800000, v0
; %bb.1512:
	s_or_b64 exec, exec, s[28:29]
                                        ; implicit-def: $vgpr0
.LBB62_1513:
	s_andn2_saveexec_b64 s[26:27], s[26:27]
; %bb.1514:
	s_mov_b32 s28, 0x7f800000
	v_mov_b32_e32 v1, 0x7e
	v_mov_b32_e32 v4, 0x7f
	v_cmp_lt_u32_e32 vcc, s28, v0
	v_cndmask_b32_e32 v1, v1, v4, vcc
; %bb.1515:
	s_or_b64 exec, exec, s[26:27]
	global_store_byte v[2:3], v1, off
.LBB62_1516:
	s_mov_b64 s[26:27], 0
.LBB62_1517:
	s_andn2_b64 vcc, exec, s[26:27]
	s_cbranch_vccnz .LBB62_1527
; %bb.1518:
	v_cndmask_b32_e64 v0, 0, 1.0, s[18:19]
	s_mov_b32 s26, 0x47800000
	v_cmp_gt_u32_e32 vcc, s26, v0
                                        ; implicit-def: $vgpr1
	s_and_saveexec_b64 s[26:27], vcc
	s_xor_b64 s[26:27], exec, s[26:27]
	s_cbranch_execz .LBB62_1524
; %bb.1519:
	s_mov_b32 s28, 0x387fffff
	v_cmp_lt_u32_e32 vcc, s28, v0
                                        ; implicit-def: $vgpr1
	s_and_saveexec_b64 s[28:29], vcc
	s_xor_b64 s[28:29], exec, s[28:29]
; %bb.1520:
	v_bfe_u32 v1, v0, 21, 1
	s_mov_b32 s30, 0x80fffff
	v_add3_u32 v0, v0, v1, s30
	v_lshrrev_b32_e32 v1, 21, v0
                                        ; implicit-def: $vgpr0
; %bb.1521:
	s_andn2_saveexec_b64 s[28:29], s[28:29]
; %bb.1522:
	v_add_f32_e32 v1, 0x43000000, v0
; %bb.1523:
	s_or_b64 exec, exec, s[28:29]
                                        ; implicit-def: $vgpr0
.LBB62_1524:
	s_andn2_saveexec_b64 s[26:27], s[26:27]
; %bb.1525:
	s_mov_b32 s28, 0x7f800000
	v_mov_b32_e32 v1, 0x7c
	v_mov_b32_e32 v4, 0x7f
	v_cmp_lt_u32_e32 vcc, s28, v0
	v_cndmask_b32_e32 v1, v1, v4, vcc
; %bb.1526:
	s_or_b64 exec, exec, s[26:27]
	global_store_byte v[2:3], v1, off
.LBB62_1527:
	s_mov_b64 s[26:27], 0
.LBB62_1528:
	s_andn2_b64 vcc, exec, s[26:27]
	s_mov_b64 s[28:29], 0
	s_cbranch_vccnz .LBB62_1537
; %bb.1529:
	s_cmp_gt_i32 s35, 14
	s_mov_b64 s[26:27], -1
	s_cbranch_scc0 .LBB62_1533
; %bb.1530:
	s_cmp_eq_u32 s35, 15
	s_mov_b64 s[0:1], -1
	s_cbranch_scc0 .LBB62_1532
; %bb.1531:
	v_cndmask_b32_e64 v0, 0, 1.0, s[18:19]
	v_bfe_u32 v1, v0, 16, 1
	s_movk_i32 s0, 0x7fff
	v_add3_u32 v0, v0, v1, s0
	global_store_short_d16_hi v[2:3], v0, off
	s_mov_b64 s[0:1], 0
.LBB62_1532:
	s_mov_b64 s[26:27], 0
.LBB62_1533:
	s_and_b64 vcc, exec, s[26:27]
	s_cbranch_vccz .LBB62_1537
; %bb.1534:
	s_cmp_lg_u32 s35, 11
	s_cselect_b64 s[26:27], -1, 0
	s_andn2_b64 s[0:1], s[0:1], exec
	s_and_b64 s[26:27], s[26:27], exec
	s_mov_b64 s[28:29], -1
	s_or_b64 s[0:1], s[0:1], s[26:27]
	s_branch .LBB62_1537
.LBB62_1535:
	s_mov_b64 s[24:25], -1
	s_mov_b64 s[0:1], s[16:17]
	s_branch .LBB62_1537
.LBB62_1536:
	s_mov_b64 s[28:29], 0
.LBB62_1537:
	s_andn2_b64 s[16:17], s[16:17], exec
	s_and_b64 s[0:1], s[0:1], exec
	s_and_b64 s[26:27], s[24:25], exec
	;; [unrolled: 1-line block ×3, first 2 shown]
	s_or_b64 s[16:17], s[16:17], s[0:1]
	s_or_b64 exec, exec, s[20:21]
	s_and_saveexec_b64 s[0:1], s[16:17]
	s_cbranch_execz .LBB62_1447
.LBB62_1538:
	s_or_b64 s[22:23], s[22:23], exec
	s_andn2_b64 s[28:29], s[28:29], exec
	s_trap 2
	s_or_b64 exec, exec, s[0:1]
	s_and_saveexec_b64 s[0:1], s[28:29]
	s_xor_b64 s[0:1], exec, s[0:1]
	s_cbranch_execnz .LBB62_1448
.LBB62_1539:
	s_or_b64 exec, exec, s[0:1]
	s_and_saveexec_b64 s[0:1], s[26:27]
	s_xor_b64 s[0:1], exec, s[0:1]
	s_cbranch_execz .LBB62_1577
.LBB62_1540:
	s_sext_i32_i16 s20, s34
	s_cmp_lt_i32 s20, 5
	s_mov_b64 s[16:17], -1
	s_cbranch_scc1 .LBB62_1561
; %bb.1541:
	s_cmp_lt_i32 s20, 8
	s_cbranch_scc1 .LBB62_1551
; %bb.1542:
	s_cmp_lt_i32 s20, 9
	s_cbranch_scc1 .LBB62_1548
; %bb.1543:
	s_cmp_gt_i32 s20, 9
	s_cbranch_scc0 .LBB62_1545
; %bb.1544:
	s_waitcnt vmcnt(0)
	v_cndmask_b32_e64 v0, 0, 1, s[18:19]
	v_cvt_f64_u32_e32 v[4:5], v0
	v_mov_b32_e32 v6, 0
	v_mov_b32_e32 v7, v6
	s_mov_b64 s[16:17], 0
	global_store_dwordx4 v[2:3], v[4:7], off
.LBB62_1545:
	s_andn2_b64 vcc, exec, s[16:17]
	s_cbranch_vccnz .LBB62_1547
; %bb.1546:
	s_waitcnt vmcnt(0)
	v_cndmask_b32_e64 v0, 0, 1.0, s[18:19]
	v_mov_b32_e32 v1, 0
	global_store_dwordx2 v[2:3], v[0:1], off
.LBB62_1547:
	s_mov_b64 s[16:17], 0
.LBB62_1548:
	s_andn2_b64 vcc, exec, s[16:17]
	s_cbranch_vccnz .LBB62_1550
; %bb.1549:
	s_waitcnt vmcnt(0)
	v_cndmask_b32_e64 v0, 0, 1.0, s[18:19]
	v_cvt_f16_f32_e32 v0, v0
	global_store_dword v[2:3], v0, off
.LBB62_1550:
	s_mov_b64 s[16:17], 0
.LBB62_1551:
	s_andn2_b64 vcc, exec, s[16:17]
	s_cbranch_vccnz .LBB62_1560
; %bb.1552:
	s_sext_i32_i16 s20, s34
	s_cmp_lt_i32 s20, 6
	s_mov_b64 s[16:17], -1
	s_cbranch_scc1 .LBB62_1558
; %bb.1553:
	s_cmp_gt_i32 s20, 6
	s_cbranch_scc0 .LBB62_1555
; %bb.1554:
	s_waitcnt vmcnt(0)
	v_cndmask_b32_e64 v0, 0, 1, s[18:19]
	v_cvt_f64_u32_e32 v[0:1], v0
	s_mov_b64 s[16:17], 0
	global_store_dwordx2 v[2:3], v[0:1], off
.LBB62_1555:
	s_andn2_b64 vcc, exec, s[16:17]
	s_cbranch_vccnz .LBB62_1557
; %bb.1556:
	s_waitcnt vmcnt(0)
	v_cndmask_b32_e64 v0, 0, 1.0, s[18:19]
	global_store_dword v[2:3], v0, off
.LBB62_1557:
	s_mov_b64 s[16:17], 0
.LBB62_1558:
	s_andn2_b64 vcc, exec, s[16:17]
	s_cbranch_vccnz .LBB62_1560
; %bb.1559:
	s_waitcnt vmcnt(0)
	v_cndmask_b32_e64 v0, 0, 1.0, s[18:19]
	v_cvt_f16_f32_e32 v0, v0
	global_store_short v[2:3], v0, off
.LBB62_1560:
	s_mov_b64 s[16:17], 0
.LBB62_1561:
	s_andn2_b64 vcc, exec, s[16:17]
	s_cbranch_vccnz .LBB62_1577
; %bb.1562:
	s_sext_i32_i16 s20, s34
	s_cmp_lt_i32 s20, 2
	s_mov_b64 s[16:17], -1
	s_cbranch_scc1 .LBB62_1572
; %bb.1563:
	s_cmp_lt_i32 s20, 3
	s_cbranch_scc1 .LBB62_1569
; %bb.1564:
	s_cmp_gt_i32 s20, 3
	s_cbranch_scc0 .LBB62_1566
; %bb.1565:
	s_mov_b32 s16, 0
	s_waitcnt vmcnt(0)
	v_cndmask_b32_e64 v0, 0, 1, s[18:19]
	v_mov_b32_e32 v1, s16
	s_mov_b64 s[16:17], 0
	global_store_dwordx2 v[2:3], v[0:1], off
.LBB62_1566:
	s_andn2_b64 vcc, exec, s[16:17]
	s_cbranch_vccnz .LBB62_1568
; %bb.1567:
	s_waitcnt vmcnt(0)
	v_cndmask_b32_e64 v0, 0, 1, s[18:19]
	global_store_dword v[2:3], v0, off
.LBB62_1568:
	s_mov_b64 s[16:17], 0
.LBB62_1569:
	s_andn2_b64 vcc, exec, s[16:17]
	s_cbranch_vccnz .LBB62_1571
; %bb.1570:
	s_waitcnt vmcnt(0)
	v_cndmask_b32_e64 v0, 0, 1, s[18:19]
	global_store_short v[2:3], v0, off
.LBB62_1571:
	s_mov_b64 s[16:17], 0
.LBB62_1572:
	s_andn2_b64 vcc, exec, s[16:17]
	s_cbranch_vccnz .LBB62_1577
; %bb.1573:
	s_sext_i32_i16 s20, s34
	s_mov_b64 s[16:17], -1
	s_cmp_gt_i32 s20, 0
	s_waitcnt vmcnt(0)
	v_cndmask_b32_e64 v0, 0, 1, s[18:19]
	s_cbranch_scc0 .LBB62_1575
; %bb.1574:
	s_mov_b64 s[16:17], 0
	global_store_byte v[2:3], v0, off
.LBB62_1575:
	s_andn2_b64 vcc, exec, s[16:17]
	s_cbranch_vccnz .LBB62_1577
; %bb.1576:
	global_store_byte v[2:3], v0, off
.LBB62_1577:
	s_or_b64 exec, exec, s[0:1]
	s_and_b64 s[16:17], s[22:23], exec
                                        ; implicit-def: $vgpr6
.LBB62_1578:
	s_or_saveexec_b64 s[6:7], s[6:7]
	s_mov_b64 s[0:1], 0
                                        ; implicit-def: $sgpr24_sgpr25
                                        ; implicit-def: $sgpr28
                                        ; implicit-def: $vgpr0_vgpr1
	s_xor_b64 exec, exec, s[6:7]
	s_cbranch_execz .LBB62_2637
; %bb.1579:
	v_mul_lo_u32 v7, s13, v6
	s_waitcnt vmcnt(0)
	v_mov_b32_e32 v0, s11
	s_and_b32 s28, s55, 0xff
	s_cmp_lt_i32 s28, 11
	v_ashrrev_i32_e32 v1, 31, v7
	v_add_co_u32_e32 v2, vcc, s10, v7
	v_addc_co_u32_e32 v3, vcc, v0, v1, vcc
	s_cbranch_scc1 .LBB62_1586
; %bb.1580:
	s_and_b32 s22, 0xffff, s28
	s_cmp_gt_i32 s22, 25
	s_cbranch_scc0 .LBB62_1588
; %bb.1581:
	s_cmp_gt_i32 s22, 28
	s_cbranch_scc0 .LBB62_1589
; %bb.1582:
	;; [unrolled: 3-line block ×4, first 2 shown]
	s_cmp_eq_u32 s22, 46
	s_mov_b64 s[18:19], 0
	s_cbranch_scc0 .LBB62_1594
; %bb.1585:
	global_load_dword v0, v[2:3], off
	s_mov_b32 s0, 0x2f800000
	s_mov_b32 s1, 0xcf800000
	s_mov_b64 s[20:21], -1
	s_waitcnt vmcnt(0)
	v_lshlrev_b32_e32 v0, 16, v0
	v_trunc_f32_e32 v0, v0
	v_mul_f32_e64 v1, |v0|, s0
	v_floor_f32_e32 v1, v1
	v_fma_f32 v4, v1, s1, |v0|
	v_cvt_u32_f32_e32 v4, v4
	v_cvt_u32_f32_e32 v1, v1
	v_ashrrev_i32_e32 v5, 31, v0
	s_mov_b64 s[0:1], 0
	v_xor_b32_e32 v0, v4, v5
	v_xor_b32_e32 v1, v1, v5
	v_sub_co_u32_e32 v0, vcc, v0, v5
	v_subb_co_u32_e32 v1, vcc, v1, v5, vcc
	s_branch .LBB62_1595
.LBB62_1586:
	s_mov_b64 s[20:21], 0
                                        ; implicit-def: $vgpr0_vgpr1
	s_mov_b64 s[18:19], s[16:17]
	s_cbranch_execnz .LBB62_1653
.LBB62_1587:
	s_andn2_b64 vcc, exec, s[20:21]
	s_cbranch_vccz .LBB62_1698
	s_branch .LBB62_2634
.LBB62_1588:
	s_mov_b64 s[20:21], 0
                                        ; implicit-def: $vgpr0_vgpr1
	s_cbranch_execnz .LBB62_1622
	s_branch .LBB62_1649
.LBB62_1589:
	s_mov_b64 s[20:21], 0
                                        ; implicit-def: $vgpr0_vgpr1
	s_cbranch_execz .LBB62_1621
	s_branch .LBB62_1604
.LBB62_1590:
	s_mov_b64 s[20:21], 0
                                        ; implicit-def: $vgpr0_vgpr1
	s_cbranch_execnz .LBB62_1600
	s_branch .LBB62_1603
.LBB62_1591:
	s_mov_b64 s[18:19], -1
	s_mov_b64 s[20:21], 0
                                        ; implicit-def: $vgpr0_vgpr1
	s_branch .LBB62_1595
.LBB62_1592:
	s_andn2_saveexec_b64 s[28:29], s[28:29]
	s_cbranch_execz .LBB62_1490
.LBB62_1593:
	v_add_f32_e32 v0, 0x46000000, v1
	v_and_b32_e32 v0, 0xff, v0
	v_cmp_ne_u32_e32 vcc, 0, v0
	s_andn2_b64 s[26:27], s[26:27], exec
	s_and_b64 s[30:31], vcc, exec
	s_or_b64 s[26:27], s[26:27], s[30:31]
	s_or_b64 exec, exec, s[28:29]
	v_mov_b32_e32 v4, 0
	s_and_saveexec_b64 s[28:29], s[26:27]
	s_cbranch_execnz .LBB62_1491
	s_branch .LBB62_1492
.LBB62_1594:
	s_mov_b64 s[0:1], -1
                                        ; implicit-def: $vgpr0_vgpr1
	s_mov_b64 s[20:21], 0
.LBB62_1595:
	s_and_b64 vcc, exec, s[18:19]
	s_cbranch_vccz .LBB62_1598
; %bb.1596:
	s_cmp_eq_u32 s22, 44
	s_cbranch_scc0 .LBB62_1599
; %bb.1597:
	global_load_ubyte v0, v[2:3], off
	s_mov_b32 s0, 0x2f800000
	s_mov_b32 s1, 0xcf800000
	s_mov_b64 s[20:21], -1
	s_waitcnt vmcnt(0)
	v_lshlrev_b32_e32 v1, 23, v0
	v_trunc_f32_e32 v1, v1
	v_mul_f32_e64 v4, |v1|, s0
	v_floor_f32_e32 v4, v4
	v_fma_f32 v5, v4, s1, |v1|
	v_cvt_u32_f32_e32 v5, v5
	v_cvt_u32_f32_e32 v4, v4
	v_ashrrev_i32_e32 v1, 31, v1
	s_mov_b64 s[0:1], 0
	v_xor_b32_e32 v5, v5, v1
	v_xor_b32_e32 v4, v4, v1
	v_sub_co_u32_e32 v5, vcc, v5, v1
	v_subb_co_u32_e32 v1, vcc, v4, v1, vcc
	v_cmp_ne_u32_e32 vcc, 0, v0
	v_cndmask_b32_e32 v1, 0, v1, vcc
	v_cndmask_b32_e32 v0, 0, v5, vcc
.LBB62_1598:
	s_branch .LBB62_1603
.LBB62_1599:
	s_mov_b64 s[0:1], -1
                                        ; implicit-def: $vgpr0_vgpr1
	s_branch .LBB62_1603
.LBB62_1600:
	s_cmp_eq_u32 s22, 29
	s_cbranch_scc0 .LBB62_1602
; %bb.1601:
	global_load_dwordx2 v[0:1], v[2:3], off
	s_mov_b64 s[0:1], 0
	s_mov_b64 s[20:21], -1
	s_branch .LBB62_1603
.LBB62_1602:
	s_mov_b64 s[0:1], -1
                                        ; implicit-def: $vgpr0_vgpr1
.LBB62_1603:
	s_branch .LBB62_1621
.LBB62_1604:
	s_cmp_lt_i32 s22, 27
	s_cbranch_scc1 .LBB62_1607
; %bb.1605:
	s_cmp_gt_i32 s22, 27
	s_cbranch_scc0 .LBB62_1608
; %bb.1606:
	global_load_dword v0, v[2:3], off
	s_waitcnt vmcnt(1)
	v_mov_b32_e32 v1, 0
	s_mov_b64 s[18:19], 0
	s_branch .LBB62_1609
.LBB62_1607:
	s_mov_b64 s[18:19], -1
                                        ; implicit-def: $vgpr0_vgpr1
	s_branch .LBB62_1612
.LBB62_1608:
	s_mov_b64 s[18:19], -1
                                        ; implicit-def: $vgpr0_vgpr1
.LBB62_1609:
	s_andn2_b64 vcc, exec, s[18:19]
	s_cbranch_vccnz .LBB62_1611
; %bb.1610:
	global_load_ushort v0, v[2:3], off
	s_mov_b32 s18, 0
	s_waitcnt vmcnt(1)
	v_mov_b32_e32 v1, s18
	s_waitcnt vmcnt(0)
	v_and_b32_e32 v0, 0xffff, v0
.LBB62_1611:
	s_mov_b64 s[18:19], 0
.LBB62_1612:
	s_andn2_b64 vcc, exec, s[18:19]
	s_cbranch_vccnz .LBB62_1620
; %bb.1613:
	global_load_ubyte v4, v[2:3], off
	s_movk_i32 s18, 0x7f
	s_mov_b64 s[20:21], 0
	s_waitcnt vmcnt(0)
	v_cmp_lt_i16_e32 vcc, s18, v4
	s_and_saveexec_b64 s[18:19], vcc
	s_xor_b64 s[18:19], exec, s[18:19]
; %bb.1614:
	s_movk_i32 s20, 0x80
	v_cmp_ne_u16_e32 vcc, s20, v4
	s_and_b64 s[20:21], vcc, exec
; %bb.1615:
	s_andn2_saveexec_b64 s[18:19], s[18:19]
; %bb.1616:
	v_cmp_ne_u16_e32 vcc, 0, v4
	s_andn2_b64 s[20:21], s[20:21], exec
	s_and_b64 s[24:25], vcc, exec
	s_or_b64 s[20:21], s[20:21], s[24:25]
; %bb.1617:
	s_or_b64 exec, exec, s[18:19]
	v_mov_b32_e32 v0, 0
	v_mov_b32_e32 v1, 0
	s_and_saveexec_b64 s[18:19], s[20:21]
	s_cbranch_execz .LBB62_1619
; %bb.1618:
	v_and_b32_e32 v1, 0xffff, v4
	v_lshlrev_b32_e32 v0, 24, v4
	v_and_b32_e32 v4, 7, v1
	v_ffbh_u32_e32 v8, v4
	v_min_u32_e32 v8, 32, v8
	v_subrev_u32_e32 v9, 28, v8
	v_bfe_u32 v5, v1, 3, 4
	v_lshlrev_b32_e32 v1, v9, v1
	v_sub_u32_e32 v8, 29, v8
	v_and_b32_e32 v1, 7, v1
	v_cmp_eq_u32_e32 vcc, 0, v5
	v_cndmask_b32_e32 v5, v5, v8, vcc
	v_cndmask_b32_e32 v1, v4, v1, vcc
	v_mov_b32_e32 v4, 0x3b800000
	v_lshlrev_b32_e32 v1, 20, v1
	v_and_b32_e32 v0, 0x80000000, v0
	v_lshl_add_u32 v4, v5, 23, v4
	v_or3_b32 v0, v0, v4, v1
	v_trunc_f32_e32 v0, v0
	s_mov_b32 s20, 0x2f800000
	v_mul_f32_e64 v1, |v0|, s20
	v_floor_f32_e32 v1, v1
	s_mov_b32 s20, 0xcf800000
	v_fma_f32 v4, v1, s20, |v0|
	v_cvt_u32_f32_e32 v4, v4
	v_cvt_u32_f32_e32 v1, v1
	v_ashrrev_i32_e32 v5, 31, v0
	v_xor_b32_e32 v0, v4, v5
	v_xor_b32_e32 v1, v1, v5
	v_sub_co_u32_e32 v0, vcc, v0, v5
	v_subb_co_u32_e32 v1, vcc, v1, v5, vcc
.LBB62_1619:
	s_or_b64 exec, exec, s[18:19]
.LBB62_1620:
	s_mov_b64 s[20:21], -1
.LBB62_1621:
	s_branch .LBB62_1649
.LBB62_1622:
	s_cmp_gt_i32 s22, 22
	s_cbranch_scc0 .LBB62_1632
; %bb.1623:
	s_cmp_lt_i32 s22, 24
	s_cbranch_scc1 .LBB62_1633
; %bb.1624:
	s_cmp_gt_i32 s22, 24
	s_cbranch_scc0 .LBB62_1634
; %bb.1625:
	global_load_ubyte v4, v[2:3], off
	s_movk_i32 s4, 0x7f
	s_mov_b64 s[18:19], 0
	s_waitcnt vmcnt(0)
	v_cmp_lt_i16_e32 vcc, s4, v4
	s_and_saveexec_b64 s[4:5], vcc
	s_xor_b64 s[4:5], exec, s[4:5]
; %bb.1626:
	s_movk_i32 s18, 0x80
	v_cmp_ne_u16_e32 vcc, s18, v4
	s_and_b64 s[18:19], vcc, exec
; %bb.1627:
	s_andn2_saveexec_b64 s[4:5], s[4:5]
; %bb.1628:
	v_cmp_ne_u16_e32 vcc, 0, v4
	s_andn2_b64 s[18:19], s[18:19], exec
	s_and_b64 s[20:21], vcc, exec
	s_or_b64 s[18:19], s[18:19], s[20:21]
; %bb.1629:
	s_or_b64 exec, exec, s[4:5]
	v_mov_b32_e32 v0, 0
	v_mov_b32_e32 v1, 0
	s_and_saveexec_b64 s[4:5], s[18:19]
	s_cbranch_execz .LBB62_1631
; %bb.1630:
	v_and_b32_e32 v1, 0xffff, v4
	v_lshlrev_b32_e32 v0, 24, v4
	v_and_b32_e32 v4, 3, v1
	v_ffbh_u32_e32 v8, v4
	v_min_u32_e32 v8, 32, v8
	v_subrev_u32_e32 v9, 29, v8
	v_bfe_u32 v5, v1, 2, 5
	v_lshlrev_b32_e32 v1, v9, v1
	v_sub_u32_e32 v8, 30, v8
	v_and_b32_e32 v1, 3, v1
	v_cmp_eq_u32_e32 vcc, 0, v5
	v_cndmask_b32_e32 v5, v5, v8, vcc
	v_cndmask_b32_e32 v1, v4, v1, vcc
	v_mov_b32_e32 v4, 0x37800000
	v_lshlrev_b32_e32 v1, 21, v1
	v_and_b32_e32 v0, 0x80000000, v0
	v_lshl_add_u32 v4, v5, 23, v4
	v_or3_b32 v0, v0, v4, v1
	v_trunc_f32_e32 v0, v0
	s_mov_b32 s18, 0x2f800000
	v_mul_f32_e64 v1, |v0|, s18
	v_floor_f32_e32 v1, v1
	s_mov_b32 s18, 0xcf800000
	v_fma_f32 v4, v1, s18, |v0|
	v_cvt_u32_f32_e32 v4, v4
	v_cvt_u32_f32_e32 v1, v1
	v_ashrrev_i32_e32 v5, 31, v0
	v_xor_b32_e32 v0, v4, v5
	v_xor_b32_e32 v1, v1, v5
	v_sub_co_u32_e32 v0, vcc, v0, v5
	v_subb_co_u32_e32 v1, vcc, v1, v5, vcc
.LBB62_1631:
	s_or_b64 exec, exec, s[4:5]
	s_mov_b64 s[4:5], 0
	s_branch .LBB62_1635
.LBB62_1632:
                                        ; implicit-def: $vgpr0_vgpr1
	s_mov_b64 s[4:5], 0
	s_branch .LBB62_1641
.LBB62_1633:
	s_mov_b64 s[4:5], -1
                                        ; implicit-def: $vgpr0_vgpr1
	s_branch .LBB62_1638
.LBB62_1634:
	s_mov_b64 s[4:5], -1
                                        ; implicit-def: $vgpr0_vgpr1
.LBB62_1635:
	s_and_b64 vcc, exec, s[4:5]
	s_cbranch_vccz .LBB62_1637
; %bb.1636:
	global_load_ubyte v0, v[2:3], off
	s_mov_b32 s4, 0x7f800000
	s_brev_b32 s5, 1
	s_mov_b32 s18, 0x2f800000
	s_mov_b32 s19, 0xcf800000
	s_waitcnt vmcnt(0)
	v_lshlrev_b32_e32 v0, 24, v0
	v_and_b32_e32 v1, 0x7f000000, v0
	v_ffbh_u32_e32 v4, v1
	v_min_u32_e32 v4, 32, v4
	v_sub_u32_e64 v4, v4, 4 clamp
	v_lshlrev_b32_e32 v8, v4, v1
	v_lshlrev_b32_e32 v4, 23, v4
	v_lshrrev_b32_e32 v8, 4, v8
	v_add_u32_e32 v5, 0x1000000, v1
	v_sub_u32_e32 v4, v8, v4
	v_ashrrev_i32_e32 v5, 8, v5
	v_add_u32_e32 v4, 0x3c000000, v4
	v_and_or_b32 v4, v5, s4, v4
	v_cmp_ne_u32_e32 vcc, 0, v1
	v_cndmask_b32_e32 v1, 0, v4, vcc
	v_and_or_b32 v0, v0, s5, v1
	v_trunc_f32_e32 v0, v0
	v_mul_f32_e64 v1, |v0|, s18
	v_floor_f32_e32 v1, v1
	v_fma_f32 v4, v1, s19, |v0|
	v_cvt_u32_f32_e32 v4, v4
	v_cvt_u32_f32_e32 v1, v1
	v_ashrrev_i32_e32 v5, 31, v0
	v_xor_b32_e32 v0, v4, v5
	v_xor_b32_e32 v1, v1, v5
	v_sub_co_u32_e32 v0, vcc, v0, v5
	v_subb_co_u32_e32 v1, vcc, v1, v5, vcc
.LBB62_1637:
	s_mov_b64 s[4:5], 0
.LBB62_1638:
	s_andn2_b64 vcc, exec, s[4:5]
	s_cbranch_vccnz .LBB62_1640
; %bb.1639:
	global_load_ubyte v0, v[2:3], off
	s_movk_i32 s4, 0x7f00
	s_brev_b32 s5, 16
	s_brev_b32 s18, 1
	s_mov_b32 s19, 0x2f800000
	s_mov_b32 s20, 0xcf800000
	s_waitcnt vmcnt(0)
	v_lshlrev_b16_e32 v1, 8, v0
	v_lshlrev_b32_e32 v0, 25, v0
	v_lshrrev_b32_e32 v4, 4, v0
	v_and_or_b32 v5, v1, s4, 0.5
	v_or_b32_e32 v4, 0x70000000, v4
	v_add_f32_e32 v5, -0.5, v5
	v_mul_f32_e32 v4, 0x7800000, v4
	v_cmp_gt_u32_e32 vcc, s5, v0
	v_bfe_i32 v1, v1, 0, 16
	v_cndmask_b32_e32 v0, v4, v5, vcc
	v_and_or_b32 v0, v1, s18, v0
	v_trunc_f32_e32 v0, v0
	v_mul_f32_e64 v1, |v0|, s19
	v_floor_f32_e32 v1, v1
	v_fma_f32 v4, v1, s20, |v0|
	v_cvt_u32_f32_e32 v4, v4
	v_cvt_u32_f32_e32 v1, v1
	v_ashrrev_i32_e32 v5, 31, v0
	v_xor_b32_e32 v0, v4, v5
	v_xor_b32_e32 v1, v1, v5
	v_sub_co_u32_e32 v0, vcc, v0, v5
	v_subb_co_u32_e32 v1, vcc, v1, v5, vcc
.LBB62_1640:
	s_mov_b64 s[20:21], -1
	s_mov_b64 s[4:5], 0
	s_cbranch_execnz .LBB62_1649
.LBB62_1641:
	s_cmp_gt_i32 s22, 14
	s_cbranch_scc0 .LBB62_1644
; %bb.1642:
	s_cmp_eq_u32 s22, 15
	s_cbranch_scc0 .LBB62_1645
; %bb.1643:
	global_load_ushort v0, v[2:3], off
	s_mov_b32 s0, 0x2f800000
	s_mov_b32 s1, 0xcf800000
	s_mov_b64 s[20:21], -1
	s_waitcnt vmcnt(0)
	v_lshlrev_b32_e32 v0, 16, v0
	v_trunc_f32_e32 v0, v0
	v_mul_f32_e64 v1, |v0|, s0
	v_floor_f32_e32 v1, v1
	v_fma_f32 v4, v1, s1, |v0|
	v_cvt_u32_f32_e32 v4, v4
	v_cvt_u32_f32_e32 v1, v1
	v_ashrrev_i32_e32 v5, 31, v0
	s_mov_b64 s[0:1], 0
	v_xor_b32_e32 v0, v4, v5
	v_xor_b32_e32 v1, v1, v5
	v_sub_co_u32_e32 v0, vcc, v0, v5
	v_subb_co_u32_e32 v1, vcc, v1, v5, vcc
	s_branch .LBB62_1646
.LBB62_1644:
	s_mov_b64 s[18:19], -1
                                        ; implicit-def: $vgpr0_vgpr1
	s_branch .LBB62_1647
.LBB62_1645:
	s_mov_b64 s[0:1], -1
                                        ; implicit-def: $vgpr0_vgpr1
.LBB62_1646:
	s_mov_b64 s[18:19], 0
.LBB62_1647:
	s_and_b64 vcc, exec, s[18:19]
	s_cbranch_vccz .LBB62_1649
; %bb.1648:
	s_cmp_lg_u32 s22, 11
	s_mov_b64 s[4:5], -1
	s_cselect_b64 s[0:1], -1, 0
.LBB62_1649:
	s_and_b64 vcc, exec, s[0:1]
	s_mov_b64 s[18:19], s[16:17]
	s_cbranch_vccnz .LBB62_1710
; %bb.1650:
	s_andn2_b64 vcc, exec, s[4:5]
	s_cbranch_vccnz .LBB62_1652
.LBB62_1651:
	global_load_ubyte v0, v[2:3], off
	s_mov_b32 s0, 0
	s_waitcnt vmcnt(1)
	v_mov_b32_e32 v1, s0
	s_mov_b64 s[20:21], -1
	s_waitcnt vmcnt(0)
	v_cmp_ne_u16_e32 vcc, 0, v0
	v_cndmask_b32_e64 v0, 0, 1, vcc
.LBB62_1652:
	s_branch .LBB62_1587
.LBB62_1653:
	s_and_b32 s4, 0xffff, s28
	s_cmp_lt_i32 s4, 5
	s_cbranch_scc1 .LBB62_1658
; %bb.1654:
	s_cmp_lt_i32 s4, 8
	s_cbranch_scc1 .LBB62_1659
; %bb.1655:
	;; [unrolled: 3-line block ×3, first 2 shown]
	s_cmp_gt_i32 s4, 9
	s_cbranch_scc0 .LBB62_1661
; %bb.1657:
	global_load_dwordx2 v[0:1], v[2:3], off
	s_movk_i32 s0, 0xffe0
	s_waitcnt vmcnt(0)
	v_trunc_f64_e32 v[0:1], v[0:1]
	v_ldexp_f64 v[4:5], v[0:1], s0
	s_mov_b32 s0, 0
	s_mov_b32 s1, 0xc1f00000
	v_floor_f64_e32 v[4:5], v[4:5]
	v_fma_f64 v[8:9], v[4:5], s[0:1], v[0:1]
	v_cvt_i32_f64_e32 v1, v[4:5]
	s_mov_b64 s[0:1], 0
	v_cvt_u32_f64_e32 v0, v[8:9]
	s_branch .LBB62_1662
.LBB62_1658:
                                        ; implicit-def: $vgpr0_vgpr1
	s_branch .LBB62_1679
.LBB62_1659:
                                        ; implicit-def: $vgpr0_vgpr1
	s_branch .LBB62_1668
.LBB62_1660:
	s_mov_b64 s[0:1], -1
                                        ; implicit-def: $vgpr0_vgpr1
	s_branch .LBB62_1665
.LBB62_1661:
	s_mov_b64 s[0:1], -1
                                        ; implicit-def: $vgpr0_vgpr1
.LBB62_1662:
	s_andn2_b64 vcc, exec, s[0:1]
	s_cbranch_vccnz .LBB62_1664
; %bb.1663:
	global_load_dword v0, v[2:3], off
	s_mov_b32 s0, 0x2f800000
	s_mov_b32 s1, 0xcf800000
	s_waitcnt vmcnt(0)
	v_trunc_f32_e32 v0, v0
	v_mul_f32_e64 v1, |v0|, s0
	v_floor_f32_e32 v1, v1
	v_cvt_u32_f32_e32 v4, v1
	v_fma_f32 v1, v1, s1, |v0|
	v_cvt_u32_f32_e32 v1, v1
	v_ashrrev_i32_e32 v5, 31, v0
	v_xor_b32_e32 v4, v4, v5
	v_xor_b32_e32 v0, v1, v5
	v_sub_co_u32_e32 v0, vcc, v0, v5
	v_subb_co_u32_e32 v1, vcc, v4, v5, vcc
.LBB62_1664:
	s_mov_b64 s[0:1], 0
.LBB62_1665:
	s_andn2_b64 vcc, exec, s[0:1]
	s_cbranch_vccnz .LBB62_1667
; %bb.1666:
	global_load_dword v0, v[2:3], off
	s_waitcnt vmcnt(0)
	v_cvt_f32_f16_e32 v0, v0
	v_cvt_i32_f32_e32 v0, v0
	v_ashrrev_i32_e32 v1, 31, v0
.LBB62_1667:
	s_cbranch_execnz .LBB62_1678
.LBB62_1668:
	s_cmp_lt_i32 s4, 6
	s_cbranch_scc1 .LBB62_1671
; %bb.1669:
	s_cmp_gt_i32 s4, 6
	s_cbranch_scc0 .LBB62_1672
; %bb.1670:
	global_load_dwordx2 v[0:1], v[2:3], off
	s_movk_i32 s0, 0xffe0
	s_waitcnt vmcnt(0)
	v_trunc_f64_e32 v[0:1], v[0:1]
	v_ldexp_f64 v[4:5], v[0:1], s0
	s_mov_b32 s0, 0
	s_mov_b32 s1, 0xc1f00000
	v_floor_f64_e32 v[4:5], v[4:5]
	v_fma_f64 v[8:9], v[4:5], s[0:1], v[0:1]
	v_cvt_i32_f64_e32 v1, v[4:5]
	s_mov_b64 s[0:1], 0
	v_cvt_u32_f64_e32 v0, v[8:9]
	s_branch .LBB62_1673
.LBB62_1671:
	s_mov_b64 s[0:1], -1
                                        ; implicit-def: $vgpr0_vgpr1
	s_branch .LBB62_1676
.LBB62_1672:
	s_mov_b64 s[0:1], -1
                                        ; implicit-def: $vgpr0_vgpr1
.LBB62_1673:
	s_andn2_b64 vcc, exec, s[0:1]
	s_cbranch_vccnz .LBB62_1675
; %bb.1674:
	global_load_dword v0, v[2:3], off
	s_mov_b32 s0, 0x2f800000
	s_mov_b32 s1, 0xcf800000
	s_waitcnt vmcnt(0)
	v_trunc_f32_e32 v0, v0
	v_mul_f32_e64 v1, |v0|, s0
	v_floor_f32_e32 v1, v1
	v_cvt_u32_f32_e32 v4, v1
	v_fma_f32 v1, v1, s1, |v0|
	v_cvt_u32_f32_e32 v1, v1
	v_ashrrev_i32_e32 v5, 31, v0
	v_xor_b32_e32 v4, v4, v5
	v_xor_b32_e32 v0, v1, v5
	v_sub_co_u32_e32 v0, vcc, v0, v5
	v_subb_co_u32_e32 v1, vcc, v4, v5, vcc
.LBB62_1675:
	s_mov_b64 s[0:1], 0
.LBB62_1676:
	s_andn2_b64 vcc, exec, s[0:1]
	s_cbranch_vccnz .LBB62_1678
; %bb.1677:
	global_load_ushort v0, v[2:3], off
	s_waitcnt vmcnt(0)
	v_cvt_f32_f16_e32 v0, v0
	v_cvt_i32_f32_e32 v0, v0
	v_ashrrev_i32_e32 v1, 31, v0
.LBB62_1678:
	s_cbranch_execnz .LBB62_1697
.LBB62_1679:
	s_cmp_lt_i32 s4, 2
	s_cbranch_scc1 .LBB62_1683
; %bb.1680:
	s_cmp_lt_i32 s4, 3
	s_cbranch_scc1 .LBB62_1684
; %bb.1681:
	s_cmp_gt_i32 s4, 3
	s_cbranch_scc0 .LBB62_1685
; %bb.1682:
	global_load_dwordx2 v[0:1], v[2:3], off
	s_mov_b64 s[0:1], 0
	s_branch .LBB62_1686
.LBB62_1683:
                                        ; implicit-def: $vgpr0_vgpr1
	s_branch .LBB62_1692
.LBB62_1684:
	s_mov_b64 s[0:1], -1
                                        ; implicit-def: $vgpr0_vgpr1
	s_branch .LBB62_1689
.LBB62_1685:
	s_mov_b64 s[0:1], -1
                                        ; implicit-def: $vgpr0_vgpr1
.LBB62_1686:
	s_andn2_b64 vcc, exec, s[0:1]
	s_cbranch_vccnz .LBB62_1688
; %bb.1687:
	global_load_dword v0, v[2:3], off
	s_waitcnt vmcnt(0)
	v_ashrrev_i32_e32 v1, 31, v0
.LBB62_1688:
	s_mov_b64 s[0:1], 0
.LBB62_1689:
	s_andn2_b64 vcc, exec, s[0:1]
	s_cbranch_vccnz .LBB62_1691
; %bb.1690:
	global_load_ushort v0, v[2:3], off
	s_waitcnt vmcnt(0)
	v_bfe_i32 v0, v0, 0, 16
	v_ashrrev_i32_e32 v1, 31, v0
.LBB62_1691:
	s_cbranch_execnz .LBB62_1697
.LBB62_1692:
	s_cmp_gt_i32 s4, 0
	s_cbranch_scc0 .LBB62_1694
; %bb.1693:
	global_load_sbyte v0, v[2:3], off
	s_mov_b64 s[0:1], 0
	s_waitcnt vmcnt(0)
	v_bfe_i32 v0, v0, 0, 16
	v_ashrrev_i32_e32 v1, 31, v0
	s_branch .LBB62_1695
.LBB62_1694:
	s_mov_b64 s[0:1], -1
                                        ; implicit-def: $vgpr0_vgpr1
.LBB62_1695:
	s_andn2_b64 vcc, exec, s[0:1]
	s_cbranch_vccnz .LBB62_1697
; %bb.1696:
	global_load_ubyte v0, v[2:3], off
	s_mov_b32 s0, 0
	s_waitcnt vmcnt(1)
	v_mov_b32_e32 v1, s0
	s_waitcnt vmcnt(0)
	v_and_b32_e32 v0, 0xffff, v0
.LBB62_1697:
.LBB62_1698:
	v_mul_lo_u32 v8, s14, v6
	v_mov_b32_e32 v3, s3
	s_and_b32 s29, s54, 0xff
	s_cmp_lt_i32 s29, 11
	v_ashrrev_i32_e32 v4, 31, v8
	v_add_co_u32_e32 v2, vcc, s2, v8
	v_addc_co_u32_e32 v3, vcc, v3, v4, vcc
	s_cbranch_scc1 .LBB62_1705
; %bb.1699:
	s_and_b32 s24, 0xffff, s29
	s_cmp_gt_i32 s24, 25
	s_mov_b64 s[4:5], 0
	s_cbranch_scc0 .LBB62_1707
; %bb.1700:
	s_cmp_gt_i32 s24, 28
	s_cbranch_scc0 .LBB62_1708
; %bb.1701:
	s_cmp_gt_i32 s24, 43
	;; [unrolled: 3-line block ×3, first 2 shown]
	s_cbranch_scc0 .LBB62_1711
; %bb.1703:
	s_cmp_eq_u32 s24, 46
	s_mov_b64 s[22:23], 0
	s_cbranch_scc0 .LBB62_1714
; %bb.1704:
	global_load_dword v4, v[2:3], off
	s_mov_b32 s0, 0x2f800000
	s_mov_b32 s1, 0xcf800000
	s_mov_b64 s[20:21], -1
	s_waitcnt vmcnt(0)
	v_lshlrev_b32_e32 v4, 16, v4
	v_trunc_f32_e32 v4, v4
	v_mul_f32_e64 v5, |v4|, s0
	v_floor_f32_e32 v5, v5
	v_fma_f32 v9, v5, s1, |v4|
	v_cvt_u32_f32_e32 v9, v9
	v_cvt_u32_f32_e32 v5, v5
	v_ashrrev_i32_e32 v10, 31, v4
	s_mov_b64 s[0:1], 0
	v_xor_b32_e32 v4, v9, v10
	v_xor_b32_e32 v5, v5, v10
	v_sub_co_u32_e32 v4, vcc, v4, v10
	v_subb_co_u32_e32 v5, vcc, v5, v10, vcc
	s_branch .LBB62_1715
.LBB62_1705:
	s_mov_b64 s[20:21], 0
                                        ; implicit-def: $vgpr4_vgpr5
	s_cbranch_execnz .LBB62_1776
.LBB62_1706:
	s_andn2_b64 vcc, exec, s[20:21]
	s_cbranch_vccnz .LBB62_2634
	s_branch .LBB62_1823
.LBB62_1707:
	s_mov_b64 s[20:21], 0
	s_mov_b64 s[0:1], 0
                                        ; implicit-def: $vgpr4_vgpr5
	s_cbranch_execnz .LBB62_1744
	s_branch .LBB62_1772
.LBB62_1708:
	s_mov_b64 s[22:23], -1
	s_mov_b64 s[20:21], 0
	s_mov_b64 s[0:1], 0
                                        ; implicit-def: $vgpr4_vgpr5
	s_branch .LBB62_1725
.LBB62_1709:
	s_mov_b64 s[22:23], -1
	s_mov_b64 s[20:21], 0
	s_mov_b64 s[0:1], 0
                                        ; implicit-def: $vgpr4_vgpr5
	s_branch .LBB62_1720
.LBB62_1710:
	s_or_b64 s[18:19], s[16:17], exec
	s_trap 2
	s_cbranch_execz .LBB62_1651
	s_branch .LBB62_1652
.LBB62_1711:
	s_mov_b64 s[22:23], -1
	s_mov_b64 s[20:21], 0
	s_mov_b64 s[0:1], 0
                                        ; implicit-def: $vgpr4_vgpr5
	s_branch .LBB62_1715
.LBB62_1712:
	s_andn2_saveexec_b64 s[30:31], s[30:31]
	s_cbranch_execz .LBB62_1502
.LBB62_1713:
	v_add_f32_e32 v0, 0x42800000, v1
	v_and_b32_e32 v0, 0xff, v0
	v_cmp_ne_u32_e32 vcc, 0, v0
	s_andn2_b64 s[28:29], s[28:29], exec
	s_and_b64 s[36:37], vcc, exec
	s_or_b64 s[28:29], s[28:29], s[36:37]
	s_or_b64 exec, exec, s[30:31]
	v_mov_b32_e32 v4, 0
	s_and_saveexec_b64 s[30:31], s[28:29]
	s_cbranch_execnz .LBB62_1503
	s_branch .LBB62_1504
.LBB62_1714:
	s_mov_b64 s[0:1], -1
                                        ; implicit-def: $vgpr4_vgpr5
	s_mov_b64 s[20:21], 0
.LBB62_1715:
	s_and_b64 vcc, exec, s[22:23]
	s_cbranch_vccz .LBB62_1719
; %bb.1716:
	s_cmp_eq_u32 s24, 44
	s_cbranch_scc0 .LBB62_1718
; %bb.1717:
	global_load_ubyte v4, v[2:3], off
	s_mov_b32 s0, 0x2f800000
	s_mov_b32 s1, 0xcf800000
	s_mov_b64 s[20:21], -1
	s_waitcnt vmcnt(0)
	v_lshlrev_b32_e32 v5, 23, v4
	v_trunc_f32_e32 v5, v5
	v_mul_f32_e64 v9, |v5|, s0
	v_floor_f32_e32 v9, v9
	v_fma_f32 v10, v9, s1, |v5|
	v_cvt_u32_f32_e32 v10, v10
	v_cvt_u32_f32_e32 v9, v9
	v_ashrrev_i32_e32 v5, 31, v5
	s_mov_b64 s[0:1], 0
	v_xor_b32_e32 v10, v10, v5
	v_xor_b32_e32 v9, v9, v5
	v_sub_co_u32_e32 v10, vcc, v10, v5
	v_subb_co_u32_e32 v5, vcc, v9, v5, vcc
	v_cmp_ne_u32_e32 vcc, 0, v4
	v_cndmask_b32_e32 v5, 0, v5, vcc
	v_cndmask_b32_e32 v4, 0, v10, vcc
	s_branch .LBB62_1719
.LBB62_1718:
	s_mov_b64 s[0:1], -1
                                        ; implicit-def: $vgpr4_vgpr5
.LBB62_1719:
	s_mov_b64 s[22:23], 0
.LBB62_1720:
	s_and_b64 vcc, exec, s[22:23]
	s_cbranch_vccz .LBB62_1724
; %bb.1721:
	s_cmp_eq_u32 s24, 29
	s_cbranch_scc0 .LBB62_1723
; %bb.1722:
	global_load_dwordx2 v[4:5], v[2:3], off
	s_mov_b64 s[0:1], 0
	s_mov_b64 s[20:21], -1
	s_branch .LBB62_1724
.LBB62_1723:
	s_mov_b64 s[0:1], -1
                                        ; implicit-def: $vgpr4_vgpr5
.LBB62_1724:
	s_mov_b64 s[22:23], 0
.LBB62_1725:
	s_and_b64 vcc, exec, s[22:23]
	s_cbranch_vccz .LBB62_1743
; %bb.1726:
	s_cmp_lt_i32 s24, 27
	s_cbranch_scc1 .LBB62_1729
; %bb.1727:
	s_cmp_gt_i32 s24, 27
	s_cbranch_scc0 .LBB62_1730
; %bb.1728:
	global_load_dword v4, v[2:3], off
	s_waitcnt vmcnt(1)
	v_mov_b32_e32 v5, 0
	s_mov_b64 s[20:21], 0
	s_branch .LBB62_1731
.LBB62_1729:
	s_mov_b64 s[20:21], -1
                                        ; implicit-def: $vgpr4_vgpr5
	s_branch .LBB62_1734
.LBB62_1730:
	s_mov_b64 s[20:21], -1
                                        ; implicit-def: $vgpr4_vgpr5
.LBB62_1731:
	s_andn2_b64 vcc, exec, s[20:21]
	s_cbranch_vccnz .LBB62_1733
; %bb.1732:
	global_load_ushort v4, v[2:3], off
	s_mov_b32 s20, 0
	s_waitcnt vmcnt(1)
	v_mov_b32_e32 v5, s20
	s_waitcnt vmcnt(0)
	v_and_b32_e32 v4, 0xffff, v4
.LBB62_1733:
	s_mov_b64 s[20:21], 0
.LBB62_1734:
	s_andn2_b64 vcc, exec, s[20:21]
	s_cbranch_vccnz .LBB62_1742
; %bb.1735:
	global_load_ubyte v9, v[2:3], off
	s_movk_i32 s20, 0x7f
	s_mov_b64 s[22:23], 0
	s_waitcnt vmcnt(0)
	v_cmp_lt_i16_e32 vcc, s20, v9
	s_and_saveexec_b64 s[20:21], vcc
	s_xor_b64 s[20:21], exec, s[20:21]
; %bb.1736:
	s_movk_i32 s22, 0x80
	v_cmp_ne_u16_e32 vcc, s22, v9
	s_and_b64 s[22:23], vcc, exec
; %bb.1737:
	s_andn2_saveexec_b64 s[20:21], s[20:21]
; %bb.1738:
	v_cmp_ne_u16_e32 vcc, 0, v9
	s_andn2_b64 s[22:23], s[22:23], exec
	s_and_b64 s[26:27], vcc, exec
	s_or_b64 s[22:23], s[22:23], s[26:27]
; %bb.1739:
	s_or_b64 exec, exec, s[20:21]
	v_mov_b32_e32 v4, 0
	v_mov_b32_e32 v5, 0
	s_and_saveexec_b64 s[20:21], s[22:23]
	s_cbranch_execz .LBB62_1741
; %bb.1740:
	v_and_b32_e32 v5, 0xffff, v9
	v_lshlrev_b32_e32 v4, 24, v9
	v_and_b32_e32 v9, 7, v5
	v_ffbh_u32_e32 v11, v9
	v_min_u32_e32 v11, 32, v11
	v_subrev_u32_e32 v12, 28, v11
	v_bfe_u32 v10, v5, 3, 4
	v_lshlrev_b32_e32 v5, v12, v5
	v_sub_u32_e32 v11, 29, v11
	v_and_b32_e32 v5, 7, v5
	v_cmp_eq_u32_e32 vcc, 0, v10
	v_cndmask_b32_e32 v10, v10, v11, vcc
	v_cndmask_b32_e32 v5, v9, v5, vcc
	v_mov_b32_e32 v9, 0x3b800000
	v_lshlrev_b32_e32 v5, 20, v5
	v_and_b32_e32 v4, 0x80000000, v4
	v_lshl_add_u32 v9, v10, 23, v9
	v_or3_b32 v4, v4, v9, v5
	v_trunc_f32_e32 v4, v4
	s_mov_b32 s22, 0x2f800000
	v_mul_f32_e64 v5, |v4|, s22
	v_floor_f32_e32 v5, v5
	s_mov_b32 s22, 0xcf800000
	v_fma_f32 v9, v5, s22, |v4|
	v_cvt_u32_f32_e32 v9, v9
	v_cvt_u32_f32_e32 v5, v5
	v_ashrrev_i32_e32 v10, 31, v4
	v_xor_b32_e32 v4, v9, v10
	v_xor_b32_e32 v5, v5, v10
	v_sub_co_u32_e32 v4, vcc, v4, v10
	v_subb_co_u32_e32 v5, vcc, v5, v10, vcc
.LBB62_1741:
	s_or_b64 exec, exec, s[20:21]
.LBB62_1742:
	s_mov_b64 s[20:21], -1
.LBB62_1743:
	s_branch .LBB62_1772
.LBB62_1744:
	s_cmp_gt_i32 s24, 22
	s_cbranch_scc0 .LBB62_1754
; %bb.1745:
	s_cmp_lt_i32 s24, 24
	s_cbranch_scc1 .LBB62_1755
; %bb.1746:
	s_cmp_gt_i32 s24, 24
	s_cbranch_scc0 .LBB62_1756
; %bb.1747:
	global_load_ubyte v9, v[2:3], off
	s_movk_i32 s4, 0x7f
	s_mov_b64 s[20:21], 0
	s_waitcnt vmcnt(0)
	v_cmp_lt_i16_e32 vcc, s4, v9
	s_and_saveexec_b64 s[4:5], vcc
	s_xor_b64 s[4:5], exec, s[4:5]
; %bb.1748:
	s_movk_i32 s20, 0x80
	v_cmp_ne_u16_e32 vcc, s20, v9
	s_and_b64 s[20:21], vcc, exec
; %bb.1749:
	s_andn2_saveexec_b64 s[4:5], s[4:5]
; %bb.1750:
	v_cmp_ne_u16_e32 vcc, 0, v9
	s_andn2_b64 s[20:21], s[20:21], exec
	s_and_b64 s[22:23], vcc, exec
	s_or_b64 s[20:21], s[20:21], s[22:23]
; %bb.1751:
	s_or_b64 exec, exec, s[4:5]
	v_mov_b32_e32 v4, 0
	v_mov_b32_e32 v5, 0
	s_and_saveexec_b64 s[4:5], s[20:21]
	s_cbranch_execz .LBB62_1753
; %bb.1752:
	v_and_b32_e32 v5, 0xffff, v9
	v_lshlrev_b32_e32 v4, 24, v9
	v_and_b32_e32 v9, 3, v5
	v_ffbh_u32_e32 v11, v9
	v_min_u32_e32 v11, 32, v11
	v_subrev_u32_e32 v12, 29, v11
	v_bfe_u32 v10, v5, 2, 5
	v_lshlrev_b32_e32 v5, v12, v5
	v_sub_u32_e32 v11, 30, v11
	v_and_b32_e32 v5, 3, v5
	v_cmp_eq_u32_e32 vcc, 0, v10
	v_cndmask_b32_e32 v10, v10, v11, vcc
	v_cndmask_b32_e32 v5, v9, v5, vcc
	v_mov_b32_e32 v9, 0x37800000
	v_lshlrev_b32_e32 v5, 21, v5
	v_and_b32_e32 v4, 0x80000000, v4
	v_lshl_add_u32 v9, v10, 23, v9
	v_or3_b32 v4, v4, v9, v5
	v_trunc_f32_e32 v4, v4
	s_mov_b32 s20, 0x2f800000
	v_mul_f32_e64 v5, |v4|, s20
	v_floor_f32_e32 v5, v5
	s_mov_b32 s20, 0xcf800000
	v_fma_f32 v9, v5, s20, |v4|
	v_cvt_u32_f32_e32 v9, v9
	v_cvt_u32_f32_e32 v5, v5
	v_ashrrev_i32_e32 v10, 31, v4
	v_xor_b32_e32 v4, v9, v10
	v_xor_b32_e32 v5, v5, v10
	v_sub_co_u32_e32 v4, vcc, v4, v10
	v_subb_co_u32_e32 v5, vcc, v5, v10, vcc
.LBB62_1753:
	s_or_b64 exec, exec, s[4:5]
	s_mov_b64 s[4:5], 0
	s_branch .LBB62_1757
.LBB62_1754:
	s_mov_b64 s[4:5], -1
                                        ; implicit-def: $vgpr4_vgpr5
	s_branch .LBB62_1763
.LBB62_1755:
	s_mov_b64 s[4:5], -1
                                        ; implicit-def: $vgpr4_vgpr5
	s_branch .LBB62_1760
.LBB62_1756:
	s_mov_b64 s[4:5], -1
                                        ; implicit-def: $vgpr4_vgpr5
.LBB62_1757:
	s_and_b64 vcc, exec, s[4:5]
	s_cbranch_vccz .LBB62_1759
; %bb.1758:
	global_load_ubyte v4, v[2:3], off
	s_mov_b32 s4, 0x7f800000
	s_brev_b32 s5, 1
	s_mov_b32 s20, 0x2f800000
	s_mov_b32 s21, 0xcf800000
	s_waitcnt vmcnt(0)
	v_lshlrev_b32_e32 v4, 24, v4
	v_and_b32_e32 v5, 0x7f000000, v4
	v_ffbh_u32_e32 v9, v5
	v_min_u32_e32 v9, 32, v9
	v_sub_u32_e64 v9, v9, 4 clamp
	v_lshlrev_b32_e32 v11, v9, v5
	v_lshlrev_b32_e32 v9, 23, v9
	v_lshrrev_b32_e32 v11, 4, v11
	v_add_u32_e32 v10, 0x1000000, v5
	v_sub_u32_e32 v9, v11, v9
	v_ashrrev_i32_e32 v10, 8, v10
	v_add_u32_e32 v9, 0x3c000000, v9
	v_and_or_b32 v9, v10, s4, v9
	v_cmp_ne_u32_e32 vcc, 0, v5
	v_cndmask_b32_e32 v5, 0, v9, vcc
	v_and_or_b32 v4, v4, s5, v5
	v_trunc_f32_e32 v4, v4
	v_mul_f32_e64 v5, |v4|, s20
	v_floor_f32_e32 v5, v5
	v_fma_f32 v9, v5, s21, |v4|
	v_cvt_u32_f32_e32 v9, v9
	v_cvt_u32_f32_e32 v5, v5
	v_ashrrev_i32_e32 v10, 31, v4
	v_xor_b32_e32 v4, v9, v10
	v_xor_b32_e32 v5, v5, v10
	v_sub_co_u32_e32 v4, vcc, v4, v10
	v_subb_co_u32_e32 v5, vcc, v5, v10, vcc
.LBB62_1759:
	s_mov_b64 s[4:5], 0
.LBB62_1760:
	s_andn2_b64 vcc, exec, s[4:5]
	s_cbranch_vccnz .LBB62_1762
; %bb.1761:
	global_load_ubyte v4, v[2:3], off
	s_movk_i32 s4, 0x7f00
	s_brev_b32 s5, 16
	s_brev_b32 s20, 1
	s_mov_b32 s21, 0x2f800000
	s_mov_b32 s22, 0xcf800000
	s_waitcnt vmcnt(0)
	v_lshlrev_b16_e32 v5, 8, v4
	v_lshlrev_b32_e32 v4, 25, v4
	v_lshrrev_b32_e32 v9, 4, v4
	v_and_or_b32 v10, v5, s4, 0.5
	v_or_b32_e32 v9, 0x70000000, v9
	v_add_f32_e32 v10, -0.5, v10
	v_mul_f32_e32 v9, 0x7800000, v9
	v_cmp_gt_u32_e32 vcc, s5, v4
	v_bfe_i32 v5, v5, 0, 16
	v_cndmask_b32_e32 v4, v9, v10, vcc
	v_and_or_b32 v4, v5, s20, v4
	v_trunc_f32_e32 v4, v4
	v_mul_f32_e64 v5, |v4|, s21
	v_floor_f32_e32 v5, v5
	v_fma_f32 v9, v5, s22, |v4|
	v_cvt_u32_f32_e32 v9, v9
	v_cvt_u32_f32_e32 v5, v5
	v_ashrrev_i32_e32 v10, 31, v4
	v_xor_b32_e32 v4, v9, v10
	v_xor_b32_e32 v5, v5, v10
	v_sub_co_u32_e32 v4, vcc, v4, v10
	v_subb_co_u32_e32 v5, vcc, v5, v10, vcc
.LBB62_1762:
	s_mov_b64 s[4:5], 0
	s_mov_b64 s[20:21], -1
.LBB62_1763:
	s_andn2_b64 vcc, exec, s[4:5]
	s_mov_b64 s[4:5], 0
	s_cbranch_vccnz .LBB62_1772
; %bb.1764:
	s_cmp_gt_i32 s24, 14
	s_cbranch_scc0 .LBB62_1767
; %bb.1765:
	s_cmp_eq_u32 s24, 15
	s_cbranch_scc0 .LBB62_1768
; %bb.1766:
	global_load_ushort v4, v[2:3], off
	s_mov_b32 s0, 0x2f800000
	s_mov_b32 s1, 0xcf800000
	s_mov_b64 s[20:21], -1
	s_waitcnt vmcnt(0)
	v_lshlrev_b32_e32 v4, 16, v4
	v_trunc_f32_e32 v4, v4
	v_mul_f32_e64 v5, |v4|, s0
	v_floor_f32_e32 v5, v5
	v_fma_f32 v9, v5, s1, |v4|
	v_cvt_u32_f32_e32 v9, v9
	v_cvt_u32_f32_e32 v5, v5
	v_ashrrev_i32_e32 v10, 31, v4
	s_mov_b64 s[0:1], 0
	v_xor_b32_e32 v4, v9, v10
	v_xor_b32_e32 v5, v5, v10
	v_sub_co_u32_e32 v4, vcc, v4, v10
	v_subb_co_u32_e32 v5, vcc, v5, v10, vcc
	s_branch .LBB62_1769
.LBB62_1767:
	s_mov_b64 s[22:23], -1
                                        ; implicit-def: $vgpr4_vgpr5
	s_branch .LBB62_1770
.LBB62_1768:
	s_mov_b64 s[0:1], -1
                                        ; implicit-def: $vgpr4_vgpr5
.LBB62_1769:
	s_mov_b64 s[22:23], 0
.LBB62_1770:
	s_and_b64 vcc, exec, s[22:23]
	s_cbranch_vccz .LBB62_1772
; %bb.1771:
	s_cmp_lg_u32 s24, 11
	s_mov_b64 s[4:5], -1
	s_cselect_b64 s[0:1], -1, 0
.LBB62_1772:
	s_and_b64 vcc, exec, s[0:1]
	s_cbranch_vccnz .LBB62_1851
; %bb.1773:
	s_andn2_b64 vcc, exec, s[4:5]
	s_cbranch_vccnz .LBB62_1775
.LBB62_1774:
	global_load_ubyte v4, v[2:3], off
	s_mov_b32 s0, 0
	s_waitcnt vmcnt(1)
	v_mov_b32_e32 v5, s0
	s_mov_b64 s[20:21], -1
	s_waitcnt vmcnt(0)
	v_cmp_ne_u16_e32 vcc, 0, v4
	v_cndmask_b32_e64 v4, 0, 1, vcc
.LBB62_1775:
	s_branch .LBB62_1706
.LBB62_1776:
	s_and_b32 s4, 0xffff, s29
	s_cmp_lt_i32 s4, 5
	s_cbranch_scc1 .LBB62_1781
; %bb.1777:
	s_cmp_lt_i32 s4, 8
	s_cbranch_scc1 .LBB62_1782
; %bb.1778:
	;; [unrolled: 3-line block ×3, first 2 shown]
	s_cmp_gt_i32 s4, 9
	s_cbranch_scc0 .LBB62_1784
; %bb.1780:
	global_load_dwordx2 v[4:5], v[2:3], off
	s_movk_i32 s0, 0xffe0
	s_waitcnt vmcnt(0)
	v_trunc_f64_e32 v[4:5], v[4:5]
	v_ldexp_f64 v[9:10], v[4:5], s0
	s_mov_b32 s0, 0
	s_mov_b32 s1, 0xc1f00000
	v_floor_f64_e32 v[9:10], v[9:10]
	v_fma_f64 v[11:12], v[9:10], s[0:1], v[4:5]
	v_cvt_i32_f64_e32 v5, v[9:10]
	s_mov_b64 s[0:1], 0
	v_cvt_u32_f64_e32 v4, v[11:12]
	s_branch .LBB62_1785
.LBB62_1781:
                                        ; implicit-def: $vgpr4_vgpr5
	s_branch .LBB62_1803
.LBB62_1782:
	s_mov_b64 s[0:1], -1
                                        ; implicit-def: $vgpr4_vgpr5
	s_branch .LBB62_1791
.LBB62_1783:
	s_mov_b64 s[0:1], -1
                                        ; implicit-def: $vgpr4_vgpr5
	s_branch .LBB62_1788
.LBB62_1784:
	s_mov_b64 s[0:1], -1
                                        ; implicit-def: $vgpr4_vgpr5
.LBB62_1785:
	s_andn2_b64 vcc, exec, s[0:1]
	s_cbranch_vccnz .LBB62_1787
; %bb.1786:
	global_load_dword v4, v[2:3], off
	s_mov_b32 s0, 0x2f800000
	s_mov_b32 s1, 0xcf800000
	s_waitcnt vmcnt(0)
	v_trunc_f32_e32 v4, v4
	v_mul_f32_e64 v5, |v4|, s0
	v_floor_f32_e32 v5, v5
	v_cvt_u32_f32_e32 v9, v5
	v_fma_f32 v5, v5, s1, |v4|
	v_cvt_u32_f32_e32 v5, v5
	v_ashrrev_i32_e32 v10, 31, v4
	v_xor_b32_e32 v9, v9, v10
	v_xor_b32_e32 v4, v5, v10
	v_sub_co_u32_e32 v4, vcc, v4, v10
	v_subb_co_u32_e32 v5, vcc, v9, v10, vcc
.LBB62_1787:
	s_mov_b64 s[0:1], 0
.LBB62_1788:
	s_andn2_b64 vcc, exec, s[0:1]
	s_cbranch_vccnz .LBB62_1790
; %bb.1789:
	global_load_dword v4, v[2:3], off
	s_waitcnt vmcnt(0)
	v_cvt_f32_f16_e32 v4, v4
	v_cvt_i32_f32_e32 v4, v4
	v_ashrrev_i32_e32 v5, 31, v4
.LBB62_1790:
	s_mov_b64 s[0:1], 0
.LBB62_1791:
	s_andn2_b64 vcc, exec, s[0:1]
	s_cbranch_vccnz .LBB62_1802
; %bb.1792:
	s_cmp_lt_i32 s4, 6
	s_cbranch_scc1 .LBB62_1795
; %bb.1793:
	s_cmp_gt_i32 s4, 6
	s_cbranch_scc0 .LBB62_1796
; %bb.1794:
	global_load_dwordx2 v[4:5], v[2:3], off
	s_movk_i32 s0, 0xffe0
	s_waitcnt vmcnt(0)
	v_trunc_f64_e32 v[4:5], v[4:5]
	v_ldexp_f64 v[9:10], v[4:5], s0
	s_mov_b32 s0, 0
	s_mov_b32 s1, 0xc1f00000
	v_floor_f64_e32 v[9:10], v[9:10]
	v_fma_f64 v[11:12], v[9:10], s[0:1], v[4:5]
	v_cvt_i32_f64_e32 v5, v[9:10]
	s_mov_b64 s[0:1], 0
	v_cvt_u32_f64_e32 v4, v[11:12]
	s_branch .LBB62_1797
.LBB62_1795:
	s_mov_b64 s[0:1], -1
                                        ; implicit-def: $vgpr4_vgpr5
	s_branch .LBB62_1800
.LBB62_1796:
	s_mov_b64 s[0:1], -1
                                        ; implicit-def: $vgpr4_vgpr5
.LBB62_1797:
	s_andn2_b64 vcc, exec, s[0:1]
	s_cbranch_vccnz .LBB62_1799
; %bb.1798:
	global_load_dword v4, v[2:3], off
	s_mov_b32 s0, 0x2f800000
	s_mov_b32 s1, 0xcf800000
	s_waitcnt vmcnt(0)
	v_trunc_f32_e32 v4, v4
	v_mul_f32_e64 v5, |v4|, s0
	v_floor_f32_e32 v5, v5
	v_cvt_u32_f32_e32 v9, v5
	v_fma_f32 v5, v5, s1, |v4|
	v_cvt_u32_f32_e32 v5, v5
	v_ashrrev_i32_e32 v10, 31, v4
	v_xor_b32_e32 v9, v9, v10
	v_xor_b32_e32 v4, v5, v10
	v_sub_co_u32_e32 v4, vcc, v4, v10
	v_subb_co_u32_e32 v5, vcc, v9, v10, vcc
.LBB62_1799:
	s_mov_b64 s[0:1], 0
.LBB62_1800:
	s_andn2_b64 vcc, exec, s[0:1]
	s_cbranch_vccnz .LBB62_1802
; %bb.1801:
	global_load_ushort v4, v[2:3], off
	s_waitcnt vmcnt(0)
	v_cvt_f32_f16_e32 v4, v4
	v_cvt_i32_f32_e32 v4, v4
	v_ashrrev_i32_e32 v5, 31, v4
.LBB62_1802:
	s_cbranch_execnz .LBB62_1822
.LBB62_1803:
	s_cmp_lt_i32 s4, 2
	s_cbranch_scc1 .LBB62_1807
; %bb.1804:
	s_cmp_lt_i32 s4, 3
	s_cbranch_scc1 .LBB62_1808
; %bb.1805:
	s_cmp_gt_i32 s4, 3
	s_cbranch_scc0 .LBB62_1809
; %bb.1806:
	global_load_dwordx2 v[4:5], v[2:3], off
	s_mov_b64 s[0:1], 0
	s_branch .LBB62_1810
.LBB62_1807:
	s_mov_b64 s[0:1], -1
                                        ; implicit-def: $vgpr4_vgpr5
	s_branch .LBB62_1816
.LBB62_1808:
	s_mov_b64 s[0:1], -1
                                        ; implicit-def: $vgpr4_vgpr5
	s_branch .LBB62_1813
.LBB62_1809:
	s_mov_b64 s[0:1], -1
                                        ; implicit-def: $vgpr4_vgpr5
.LBB62_1810:
	s_andn2_b64 vcc, exec, s[0:1]
	s_cbranch_vccnz .LBB62_1812
; %bb.1811:
	global_load_dword v4, v[2:3], off
	s_waitcnt vmcnt(0)
	v_ashrrev_i32_e32 v5, 31, v4
.LBB62_1812:
	s_mov_b64 s[0:1], 0
.LBB62_1813:
	s_andn2_b64 vcc, exec, s[0:1]
	s_cbranch_vccnz .LBB62_1815
; %bb.1814:
	global_load_ushort v4, v[2:3], off
	s_waitcnt vmcnt(0)
	v_bfe_i32 v4, v4, 0, 16
	v_ashrrev_i32_e32 v5, 31, v4
.LBB62_1815:
	s_mov_b64 s[0:1], 0
.LBB62_1816:
	s_andn2_b64 vcc, exec, s[0:1]
	s_cbranch_vccnz .LBB62_1822
; %bb.1817:
	s_cmp_gt_i32 s4, 0
	s_cbranch_scc0 .LBB62_1819
; %bb.1818:
	global_load_sbyte v4, v[2:3], off
	s_mov_b64 s[0:1], 0
	s_waitcnt vmcnt(0)
	v_bfe_i32 v4, v4, 0, 16
	v_ashrrev_i32_e32 v5, 31, v4
	s_branch .LBB62_1820
.LBB62_1819:
	s_mov_b64 s[0:1], -1
                                        ; implicit-def: $vgpr4_vgpr5
.LBB62_1820:
	s_andn2_b64 vcc, exec, s[0:1]
	s_cbranch_vccnz .LBB62_1822
; %bb.1821:
	global_load_ubyte v2, v[2:3], off
	s_mov_b32 s0, 0
	s_waitcnt vmcnt(1)
	v_mov_b32_e32 v5, s0
	s_waitcnt vmcnt(0)
	v_and_b32_e32 v4, 0xffff, v2
.LBB62_1822:
.LBB62_1823:
	s_cmp_lt_i32 s15, 1
	s_mov_b64 s[0:1], 0
	s_cbranch_scc1 .LBB62_1827
; %bb.1824:
	s_cmp_gt_i32 s15, 1
	s_cbranch_scc0 .LBB62_1828
; %bb.1825:
	s_cmp_eq_u32 s15, 2
	s_cbranch_scc0 .LBB62_1829
; %bb.1826:
	s_waitcnt vmcnt(0)
	v_cmp_le_i64_e64 s[4:5], v[0:1], v[4:5]
	s_mov_b64 s[20:21], 0
	s_branch .LBB62_1830
.LBB62_1827:
                                        ; implicit-def: $sgpr4_sgpr5
	s_mov_b64 s[20:21], 0
	s_cbranch_execnz .LBB62_1834
	s_branch .LBB62_1835
.LBB62_1828:
	s_mov_b64 s[22:23], -1
	s_mov_b64 s[20:21], 0
                                        ; implicit-def: $sgpr4_sgpr5
	s_branch .LBB62_1831
.LBB62_1829:
	s_mov_b64 s[20:21], -1
                                        ; implicit-def: $sgpr4_sgpr5
.LBB62_1830:
	s_mov_b64 s[22:23], 0
.LBB62_1831:
	s_and_b64 vcc, exec, s[22:23]
	s_cbranch_vccz .LBB62_1833
; %bb.1832:
	s_waitcnt vmcnt(0)
	v_cmp_gt_i64_e32 vcc, v[0:1], v[4:5]
	s_andn2_b64 s[4:5], s[4:5], exec
	s_and_b64 s[22:23], vcc, exec
	s_or_b64 s[4:5], s[4:5], s[22:23]
.LBB62_1833:
	s_branch .LBB62_1835
.LBB62_1834:
	s_cmp_lg_u32 s15, 0
	s_mov_b64 s[0:1], -1
	s_cselect_b64 s[20:21], -1, 0
.LBB62_1835:
	s_andn2_b64 vcc, exec, s[20:21]
	s_cbranch_vccnz .LBB62_1837
; %bb.1836:
	s_waitcnt vmcnt(0)
	v_cmp_lt_i64_e32 vcc, v[0:1], v[4:5]
	s_andn2_b64 s[4:5], s[4:5], exec
	s_and_b64 s[20:21], vcc, exec
	s_or_b64 s[4:5], s[4:5], s[20:21]
	s_cbranch_execz .LBB62_1838
	s_branch .LBB62_1839
.LBB62_1837:
	s_andn2_b64 vcc, exec, s[0:1]
	s_cbranch_vccnz .LBB62_1839
.LBB62_1838:
	s_waitcnt vmcnt(0)
	v_cmp_ge_i64_e32 vcc, v[0:1], v[4:5]
	s_andn2_b64 s[0:1], s[4:5], exec
	s_and_b64 s[4:5], vcc, exec
	s_or_b64 s[4:5], s[0:1], s[4:5]
.LBB62_1839:
	s_lshl_b32 s13, s13, 7
	v_add_u32_e32 v7, s13, v7
	s_waitcnt vmcnt(0)
	v_ashrrev_i32_e32 v0, 31, v7
	v_mov_b32_e32 v1, s11
	v_add_co_u32_e32 v2, vcc, s10, v7
	s_cmp_lt_i32 s28, 11
	v_addc_co_u32_e32 v3, vcc, v1, v0, vcc
	s_cbranch_scc1 .LBB62_1846
; %bb.1840:
	s_and_b32 s26, 0xffff, s28
	s_cmp_gt_i32 s26, 25
	s_mov_b64 s[20:21], 0
	s_cbranch_scc0 .LBB62_1848
; %bb.1841:
	s_cmp_gt_i32 s26, 28
	s_cbranch_scc0 .LBB62_1849
; %bb.1842:
	s_cmp_gt_i32 s26, 43
	;; [unrolled: 3-line block ×3, first 2 shown]
	s_cbranch_scc0 .LBB62_1852
; %bb.1844:
	s_cmp_eq_u32 s26, 46
	s_mov_b64 s[24:25], 0
	s_cbranch_scc0 .LBB62_1853
; %bb.1845:
	global_load_dword v0, v[2:3], off
	s_mov_b32 s0, 0x2f800000
	s_mov_b32 s1, 0xcf800000
	s_mov_b64 s[22:23], -1
	s_waitcnt vmcnt(0)
	v_lshlrev_b32_e32 v0, 16, v0
	v_trunc_f32_e32 v0, v0
	v_mul_f32_e64 v1, |v0|, s0
	v_floor_f32_e32 v1, v1
	v_fma_f32 v4, v1, s1, |v0|
	v_cvt_u32_f32_e32 v4, v4
	v_cvt_u32_f32_e32 v1, v1
	v_ashrrev_i32_e32 v5, 31, v0
	s_mov_b64 s[0:1], 0
	v_xor_b32_e32 v0, v4, v5
	v_xor_b32_e32 v1, v1, v5
	v_sub_co_u32_e32 v0, vcc, v0, v5
	v_subb_co_u32_e32 v1, vcc, v1, v5, vcc
	s_branch .LBB62_1854
.LBB62_1846:
	s_mov_b64 s[22:23], 0
                                        ; implicit-def: $vgpr0_vgpr1
	s_cbranch_execnz .LBB62_1916
.LBB62_1847:
	s_andn2_b64 vcc, exec, s[22:23]
	s_cbranch_vccnz .LBB62_2634
	s_branch .LBB62_1964
.LBB62_1848:
	s_mov_b64 s[24:25], -1
	s_mov_b64 s[22:23], 0
	s_mov_b64 s[0:1], 0
                                        ; implicit-def: $vgpr0_vgpr1
	s_branch .LBB62_1883
.LBB62_1849:
	s_mov_b64 s[24:25], -1
	s_mov_b64 s[22:23], 0
	s_mov_b64 s[0:1], 0
                                        ; implicit-def: $vgpr0_vgpr1
	s_branch .LBB62_1864
.LBB62_1850:
	s_mov_b64 s[24:25], -1
	s_mov_b64 s[22:23], 0
	s_mov_b64 s[0:1], 0
                                        ; implicit-def: $vgpr0_vgpr1
	s_branch .LBB62_1859
.LBB62_1851:
	s_trap 2
	s_or_b64 s[18:19], s[18:19], exec
	s_cbranch_execz .LBB62_1774
	s_branch .LBB62_1775
.LBB62_1852:
	s_mov_b64 s[24:25], -1
	s_mov_b64 s[22:23], 0
	s_mov_b64 s[0:1], 0
                                        ; implicit-def: $vgpr0_vgpr1
	s_branch .LBB62_1854
.LBB62_1853:
	s_mov_b64 s[0:1], -1
                                        ; implicit-def: $vgpr0_vgpr1
	s_mov_b64 s[22:23], 0
.LBB62_1854:
	s_and_b64 vcc, exec, s[24:25]
	s_cbranch_vccz .LBB62_1858
; %bb.1855:
	s_cmp_eq_u32 s26, 44
	s_cbranch_scc0 .LBB62_1857
; %bb.1856:
	global_load_ubyte v0, v[2:3], off
	s_mov_b32 s0, 0x2f800000
	s_mov_b32 s1, 0xcf800000
	s_mov_b64 s[22:23], -1
	s_waitcnt vmcnt(0)
	v_lshlrev_b32_e32 v1, 23, v0
	v_trunc_f32_e32 v1, v1
	v_mul_f32_e64 v4, |v1|, s0
	v_floor_f32_e32 v4, v4
	v_fma_f32 v5, v4, s1, |v1|
	v_cvt_u32_f32_e32 v5, v5
	v_cvt_u32_f32_e32 v4, v4
	v_ashrrev_i32_e32 v1, 31, v1
	s_mov_b64 s[0:1], 0
	v_xor_b32_e32 v5, v5, v1
	v_xor_b32_e32 v4, v4, v1
	v_sub_co_u32_e32 v5, vcc, v5, v1
	v_subb_co_u32_e32 v1, vcc, v4, v1, vcc
	v_cmp_ne_u32_e32 vcc, 0, v0
	v_cndmask_b32_e32 v1, 0, v1, vcc
	v_cndmask_b32_e32 v0, 0, v5, vcc
	s_branch .LBB62_1858
.LBB62_1857:
	s_mov_b64 s[0:1], -1
                                        ; implicit-def: $vgpr0_vgpr1
.LBB62_1858:
	s_mov_b64 s[24:25], 0
.LBB62_1859:
	s_and_b64 vcc, exec, s[24:25]
	s_cbranch_vccz .LBB62_1863
; %bb.1860:
	s_cmp_eq_u32 s26, 29
	s_cbranch_scc0 .LBB62_1862
; %bb.1861:
	global_load_dwordx2 v[0:1], v[2:3], off
	s_mov_b64 s[0:1], 0
	s_mov_b64 s[22:23], -1
	s_branch .LBB62_1863
.LBB62_1862:
	s_mov_b64 s[0:1], -1
                                        ; implicit-def: $vgpr0_vgpr1
.LBB62_1863:
	s_mov_b64 s[24:25], 0
.LBB62_1864:
	s_and_b64 vcc, exec, s[24:25]
	s_cbranch_vccz .LBB62_1882
; %bb.1865:
	s_cmp_lt_i32 s26, 27
	s_cbranch_scc1 .LBB62_1868
; %bb.1866:
	s_cmp_gt_i32 s26, 27
	s_cbranch_scc0 .LBB62_1869
; %bb.1867:
	global_load_dword v0, v[2:3], off
	s_waitcnt vmcnt(1)
	v_mov_b32_e32 v1, 0
	s_mov_b64 s[22:23], 0
	s_branch .LBB62_1870
.LBB62_1868:
	s_mov_b64 s[22:23], -1
                                        ; implicit-def: $vgpr0_vgpr1
	s_branch .LBB62_1873
.LBB62_1869:
	s_mov_b64 s[22:23], -1
                                        ; implicit-def: $vgpr0_vgpr1
.LBB62_1870:
	s_andn2_b64 vcc, exec, s[22:23]
	s_cbranch_vccnz .LBB62_1872
; %bb.1871:
	global_load_ushort v0, v[2:3], off
	s_mov_b32 s22, 0
	s_waitcnt vmcnt(1)
	v_mov_b32_e32 v1, s22
	s_waitcnt vmcnt(0)
	v_and_b32_e32 v0, 0xffff, v0
.LBB62_1872:
	s_mov_b64 s[22:23], 0
.LBB62_1873:
	s_andn2_b64 vcc, exec, s[22:23]
	s_cbranch_vccnz .LBB62_1881
; %bb.1874:
	global_load_ubyte v4, v[2:3], off
	s_movk_i32 s22, 0x7f
	s_mov_b64 s[24:25], 0
	s_waitcnt vmcnt(0)
	v_cmp_lt_i16_e32 vcc, s22, v4
	s_and_saveexec_b64 s[22:23], vcc
	s_xor_b64 s[22:23], exec, s[22:23]
; %bb.1875:
	s_movk_i32 s24, 0x80
	v_cmp_ne_u16_e32 vcc, s24, v4
	s_and_b64 s[24:25], vcc, exec
; %bb.1876:
	s_andn2_saveexec_b64 s[22:23], s[22:23]
; %bb.1877:
	v_cmp_ne_u16_e32 vcc, 0, v4
	s_andn2_b64 s[24:25], s[24:25], exec
	s_and_b64 s[30:31], vcc, exec
	s_or_b64 s[24:25], s[24:25], s[30:31]
; %bb.1878:
	s_or_b64 exec, exec, s[22:23]
	v_mov_b32_e32 v0, 0
	v_mov_b32_e32 v1, 0
	s_and_saveexec_b64 s[22:23], s[24:25]
	s_cbranch_execz .LBB62_1880
; %bb.1879:
	v_and_b32_e32 v1, 0xffff, v4
	v_lshlrev_b32_e32 v0, 24, v4
	v_and_b32_e32 v4, 7, v1
	v_ffbh_u32_e32 v9, v4
	v_min_u32_e32 v9, 32, v9
	v_subrev_u32_e32 v10, 28, v9
	v_bfe_u32 v5, v1, 3, 4
	v_lshlrev_b32_e32 v1, v10, v1
	v_sub_u32_e32 v9, 29, v9
	v_and_b32_e32 v1, 7, v1
	v_cmp_eq_u32_e32 vcc, 0, v5
	v_cndmask_b32_e32 v5, v5, v9, vcc
	v_cndmask_b32_e32 v1, v4, v1, vcc
	v_mov_b32_e32 v4, 0x3b800000
	v_lshlrev_b32_e32 v1, 20, v1
	v_and_b32_e32 v0, 0x80000000, v0
	v_lshl_add_u32 v4, v5, 23, v4
	v_or3_b32 v0, v0, v4, v1
	v_trunc_f32_e32 v0, v0
	s_mov_b32 s24, 0x2f800000
	v_mul_f32_e64 v1, |v0|, s24
	v_floor_f32_e32 v1, v1
	s_mov_b32 s24, 0xcf800000
	v_fma_f32 v4, v1, s24, |v0|
	v_cvt_u32_f32_e32 v4, v4
	v_cvt_u32_f32_e32 v1, v1
	v_ashrrev_i32_e32 v5, 31, v0
	v_xor_b32_e32 v0, v4, v5
	v_xor_b32_e32 v1, v1, v5
	v_sub_co_u32_e32 v0, vcc, v0, v5
	v_subb_co_u32_e32 v1, vcc, v1, v5, vcc
.LBB62_1880:
	s_or_b64 exec, exec, s[22:23]
.LBB62_1881:
	s_mov_b64 s[22:23], -1
.LBB62_1882:
	s_mov_b64 s[24:25], 0
.LBB62_1883:
	s_and_b64 vcc, exec, s[24:25]
	s_cbranch_vccz .LBB62_1912
; %bb.1884:
	s_cmp_gt_i32 s26, 22
	s_cbranch_scc0 .LBB62_1894
; %bb.1885:
	s_cmp_lt_i32 s26, 24
	s_cbranch_scc1 .LBB62_1895
; %bb.1886:
	s_cmp_gt_i32 s26, 24
	s_cbranch_scc0 .LBB62_1896
; %bb.1887:
	global_load_ubyte v4, v[2:3], off
	s_movk_i32 s20, 0x7f
	s_mov_b64 s[22:23], 0
	s_waitcnt vmcnt(0)
	v_cmp_lt_i16_e32 vcc, s20, v4
	s_and_saveexec_b64 s[20:21], vcc
	s_xor_b64 s[20:21], exec, s[20:21]
; %bb.1888:
	s_movk_i32 s22, 0x80
	v_cmp_ne_u16_e32 vcc, s22, v4
	s_and_b64 s[22:23], vcc, exec
; %bb.1889:
	s_andn2_saveexec_b64 s[20:21], s[20:21]
; %bb.1890:
	v_cmp_ne_u16_e32 vcc, 0, v4
	s_andn2_b64 s[22:23], s[22:23], exec
	s_and_b64 s[24:25], vcc, exec
	s_or_b64 s[22:23], s[22:23], s[24:25]
; %bb.1891:
	s_or_b64 exec, exec, s[20:21]
	v_mov_b32_e32 v0, 0
	v_mov_b32_e32 v1, 0
	s_and_saveexec_b64 s[20:21], s[22:23]
	s_cbranch_execz .LBB62_1893
; %bb.1892:
	v_and_b32_e32 v1, 0xffff, v4
	v_lshlrev_b32_e32 v0, 24, v4
	v_and_b32_e32 v4, 3, v1
	v_ffbh_u32_e32 v9, v4
	v_min_u32_e32 v9, 32, v9
	v_subrev_u32_e32 v10, 29, v9
	v_bfe_u32 v5, v1, 2, 5
	v_lshlrev_b32_e32 v1, v10, v1
	v_sub_u32_e32 v9, 30, v9
	v_and_b32_e32 v1, 3, v1
	v_cmp_eq_u32_e32 vcc, 0, v5
	v_cndmask_b32_e32 v5, v5, v9, vcc
	v_cndmask_b32_e32 v1, v4, v1, vcc
	v_mov_b32_e32 v4, 0x37800000
	v_lshlrev_b32_e32 v1, 21, v1
	v_and_b32_e32 v0, 0x80000000, v0
	v_lshl_add_u32 v4, v5, 23, v4
	v_or3_b32 v0, v0, v4, v1
	v_trunc_f32_e32 v0, v0
	s_mov_b32 s22, 0x2f800000
	v_mul_f32_e64 v1, |v0|, s22
	v_floor_f32_e32 v1, v1
	s_mov_b32 s22, 0xcf800000
	v_fma_f32 v4, v1, s22, |v0|
	v_cvt_u32_f32_e32 v4, v4
	v_cvt_u32_f32_e32 v1, v1
	v_ashrrev_i32_e32 v5, 31, v0
	v_xor_b32_e32 v0, v4, v5
	v_xor_b32_e32 v1, v1, v5
	v_sub_co_u32_e32 v0, vcc, v0, v5
	v_subb_co_u32_e32 v1, vcc, v1, v5, vcc
.LBB62_1893:
	s_or_b64 exec, exec, s[20:21]
	s_mov_b64 s[20:21], 0
	s_branch .LBB62_1897
.LBB62_1894:
	s_mov_b64 s[20:21], -1
                                        ; implicit-def: $vgpr0_vgpr1
	s_branch .LBB62_1903
.LBB62_1895:
	s_mov_b64 s[20:21], -1
                                        ; implicit-def: $vgpr0_vgpr1
	s_branch .LBB62_1900
.LBB62_1896:
	s_mov_b64 s[20:21], -1
                                        ; implicit-def: $vgpr0_vgpr1
.LBB62_1897:
	s_and_b64 vcc, exec, s[20:21]
	s_cbranch_vccz .LBB62_1899
; %bb.1898:
	global_load_ubyte v0, v[2:3], off
	s_mov_b32 s20, 0x7f800000
	s_brev_b32 s21, 1
	s_mov_b32 s22, 0x2f800000
	s_mov_b32 s23, 0xcf800000
	s_waitcnt vmcnt(0)
	v_lshlrev_b32_e32 v0, 24, v0
	v_and_b32_e32 v1, 0x7f000000, v0
	v_ffbh_u32_e32 v4, v1
	v_min_u32_e32 v4, 32, v4
	v_sub_u32_e64 v4, v4, 4 clamp
	v_lshlrev_b32_e32 v9, v4, v1
	v_lshlrev_b32_e32 v4, 23, v4
	v_lshrrev_b32_e32 v9, 4, v9
	v_add_u32_e32 v5, 0x1000000, v1
	v_sub_u32_e32 v4, v9, v4
	v_ashrrev_i32_e32 v5, 8, v5
	v_add_u32_e32 v4, 0x3c000000, v4
	v_and_or_b32 v4, v5, s20, v4
	v_cmp_ne_u32_e32 vcc, 0, v1
	v_cndmask_b32_e32 v1, 0, v4, vcc
	v_and_or_b32 v0, v0, s21, v1
	v_trunc_f32_e32 v0, v0
	v_mul_f32_e64 v1, |v0|, s22
	v_floor_f32_e32 v1, v1
	v_fma_f32 v4, v1, s23, |v0|
	v_cvt_u32_f32_e32 v4, v4
	v_cvt_u32_f32_e32 v1, v1
	v_ashrrev_i32_e32 v5, 31, v0
	v_xor_b32_e32 v0, v4, v5
	v_xor_b32_e32 v1, v1, v5
	v_sub_co_u32_e32 v0, vcc, v0, v5
	v_subb_co_u32_e32 v1, vcc, v1, v5, vcc
.LBB62_1899:
	s_mov_b64 s[20:21], 0
.LBB62_1900:
	s_andn2_b64 vcc, exec, s[20:21]
	s_cbranch_vccnz .LBB62_1902
; %bb.1901:
	global_load_ubyte v0, v[2:3], off
	s_movk_i32 s20, 0x7f00
	s_brev_b32 s21, 16
	s_brev_b32 s22, 1
	s_mov_b32 s23, 0x2f800000
	s_mov_b32 s24, 0xcf800000
	s_waitcnt vmcnt(0)
	v_lshlrev_b16_e32 v1, 8, v0
	v_lshlrev_b32_e32 v0, 25, v0
	v_lshrrev_b32_e32 v4, 4, v0
	v_and_or_b32 v5, v1, s20, 0.5
	v_or_b32_e32 v4, 0x70000000, v4
	v_add_f32_e32 v5, -0.5, v5
	v_mul_f32_e32 v4, 0x7800000, v4
	v_cmp_gt_u32_e32 vcc, s21, v0
	v_bfe_i32 v1, v1, 0, 16
	v_cndmask_b32_e32 v0, v4, v5, vcc
	v_and_or_b32 v0, v1, s22, v0
	v_trunc_f32_e32 v0, v0
	v_mul_f32_e64 v1, |v0|, s23
	v_floor_f32_e32 v1, v1
	v_fma_f32 v4, v1, s24, |v0|
	v_cvt_u32_f32_e32 v4, v4
	v_cvt_u32_f32_e32 v1, v1
	v_ashrrev_i32_e32 v5, 31, v0
	v_xor_b32_e32 v0, v4, v5
	v_xor_b32_e32 v1, v1, v5
	v_sub_co_u32_e32 v0, vcc, v0, v5
	v_subb_co_u32_e32 v1, vcc, v1, v5, vcc
.LBB62_1902:
	s_mov_b64 s[20:21], 0
	s_mov_b64 s[22:23], -1
.LBB62_1903:
	s_andn2_b64 vcc, exec, s[20:21]
	s_mov_b64 s[20:21], 0
	s_cbranch_vccnz .LBB62_1912
; %bb.1904:
	s_cmp_gt_i32 s26, 14
	s_cbranch_scc0 .LBB62_1907
; %bb.1905:
	s_cmp_eq_u32 s26, 15
	s_cbranch_scc0 .LBB62_1908
; %bb.1906:
	global_load_ushort v0, v[2:3], off
	s_mov_b32 s0, 0x2f800000
	s_mov_b32 s1, 0xcf800000
	s_mov_b64 s[22:23], -1
	s_waitcnt vmcnt(0)
	v_lshlrev_b32_e32 v0, 16, v0
	v_trunc_f32_e32 v0, v0
	v_mul_f32_e64 v1, |v0|, s0
	v_floor_f32_e32 v1, v1
	v_fma_f32 v4, v1, s1, |v0|
	v_cvt_u32_f32_e32 v4, v4
	v_cvt_u32_f32_e32 v1, v1
	v_ashrrev_i32_e32 v5, 31, v0
	s_mov_b64 s[0:1], 0
	v_xor_b32_e32 v0, v4, v5
	v_xor_b32_e32 v1, v1, v5
	v_sub_co_u32_e32 v0, vcc, v0, v5
	v_subb_co_u32_e32 v1, vcc, v1, v5, vcc
	s_branch .LBB62_1909
.LBB62_1907:
	s_mov_b64 s[24:25], -1
                                        ; implicit-def: $vgpr0_vgpr1
	s_branch .LBB62_1910
.LBB62_1908:
	s_mov_b64 s[0:1], -1
                                        ; implicit-def: $vgpr0_vgpr1
.LBB62_1909:
	s_mov_b64 s[24:25], 0
.LBB62_1910:
	s_and_b64 vcc, exec, s[24:25]
	s_cbranch_vccz .LBB62_1912
; %bb.1911:
	s_cmp_lg_u32 s26, 11
	s_mov_b64 s[20:21], -1
	s_cselect_b64 s[0:1], -1, 0
.LBB62_1912:
	s_and_b64 vcc, exec, s[0:1]
	s_cbranch_vccnz .LBB62_1975
; %bb.1913:
	s_andn2_b64 vcc, exec, s[20:21]
	s_cbranch_vccnz .LBB62_1915
.LBB62_1914:
	global_load_ubyte v0, v[2:3], off
	s_mov_b32 s0, 0
	s_waitcnt vmcnt(1)
	v_mov_b32_e32 v1, s0
	s_mov_b64 s[22:23], -1
	s_waitcnt vmcnt(0)
	v_cmp_ne_u16_e32 vcc, 0, v0
	v_cndmask_b32_e64 v0, 0, 1, vcc
.LBB62_1915:
	s_branch .LBB62_1847
.LBB62_1916:
	s_and_b32 s20, 0xffff, s28
	s_cmp_lt_i32 s20, 5
	s_cbranch_scc1 .LBB62_1921
; %bb.1917:
	s_cmp_lt_i32 s20, 8
	s_cbranch_scc1 .LBB62_1922
; %bb.1918:
	;; [unrolled: 3-line block ×3, first 2 shown]
	s_cmp_gt_i32 s20, 9
	s_cbranch_scc0 .LBB62_1924
; %bb.1920:
	global_load_dwordx2 v[0:1], v[2:3], off
	s_movk_i32 s0, 0xffe0
	s_waitcnt vmcnt(0)
	v_trunc_f64_e32 v[0:1], v[0:1]
	v_ldexp_f64 v[4:5], v[0:1], s0
	s_mov_b32 s0, 0
	s_mov_b32 s1, 0xc1f00000
	v_floor_f64_e32 v[4:5], v[4:5]
	v_fma_f64 v[9:10], v[4:5], s[0:1], v[0:1]
	v_cvt_i32_f64_e32 v1, v[4:5]
	s_mov_b64 s[0:1], 0
	v_cvt_u32_f64_e32 v0, v[9:10]
	s_branch .LBB62_1925
.LBB62_1921:
	s_mov_b64 s[0:1], -1
                                        ; implicit-def: $vgpr0_vgpr1
	s_branch .LBB62_1943
.LBB62_1922:
	s_mov_b64 s[0:1], -1
                                        ; implicit-def: $vgpr0_vgpr1
	s_branch .LBB62_1931
.LBB62_1923:
	s_mov_b64 s[0:1], -1
                                        ; implicit-def: $vgpr0_vgpr1
	s_branch .LBB62_1928
.LBB62_1924:
	s_mov_b64 s[0:1], -1
                                        ; implicit-def: $vgpr0_vgpr1
.LBB62_1925:
	s_andn2_b64 vcc, exec, s[0:1]
	s_cbranch_vccnz .LBB62_1927
; %bb.1926:
	global_load_dword v0, v[2:3], off
	s_mov_b32 s0, 0x2f800000
	s_mov_b32 s1, 0xcf800000
	s_waitcnt vmcnt(0)
	v_trunc_f32_e32 v0, v0
	v_mul_f32_e64 v1, |v0|, s0
	v_floor_f32_e32 v1, v1
	v_cvt_u32_f32_e32 v4, v1
	v_fma_f32 v1, v1, s1, |v0|
	v_cvt_u32_f32_e32 v1, v1
	v_ashrrev_i32_e32 v5, 31, v0
	v_xor_b32_e32 v4, v4, v5
	v_xor_b32_e32 v0, v1, v5
	v_sub_co_u32_e32 v0, vcc, v0, v5
	v_subb_co_u32_e32 v1, vcc, v4, v5, vcc
.LBB62_1927:
	s_mov_b64 s[0:1], 0
.LBB62_1928:
	s_andn2_b64 vcc, exec, s[0:1]
	s_cbranch_vccnz .LBB62_1930
; %bb.1929:
	global_load_dword v0, v[2:3], off
	s_waitcnt vmcnt(0)
	v_cvt_f32_f16_e32 v0, v0
	v_cvt_i32_f32_e32 v0, v0
	v_ashrrev_i32_e32 v1, 31, v0
.LBB62_1930:
	s_mov_b64 s[0:1], 0
.LBB62_1931:
	s_andn2_b64 vcc, exec, s[0:1]
	s_cbranch_vccnz .LBB62_1942
; %bb.1932:
	s_cmp_lt_i32 s20, 6
	s_cbranch_scc1 .LBB62_1935
; %bb.1933:
	s_cmp_gt_i32 s20, 6
	s_cbranch_scc0 .LBB62_1936
; %bb.1934:
	global_load_dwordx2 v[0:1], v[2:3], off
	s_movk_i32 s0, 0xffe0
	s_waitcnt vmcnt(0)
	v_trunc_f64_e32 v[0:1], v[0:1]
	v_ldexp_f64 v[4:5], v[0:1], s0
	s_mov_b32 s0, 0
	s_mov_b32 s1, 0xc1f00000
	v_floor_f64_e32 v[4:5], v[4:5]
	v_fma_f64 v[9:10], v[4:5], s[0:1], v[0:1]
	v_cvt_i32_f64_e32 v1, v[4:5]
	s_mov_b64 s[0:1], 0
	v_cvt_u32_f64_e32 v0, v[9:10]
	s_branch .LBB62_1937
.LBB62_1935:
	s_mov_b64 s[0:1], -1
                                        ; implicit-def: $vgpr0_vgpr1
	s_branch .LBB62_1940
.LBB62_1936:
	s_mov_b64 s[0:1], -1
                                        ; implicit-def: $vgpr0_vgpr1
.LBB62_1937:
	s_andn2_b64 vcc, exec, s[0:1]
	s_cbranch_vccnz .LBB62_1939
; %bb.1938:
	global_load_dword v0, v[2:3], off
	s_mov_b32 s0, 0x2f800000
	s_mov_b32 s1, 0xcf800000
	s_waitcnt vmcnt(0)
	v_trunc_f32_e32 v0, v0
	v_mul_f32_e64 v1, |v0|, s0
	v_floor_f32_e32 v1, v1
	v_cvt_u32_f32_e32 v4, v1
	v_fma_f32 v1, v1, s1, |v0|
	v_cvt_u32_f32_e32 v1, v1
	v_ashrrev_i32_e32 v5, 31, v0
	v_xor_b32_e32 v4, v4, v5
	v_xor_b32_e32 v0, v1, v5
	v_sub_co_u32_e32 v0, vcc, v0, v5
	v_subb_co_u32_e32 v1, vcc, v4, v5, vcc
.LBB62_1939:
	s_mov_b64 s[0:1], 0
.LBB62_1940:
	s_andn2_b64 vcc, exec, s[0:1]
	s_cbranch_vccnz .LBB62_1942
; %bb.1941:
	global_load_ushort v0, v[2:3], off
	s_waitcnt vmcnt(0)
	v_cvt_f32_f16_e32 v0, v0
	v_cvt_i32_f32_e32 v0, v0
	v_ashrrev_i32_e32 v1, 31, v0
.LBB62_1942:
	s_mov_b64 s[0:1], 0
.LBB62_1943:
	s_andn2_b64 vcc, exec, s[0:1]
	s_cbranch_vccnz .LBB62_1963
; %bb.1944:
	s_cmp_lt_i32 s20, 2
	s_cbranch_scc1 .LBB62_1948
; %bb.1945:
	s_cmp_lt_i32 s20, 3
	s_cbranch_scc1 .LBB62_1949
; %bb.1946:
	s_cmp_gt_i32 s20, 3
	s_cbranch_scc0 .LBB62_1950
; %bb.1947:
	global_load_dwordx2 v[0:1], v[2:3], off
	s_mov_b64 s[0:1], 0
	s_branch .LBB62_1951
.LBB62_1948:
	s_mov_b64 s[0:1], -1
                                        ; implicit-def: $vgpr0_vgpr1
	s_branch .LBB62_1957
.LBB62_1949:
	s_mov_b64 s[0:1], -1
                                        ; implicit-def: $vgpr0_vgpr1
	s_branch .LBB62_1954
.LBB62_1950:
	s_mov_b64 s[0:1], -1
                                        ; implicit-def: $vgpr0_vgpr1
.LBB62_1951:
	s_andn2_b64 vcc, exec, s[0:1]
	s_cbranch_vccnz .LBB62_1953
; %bb.1952:
	global_load_dword v0, v[2:3], off
	s_waitcnt vmcnt(0)
	v_ashrrev_i32_e32 v1, 31, v0
.LBB62_1953:
	s_mov_b64 s[0:1], 0
.LBB62_1954:
	s_andn2_b64 vcc, exec, s[0:1]
	s_cbranch_vccnz .LBB62_1956
; %bb.1955:
	global_load_ushort v0, v[2:3], off
	s_waitcnt vmcnt(0)
	v_bfe_i32 v0, v0, 0, 16
	v_ashrrev_i32_e32 v1, 31, v0
.LBB62_1956:
	s_mov_b64 s[0:1], 0
.LBB62_1957:
	s_andn2_b64 vcc, exec, s[0:1]
	s_cbranch_vccnz .LBB62_1963
; %bb.1958:
	s_cmp_gt_i32 s20, 0
	s_cbranch_scc0 .LBB62_1960
; %bb.1959:
	global_load_sbyte v0, v[2:3], off
	s_mov_b64 s[0:1], 0
	s_waitcnt vmcnt(0)
	v_bfe_i32 v0, v0, 0, 16
	v_ashrrev_i32_e32 v1, 31, v0
	s_branch .LBB62_1961
.LBB62_1960:
	s_mov_b64 s[0:1], -1
                                        ; implicit-def: $vgpr0_vgpr1
.LBB62_1961:
	s_andn2_b64 vcc, exec, s[0:1]
	s_cbranch_vccnz .LBB62_1963
; %bb.1962:
	global_load_ubyte v0, v[2:3], off
	s_mov_b32 s0, 0
	s_waitcnt vmcnt(1)
	v_mov_b32_e32 v1, s0
	s_waitcnt vmcnt(0)
	v_and_b32_e32 v0, 0xffff, v0
.LBB62_1963:
.LBB62_1964:
	s_lshl_b32 s14, s14, 7
	v_add_u32_e32 v8, s14, v8
	v_ashrrev_i32_e32 v3, 31, v8
	v_mov_b32_e32 v4, s3
	v_add_co_u32_e32 v2, vcc, s2, v8
	s_cmp_lt_i32 s29, 11
	v_addc_co_u32_e32 v3, vcc, v4, v3, vcc
	s_cbranch_scc1 .LBB62_1971
; %bb.1965:
	s_and_b32 s26, 0xffff, s29
	s_cmp_gt_i32 s26, 25
	s_mov_b64 s[20:21], 0
	s_cbranch_scc0 .LBB62_1972
; %bb.1966:
	s_cmp_gt_i32 s26, 28
	s_cbranch_scc0 .LBB62_1973
; %bb.1967:
	s_cmp_gt_i32 s26, 43
	;; [unrolled: 3-line block ×3, first 2 shown]
	s_cbranch_scc0 .LBB62_1976
; %bb.1969:
	s_cmp_eq_u32 s26, 46
	s_mov_b64 s[24:25], 0
	s_cbranch_scc0 .LBB62_1977
; %bb.1970:
	global_load_dword v4, v[2:3], off
	s_mov_b32 s0, 0x2f800000
	s_mov_b32 s1, 0xcf800000
	s_mov_b64 s[22:23], -1
	s_waitcnt vmcnt(0)
	v_lshlrev_b32_e32 v4, 16, v4
	v_trunc_f32_e32 v4, v4
	v_mul_f32_e64 v5, |v4|, s0
	v_floor_f32_e32 v5, v5
	v_fma_f32 v9, v5, s1, |v4|
	v_cvt_u32_f32_e32 v9, v9
	v_cvt_u32_f32_e32 v5, v5
	v_ashrrev_i32_e32 v10, 31, v4
	s_mov_b64 s[0:1], 0
	v_xor_b32_e32 v4, v9, v10
	v_xor_b32_e32 v5, v5, v10
	v_sub_co_u32_e32 v4, vcc, v4, v10
	v_subb_co_u32_e32 v5, vcc, v5, v10, vcc
	s_branch .LBB62_1978
.LBB62_1971:
	s_mov_b64 s[0:1], -1
	s_mov_b64 s[22:23], 0
                                        ; implicit-def: $vgpr4_vgpr5
	s_branch .LBB62_2040
.LBB62_1972:
	s_mov_b64 s[24:25], -1
	s_mov_b64 s[22:23], 0
	s_mov_b64 s[0:1], 0
                                        ; implicit-def: $vgpr4_vgpr5
	s_branch .LBB62_2007
.LBB62_1973:
	s_mov_b64 s[24:25], -1
	s_mov_b64 s[22:23], 0
	s_mov_b64 s[0:1], 0
                                        ; implicit-def: $vgpr4_vgpr5
	s_branch .LBB62_1988
.LBB62_1974:
	s_mov_b64 s[24:25], -1
	s_mov_b64 s[22:23], 0
	s_mov_b64 s[0:1], 0
                                        ; implicit-def: $vgpr4_vgpr5
	s_branch .LBB62_1983
.LBB62_1975:
	s_trap 2
	s_or_b64 s[18:19], s[18:19], exec
	s_cbranch_execz .LBB62_1914
	s_branch .LBB62_1915
.LBB62_1976:
	s_mov_b64 s[24:25], -1
	s_mov_b64 s[22:23], 0
	s_mov_b64 s[0:1], 0
                                        ; implicit-def: $vgpr4_vgpr5
	s_branch .LBB62_1978
.LBB62_1977:
	s_mov_b64 s[0:1], -1
                                        ; implicit-def: $vgpr4_vgpr5
	s_mov_b64 s[22:23], 0
.LBB62_1978:
	s_and_b64 vcc, exec, s[24:25]
	s_cbranch_vccz .LBB62_1982
; %bb.1979:
	s_cmp_eq_u32 s26, 44
	s_cbranch_scc0 .LBB62_1981
; %bb.1980:
	global_load_ubyte v4, v[2:3], off
	s_mov_b32 s0, 0x2f800000
	s_mov_b32 s1, 0xcf800000
	s_mov_b64 s[22:23], -1
	s_waitcnt vmcnt(0)
	v_lshlrev_b32_e32 v5, 23, v4
	v_trunc_f32_e32 v5, v5
	v_mul_f32_e64 v9, |v5|, s0
	v_floor_f32_e32 v9, v9
	v_fma_f32 v10, v9, s1, |v5|
	v_cvt_u32_f32_e32 v10, v10
	v_cvt_u32_f32_e32 v9, v9
	v_ashrrev_i32_e32 v5, 31, v5
	s_mov_b64 s[0:1], 0
	v_xor_b32_e32 v10, v10, v5
	v_xor_b32_e32 v9, v9, v5
	v_sub_co_u32_e32 v10, vcc, v10, v5
	v_subb_co_u32_e32 v5, vcc, v9, v5, vcc
	v_cmp_ne_u32_e32 vcc, 0, v4
	v_cndmask_b32_e32 v5, 0, v5, vcc
	v_cndmask_b32_e32 v4, 0, v10, vcc
	s_branch .LBB62_1982
.LBB62_1981:
	s_mov_b64 s[0:1], -1
                                        ; implicit-def: $vgpr4_vgpr5
.LBB62_1982:
	s_mov_b64 s[24:25], 0
.LBB62_1983:
	s_and_b64 vcc, exec, s[24:25]
	s_cbranch_vccz .LBB62_1987
; %bb.1984:
	s_cmp_eq_u32 s26, 29
	s_cbranch_scc0 .LBB62_1986
; %bb.1985:
	global_load_dwordx2 v[4:5], v[2:3], off
	s_mov_b64 s[0:1], 0
	s_mov_b64 s[22:23], -1
	s_branch .LBB62_1987
.LBB62_1986:
	s_mov_b64 s[0:1], -1
                                        ; implicit-def: $vgpr4_vgpr5
.LBB62_1987:
	s_mov_b64 s[24:25], 0
.LBB62_1988:
	s_and_b64 vcc, exec, s[24:25]
	s_cbranch_vccz .LBB62_2006
; %bb.1989:
	s_cmp_lt_i32 s26, 27
	s_cbranch_scc1 .LBB62_1992
; %bb.1990:
	s_cmp_gt_i32 s26, 27
	s_cbranch_scc0 .LBB62_1993
; %bb.1991:
	global_load_dword v4, v[2:3], off
	s_waitcnt vmcnt(1)
	v_mov_b32_e32 v5, 0
	s_mov_b64 s[22:23], 0
	s_branch .LBB62_1994
.LBB62_1992:
	s_mov_b64 s[22:23], -1
                                        ; implicit-def: $vgpr4_vgpr5
	s_branch .LBB62_1997
.LBB62_1993:
	s_mov_b64 s[22:23], -1
                                        ; implicit-def: $vgpr4_vgpr5
.LBB62_1994:
	s_andn2_b64 vcc, exec, s[22:23]
	s_cbranch_vccnz .LBB62_1996
; %bb.1995:
	global_load_ushort v4, v[2:3], off
	s_mov_b32 s22, 0
	s_waitcnt vmcnt(1)
	v_mov_b32_e32 v5, s22
	s_waitcnt vmcnt(0)
	v_and_b32_e32 v4, 0xffff, v4
.LBB62_1996:
	s_mov_b64 s[22:23], 0
.LBB62_1997:
	s_andn2_b64 vcc, exec, s[22:23]
	s_cbranch_vccnz .LBB62_2005
; %bb.1998:
	global_load_ubyte v9, v[2:3], off
	s_movk_i32 s22, 0x7f
	s_mov_b64 s[24:25], 0
	s_waitcnt vmcnt(0)
	v_cmp_lt_i16_e32 vcc, s22, v9
	s_and_saveexec_b64 s[22:23], vcc
	s_xor_b64 s[22:23], exec, s[22:23]
; %bb.1999:
	s_movk_i32 s24, 0x80
	v_cmp_ne_u16_e32 vcc, s24, v9
	s_and_b64 s[24:25], vcc, exec
; %bb.2000:
	s_andn2_saveexec_b64 s[22:23], s[22:23]
; %bb.2001:
	v_cmp_ne_u16_e32 vcc, 0, v9
	s_andn2_b64 s[24:25], s[24:25], exec
	s_and_b64 s[30:31], vcc, exec
	s_or_b64 s[24:25], s[24:25], s[30:31]
; %bb.2002:
	s_or_b64 exec, exec, s[22:23]
	v_mov_b32_e32 v4, 0
	v_mov_b32_e32 v5, 0
	s_and_saveexec_b64 s[22:23], s[24:25]
	s_cbranch_execz .LBB62_2004
; %bb.2003:
	v_and_b32_e32 v5, 0xffff, v9
	v_lshlrev_b32_e32 v4, 24, v9
	v_and_b32_e32 v9, 7, v5
	v_ffbh_u32_e32 v11, v9
	v_min_u32_e32 v11, 32, v11
	v_subrev_u32_e32 v12, 28, v11
	v_bfe_u32 v10, v5, 3, 4
	v_lshlrev_b32_e32 v5, v12, v5
	v_sub_u32_e32 v11, 29, v11
	v_and_b32_e32 v5, 7, v5
	v_cmp_eq_u32_e32 vcc, 0, v10
	v_cndmask_b32_e32 v10, v10, v11, vcc
	v_cndmask_b32_e32 v5, v9, v5, vcc
	v_mov_b32_e32 v9, 0x3b800000
	v_lshlrev_b32_e32 v5, 20, v5
	v_and_b32_e32 v4, 0x80000000, v4
	v_lshl_add_u32 v9, v10, 23, v9
	v_or3_b32 v4, v4, v9, v5
	v_trunc_f32_e32 v4, v4
	s_mov_b32 s24, 0x2f800000
	v_mul_f32_e64 v5, |v4|, s24
	v_floor_f32_e32 v5, v5
	s_mov_b32 s24, 0xcf800000
	v_fma_f32 v9, v5, s24, |v4|
	v_cvt_u32_f32_e32 v9, v9
	v_cvt_u32_f32_e32 v5, v5
	v_ashrrev_i32_e32 v10, 31, v4
	v_xor_b32_e32 v4, v9, v10
	v_xor_b32_e32 v5, v5, v10
	v_sub_co_u32_e32 v4, vcc, v4, v10
	v_subb_co_u32_e32 v5, vcc, v5, v10, vcc
.LBB62_2004:
	s_or_b64 exec, exec, s[22:23]
.LBB62_2005:
	s_mov_b64 s[22:23], -1
.LBB62_2006:
	s_mov_b64 s[24:25], 0
.LBB62_2007:
	s_and_b64 vcc, exec, s[24:25]
	s_cbranch_vccz .LBB62_2036
; %bb.2008:
	s_cmp_gt_i32 s26, 22
	s_cbranch_scc0 .LBB62_2018
; %bb.2009:
	s_cmp_lt_i32 s26, 24
	s_cbranch_scc1 .LBB62_2019
; %bb.2010:
	s_cmp_gt_i32 s26, 24
	s_cbranch_scc0 .LBB62_2020
; %bb.2011:
	global_load_ubyte v9, v[2:3], off
	s_movk_i32 s20, 0x7f
	s_mov_b64 s[22:23], 0
	s_waitcnt vmcnt(0)
	v_cmp_lt_i16_e32 vcc, s20, v9
	s_and_saveexec_b64 s[20:21], vcc
	s_xor_b64 s[20:21], exec, s[20:21]
; %bb.2012:
	s_movk_i32 s22, 0x80
	v_cmp_ne_u16_e32 vcc, s22, v9
	s_and_b64 s[22:23], vcc, exec
; %bb.2013:
	s_andn2_saveexec_b64 s[20:21], s[20:21]
; %bb.2014:
	v_cmp_ne_u16_e32 vcc, 0, v9
	s_andn2_b64 s[22:23], s[22:23], exec
	s_and_b64 s[24:25], vcc, exec
	s_or_b64 s[22:23], s[22:23], s[24:25]
; %bb.2015:
	s_or_b64 exec, exec, s[20:21]
	v_mov_b32_e32 v4, 0
	v_mov_b32_e32 v5, 0
	s_and_saveexec_b64 s[20:21], s[22:23]
	s_cbranch_execz .LBB62_2017
; %bb.2016:
	v_and_b32_e32 v5, 0xffff, v9
	v_lshlrev_b32_e32 v4, 24, v9
	v_and_b32_e32 v9, 3, v5
	v_ffbh_u32_e32 v11, v9
	v_min_u32_e32 v11, 32, v11
	v_subrev_u32_e32 v12, 29, v11
	v_bfe_u32 v10, v5, 2, 5
	v_lshlrev_b32_e32 v5, v12, v5
	v_sub_u32_e32 v11, 30, v11
	v_and_b32_e32 v5, 3, v5
	v_cmp_eq_u32_e32 vcc, 0, v10
	v_cndmask_b32_e32 v10, v10, v11, vcc
	v_cndmask_b32_e32 v5, v9, v5, vcc
	v_mov_b32_e32 v9, 0x37800000
	v_lshlrev_b32_e32 v5, 21, v5
	v_and_b32_e32 v4, 0x80000000, v4
	v_lshl_add_u32 v9, v10, 23, v9
	v_or3_b32 v4, v4, v9, v5
	v_trunc_f32_e32 v4, v4
	s_mov_b32 s22, 0x2f800000
	v_mul_f32_e64 v5, |v4|, s22
	v_floor_f32_e32 v5, v5
	s_mov_b32 s22, 0xcf800000
	v_fma_f32 v9, v5, s22, |v4|
	v_cvt_u32_f32_e32 v9, v9
	v_cvt_u32_f32_e32 v5, v5
	v_ashrrev_i32_e32 v10, 31, v4
	v_xor_b32_e32 v4, v9, v10
	v_xor_b32_e32 v5, v5, v10
	v_sub_co_u32_e32 v4, vcc, v4, v10
	v_subb_co_u32_e32 v5, vcc, v5, v10, vcc
.LBB62_2017:
	s_or_b64 exec, exec, s[20:21]
	s_mov_b64 s[20:21], 0
	s_branch .LBB62_2021
.LBB62_2018:
	s_mov_b64 s[20:21], -1
                                        ; implicit-def: $vgpr4_vgpr5
	s_branch .LBB62_2027
.LBB62_2019:
	s_mov_b64 s[20:21], -1
                                        ; implicit-def: $vgpr4_vgpr5
	s_branch .LBB62_2024
.LBB62_2020:
	s_mov_b64 s[20:21], -1
                                        ; implicit-def: $vgpr4_vgpr5
.LBB62_2021:
	s_and_b64 vcc, exec, s[20:21]
	s_cbranch_vccz .LBB62_2023
; %bb.2022:
	global_load_ubyte v4, v[2:3], off
	s_mov_b32 s20, 0x7f800000
	s_brev_b32 s21, 1
	s_mov_b32 s22, 0x2f800000
	s_mov_b32 s23, 0xcf800000
	s_waitcnt vmcnt(0)
	v_lshlrev_b32_e32 v4, 24, v4
	v_and_b32_e32 v5, 0x7f000000, v4
	v_ffbh_u32_e32 v9, v5
	v_min_u32_e32 v9, 32, v9
	v_sub_u32_e64 v9, v9, 4 clamp
	v_lshlrev_b32_e32 v11, v9, v5
	v_lshlrev_b32_e32 v9, 23, v9
	v_lshrrev_b32_e32 v11, 4, v11
	v_add_u32_e32 v10, 0x1000000, v5
	v_sub_u32_e32 v9, v11, v9
	v_ashrrev_i32_e32 v10, 8, v10
	v_add_u32_e32 v9, 0x3c000000, v9
	v_and_or_b32 v9, v10, s20, v9
	v_cmp_ne_u32_e32 vcc, 0, v5
	v_cndmask_b32_e32 v5, 0, v9, vcc
	v_and_or_b32 v4, v4, s21, v5
	v_trunc_f32_e32 v4, v4
	v_mul_f32_e64 v5, |v4|, s22
	v_floor_f32_e32 v5, v5
	v_fma_f32 v9, v5, s23, |v4|
	v_cvt_u32_f32_e32 v9, v9
	v_cvt_u32_f32_e32 v5, v5
	v_ashrrev_i32_e32 v10, 31, v4
	v_xor_b32_e32 v4, v9, v10
	v_xor_b32_e32 v5, v5, v10
	v_sub_co_u32_e32 v4, vcc, v4, v10
	v_subb_co_u32_e32 v5, vcc, v5, v10, vcc
.LBB62_2023:
	s_mov_b64 s[20:21], 0
.LBB62_2024:
	s_andn2_b64 vcc, exec, s[20:21]
	s_cbranch_vccnz .LBB62_2026
; %bb.2025:
	global_load_ubyte v4, v[2:3], off
	s_movk_i32 s20, 0x7f00
	s_brev_b32 s21, 16
	s_brev_b32 s22, 1
	s_mov_b32 s23, 0x2f800000
	s_mov_b32 s24, 0xcf800000
	s_waitcnt vmcnt(0)
	v_lshlrev_b16_e32 v5, 8, v4
	v_lshlrev_b32_e32 v4, 25, v4
	v_lshrrev_b32_e32 v9, 4, v4
	v_and_or_b32 v10, v5, s20, 0.5
	v_or_b32_e32 v9, 0x70000000, v9
	v_add_f32_e32 v10, -0.5, v10
	v_mul_f32_e32 v9, 0x7800000, v9
	v_cmp_gt_u32_e32 vcc, s21, v4
	v_bfe_i32 v5, v5, 0, 16
	v_cndmask_b32_e32 v4, v9, v10, vcc
	v_and_or_b32 v4, v5, s22, v4
	v_trunc_f32_e32 v4, v4
	v_mul_f32_e64 v5, |v4|, s23
	v_floor_f32_e32 v5, v5
	v_fma_f32 v9, v5, s24, |v4|
	v_cvt_u32_f32_e32 v9, v9
	v_cvt_u32_f32_e32 v5, v5
	v_ashrrev_i32_e32 v10, 31, v4
	v_xor_b32_e32 v4, v9, v10
	v_xor_b32_e32 v5, v5, v10
	v_sub_co_u32_e32 v4, vcc, v4, v10
	v_subb_co_u32_e32 v5, vcc, v5, v10, vcc
.LBB62_2026:
	s_mov_b64 s[20:21], 0
	s_mov_b64 s[22:23], -1
.LBB62_2027:
	s_andn2_b64 vcc, exec, s[20:21]
	s_mov_b64 s[20:21], 0
	s_cbranch_vccnz .LBB62_2036
; %bb.2028:
	s_cmp_gt_i32 s26, 14
	s_cbranch_scc0 .LBB62_2031
; %bb.2029:
	s_cmp_eq_u32 s26, 15
	s_cbranch_scc0 .LBB62_2032
; %bb.2030:
	global_load_ushort v4, v[2:3], off
	s_mov_b32 s0, 0x2f800000
	s_mov_b32 s1, 0xcf800000
	s_mov_b64 s[22:23], -1
	s_waitcnt vmcnt(0)
	v_lshlrev_b32_e32 v4, 16, v4
	v_trunc_f32_e32 v4, v4
	v_mul_f32_e64 v5, |v4|, s0
	v_floor_f32_e32 v5, v5
	v_fma_f32 v9, v5, s1, |v4|
	v_cvt_u32_f32_e32 v9, v9
	v_cvt_u32_f32_e32 v5, v5
	v_ashrrev_i32_e32 v10, 31, v4
	s_mov_b64 s[0:1], 0
	v_xor_b32_e32 v4, v9, v10
	v_xor_b32_e32 v5, v5, v10
	v_sub_co_u32_e32 v4, vcc, v4, v10
	v_subb_co_u32_e32 v5, vcc, v5, v10, vcc
	s_branch .LBB62_2033
.LBB62_2031:
	s_mov_b64 s[24:25], -1
                                        ; implicit-def: $vgpr4_vgpr5
	s_branch .LBB62_2034
.LBB62_2032:
	s_mov_b64 s[0:1], -1
                                        ; implicit-def: $vgpr4_vgpr5
.LBB62_2033:
	s_mov_b64 s[24:25], 0
.LBB62_2034:
	s_and_b64 vcc, exec, s[24:25]
	s_cbranch_vccz .LBB62_2036
; %bb.2035:
	s_cmp_lg_u32 s26, 11
	s_mov_b64 s[20:21], -1
	s_cselect_b64 s[0:1], -1, 0
.LBB62_2036:
	s_and_b64 vcc, exec, s[0:1]
	s_cbranch_vccnz .LBB62_2118
; %bb.2037:
	s_andn2_b64 vcc, exec, s[20:21]
	s_cbranch_vccnz .LBB62_2039
.LBB62_2038:
	global_load_ubyte v4, v[2:3], off
	s_mov_b32 s0, 0
	s_waitcnt vmcnt(1)
	v_mov_b32_e32 v5, s0
	s_mov_b64 s[22:23], -1
	s_waitcnt vmcnt(0)
	v_cmp_ne_u16_e32 vcc, 0, v4
	v_cndmask_b32_e64 v4, 0, 1, vcc
.LBB62_2039:
	s_mov_b64 s[0:1], 0
.LBB62_2040:
	s_and_b64 vcc, exec, s[0:1]
	s_cbranch_vccz .LBB62_2089
; %bb.2041:
	s_and_b32 s20, 0xffff, s29
	s_cmp_lt_i32 s20, 5
	s_cbranch_scc1 .LBB62_2046
; %bb.2042:
	s_cmp_lt_i32 s20, 8
	s_cbranch_scc1 .LBB62_2047
; %bb.2043:
	;; [unrolled: 3-line block ×3, first 2 shown]
	s_cmp_gt_i32 s20, 9
	s_cbranch_scc0 .LBB62_2049
; %bb.2045:
	global_load_dwordx2 v[4:5], v[2:3], off
	s_movk_i32 s0, 0xffe0
	s_waitcnt vmcnt(0)
	v_trunc_f64_e32 v[4:5], v[4:5]
	v_ldexp_f64 v[9:10], v[4:5], s0
	s_mov_b32 s0, 0
	s_mov_b32 s1, 0xc1f00000
	v_floor_f64_e32 v[9:10], v[9:10]
	v_fma_f64 v[11:12], v[9:10], s[0:1], v[4:5]
	v_cvt_i32_f64_e32 v5, v[9:10]
	s_mov_b64 s[0:1], 0
	v_cvt_u32_f64_e32 v4, v[11:12]
	s_branch .LBB62_2050
.LBB62_2046:
	s_mov_b64 s[0:1], -1
                                        ; implicit-def: $vgpr4_vgpr5
	s_branch .LBB62_2068
.LBB62_2047:
	s_mov_b64 s[0:1], -1
                                        ; implicit-def: $vgpr4_vgpr5
	s_branch .LBB62_2056
.LBB62_2048:
	s_mov_b64 s[0:1], -1
                                        ; implicit-def: $vgpr4_vgpr5
	s_branch .LBB62_2053
.LBB62_2049:
	s_mov_b64 s[0:1], -1
                                        ; implicit-def: $vgpr4_vgpr5
.LBB62_2050:
	s_andn2_b64 vcc, exec, s[0:1]
	s_cbranch_vccnz .LBB62_2052
; %bb.2051:
	global_load_dword v4, v[2:3], off
	s_mov_b32 s0, 0x2f800000
	s_mov_b32 s1, 0xcf800000
	s_waitcnt vmcnt(0)
	v_trunc_f32_e32 v4, v4
	v_mul_f32_e64 v5, |v4|, s0
	v_floor_f32_e32 v5, v5
	v_cvt_u32_f32_e32 v9, v5
	v_fma_f32 v5, v5, s1, |v4|
	v_cvt_u32_f32_e32 v5, v5
	v_ashrrev_i32_e32 v10, 31, v4
	v_xor_b32_e32 v9, v9, v10
	v_xor_b32_e32 v4, v5, v10
	v_sub_co_u32_e32 v4, vcc, v4, v10
	v_subb_co_u32_e32 v5, vcc, v9, v10, vcc
.LBB62_2052:
	s_mov_b64 s[0:1], 0
.LBB62_2053:
	s_andn2_b64 vcc, exec, s[0:1]
	s_cbranch_vccnz .LBB62_2055
; %bb.2054:
	global_load_dword v4, v[2:3], off
	s_waitcnt vmcnt(0)
	v_cvt_f32_f16_e32 v4, v4
	v_cvt_i32_f32_e32 v4, v4
	v_ashrrev_i32_e32 v5, 31, v4
.LBB62_2055:
	s_mov_b64 s[0:1], 0
.LBB62_2056:
	s_andn2_b64 vcc, exec, s[0:1]
	s_cbranch_vccnz .LBB62_2067
; %bb.2057:
	s_cmp_lt_i32 s20, 6
	s_cbranch_scc1 .LBB62_2060
; %bb.2058:
	s_cmp_gt_i32 s20, 6
	s_cbranch_scc0 .LBB62_2061
; %bb.2059:
	global_load_dwordx2 v[4:5], v[2:3], off
	s_movk_i32 s0, 0xffe0
	s_waitcnt vmcnt(0)
	v_trunc_f64_e32 v[4:5], v[4:5]
	v_ldexp_f64 v[9:10], v[4:5], s0
	s_mov_b32 s0, 0
	s_mov_b32 s1, 0xc1f00000
	v_floor_f64_e32 v[9:10], v[9:10]
	v_fma_f64 v[11:12], v[9:10], s[0:1], v[4:5]
	v_cvt_i32_f64_e32 v5, v[9:10]
	s_mov_b64 s[0:1], 0
	v_cvt_u32_f64_e32 v4, v[11:12]
	s_branch .LBB62_2062
.LBB62_2060:
	s_mov_b64 s[0:1], -1
                                        ; implicit-def: $vgpr4_vgpr5
	s_branch .LBB62_2065
.LBB62_2061:
	s_mov_b64 s[0:1], -1
                                        ; implicit-def: $vgpr4_vgpr5
.LBB62_2062:
	s_andn2_b64 vcc, exec, s[0:1]
	s_cbranch_vccnz .LBB62_2064
; %bb.2063:
	global_load_dword v4, v[2:3], off
	s_mov_b32 s0, 0x2f800000
	s_mov_b32 s1, 0xcf800000
	s_waitcnt vmcnt(0)
	v_trunc_f32_e32 v4, v4
	v_mul_f32_e64 v5, |v4|, s0
	v_floor_f32_e32 v5, v5
	v_cvt_u32_f32_e32 v9, v5
	v_fma_f32 v5, v5, s1, |v4|
	v_cvt_u32_f32_e32 v5, v5
	v_ashrrev_i32_e32 v10, 31, v4
	v_xor_b32_e32 v9, v9, v10
	v_xor_b32_e32 v4, v5, v10
	v_sub_co_u32_e32 v4, vcc, v4, v10
	v_subb_co_u32_e32 v5, vcc, v9, v10, vcc
.LBB62_2064:
	s_mov_b64 s[0:1], 0
.LBB62_2065:
	s_andn2_b64 vcc, exec, s[0:1]
	s_cbranch_vccnz .LBB62_2067
; %bb.2066:
	global_load_ushort v4, v[2:3], off
	s_waitcnt vmcnt(0)
	v_cvt_f32_f16_e32 v4, v4
	v_cvt_i32_f32_e32 v4, v4
	v_ashrrev_i32_e32 v5, 31, v4
.LBB62_2067:
	s_mov_b64 s[0:1], 0
.LBB62_2068:
	s_andn2_b64 vcc, exec, s[0:1]
	s_cbranch_vccnz .LBB62_2088
; %bb.2069:
	s_cmp_lt_i32 s20, 2
	s_cbranch_scc1 .LBB62_2073
; %bb.2070:
	s_cmp_lt_i32 s20, 3
	s_cbranch_scc1 .LBB62_2074
; %bb.2071:
	s_cmp_gt_i32 s20, 3
	s_cbranch_scc0 .LBB62_2075
; %bb.2072:
	global_load_dwordx2 v[4:5], v[2:3], off
	s_mov_b64 s[0:1], 0
	s_branch .LBB62_2076
.LBB62_2073:
	s_mov_b64 s[0:1], -1
                                        ; implicit-def: $vgpr4_vgpr5
	s_branch .LBB62_2082
.LBB62_2074:
	s_mov_b64 s[0:1], -1
                                        ; implicit-def: $vgpr4_vgpr5
	s_branch .LBB62_2079
.LBB62_2075:
	s_mov_b64 s[0:1], -1
                                        ; implicit-def: $vgpr4_vgpr5
.LBB62_2076:
	s_andn2_b64 vcc, exec, s[0:1]
	s_cbranch_vccnz .LBB62_2078
; %bb.2077:
	global_load_dword v4, v[2:3], off
	s_waitcnt vmcnt(0)
	v_ashrrev_i32_e32 v5, 31, v4
.LBB62_2078:
	s_mov_b64 s[0:1], 0
.LBB62_2079:
	s_andn2_b64 vcc, exec, s[0:1]
	s_cbranch_vccnz .LBB62_2081
; %bb.2080:
	global_load_ushort v4, v[2:3], off
	s_waitcnt vmcnt(0)
	v_bfe_i32 v4, v4, 0, 16
	v_ashrrev_i32_e32 v5, 31, v4
.LBB62_2081:
	s_mov_b64 s[0:1], 0
.LBB62_2082:
	s_andn2_b64 vcc, exec, s[0:1]
	s_cbranch_vccnz .LBB62_2088
; %bb.2083:
	s_cmp_gt_i32 s20, 0
	s_cbranch_scc0 .LBB62_2085
; %bb.2084:
	global_load_sbyte v4, v[2:3], off
	s_mov_b64 s[0:1], 0
	s_waitcnt vmcnt(0)
	v_bfe_i32 v4, v4, 0, 16
	v_ashrrev_i32_e32 v5, 31, v4
	s_branch .LBB62_2086
.LBB62_2085:
	s_mov_b64 s[0:1], -1
                                        ; implicit-def: $vgpr4_vgpr5
.LBB62_2086:
	s_andn2_b64 vcc, exec, s[0:1]
	s_cbranch_vccnz .LBB62_2088
; %bb.2087:
	global_load_ubyte v2, v[2:3], off
	s_mov_b32 s0, 0
	s_waitcnt vmcnt(1)
	v_mov_b32_e32 v5, s0
	s_waitcnt vmcnt(0)
	v_and_b32_e32 v4, 0xffff, v2
.LBB62_2088:
	s_mov_b64 s[22:23], -1
.LBB62_2089:
	s_andn2_b64 vcc, exec, s[22:23]
	s_cbranch_vccnz .LBB62_2634
; %bb.2090:
	s_cmp_lt_i32 s15, 1
	s_mov_b64 s[0:1], 0
	s_cbranch_scc1 .LBB62_2094
; %bb.2091:
	s_cmp_gt_i32 s15, 1
	s_cbranch_scc0 .LBB62_2095
; %bb.2092:
	s_cmp_eq_u32 s15, 2
	s_cbranch_scc0 .LBB62_2096
; %bb.2093:
	s_waitcnt vmcnt(0)
	v_cmp_le_i64_e64 s[20:21], v[0:1], v[4:5]
	s_mov_b64 s[22:23], 0
	s_branch .LBB62_2097
.LBB62_2094:
	s_mov_b64 s[24:25], -1
                                        ; implicit-def: $sgpr20_sgpr21
	s_mov_b64 s[22:23], 0
	s_branch .LBB62_2101
.LBB62_2095:
	s_mov_b64 s[24:25], -1
	s_mov_b64 s[22:23], 0
                                        ; implicit-def: $sgpr20_sgpr21
	s_branch .LBB62_2098
.LBB62_2096:
	s_mov_b64 s[22:23], -1
                                        ; implicit-def: $sgpr20_sgpr21
.LBB62_2097:
	s_mov_b64 s[24:25], 0
.LBB62_2098:
	s_and_b64 vcc, exec, s[24:25]
	s_cbranch_vccz .LBB62_2100
; %bb.2099:
	s_waitcnt vmcnt(0)
	v_cmp_gt_i64_e32 vcc, v[0:1], v[4:5]
	s_andn2_b64 s[20:21], s[20:21], exec
	s_and_b64 s[24:25], vcc, exec
	s_or_b64 s[20:21], s[20:21], s[24:25]
.LBB62_2100:
	s_mov_b64 s[24:25], 0
.LBB62_2101:
	s_and_b64 vcc, exec, s[24:25]
	s_cbranch_vccz .LBB62_2112
; %bb.2102:
	s_cmp_lg_u32 s15, 0
	s_mov_b64 s[0:1], -1
	s_cselect_b64 s[22:23], -1, 0
	s_andn2_b64 vcc, exec, s[22:23]
	s_cbranch_vccz .LBB62_2113
.LBB62_2103:
	s_andn2_b64 vcc, exec, s[0:1]
	s_cbranch_vccnz .LBB62_2105
.LBB62_2104:
	s_waitcnt vmcnt(0)
	v_cmp_ge_i64_e32 vcc, v[0:1], v[4:5]
	s_andn2_b64 s[0:1], s[20:21], exec
	s_and_b64 s[20:21], vcc, exec
	s_or_b64 s[20:21], s[0:1], s[20:21]
.LBB62_2105:
	v_add_u32_e32 v7, s13, v7
	s_waitcnt vmcnt(0)
	v_ashrrev_i32_e32 v0, 31, v7
	v_mov_b32_e32 v1, s11
	v_add_co_u32_e32 v2, vcc, s10, v7
	s_cmp_lt_i32 s28, 11
	v_addc_co_u32_e32 v3, vcc, v1, v0, vcc
	s_cbranch_scc1 .LBB62_2114
; %bb.2106:
	s_and_b32 s30, 0xffff, s28
	s_cmp_gt_i32 s30, 25
	s_mov_b64 s[22:23], 0
	s_cbranch_scc0 .LBB62_2115
; %bb.2107:
	s_cmp_gt_i32 s30, 28
	s_cbranch_scc0 .LBB62_2116
; %bb.2108:
	s_cmp_gt_i32 s30, 43
	;; [unrolled: 3-line block ×3, first 2 shown]
	s_cbranch_scc0 .LBB62_2119
; %bb.2110:
	s_cmp_eq_u32 s30, 46
	s_mov_b64 s[26:27], 0
	s_cbranch_scc0 .LBB62_2120
; %bb.2111:
	global_load_dword v0, v[2:3], off
	s_mov_b32 s0, 0x2f800000
	s_mov_b32 s1, 0xcf800000
	s_mov_b64 s[24:25], -1
	s_waitcnt vmcnt(0)
	v_lshlrev_b32_e32 v0, 16, v0
	v_trunc_f32_e32 v0, v0
	v_mul_f32_e64 v1, |v0|, s0
	v_floor_f32_e32 v1, v1
	v_fma_f32 v4, v1, s1, |v0|
	v_cvt_u32_f32_e32 v4, v4
	v_cvt_u32_f32_e32 v1, v1
	v_ashrrev_i32_e32 v5, 31, v0
	s_mov_b64 s[0:1], 0
	v_xor_b32_e32 v0, v4, v5
	v_xor_b32_e32 v1, v1, v5
	v_sub_co_u32_e32 v0, vcc, v0, v5
	v_subb_co_u32_e32 v1, vcc, v1, v5, vcc
	s_branch .LBB62_2121
.LBB62_2112:
	s_andn2_b64 vcc, exec, s[22:23]
	s_cbranch_vccnz .LBB62_2103
.LBB62_2113:
	s_waitcnt vmcnt(0)
	v_cmp_lt_i64_e32 vcc, v[0:1], v[4:5]
	s_andn2_b64 s[20:21], s[20:21], exec
	s_and_b64 s[22:23], vcc, exec
	s_or_b64 s[20:21], s[20:21], s[22:23]
	s_cbranch_execz .LBB62_2104
	s_branch .LBB62_2105
.LBB62_2114:
	s_mov_b64 s[0:1], -1
	s_mov_b64 s[24:25], 0
                                        ; implicit-def: $vgpr0_vgpr1
	s_branch .LBB62_2183
.LBB62_2115:
	s_mov_b64 s[26:27], -1
	s_mov_b64 s[24:25], 0
	s_mov_b64 s[0:1], 0
                                        ; implicit-def: $vgpr0_vgpr1
	s_branch .LBB62_2150
.LBB62_2116:
	s_mov_b64 s[26:27], -1
	s_mov_b64 s[24:25], 0
	s_mov_b64 s[0:1], 0
                                        ; implicit-def: $vgpr0_vgpr1
	s_branch .LBB62_2131
.LBB62_2117:
	s_mov_b64 s[26:27], -1
	s_mov_b64 s[24:25], 0
	s_mov_b64 s[0:1], 0
                                        ; implicit-def: $vgpr0_vgpr1
	s_branch .LBB62_2126
.LBB62_2118:
	s_trap 2
	s_or_b64 s[18:19], s[18:19], exec
	s_cbranch_execz .LBB62_2038
	s_branch .LBB62_2039
.LBB62_2119:
	s_mov_b64 s[26:27], -1
	s_mov_b64 s[24:25], 0
	s_mov_b64 s[0:1], 0
                                        ; implicit-def: $vgpr0_vgpr1
	s_branch .LBB62_2121
.LBB62_2120:
	s_mov_b64 s[0:1], -1
                                        ; implicit-def: $vgpr0_vgpr1
	s_mov_b64 s[24:25], 0
.LBB62_2121:
	s_and_b64 vcc, exec, s[26:27]
	s_cbranch_vccz .LBB62_2125
; %bb.2122:
	s_cmp_eq_u32 s30, 44
	s_cbranch_scc0 .LBB62_2124
; %bb.2123:
	global_load_ubyte v0, v[2:3], off
	s_mov_b32 s0, 0x2f800000
	s_mov_b32 s1, 0xcf800000
	s_mov_b64 s[24:25], -1
	s_waitcnt vmcnt(0)
	v_lshlrev_b32_e32 v1, 23, v0
	v_trunc_f32_e32 v1, v1
	v_mul_f32_e64 v4, |v1|, s0
	v_floor_f32_e32 v4, v4
	v_fma_f32 v5, v4, s1, |v1|
	v_cvt_u32_f32_e32 v5, v5
	v_cvt_u32_f32_e32 v4, v4
	v_ashrrev_i32_e32 v1, 31, v1
	s_mov_b64 s[0:1], 0
	v_xor_b32_e32 v5, v5, v1
	v_xor_b32_e32 v4, v4, v1
	v_sub_co_u32_e32 v5, vcc, v5, v1
	v_subb_co_u32_e32 v1, vcc, v4, v1, vcc
	v_cmp_ne_u32_e32 vcc, 0, v0
	v_cndmask_b32_e32 v1, 0, v1, vcc
	v_cndmask_b32_e32 v0, 0, v5, vcc
	s_branch .LBB62_2125
.LBB62_2124:
	s_mov_b64 s[0:1], -1
                                        ; implicit-def: $vgpr0_vgpr1
.LBB62_2125:
	s_mov_b64 s[26:27], 0
.LBB62_2126:
	s_and_b64 vcc, exec, s[26:27]
	s_cbranch_vccz .LBB62_2130
; %bb.2127:
	s_cmp_eq_u32 s30, 29
	s_cbranch_scc0 .LBB62_2129
; %bb.2128:
	global_load_dwordx2 v[0:1], v[2:3], off
	s_mov_b64 s[0:1], 0
	s_mov_b64 s[24:25], -1
	s_branch .LBB62_2130
.LBB62_2129:
	s_mov_b64 s[0:1], -1
                                        ; implicit-def: $vgpr0_vgpr1
.LBB62_2130:
	s_mov_b64 s[26:27], 0
.LBB62_2131:
	s_and_b64 vcc, exec, s[26:27]
	s_cbranch_vccz .LBB62_2149
; %bb.2132:
	s_cmp_lt_i32 s30, 27
	s_cbranch_scc1 .LBB62_2135
; %bb.2133:
	s_cmp_gt_i32 s30, 27
	s_cbranch_scc0 .LBB62_2136
; %bb.2134:
	global_load_dword v0, v[2:3], off
	s_waitcnt vmcnt(1)
	v_mov_b32_e32 v1, 0
	s_mov_b64 s[24:25], 0
	s_branch .LBB62_2137
.LBB62_2135:
	s_mov_b64 s[24:25], -1
                                        ; implicit-def: $vgpr0_vgpr1
	s_branch .LBB62_2140
.LBB62_2136:
	s_mov_b64 s[24:25], -1
                                        ; implicit-def: $vgpr0_vgpr1
.LBB62_2137:
	s_andn2_b64 vcc, exec, s[24:25]
	s_cbranch_vccnz .LBB62_2139
; %bb.2138:
	global_load_ushort v0, v[2:3], off
	s_mov_b32 s24, 0
	s_waitcnt vmcnt(1)
	v_mov_b32_e32 v1, s24
	s_waitcnt vmcnt(0)
	v_and_b32_e32 v0, 0xffff, v0
.LBB62_2139:
	s_mov_b64 s[24:25], 0
.LBB62_2140:
	s_andn2_b64 vcc, exec, s[24:25]
	s_cbranch_vccnz .LBB62_2148
; %bb.2141:
	global_load_ubyte v4, v[2:3], off
	s_movk_i32 s24, 0x7f
	s_mov_b64 s[26:27], 0
	s_waitcnt vmcnt(0)
	v_cmp_lt_i16_e32 vcc, s24, v4
	s_and_saveexec_b64 s[24:25], vcc
	s_xor_b64 s[24:25], exec, s[24:25]
; %bb.2142:
	s_movk_i32 s26, 0x80
	v_cmp_ne_u16_e32 vcc, s26, v4
	s_and_b64 s[26:27], vcc, exec
; %bb.2143:
	s_andn2_saveexec_b64 s[24:25], s[24:25]
; %bb.2144:
	v_cmp_ne_u16_e32 vcc, 0, v4
	s_andn2_b64 s[26:27], s[26:27], exec
	s_and_b64 s[34:35], vcc, exec
	s_or_b64 s[26:27], s[26:27], s[34:35]
; %bb.2145:
	s_or_b64 exec, exec, s[24:25]
	v_mov_b32_e32 v0, 0
	v_mov_b32_e32 v1, 0
	s_and_saveexec_b64 s[24:25], s[26:27]
	s_cbranch_execz .LBB62_2147
; %bb.2146:
	v_and_b32_e32 v1, 0xffff, v4
	v_lshlrev_b32_e32 v0, 24, v4
	v_and_b32_e32 v4, 7, v1
	v_ffbh_u32_e32 v9, v4
	v_min_u32_e32 v9, 32, v9
	v_subrev_u32_e32 v10, 28, v9
	v_bfe_u32 v5, v1, 3, 4
	v_lshlrev_b32_e32 v1, v10, v1
	v_sub_u32_e32 v9, 29, v9
	v_and_b32_e32 v1, 7, v1
	v_cmp_eq_u32_e32 vcc, 0, v5
	v_cndmask_b32_e32 v5, v5, v9, vcc
	v_cndmask_b32_e32 v1, v4, v1, vcc
	v_mov_b32_e32 v4, 0x3b800000
	v_lshlrev_b32_e32 v1, 20, v1
	v_and_b32_e32 v0, 0x80000000, v0
	v_lshl_add_u32 v4, v5, 23, v4
	v_or3_b32 v0, v0, v4, v1
	v_trunc_f32_e32 v0, v0
	s_mov_b32 s26, 0x2f800000
	v_mul_f32_e64 v1, |v0|, s26
	v_floor_f32_e32 v1, v1
	s_mov_b32 s26, 0xcf800000
	v_fma_f32 v4, v1, s26, |v0|
	v_cvt_u32_f32_e32 v4, v4
	v_cvt_u32_f32_e32 v1, v1
	v_ashrrev_i32_e32 v5, 31, v0
	v_xor_b32_e32 v0, v4, v5
	v_xor_b32_e32 v1, v1, v5
	v_sub_co_u32_e32 v0, vcc, v0, v5
	v_subb_co_u32_e32 v1, vcc, v1, v5, vcc
.LBB62_2147:
	s_or_b64 exec, exec, s[24:25]
.LBB62_2148:
	s_mov_b64 s[24:25], -1
.LBB62_2149:
	s_mov_b64 s[26:27], 0
.LBB62_2150:
	s_and_b64 vcc, exec, s[26:27]
	s_cbranch_vccz .LBB62_2179
; %bb.2151:
	s_cmp_gt_i32 s30, 22
	s_cbranch_scc0 .LBB62_2161
; %bb.2152:
	s_cmp_lt_i32 s30, 24
	s_cbranch_scc1 .LBB62_2162
; %bb.2153:
	s_cmp_gt_i32 s30, 24
	s_cbranch_scc0 .LBB62_2163
; %bb.2154:
	global_load_ubyte v4, v[2:3], off
	s_movk_i32 s22, 0x7f
	s_mov_b64 s[24:25], 0
	s_waitcnt vmcnt(0)
	v_cmp_lt_i16_e32 vcc, s22, v4
	s_and_saveexec_b64 s[22:23], vcc
	s_xor_b64 s[22:23], exec, s[22:23]
; %bb.2155:
	s_movk_i32 s24, 0x80
	v_cmp_ne_u16_e32 vcc, s24, v4
	s_and_b64 s[24:25], vcc, exec
; %bb.2156:
	s_andn2_saveexec_b64 s[22:23], s[22:23]
; %bb.2157:
	v_cmp_ne_u16_e32 vcc, 0, v4
	s_andn2_b64 s[24:25], s[24:25], exec
	s_and_b64 s[26:27], vcc, exec
	s_or_b64 s[24:25], s[24:25], s[26:27]
; %bb.2158:
	s_or_b64 exec, exec, s[22:23]
	v_mov_b32_e32 v0, 0
	v_mov_b32_e32 v1, 0
	s_and_saveexec_b64 s[22:23], s[24:25]
	s_cbranch_execz .LBB62_2160
; %bb.2159:
	v_and_b32_e32 v1, 0xffff, v4
	v_lshlrev_b32_e32 v0, 24, v4
	v_and_b32_e32 v4, 3, v1
	v_ffbh_u32_e32 v9, v4
	v_min_u32_e32 v9, 32, v9
	v_subrev_u32_e32 v10, 29, v9
	v_bfe_u32 v5, v1, 2, 5
	v_lshlrev_b32_e32 v1, v10, v1
	v_sub_u32_e32 v9, 30, v9
	v_and_b32_e32 v1, 3, v1
	v_cmp_eq_u32_e32 vcc, 0, v5
	v_cndmask_b32_e32 v5, v5, v9, vcc
	v_cndmask_b32_e32 v1, v4, v1, vcc
	v_mov_b32_e32 v4, 0x37800000
	v_lshlrev_b32_e32 v1, 21, v1
	v_and_b32_e32 v0, 0x80000000, v0
	v_lshl_add_u32 v4, v5, 23, v4
	v_or3_b32 v0, v0, v4, v1
	v_trunc_f32_e32 v0, v0
	s_mov_b32 s24, 0x2f800000
	v_mul_f32_e64 v1, |v0|, s24
	v_floor_f32_e32 v1, v1
	s_mov_b32 s24, 0xcf800000
	v_fma_f32 v4, v1, s24, |v0|
	v_cvt_u32_f32_e32 v4, v4
	v_cvt_u32_f32_e32 v1, v1
	v_ashrrev_i32_e32 v5, 31, v0
	v_xor_b32_e32 v0, v4, v5
	v_xor_b32_e32 v1, v1, v5
	v_sub_co_u32_e32 v0, vcc, v0, v5
	v_subb_co_u32_e32 v1, vcc, v1, v5, vcc
.LBB62_2160:
	s_or_b64 exec, exec, s[22:23]
	s_mov_b64 s[22:23], 0
	s_branch .LBB62_2164
.LBB62_2161:
	s_mov_b64 s[22:23], -1
                                        ; implicit-def: $vgpr0_vgpr1
	s_branch .LBB62_2170
.LBB62_2162:
	s_mov_b64 s[22:23], -1
                                        ; implicit-def: $vgpr0_vgpr1
	s_branch .LBB62_2167
.LBB62_2163:
	s_mov_b64 s[22:23], -1
                                        ; implicit-def: $vgpr0_vgpr1
.LBB62_2164:
	s_and_b64 vcc, exec, s[22:23]
	s_cbranch_vccz .LBB62_2166
; %bb.2165:
	global_load_ubyte v0, v[2:3], off
	s_mov_b32 s22, 0x7f800000
	s_brev_b32 s23, 1
	s_mov_b32 s24, 0x2f800000
	s_mov_b32 s25, 0xcf800000
	s_waitcnt vmcnt(0)
	v_lshlrev_b32_e32 v0, 24, v0
	v_and_b32_e32 v1, 0x7f000000, v0
	v_ffbh_u32_e32 v4, v1
	v_min_u32_e32 v4, 32, v4
	v_sub_u32_e64 v4, v4, 4 clamp
	v_lshlrev_b32_e32 v9, v4, v1
	v_lshlrev_b32_e32 v4, 23, v4
	v_lshrrev_b32_e32 v9, 4, v9
	v_add_u32_e32 v5, 0x1000000, v1
	v_sub_u32_e32 v4, v9, v4
	v_ashrrev_i32_e32 v5, 8, v5
	v_add_u32_e32 v4, 0x3c000000, v4
	v_and_or_b32 v4, v5, s22, v4
	v_cmp_ne_u32_e32 vcc, 0, v1
	v_cndmask_b32_e32 v1, 0, v4, vcc
	v_and_or_b32 v0, v0, s23, v1
	v_trunc_f32_e32 v0, v0
	v_mul_f32_e64 v1, |v0|, s24
	v_floor_f32_e32 v1, v1
	v_fma_f32 v4, v1, s25, |v0|
	v_cvt_u32_f32_e32 v4, v4
	v_cvt_u32_f32_e32 v1, v1
	v_ashrrev_i32_e32 v5, 31, v0
	v_xor_b32_e32 v0, v4, v5
	v_xor_b32_e32 v1, v1, v5
	v_sub_co_u32_e32 v0, vcc, v0, v5
	v_subb_co_u32_e32 v1, vcc, v1, v5, vcc
.LBB62_2166:
	s_mov_b64 s[22:23], 0
.LBB62_2167:
	s_andn2_b64 vcc, exec, s[22:23]
	s_cbranch_vccnz .LBB62_2169
; %bb.2168:
	global_load_ubyte v0, v[2:3], off
	s_movk_i32 s22, 0x7f00
	s_brev_b32 s23, 16
	s_brev_b32 s24, 1
	s_mov_b32 s25, 0x2f800000
	s_mov_b32 s26, 0xcf800000
	s_waitcnt vmcnt(0)
	v_lshlrev_b16_e32 v1, 8, v0
	v_lshlrev_b32_e32 v0, 25, v0
	v_lshrrev_b32_e32 v4, 4, v0
	v_and_or_b32 v5, v1, s22, 0.5
	v_or_b32_e32 v4, 0x70000000, v4
	v_add_f32_e32 v5, -0.5, v5
	v_mul_f32_e32 v4, 0x7800000, v4
	v_cmp_gt_u32_e32 vcc, s23, v0
	v_bfe_i32 v1, v1, 0, 16
	v_cndmask_b32_e32 v0, v4, v5, vcc
	v_and_or_b32 v0, v1, s24, v0
	v_trunc_f32_e32 v0, v0
	v_mul_f32_e64 v1, |v0|, s25
	v_floor_f32_e32 v1, v1
	v_fma_f32 v4, v1, s26, |v0|
	v_cvt_u32_f32_e32 v4, v4
	v_cvt_u32_f32_e32 v1, v1
	v_ashrrev_i32_e32 v5, 31, v0
	v_xor_b32_e32 v0, v4, v5
	v_xor_b32_e32 v1, v1, v5
	v_sub_co_u32_e32 v0, vcc, v0, v5
	v_subb_co_u32_e32 v1, vcc, v1, v5, vcc
.LBB62_2169:
	s_mov_b64 s[22:23], 0
	s_mov_b64 s[24:25], -1
.LBB62_2170:
	s_andn2_b64 vcc, exec, s[22:23]
	s_mov_b64 s[22:23], 0
	s_cbranch_vccnz .LBB62_2179
; %bb.2171:
	s_cmp_gt_i32 s30, 14
	s_cbranch_scc0 .LBB62_2174
; %bb.2172:
	s_cmp_eq_u32 s30, 15
	s_cbranch_scc0 .LBB62_2175
; %bb.2173:
	global_load_ushort v0, v[2:3], off
	s_mov_b32 s0, 0x2f800000
	s_mov_b32 s1, 0xcf800000
	s_mov_b64 s[24:25], -1
	s_waitcnt vmcnt(0)
	v_lshlrev_b32_e32 v0, 16, v0
	v_trunc_f32_e32 v0, v0
	v_mul_f32_e64 v1, |v0|, s0
	v_floor_f32_e32 v1, v1
	v_fma_f32 v4, v1, s1, |v0|
	v_cvt_u32_f32_e32 v4, v4
	v_cvt_u32_f32_e32 v1, v1
	v_ashrrev_i32_e32 v5, 31, v0
	s_mov_b64 s[0:1], 0
	v_xor_b32_e32 v0, v4, v5
	v_xor_b32_e32 v1, v1, v5
	v_sub_co_u32_e32 v0, vcc, v0, v5
	v_subb_co_u32_e32 v1, vcc, v1, v5, vcc
	s_branch .LBB62_2176
.LBB62_2174:
	s_mov_b64 s[26:27], -1
                                        ; implicit-def: $vgpr0_vgpr1
	s_branch .LBB62_2177
.LBB62_2175:
	s_mov_b64 s[0:1], -1
                                        ; implicit-def: $vgpr0_vgpr1
.LBB62_2176:
	s_mov_b64 s[26:27], 0
.LBB62_2177:
	s_and_b64 vcc, exec, s[26:27]
	s_cbranch_vccz .LBB62_2179
; %bb.2178:
	s_cmp_lg_u32 s30, 11
	s_mov_b64 s[22:23], -1
	s_cselect_b64 s[0:1], -1, 0
.LBB62_2179:
	s_and_b64 vcc, exec, s[0:1]
	s_cbranch_vccnz .LBB62_2244
; %bb.2180:
	s_andn2_b64 vcc, exec, s[22:23]
	s_cbranch_vccnz .LBB62_2182
.LBB62_2181:
	global_load_ubyte v0, v[2:3], off
	s_mov_b32 s0, 0
	s_waitcnt vmcnt(1)
	v_mov_b32_e32 v1, s0
	s_mov_b64 s[24:25], -1
	s_waitcnt vmcnt(0)
	v_cmp_ne_u16_e32 vcc, 0, v0
	v_cndmask_b32_e64 v0, 0, 1, vcc
.LBB62_2182:
	s_mov_b64 s[0:1], 0
.LBB62_2183:
	s_and_b64 vcc, exec, s[0:1]
	s_cbranch_vccz .LBB62_2232
; %bb.2184:
	s_and_b32 s22, 0xffff, s28
	s_cmp_lt_i32 s22, 5
	s_cbranch_scc1 .LBB62_2189
; %bb.2185:
	s_cmp_lt_i32 s22, 8
	s_cbranch_scc1 .LBB62_2190
; %bb.2186:
	;; [unrolled: 3-line block ×3, first 2 shown]
	s_cmp_gt_i32 s22, 9
	s_cbranch_scc0 .LBB62_2192
; %bb.2188:
	global_load_dwordx2 v[0:1], v[2:3], off
	s_movk_i32 s0, 0xffe0
	s_waitcnt vmcnt(0)
	v_trunc_f64_e32 v[0:1], v[0:1]
	v_ldexp_f64 v[4:5], v[0:1], s0
	s_mov_b32 s0, 0
	s_mov_b32 s1, 0xc1f00000
	v_floor_f64_e32 v[4:5], v[4:5]
	v_fma_f64 v[9:10], v[4:5], s[0:1], v[0:1]
	v_cvt_i32_f64_e32 v1, v[4:5]
	s_mov_b64 s[0:1], 0
	v_cvt_u32_f64_e32 v0, v[9:10]
	s_branch .LBB62_2193
.LBB62_2189:
	s_mov_b64 s[0:1], -1
                                        ; implicit-def: $vgpr0_vgpr1
	s_branch .LBB62_2211
.LBB62_2190:
	s_mov_b64 s[0:1], -1
                                        ; implicit-def: $vgpr0_vgpr1
	s_branch .LBB62_2199
.LBB62_2191:
	s_mov_b64 s[0:1], -1
                                        ; implicit-def: $vgpr0_vgpr1
	s_branch .LBB62_2196
.LBB62_2192:
	s_mov_b64 s[0:1], -1
                                        ; implicit-def: $vgpr0_vgpr1
.LBB62_2193:
	s_andn2_b64 vcc, exec, s[0:1]
	s_cbranch_vccnz .LBB62_2195
; %bb.2194:
	global_load_dword v0, v[2:3], off
	s_mov_b32 s0, 0x2f800000
	s_mov_b32 s1, 0xcf800000
	s_waitcnt vmcnt(0)
	v_trunc_f32_e32 v0, v0
	v_mul_f32_e64 v1, |v0|, s0
	v_floor_f32_e32 v1, v1
	v_cvt_u32_f32_e32 v4, v1
	v_fma_f32 v1, v1, s1, |v0|
	v_cvt_u32_f32_e32 v1, v1
	v_ashrrev_i32_e32 v5, 31, v0
	v_xor_b32_e32 v4, v4, v5
	v_xor_b32_e32 v0, v1, v5
	v_sub_co_u32_e32 v0, vcc, v0, v5
	v_subb_co_u32_e32 v1, vcc, v4, v5, vcc
.LBB62_2195:
	s_mov_b64 s[0:1], 0
.LBB62_2196:
	s_andn2_b64 vcc, exec, s[0:1]
	s_cbranch_vccnz .LBB62_2198
; %bb.2197:
	global_load_dword v0, v[2:3], off
	s_waitcnt vmcnt(0)
	v_cvt_f32_f16_e32 v0, v0
	v_cvt_i32_f32_e32 v0, v0
	v_ashrrev_i32_e32 v1, 31, v0
.LBB62_2198:
	s_mov_b64 s[0:1], 0
.LBB62_2199:
	s_andn2_b64 vcc, exec, s[0:1]
	s_cbranch_vccnz .LBB62_2210
; %bb.2200:
	s_cmp_lt_i32 s22, 6
	s_cbranch_scc1 .LBB62_2203
; %bb.2201:
	s_cmp_gt_i32 s22, 6
	s_cbranch_scc0 .LBB62_2204
; %bb.2202:
	global_load_dwordx2 v[0:1], v[2:3], off
	s_movk_i32 s0, 0xffe0
	s_waitcnt vmcnt(0)
	v_trunc_f64_e32 v[0:1], v[0:1]
	v_ldexp_f64 v[4:5], v[0:1], s0
	s_mov_b32 s0, 0
	s_mov_b32 s1, 0xc1f00000
	v_floor_f64_e32 v[4:5], v[4:5]
	v_fma_f64 v[9:10], v[4:5], s[0:1], v[0:1]
	v_cvt_i32_f64_e32 v1, v[4:5]
	s_mov_b64 s[0:1], 0
	v_cvt_u32_f64_e32 v0, v[9:10]
	s_branch .LBB62_2205
.LBB62_2203:
	s_mov_b64 s[0:1], -1
                                        ; implicit-def: $vgpr0_vgpr1
	s_branch .LBB62_2208
.LBB62_2204:
	s_mov_b64 s[0:1], -1
                                        ; implicit-def: $vgpr0_vgpr1
.LBB62_2205:
	s_andn2_b64 vcc, exec, s[0:1]
	s_cbranch_vccnz .LBB62_2207
; %bb.2206:
	global_load_dword v0, v[2:3], off
	s_mov_b32 s0, 0x2f800000
	s_mov_b32 s1, 0xcf800000
	s_waitcnt vmcnt(0)
	v_trunc_f32_e32 v0, v0
	v_mul_f32_e64 v1, |v0|, s0
	v_floor_f32_e32 v1, v1
	v_cvt_u32_f32_e32 v4, v1
	v_fma_f32 v1, v1, s1, |v0|
	v_cvt_u32_f32_e32 v1, v1
	v_ashrrev_i32_e32 v5, 31, v0
	v_xor_b32_e32 v4, v4, v5
	v_xor_b32_e32 v0, v1, v5
	v_sub_co_u32_e32 v0, vcc, v0, v5
	v_subb_co_u32_e32 v1, vcc, v4, v5, vcc
.LBB62_2207:
	s_mov_b64 s[0:1], 0
.LBB62_2208:
	s_andn2_b64 vcc, exec, s[0:1]
	s_cbranch_vccnz .LBB62_2210
; %bb.2209:
	global_load_ushort v0, v[2:3], off
	s_waitcnt vmcnt(0)
	v_cvt_f32_f16_e32 v0, v0
	v_cvt_i32_f32_e32 v0, v0
	v_ashrrev_i32_e32 v1, 31, v0
.LBB62_2210:
	s_mov_b64 s[0:1], 0
.LBB62_2211:
	s_andn2_b64 vcc, exec, s[0:1]
	s_cbranch_vccnz .LBB62_2231
; %bb.2212:
	s_cmp_lt_i32 s22, 2
	s_cbranch_scc1 .LBB62_2216
; %bb.2213:
	s_cmp_lt_i32 s22, 3
	s_cbranch_scc1 .LBB62_2217
; %bb.2214:
	s_cmp_gt_i32 s22, 3
	s_cbranch_scc0 .LBB62_2218
; %bb.2215:
	global_load_dwordx2 v[0:1], v[2:3], off
	s_mov_b64 s[0:1], 0
	s_branch .LBB62_2219
.LBB62_2216:
	s_mov_b64 s[0:1], -1
                                        ; implicit-def: $vgpr0_vgpr1
	s_branch .LBB62_2225
.LBB62_2217:
	s_mov_b64 s[0:1], -1
                                        ; implicit-def: $vgpr0_vgpr1
	s_branch .LBB62_2222
.LBB62_2218:
	s_mov_b64 s[0:1], -1
                                        ; implicit-def: $vgpr0_vgpr1
.LBB62_2219:
	s_andn2_b64 vcc, exec, s[0:1]
	s_cbranch_vccnz .LBB62_2221
; %bb.2220:
	global_load_dword v0, v[2:3], off
	s_waitcnt vmcnt(0)
	v_ashrrev_i32_e32 v1, 31, v0
.LBB62_2221:
	s_mov_b64 s[0:1], 0
.LBB62_2222:
	s_andn2_b64 vcc, exec, s[0:1]
	s_cbranch_vccnz .LBB62_2224
; %bb.2223:
	global_load_ushort v0, v[2:3], off
	s_waitcnt vmcnt(0)
	v_bfe_i32 v0, v0, 0, 16
	v_ashrrev_i32_e32 v1, 31, v0
.LBB62_2224:
	s_mov_b64 s[0:1], 0
.LBB62_2225:
	s_andn2_b64 vcc, exec, s[0:1]
	s_cbranch_vccnz .LBB62_2231
; %bb.2226:
	s_cmp_gt_i32 s22, 0
	s_cbranch_scc0 .LBB62_2228
; %bb.2227:
	global_load_sbyte v0, v[2:3], off
	s_mov_b64 s[0:1], 0
	s_waitcnt vmcnt(0)
	v_bfe_i32 v0, v0, 0, 16
	v_ashrrev_i32_e32 v1, 31, v0
	s_branch .LBB62_2229
.LBB62_2228:
	s_mov_b64 s[0:1], -1
                                        ; implicit-def: $vgpr0_vgpr1
.LBB62_2229:
	s_andn2_b64 vcc, exec, s[0:1]
	s_cbranch_vccnz .LBB62_2231
; %bb.2230:
	global_load_ubyte v0, v[2:3], off
	s_mov_b32 s0, 0
	s_waitcnt vmcnt(1)
	v_mov_b32_e32 v1, s0
	s_waitcnt vmcnt(0)
	v_and_b32_e32 v0, 0xffff, v0
.LBB62_2231:
	s_mov_b64 s[24:25], -1
.LBB62_2232:
	s_andn2_b64 vcc, exec, s[24:25]
	s_cbranch_vccnz .LBB62_2634
; %bb.2233:
	v_add_u32_e32 v8, s14, v8
	v_ashrrev_i32_e32 v3, 31, v8
	v_mov_b32_e32 v4, s3
	v_add_co_u32_e32 v2, vcc, s2, v8
	s_cmp_lt_i32 s29, 11
	v_addc_co_u32_e32 v3, vcc, v4, v3, vcc
	s_cbranch_scc1 .LBB62_2240
; %bb.2234:
	s_and_b32 s30, 0xffff, s29
	s_cmp_gt_i32 s30, 25
	s_mov_b64 s[22:23], 0
	s_cbranch_scc0 .LBB62_2241
; %bb.2235:
	s_cmp_gt_i32 s30, 28
	s_cbranch_scc0 .LBB62_2242
; %bb.2236:
	s_cmp_gt_i32 s30, 43
	s_cbranch_scc0 .LBB62_2243
; %bb.2237:
	s_cmp_gt_i32 s30, 45
	s_cbranch_scc0 .LBB62_2245
; %bb.2238:
	s_cmp_eq_u32 s30, 46
	s_mov_b64 s[26:27], 0
	s_cbranch_scc0 .LBB62_2248
; %bb.2239:
	global_load_dword v4, v[2:3], off
	s_mov_b32 s0, 0x2f800000
	s_mov_b32 s1, 0xcf800000
	s_mov_b64 s[24:25], -1
	s_waitcnt vmcnt(0)
	v_lshlrev_b32_e32 v4, 16, v4
	v_trunc_f32_e32 v4, v4
	v_mul_f32_e64 v5, |v4|, s0
	v_floor_f32_e32 v5, v5
	v_fma_f32 v9, v5, s1, |v4|
	v_cvt_u32_f32_e32 v9, v9
	v_cvt_u32_f32_e32 v5, v5
	v_ashrrev_i32_e32 v10, 31, v4
	s_mov_b64 s[0:1], 0
	v_xor_b32_e32 v4, v9, v10
	v_xor_b32_e32 v5, v5, v10
	v_sub_co_u32_e32 v4, vcc, v4, v10
	v_subb_co_u32_e32 v5, vcc, v5, v10, vcc
	s_branch .LBB62_2249
.LBB62_2240:
	s_mov_b64 s[0:1], -1
	s_mov_b64 s[24:25], 0
                                        ; implicit-def: $vgpr4_vgpr5
	s_branch .LBB62_2311
.LBB62_2241:
	s_mov_b64 s[26:27], -1
	s_mov_b64 s[24:25], 0
	s_mov_b64 s[0:1], 0
                                        ; implicit-def: $vgpr4_vgpr5
	s_branch .LBB62_2278
.LBB62_2242:
	s_mov_b64 s[26:27], -1
	s_mov_b64 s[24:25], 0
	s_mov_b64 s[0:1], 0
                                        ; implicit-def: $vgpr4_vgpr5
	s_branch .LBB62_2259
.LBB62_2243:
	s_mov_b64 s[26:27], -1
	s_mov_b64 s[24:25], 0
	s_mov_b64 s[0:1], 0
                                        ; implicit-def: $vgpr4_vgpr5
	s_branch .LBB62_2254
.LBB62_2244:
	s_trap 2
	s_or_b64 s[18:19], s[18:19], exec
	s_cbranch_execz .LBB62_2181
	s_branch .LBB62_2182
.LBB62_2245:
	s_mov_b64 s[26:27], -1
	s_mov_b64 s[24:25], 0
	s_mov_b64 s[0:1], 0
                                        ; implicit-def: $vgpr4_vgpr5
	s_branch .LBB62_2249
.LBB62_2246:
	s_andn2_saveexec_b64 s[46:47], s[46:47]
	s_cbranch_execz .LBB62_1111
.LBB62_2247:
	v_add_f32_e32 v2, 0x42800000, v3
	v_and_b32_e32 v2, 0xff, v2
	v_cmp_ne_u32_e32 vcc, 0, v2
	s_andn2_b64 s[44:45], s[44:45], exec
	s_and_b64 s[52:53], vcc, exec
	s_or_b64 s[44:45], s[44:45], s[52:53]
	s_or_b64 exec, exec, s[46:47]
	v_mov_b32_e32 v4, 0
	s_and_saveexec_b64 s[46:47], s[44:45]
	s_cbranch_execnz .LBB62_1112
	s_branch .LBB62_1113
.LBB62_2248:
	s_mov_b64 s[0:1], -1
                                        ; implicit-def: $vgpr4_vgpr5
	s_mov_b64 s[24:25], 0
.LBB62_2249:
	s_and_b64 vcc, exec, s[26:27]
	s_cbranch_vccz .LBB62_2253
; %bb.2250:
	s_cmp_eq_u32 s30, 44
	s_cbranch_scc0 .LBB62_2252
; %bb.2251:
	global_load_ubyte v4, v[2:3], off
	s_mov_b32 s0, 0x2f800000
	s_mov_b32 s1, 0xcf800000
	s_mov_b64 s[24:25], -1
	s_waitcnt vmcnt(0)
	v_lshlrev_b32_e32 v5, 23, v4
	v_trunc_f32_e32 v5, v5
	v_mul_f32_e64 v9, |v5|, s0
	v_floor_f32_e32 v9, v9
	v_fma_f32 v10, v9, s1, |v5|
	v_cvt_u32_f32_e32 v10, v10
	v_cvt_u32_f32_e32 v9, v9
	v_ashrrev_i32_e32 v5, 31, v5
	s_mov_b64 s[0:1], 0
	v_xor_b32_e32 v10, v10, v5
	v_xor_b32_e32 v9, v9, v5
	v_sub_co_u32_e32 v10, vcc, v10, v5
	v_subb_co_u32_e32 v5, vcc, v9, v5, vcc
	v_cmp_ne_u32_e32 vcc, 0, v4
	v_cndmask_b32_e32 v5, 0, v5, vcc
	v_cndmask_b32_e32 v4, 0, v10, vcc
	s_branch .LBB62_2253
.LBB62_2252:
	s_mov_b64 s[0:1], -1
                                        ; implicit-def: $vgpr4_vgpr5
.LBB62_2253:
	s_mov_b64 s[26:27], 0
.LBB62_2254:
	s_and_b64 vcc, exec, s[26:27]
	s_cbranch_vccz .LBB62_2258
; %bb.2255:
	s_cmp_eq_u32 s30, 29
	s_cbranch_scc0 .LBB62_2257
; %bb.2256:
	global_load_dwordx2 v[4:5], v[2:3], off
	s_mov_b64 s[0:1], 0
	s_mov_b64 s[24:25], -1
	s_branch .LBB62_2258
.LBB62_2257:
	s_mov_b64 s[0:1], -1
                                        ; implicit-def: $vgpr4_vgpr5
.LBB62_2258:
	s_mov_b64 s[26:27], 0
.LBB62_2259:
	s_and_b64 vcc, exec, s[26:27]
	s_cbranch_vccz .LBB62_2277
; %bb.2260:
	s_cmp_lt_i32 s30, 27
	s_cbranch_scc1 .LBB62_2263
; %bb.2261:
	s_cmp_gt_i32 s30, 27
	s_cbranch_scc0 .LBB62_2264
; %bb.2262:
	global_load_dword v4, v[2:3], off
	s_waitcnt vmcnt(1)
	v_mov_b32_e32 v5, 0
	s_mov_b64 s[24:25], 0
	s_branch .LBB62_2265
.LBB62_2263:
	s_mov_b64 s[24:25], -1
                                        ; implicit-def: $vgpr4_vgpr5
	s_branch .LBB62_2268
.LBB62_2264:
	s_mov_b64 s[24:25], -1
                                        ; implicit-def: $vgpr4_vgpr5
.LBB62_2265:
	s_andn2_b64 vcc, exec, s[24:25]
	s_cbranch_vccnz .LBB62_2267
; %bb.2266:
	global_load_ushort v4, v[2:3], off
	s_mov_b32 s24, 0
	s_waitcnt vmcnt(1)
	v_mov_b32_e32 v5, s24
	s_waitcnt vmcnt(0)
	v_and_b32_e32 v4, 0xffff, v4
.LBB62_2267:
	s_mov_b64 s[24:25], 0
.LBB62_2268:
	s_andn2_b64 vcc, exec, s[24:25]
	s_cbranch_vccnz .LBB62_2276
; %bb.2269:
	global_load_ubyte v9, v[2:3], off
	s_movk_i32 s24, 0x7f
	s_mov_b64 s[26:27], 0
	s_waitcnt vmcnt(0)
	v_cmp_lt_i16_e32 vcc, s24, v9
	s_and_saveexec_b64 s[24:25], vcc
	s_xor_b64 s[24:25], exec, s[24:25]
; %bb.2270:
	s_movk_i32 s26, 0x80
	v_cmp_ne_u16_e32 vcc, s26, v9
	s_and_b64 s[26:27], vcc, exec
; %bb.2271:
	s_andn2_saveexec_b64 s[24:25], s[24:25]
; %bb.2272:
	v_cmp_ne_u16_e32 vcc, 0, v9
	s_andn2_b64 s[26:27], s[26:27], exec
	s_and_b64 s[34:35], vcc, exec
	s_or_b64 s[26:27], s[26:27], s[34:35]
; %bb.2273:
	s_or_b64 exec, exec, s[24:25]
	v_mov_b32_e32 v4, 0
	v_mov_b32_e32 v5, 0
	s_and_saveexec_b64 s[24:25], s[26:27]
	s_cbranch_execz .LBB62_2275
; %bb.2274:
	v_and_b32_e32 v5, 0xffff, v9
	v_lshlrev_b32_e32 v4, 24, v9
	v_and_b32_e32 v9, 7, v5
	v_ffbh_u32_e32 v11, v9
	v_min_u32_e32 v11, 32, v11
	v_subrev_u32_e32 v12, 28, v11
	v_bfe_u32 v10, v5, 3, 4
	v_lshlrev_b32_e32 v5, v12, v5
	v_sub_u32_e32 v11, 29, v11
	v_and_b32_e32 v5, 7, v5
	v_cmp_eq_u32_e32 vcc, 0, v10
	v_cndmask_b32_e32 v10, v10, v11, vcc
	v_cndmask_b32_e32 v5, v9, v5, vcc
	v_mov_b32_e32 v9, 0x3b800000
	v_lshlrev_b32_e32 v5, 20, v5
	v_and_b32_e32 v4, 0x80000000, v4
	v_lshl_add_u32 v9, v10, 23, v9
	v_or3_b32 v4, v4, v9, v5
	v_trunc_f32_e32 v4, v4
	s_mov_b32 s26, 0x2f800000
	v_mul_f32_e64 v5, |v4|, s26
	v_floor_f32_e32 v5, v5
	s_mov_b32 s26, 0xcf800000
	v_fma_f32 v9, v5, s26, |v4|
	v_cvt_u32_f32_e32 v9, v9
	v_cvt_u32_f32_e32 v5, v5
	v_ashrrev_i32_e32 v10, 31, v4
	v_xor_b32_e32 v4, v9, v10
	v_xor_b32_e32 v5, v5, v10
	v_sub_co_u32_e32 v4, vcc, v4, v10
	v_subb_co_u32_e32 v5, vcc, v5, v10, vcc
.LBB62_2275:
	s_or_b64 exec, exec, s[24:25]
.LBB62_2276:
	s_mov_b64 s[24:25], -1
.LBB62_2277:
	s_mov_b64 s[26:27], 0
.LBB62_2278:
	s_and_b64 vcc, exec, s[26:27]
	s_cbranch_vccz .LBB62_2307
; %bb.2279:
	s_cmp_gt_i32 s30, 22
	s_cbranch_scc0 .LBB62_2289
; %bb.2280:
	s_cmp_lt_i32 s30, 24
	s_cbranch_scc1 .LBB62_2290
; %bb.2281:
	s_cmp_gt_i32 s30, 24
	s_cbranch_scc0 .LBB62_2291
; %bb.2282:
	global_load_ubyte v9, v[2:3], off
	s_movk_i32 s22, 0x7f
	s_mov_b64 s[24:25], 0
	s_waitcnt vmcnt(0)
	v_cmp_lt_i16_e32 vcc, s22, v9
	s_and_saveexec_b64 s[22:23], vcc
	s_xor_b64 s[22:23], exec, s[22:23]
; %bb.2283:
	s_movk_i32 s24, 0x80
	v_cmp_ne_u16_e32 vcc, s24, v9
	s_and_b64 s[24:25], vcc, exec
; %bb.2284:
	s_andn2_saveexec_b64 s[22:23], s[22:23]
; %bb.2285:
	v_cmp_ne_u16_e32 vcc, 0, v9
	s_andn2_b64 s[24:25], s[24:25], exec
	s_and_b64 s[26:27], vcc, exec
	s_or_b64 s[24:25], s[24:25], s[26:27]
; %bb.2286:
	s_or_b64 exec, exec, s[22:23]
	v_mov_b32_e32 v4, 0
	v_mov_b32_e32 v5, 0
	s_and_saveexec_b64 s[22:23], s[24:25]
	s_cbranch_execz .LBB62_2288
; %bb.2287:
	v_and_b32_e32 v5, 0xffff, v9
	v_lshlrev_b32_e32 v4, 24, v9
	v_and_b32_e32 v9, 3, v5
	v_ffbh_u32_e32 v11, v9
	v_min_u32_e32 v11, 32, v11
	v_subrev_u32_e32 v12, 29, v11
	v_bfe_u32 v10, v5, 2, 5
	v_lshlrev_b32_e32 v5, v12, v5
	v_sub_u32_e32 v11, 30, v11
	v_and_b32_e32 v5, 3, v5
	v_cmp_eq_u32_e32 vcc, 0, v10
	v_cndmask_b32_e32 v10, v10, v11, vcc
	v_cndmask_b32_e32 v5, v9, v5, vcc
	v_mov_b32_e32 v9, 0x37800000
	v_lshlrev_b32_e32 v5, 21, v5
	v_and_b32_e32 v4, 0x80000000, v4
	v_lshl_add_u32 v9, v10, 23, v9
	v_or3_b32 v4, v4, v9, v5
	v_trunc_f32_e32 v4, v4
	s_mov_b32 s24, 0x2f800000
	v_mul_f32_e64 v5, |v4|, s24
	v_floor_f32_e32 v5, v5
	s_mov_b32 s24, 0xcf800000
	v_fma_f32 v9, v5, s24, |v4|
	v_cvt_u32_f32_e32 v9, v9
	v_cvt_u32_f32_e32 v5, v5
	v_ashrrev_i32_e32 v10, 31, v4
	v_xor_b32_e32 v4, v9, v10
	v_xor_b32_e32 v5, v5, v10
	v_sub_co_u32_e32 v4, vcc, v4, v10
	v_subb_co_u32_e32 v5, vcc, v5, v10, vcc
.LBB62_2288:
	s_or_b64 exec, exec, s[22:23]
	s_mov_b64 s[22:23], 0
	s_branch .LBB62_2292
.LBB62_2289:
	s_mov_b64 s[22:23], -1
                                        ; implicit-def: $vgpr4_vgpr5
	s_branch .LBB62_2298
.LBB62_2290:
	s_mov_b64 s[22:23], -1
                                        ; implicit-def: $vgpr4_vgpr5
	s_branch .LBB62_2295
.LBB62_2291:
	s_mov_b64 s[22:23], -1
                                        ; implicit-def: $vgpr4_vgpr5
.LBB62_2292:
	s_and_b64 vcc, exec, s[22:23]
	s_cbranch_vccz .LBB62_2294
; %bb.2293:
	global_load_ubyte v4, v[2:3], off
	s_mov_b32 s22, 0x7f800000
	s_brev_b32 s23, 1
	s_mov_b32 s24, 0x2f800000
	s_mov_b32 s25, 0xcf800000
	s_waitcnt vmcnt(0)
	v_lshlrev_b32_e32 v4, 24, v4
	v_and_b32_e32 v5, 0x7f000000, v4
	v_ffbh_u32_e32 v9, v5
	v_min_u32_e32 v9, 32, v9
	v_sub_u32_e64 v9, v9, 4 clamp
	v_lshlrev_b32_e32 v11, v9, v5
	v_lshlrev_b32_e32 v9, 23, v9
	v_lshrrev_b32_e32 v11, 4, v11
	v_add_u32_e32 v10, 0x1000000, v5
	v_sub_u32_e32 v9, v11, v9
	v_ashrrev_i32_e32 v10, 8, v10
	v_add_u32_e32 v9, 0x3c000000, v9
	v_and_or_b32 v9, v10, s22, v9
	v_cmp_ne_u32_e32 vcc, 0, v5
	v_cndmask_b32_e32 v5, 0, v9, vcc
	v_and_or_b32 v4, v4, s23, v5
	v_trunc_f32_e32 v4, v4
	v_mul_f32_e64 v5, |v4|, s24
	v_floor_f32_e32 v5, v5
	v_fma_f32 v9, v5, s25, |v4|
	v_cvt_u32_f32_e32 v9, v9
	v_cvt_u32_f32_e32 v5, v5
	v_ashrrev_i32_e32 v10, 31, v4
	v_xor_b32_e32 v4, v9, v10
	v_xor_b32_e32 v5, v5, v10
	v_sub_co_u32_e32 v4, vcc, v4, v10
	v_subb_co_u32_e32 v5, vcc, v5, v10, vcc
.LBB62_2294:
	s_mov_b64 s[22:23], 0
.LBB62_2295:
	s_andn2_b64 vcc, exec, s[22:23]
	s_cbranch_vccnz .LBB62_2297
; %bb.2296:
	global_load_ubyte v4, v[2:3], off
	s_movk_i32 s22, 0x7f00
	s_brev_b32 s23, 16
	s_brev_b32 s24, 1
	s_mov_b32 s25, 0x2f800000
	s_mov_b32 s26, 0xcf800000
	s_waitcnt vmcnt(0)
	v_lshlrev_b16_e32 v5, 8, v4
	v_lshlrev_b32_e32 v4, 25, v4
	v_lshrrev_b32_e32 v9, 4, v4
	v_and_or_b32 v10, v5, s22, 0.5
	v_or_b32_e32 v9, 0x70000000, v9
	v_add_f32_e32 v10, -0.5, v10
	v_mul_f32_e32 v9, 0x7800000, v9
	v_cmp_gt_u32_e32 vcc, s23, v4
	v_bfe_i32 v5, v5, 0, 16
	v_cndmask_b32_e32 v4, v9, v10, vcc
	v_and_or_b32 v4, v5, s24, v4
	v_trunc_f32_e32 v4, v4
	v_mul_f32_e64 v5, |v4|, s25
	v_floor_f32_e32 v5, v5
	v_fma_f32 v9, v5, s26, |v4|
	v_cvt_u32_f32_e32 v9, v9
	v_cvt_u32_f32_e32 v5, v5
	v_ashrrev_i32_e32 v10, 31, v4
	v_xor_b32_e32 v4, v9, v10
	v_xor_b32_e32 v5, v5, v10
	v_sub_co_u32_e32 v4, vcc, v4, v10
	v_subb_co_u32_e32 v5, vcc, v5, v10, vcc
.LBB62_2297:
	s_mov_b64 s[22:23], 0
	s_mov_b64 s[24:25], -1
.LBB62_2298:
	s_andn2_b64 vcc, exec, s[22:23]
	s_mov_b64 s[22:23], 0
	s_cbranch_vccnz .LBB62_2307
; %bb.2299:
	s_cmp_gt_i32 s30, 14
	s_cbranch_scc0 .LBB62_2302
; %bb.2300:
	s_cmp_eq_u32 s30, 15
	s_cbranch_scc0 .LBB62_2303
; %bb.2301:
	global_load_ushort v4, v[2:3], off
	s_mov_b32 s0, 0x2f800000
	s_mov_b32 s1, 0xcf800000
	s_mov_b64 s[24:25], -1
	s_waitcnt vmcnt(0)
	v_lshlrev_b32_e32 v4, 16, v4
	v_trunc_f32_e32 v4, v4
	v_mul_f32_e64 v5, |v4|, s0
	v_floor_f32_e32 v5, v5
	v_fma_f32 v9, v5, s1, |v4|
	v_cvt_u32_f32_e32 v9, v9
	v_cvt_u32_f32_e32 v5, v5
	v_ashrrev_i32_e32 v10, 31, v4
	s_mov_b64 s[0:1], 0
	v_xor_b32_e32 v4, v9, v10
	v_xor_b32_e32 v5, v5, v10
	v_sub_co_u32_e32 v4, vcc, v4, v10
	v_subb_co_u32_e32 v5, vcc, v5, v10, vcc
	s_branch .LBB62_2304
.LBB62_2302:
	s_mov_b64 s[26:27], -1
                                        ; implicit-def: $vgpr4_vgpr5
	s_branch .LBB62_2305
.LBB62_2303:
	s_mov_b64 s[0:1], -1
                                        ; implicit-def: $vgpr4_vgpr5
.LBB62_2304:
	s_mov_b64 s[26:27], 0
.LBB62_2305:
	s_and_b64 vcc, exec, s[26:27]
	s_cbranch_vccz .LBB62_2307
; %bb.2306:
	s_cmp_lg_u32 s30, 11
	s_mov_b64 s[22:23], -1
	s_cselect_b64 s[0:1], -1, 0
.LBB62_2307:
	s_and_b64 vcc, exec, s[0:1]
	s_cbranch_vccnz .LBB62_2389
; %bb.2308:
	s_andn2_b64 vcc, exec, s[22:23]
	s_cbranch_vccnz .LBB62_2310
.LBB62_2309:
	global_load_ubyte v4, v[2:3], off
	s_mov_b32 s0, 0
	s_waitcnt vmcnt(1)
	v_mov_b32_e32 v5, s0
	s_mov_b64 s[24:25], -1
	s_waitcnt vmcnt(0)
	v_cmp_ne_u16_e32 vcc, 0, v4
	v_cndmask_b32_e64 v4, 0, 1, vcc
.LBB62_2310:
	s_mov_b64 s[0:1], 0
.LBB62_2311:
	s_and_b64 vcc, exec, s[0:1]
	s_cbranch_vccz .LBB62_2360
; %bb.2312:
	s_and_b32 s22, 0xffff, s29
	s_cmp_lt_i32 s22, 5
	s_cbranch_scc1 .LBB62_2317
; %bb.2313:
	s_cmp_lt_i32 s22, 8
	s_cbranch_scc1 .LBB62_2318
; %bb.2314:
	;; [unrolled: 3-line block ×3, first 2 shown]
	s_cmp_gt_i32 s22, 9
	s_cbranch_scc0 .LBB62_2320
; %bb.2316:
	global_load_dwordx2 v[4:5], v[2:3], off
	s_movk_i32 s0, 0xffe0
	s_waitcnt vmcnt(0)
	v_trunc_f64_e32 v[4:5], v[4:5]
	v_ldexp_f64 v[9:10], v[4:5], s0
	s_mov_b32 s0, 0
	s_mov_b32 s1, 0xc1f00000
	v_floor_f64_e32 v[9:10], v[9:10]
	v_fma_f64 v[11:12], v[9:10], s[0:1], v[4:5]
	v_cvt_i32_f64_e32 v5, v[9:10]
	s_mov_b64 s[0:1], 0
	v_cvt_u32_f64_e32 v4, v[11:12]
	s_branch .LBB62_2321
.LBB62_2317:
	s_mov_b64 s[0:1], -1
                                        ; implicit-def: $vgpr4_vgpr5
	s_branch .LBB62_2339
.LBB62_2318:
	s_mov_b64 s[0:1], -1
                                        ; implicit-def: $vgpr4_vgpr5
	s_branch .LBB62_2327
.LBB62_2319:
	s_mov_b64 s[0:1], -1
                                        ; implicit-def: $vgpr4_vgpr5
	s_branch .LBB62_2324
.LBB62_2320:
	s_mov_b64 s[0:1], -1
                                        ; implicit-def: $vgpr4_vgpr5
.LBB62_2321:
	s_andn2_b64 vcc, exec, s[0:1]
	s_cbranch_vccnz .LBB62_2323
; %bb.2322:
	global_load_dword v4, v[2:3], off
	s_mov_b32 s0, 0x2f800000
	s_mov_b32 s1, 0xcf800000
	s_waitcnt vmcnt(0)
	v_trunc_f32_e32 v4, v4
	v_mul_f32_e64 v5, |v4|, s0
	v_floor_f32_e32 v5, v5
	v_cvt_u32_f32_e32 v9, v5
	v_fma_f32 v5, v5, s1, |v4|
	v_cvt_u32_f32_e32 v5, v5
	v_ashrrev_i32_e32 v10, 31, v4
	v_xor_b32_e32 v9, v9, v10
	v_xor_b32_e32 v4, v5, v10
	v_sub_co_u32_e32 v4, vcc, v4, v10
	v_subb_co_u32_e32 v5, vcc, v9, v10, vcc
.LBB62_2323:
	s_mov_b64 s[0:1], 0
.LBB62_2324:
	s_andn2_b64 vcc, exec, s[0:1]
	s_cbranch_vccnz .LBB62_2326
; %bb.2325:
	global_load_dword v4, v[2:3], off
	s_waitcnt vmcnt(0)
	v_cvt_f32_f16_e32 v4, v4
	v_cvt_i32_f32_e32 v4, v4
	v_ashrrev_i32_e32 v5, 31, v4
.LBB62_2326:
	s_mov_b64 s[0:1], 0
.LBB62_2327:
	s_andn2_b64 vcc, exec, s[0:1]
	s_cbranch_vccnz .LBB62_2338
; %bb.2328:
	s_cmp_lt_i32 s22, 6
	s_cbranch_scc1 .LBB62_2331
; %bb.2329:
	s_cmp_gt_i32 s22, 6
	s_cbranch_scc0 .LBB62_2332
; %bb.2330:
	global_load_dwordx2 v[4:5], v[2:3], off
	s_movk_i32 s0, 0xffe0
	s_waitcnt vmcnt(0)
	v_trunc_f64_e32 v[4:5], v[4:5]
	v_ldexp_f64 v[9:10], v[4:5], s0
	s_mov_b32 s0, 0
	s_mov_b32 s1, 0xc1f00000
	v_floor_f64_e32 v[9:10], v[9:10]
	v_fma_f64 v[11:12], v[9:10], s[0:1], v[4:5]
	v_cvt_i32_f64_e32 v5, v[9:10]
	s_mov_b64 s[0:1], 0
	v_cvt_u32_f64_e32 v4, v[11:12]
	s_branch .LBB62_2333
.LBB62_2331:
	s_mov_b64 s[0:1], -1
                                        ; implicit-def: $vgpr4_vgpr5
	s_branch .LBB62_2336
.LBB62_2332:
	s_mov_b64 s[0:1], -1
                                        ; implicit-def: $vgpr4_vgpr5
.LBB62_2333:
	s_andn2_b64 vcc, exec, s[0:1]
	s_cbranch_vccnz .LBB62_2335
; %bb.2334:
	global_load_dword v4, v[2:3], off
	s_mov_b32 s0, 0x2f800000
	s_mov_b32 s1, 0xcf800000
	s_waitcnt vmcnt(0)
	v_trunc_f32_e32 v4, v4
	v_mul_f32_e64 v5, |v4|, s0
	v_floor_f32_e32 v5, v5
	v_cvt_u32_f32_e32 v9, v5
	v_fma_f32 v5, v5, s1, |v4|
	v_cvt_u32_f32_e32 v5, v5
	v_ashrrev_i32_e32 v10, 31, v4
	v_xor_b32_e32 v9, v9, v10
	v_xor_b32_e32 v4, v5, v10
	v_sub_co_u32_e32 v4, vcc, v4, v10
	v_subb_co_u32_e32 v5, vcc, v9, v10, vcc
.LBB62_2335:
	s_mov_b64 s[0:1], 0
.LBB62_2336:
	s_andn2_b64 vcc, exec, s[0:1]
	s_cbranch_vccnz .LBB62_2338
; %bb.2337:
	global_load_ushort v4, v[2:3], off
	s_waitcnt vmcnt(0)
	v_cvt_f32_f16_e32 v4, v4
	v_cvt_i32_f32_e32 v4, v4
	v_ashrrev_i32_e32 v5, 31, v4
.LBB62_2338:
	s_mov_b64 s[0:1], 0
.LBB62_2339:
	s_andn2_b64 vcc, exec, s[0:1]
	s_cbranch_vccnz .LBB62_2359
; %bb.2340:
	s_cmp_lt_i32 s22, 2
	s_cbranch_scc1 .LBB62_2344
; %bb.2341:
	s_cmp_lt_i32 s22, 3
	s_cbranch_scc1 .LBB62_2345
; %bb.2342:
	s_cmp_gt_i32 s22, 3
	s_cbranch_scc0 .LBB62_2346
; %bb.2343:
	global_load_dwordx2 v[4:5], v[2:3], off
	s_mov_b64 s[0:1], 0
	s_branch .LBB62_2347
.LBB62_2344:
	s_mov_b64 s[0:1], -1
                                        ; implicit-def: $vgpr4_vgpr5
	s_branch .LBB62_2353
.LBB62_2345:
	s_mov_b64 s[0:1], -1
                                        ; implicit-def: $vgpr4_vgpr5
	s_branch .LBB62_2350
.LBB62_2346:
	s_mov_b64 s[0:1], -1
                                        ; implicit-def: $vgpr4_vgpr5
.LBB62_2347:
	s_andn2_b64 vcc, exec, s[0:1]
	s_cbranch_vccnz .LBB62_2349
; %bb.2348:
	global_load_dword v4, v[2:3], off
	s_waitcnt vmcnt(0)
	v_ashrrev_i32_e32 v5, 31, v4
.LBB62_2349:
	s_mov_b64 s[0:1], 0
.LBB62_2350:
	s_andn2_b64 vcc, exec, s[0:1]
	s_cbranch_vccnz .LBB62_2352
; %bb.2351:
	global_load_ushort v4, v[2:3], off
	s_waitcnt vmcnt(0)
	v_bfe_i32 v4, v4, 0, 16
	v_ashrrev_i32_e32 v5, 31, v4
.LBB62_2352:
	s_mov_b64 s[0:1], 0
.LBB62_2353:
	s_andn2_b64 vcc, exec, s[0:1]
	s_cbranch_vccnz .LBB62_2359
; %bb.2354:
	s_cmp_gt_i32 s22, 0
	s_cbranch_scc0 .LBB62_2356
; %bb.2355:
	global_load_sbyte v4, v[2:3], off
	s_mov_b64 s[0:1], 0
	s_waitcnt vmcnt(0)
	v_bfe_i32 v4, v4, 0, 16
	v_ashrrev_i32_e32 v5, 31, v4
	s_branch .LBB62_2357
.LBB62_2356:
	s_mov_b64 s[0:1], -1
                                        ; implicit-def: $vgpr4_vgpr5
.LBB62_2357:
	s_andn2_b64 vcc, exec, s[0:1]
	s_cbranch_vccnz .LBB62_2359
; %bb.2358:
	global_load_ubyte v2, v[2:3], off
	s_mov_b32 s0, 0
	s_waitcnt vmcnt(1)
	v_mov_b32_e32 v5, s0
	s_waitcnt vmcnt(0)
	v_and_b32_e32 v4, 0xffff, v2
.LBB62_2359:
	s_mov_b64 s[24:25], -1
.LBB62_2360:
	s_andn2_b64 vcc, exec, s[24:25]
	s_cbranch_vccnz .LBB62_2634
; %bb.2361:
	s_cmp_lt_i32 s15, 1
	s_mov_b64 s[0:1], 0
	s_cbranch_scc1 .LBB62_2365
; %bb.2362:
	s_cmp_gt_i32 s15, 1
	s_cbranch_scc0 .LBB62_2366
; %bb.2363:
	s_cmp_eq_u32 s15, 2
	s_cbranch_scc0 .LBB62_2367
; %bb.2364:
	s_waitcnt vmcnt(0)
	v_cmp_le_i64_e64 s[22:23], v[0:1], v[4:5]
	s_mov_b64 s[24:25], 0
	s_branch .LBB62_2368
.LBB62_2365:
	s_mov_b64 s[26:27], -1
                                        ; implicit-def: $sgpr22_sgpr23
	s_mov_b64 s[24:25], 0
	s_branch .LBB62_2372
.LBB62_2366:
	s_mov_b64 s[26:27], -1
	s_mov_b64 s[24:25], 0
                                        ; implicit-def: $sgpr22_sgpr23
	s_branch .LBB62_2369
.LBB62_2367:
	s_mov_b64 s[24:25], -1
                                        ; implicit-def: $sgpr22_sgpr23
.LBB62_2368:
	s_mov_b64 s[26:27], 0
.LBB62_2369:
	s_and_b64 vcc, exec, s[26:27]
	s_cbranch_vccz .LBB62_2371
; %bb.2370:
	s_waitcnt vmcnt(0)
	v_cmp_gt_i64_e32 vcc, v[0:1], v[4:5]
	s_andn2_b64 s[22:23], s[22:23], exec
	s_and_b64 s[26:27], vcc, exec
	s_or_b64 s[22:23], s[22:23], s[26:27]
.LBB62_2371:
	s_mov_b64 s[26:27], 0
.LBB62_2372:
	s_and_b64 vcc, exec, s[26:27]
	s_cbranch_vccz .LBB62_2383
; %bb.2373:
	s_cmp_lg_u32 s15, 0
	s_mov_b64 s[0:1], -1
	s_cselect_b64 s[24:25], -1, 0
	s_andn2_b64 vcc, exec, s[24:25]
	s_cbranch_vccz .LBB62_2384
.LBB62_2374:
	s_andn2_b64 vcc, exec, s[0:1]
	s_cbranch_vccnz .LBB62_2376
.LBB62_2375:
	s_waitcnt vmcnt(0)
	v_cmp_ge_i64_e32 vcc, v[0:1], v[4:5]
	s_andn2_b64 s[0:1], s[22:23], exec
	s_and_b64 s[22:23], vcc, exec
	s_or_b64 s[22:23], s[0:1], s[22:23]
.LBB62_2376:
	s_waitcnt vmcnt(0)
	v_add_u32_e32 v0, s13, v7
	v_ashrrev_i32_e32 v1, 31, v0
	v_mov_b32_e32 v3, s11
	v_add_co_u32_e32 v2, vcc, s10, v0
	s_cmp_lt_i32 s28, 11
	v_addc_co_u32_e32 v3, vcc, v3, v1, vcc
	s_cbranch_scc1 .LBB62_2385
; %bb.2377:
	s_and_b32 s13, 0xffff, s28
	s_cmp_gt_i32 s13, 25
	s_mov_b64 s[10:11], 0
	s_cbranch_scc0 .LBB62_2386
; %bb.2378:
	s_cmp_gt_i32 s13, 28
	s_cbranch_scc0 .LBB62_2387
; %bb.2379:
	s_cmp_gt_i32 s13, 43
	;; [unrolled: 3-line block ×3, first 2 shown]
	s_cbranch_scc0 .LBB62_2390
; %bb.2381:
	s_cmp_eq_u32 s13, 46
	s_mov_b64 s[26:27], 0
	s_cbranch_scc0 .LBB62_2391
; %bb.2382:
	global_load_dword v0, v[2:3], off
	s_mov_b32 s0, 0x2f800000
	s_mov_b32 s1, 0xcf800000
	s_mov_b64 s[24:25], -1
	s_waitcnt vmcnt(0)
	v_lshlrev_b32_e32 v0, 16, v0
	v_trunc_f32_e32 v0, v0
	v_mul_f32_e64 v1, |v0|, s0
	v_floor_f32_e32 v1, v1
	v_fma_f32 v4, v1, s1, |v0|
	v_cvt_u32_f32_e32 v4, v4
	v_cvt_u32_f32_e32 v1, v1
	v_ashrrev_i32_e32 v5, 31, v0
	s_mov_b64 s[0:1], 0
	v_xor_b32_e32 v0, v4, v5
	v_xor_b32_e32 v1, v1, v5
	v_sub_co_u32_e32 v0, vcc, v0, v5
	v_subb_co_u32_e32 v1, vcc, v1, v5, vcc
	s_branch .LBB62_2392
.LBB62_2383:
	s_andn2_b64 vcc, exec, s[24:25]
	s_cbranch_vccnz .LBB62_2374
.LBB62_2384:
	s_waitcnt vmcnt(0)
	v_cmp_lt_i64_e32 vcc, v[0:1], v[4:5]
	s_andn2_b64 s[22:23], s[22:23], exec
	s_and_b64 s[24:25], vcc, exec
	s_or_b64 s[22:23], s[22:23], s[24:25]
	s_cbranch_execz .LBB62_2375
	s_branch .LBB62_2376
.LBB62_2385:
	s_mov_b64 s[0:1], -1
	s_mov_b64 s[24:25], 0
                                        ; implicit-def: $vgpr0_vgpr1
	s_branch .LBB62_2454
.LBB62_2386:
	s_mov_b64 s[26:27], -1
	s_mov_b64 s[24:25], 0
	s_mov_b64 s[0:1], 0
                                        ; implicit-def: $vgpr0_vgpr1
	s_branch .LBB62_2421
.LBB62_2387:
	s_mov_b64 s[26:27], -1
	s_mov_b64 s[24:25], 0
	s_mov_b64 s[0:1], 0
                                        ; implicit-def: $vgpr0_vgpr1
	s_branch .LBB62_2402
.LBB62_2388:
	s_mov_b64 s[26:27], -1
	s_mov_b64 s[24:25], 0
	s_mov_b64 s[0:1], 0
                                        ; implicit-def: $vgpr0_vgpr1
	s_branch .LBB62_2397
.LBB62_2389:
	s_trap 2
	s_or_b64 s[18:19], s[18:19], exec
	s_cbranch_execz .LBB62_2309
	s_branch .LBB62_2310
.LBB62_2390:
	s_mov_b64 s[26:27], -1
	s_mov_b64 s[24:25], 0
	s_mov_b64 s[0:1], 0
                                        ; implicit-def: $vgpr0_vgpr1
	s_branch .LBB62_2392
.LBB62_2391:
	s_mov_b64 s[0:1], -1
                                        ; implicit-def: $vgpr0_vgpr1
	s_mov_b64 s[24:25], 0
.LBB62_2392:
	s_and_b64 vcc, exec, s[26:27]
	s_cbranch_vccz .LBB62_2396
; %bb.2393:
	s_cmp_eq_u32 s13, 44
	s_cbranch_scc0 .LBB62_2395
; %bb.2394:
	global_load_ubyte v0, v[2:3], off
	s_mov_b32 s0, 0x2f800000
	s_mov_b32 s1, 0xcf800000
	s_mov_b64 s[24:25], -1
	s_waitcnt vmcnt(0)
	v_lshlrev_b32_e32 v1, 23, v0
	v_trunc_f32_e32 v1, v1
	v_mul_f32_e64 v4, |v1|, s0
	v_floor_f32_e32 v4, v4
	v_fma_f32 v5, v4, s1, |v1|
	v_cvt_u32_f32_e32 v5, v5
	v_cvt_u32_f32_e32 v4, v4
	v_ashrrev_i32_e32 v1, 31, v1
	s_mov_b64 s[0:1], 0
	v_xor_b32_e32 v5, v5, v1
	v_xor_b32_e32 v4, v4, v1
	v_sub_co_u32_e32 v5, vcc, v5, v1
	v_subb_co_u32_e32 v1, vcc, v4, v1, vcc
	v_cmp_ne_u32_e32 vcc, 0, v0
	v_cndmask_b32_e32 v1, 0, v1, vcc
	v_cndmask_b32_e32 v0, 0, v5, vcc
	s_branch .LBB62_2396
.LBB62_2395:
	s_mov_b64 s[0:1], -1
                                        ; implicit-def: $vgpr0_vgpr1
.LBB62_2396:
	s_mov_b64 s[26:27], 0
.LBB62_2397:
	s_and_b64 vcc, exec, s[26:27]
	s_cbranch_vccz .LBB62_2401
; %bb.2398:
	s_cmp_eq_u32 s13, 29
	s_cbranch_scc0 .LBB62_2400
; %bb.2399:
	global_load_dwordx2 v[0:1], v[2:3], off
	s_mov_b64 s[0:1], 0
	s_mov_b64 s[24:25], -1
	s_branch .LBB62_2401
.LBB62_2400:
	s_mov_b64 s[0:1], -1
                                        ; implicit-def: $vgpr0_vgpr1
.LBB62_2401:
	s_mov_b64 s[26:27], 0
.LBB62_2402:
	s_and_b64 vcc, exec, s[26:27]
	s_cbranch_vccz .LBB62_2420
; %bb.2403:
	s_cmp_lt_i32 s13, 27
	s_cbranch_scc1 .LBB62_2406
; %bb.2404:
	s_cmp_gt_i32 s13, 27
	s_cbranch_scc0 .LBB62_2407
; %bb.2405:
	global_load_dword v0, v[2:3], off
	s_waitcnt vmcnt(1)
	v_mov_b32_e32 v1, 0
	s_mov_b64 s[24:25], 0
	s_branch .LBB62_2408
.LBB62_2406:
	s_mov_b64 s[24:25], -1
                                        ; implicit-def: $vgpr0_vgpr1
	s_branch .LBB62_2411
.LBB62_2407:
	s_mov_b64 s[24:25], -1
                                        ; implicit-def: $vgpr0_vgpr1
.LBB62_2408:
	s_andn2_b64 vcc, exec, s[24:25]
	s_cbranch_vccnz .LBB62_2410
; %bb.2409:
	global_load_ushort v0, v[2:3], off
	s_mov_b32 s24, 0
	s_waitcnt vmcnt(1)
	v_mov_b32_e32 v1, s24
	s_waitcnt vmcnt(0)
	v_and_b32_e32 v0, 0xffff, v0
.LBB62_2410:
	s_mov_b64 s[24:25], 0
.LBB62_2411:
	s_andn2_b64 vcc, exec, s[24:25]
	s_cbranch_vccnz .LBB62_2419
; %bb.2412:
	global_load_ubyte v4, v[2:3], off
	s_movk_i32 s24, 0x7f
	s_mov_b64 s[26:27], 0
	s_waitcnt vmcnt(0)
	v_cmp_lt_i16_e32 vcc, s24, v4
	s_and_saveexec_b64 s[24:25], vcc
	s_xor_b64 s[24:25], exec, s[24:25]
; %bb.2413:
	s_movk_i32 s26, 0x80
	v_cmp_ne_u16_e32 vcc, s26, v4
	s_and_b64 s[26:27], vcc, exec
; %bb.2414:
	s_andn2_saveexec_b64 s[24:25], s[24:25]
; %bb.2415:
	v_cmp_ne_u16_e32 vcc, 0, v4
	s_andn2_b64 s[26:27], s[26:27], exec
	s_and_b64 s[30:31], vcc, exec
	s_or_b64 s[26:27], s[26:27], s[30:31]
; %bb.2416:
	s_or_b64 exec, exec, s[24:25]
	v_mov_b32_e32 v0, 0
	v_mov_b32_e32 v1, 0
	s_and_saveexec_b64 s[24:25], s[26:27]
	s_cbranch_execz .LBB62_2418
; %bb.2417:
	v_and_b32_e32 v1, 0xffff, v4
	v_lshlrev_b32_e32 v0, 24, v4
	v_and_b32_e32 v4, 7, v1
	v_ffbh_u32_e32 v7, v4
	v_min_u32_e32 v7, 32, v7
	v_subrev_u32_e32 v9, 28, v7
	v_bfe_u32 v5, v1, 3, 4
	v_lshlrev_b32_e32 v1, v9, v1
	v_sub_u32_e32 v7, 29, v7
	v_and_b32_e32 v1, 7, v1
	v_cmp_eq_u32_e32 vcc, 0, v5
	v_cndmask_b32_e32 v5, v5, v7, vcc
	v_cndmask_b32_e32 v1, v4, v1, vcc
	v_mov_b32_e32 v4, 0x3b800000
	v_lshlrev_b32_e32 v1, 20, v1
	v_and_b32_e32 v0, 0x80000000, v0
	v_lshl_add_u32 v4, v5, 23, v4
	v_or3_b32 v0, v0, v4, v1
	v_trunc_f32_e32 v0, v0
	s_mov_b32 s26, 0x2f800000
	v_mul_f32_e64 v1, |v0|, s26
	v_floor_f32_e32 v1, v1
	s_mov_b32 s26, 0xcf800000
	v_fma_f32 v4, v1, s26, |v0|
	v_cvt_u32_f32_e32 v4, v4
	v_cvt_u32_f32_e32 v1, v1
	v_ashrrev_i32_e32 v5, 31, v0
	v_xor_b32_e32 v0, v4, v5
	v_xor_b32_e32 v1, v1, v5
	v_sub_co_u32_e32 v0, vcc, v0, v5
	v_subb_co_u32_e32 v1, vcc, v1, v5, vcc
.LBB62_2418:
	s_or_b64 exec, exec, s[24:25]
.LBB62_2419:
	s_mov_b64 s[24:25], -1
.LBB62_2420:
	s_mov_b64 s[26:27], 0
.LBB62_2421:
	s_and_b64 vcc, exec, s[26:27]
	s_cbranch_vccz .LBB62_2450
; %bb.2422:
	s_cmp_gt_i32 s13, 22
	s_cbranch_scc0 .LBB62_2432
; %bb.2423:
	s_cmp_lt_i32 s13, 24
	s_cbranch_scc1 .LBB62_2433
; %bb.2424:
	s_cmp_gt_i32 s13, 24
	s_cbranch_scc0 .LBB62_2434
; %bb.2425:
	global_load_ubyte v4, v[2:3], off
	s_movk_i32 s10, 0x7f
	s_mov_b64 s[24:25], 0
	s_waitcnt vmcnt(0)
	v_cmp_lt_i16_e32 vcc, s10, v4
	s_and_saveexec_b64 s[10:11], vcc
	s_xor_b64 s[10:11], exec, s[10:11]
; %bb.2426:
	s_movk_i32 s24, 0x80
	v_cmp_ne_u16_e32 vcc, s24, v4
	s_and_b64 s[24:25], vcc, exec
; %bb.2427:
	s_andn2_saveexec_b64 s[10:11], s[10:11]
; %bb.2428:
	v_cmp_ne_u16_e32 vcc, 0, v4
	s_andn2_b64 s[24:25], s[24:25], exec
	s_and_b64 s[26:27], vcc, exec
	s_or_b64 s[24:25], s[24:25], s[26:27]
; %bb.2429:
	s_or_b64 exec, exec, s[10:11]
	v_mov_b32_e32 v0, 0
	v_mov_b32_e32 v1, 0
	s_and_saveexec_b64 s[10:11], s[24:25]
	s_cbranch_execz .LBB62_2431
; %bb.2430:
	v_and_b32_e32 v1, 0xffff, v4
	v_lshlrev_b32_e32 v0, 24, v4
	v_and_b32_e32 v4, 3, v1
	v_ffbh_u32_e32 v7, v4
	v_min_u32_e32 v7, 32, v7
	v_subrev_u32_e32 v9, 29, v7
	v_bfe_u32 v5, v1, 2, 5
	v_lshlrev_b32_e32 v1, v9, v1
	v_sub_u32_e32 v7, 30, v7
	v_and_b32_e32 v1, 3, v1
	v_cmp_eq_u32_e32 vcc, 0, v5
	v_cndmask_b32_e32 v5, v5, v7, vcc
	v_cndmask_b32_e32 v1, v4, v1, vcc
	v_mov_b32_e32 v4, 0x37800000
	v_lshlrev_b32_e32 v1, 21, v1
	v_and_b32_e32 v0, 0x80000000, v0
	v_lshl_add_u32 v4, v5, 23, v4
	v_or3_b32 v0, v0, v4, v1
	v_trunc_f32_e32 v0, v0
	s_mov_b32 s24, 0x2f800000
	v_mul_f32_e64 v1, |v0|, s24
	v_floor_f32_e32 v1, v1
	s_mov_b32 s24, 0xcf800000
	v_fma_f32 v4, v1, s24, |v0|
	v_cvt_u32_f32_e32 v4, v4
	v_cvt_u32_f32_e32 v1, v1
	v_ashrrev_i32_e32 v5, 31, v0
	v_xor_b32_e32 v0, v4, v5
	v_xor_b32_e32 v1, v1, v5
	v_sub_co_u32_e32 v0, vcc, v0, v5
	v_subb_co_u32_e32 v1, vcc, v1, v5, vcc
.LBB62_2431:
	s_or_b64 exec, exec, s[10:11]
	s_mov_b64 s[10:11], 0
	s_branch .LBB62_2435
.LBB62_2432:
	s_mov_b64 s[10:11], -1
                                        ; implicit-def: $vgpr0_vgpr1
	s_branch .LBB62_2441
.LBB62_2433:
	s_mov_b64 s[10:11], -1
                                        ; implicit-def: $vgpr0_vgpr1
	s_branch .LBB62_2438
.LBB62_2434:
	s_mov_b64 s[10:11], -1
                                        ; implicit-def: $vgpr0_vgpr1
.LBB62_2435:
	s_and_b64 vcc, exec, s[10:11]
	s_cbranch_vccz .LBB62_2437
; %bb.2436:
	global_load_ubyte v0, v[2:3], off
	s_mov_b32 s10, 0x7f800000
	s_brev_b32 s11, 1
	s_mov_b32 s24, 0x2f800000
	s_mov_b32 s25, 0xcf800000
	s_waitcnt vmcnt(0)
	v_lshlrev_b32_e32 v0, 24, v0
	v_and_b32_e32 v1, 0x7f000000, v0
	v_ffbh_u32_e32 v4, v1
	v_min_u32_e32 v4, 32, v4
	v_sub_u32_e64 v4, v4, 4 clamp
	v_lshlrev_b32_e32 v7, v4, v1
	v_lshlrev_b32_e32 v4, 23, v4
	v_lshrrev_b32_e32 v7, 4, v7
	v_add_u32_e32 v5, 0x1000000, v1
	v_sub_u32_e32 v4, v7, v4
	v_ashrrev_i32_e32 v5, 8, v5
	v_add_u32_e32 v4, 0x3c000000, v4
	v_and_or_b32 v4, v5, s10, v4
	v_cmp_ne_u32_e32 vcc, 0, v1
	v_cndmask_b32_e32 v1, 0, v4, vcc
	v_and_or_b32 v0, v0, s11, v1
	v_trunc_f32_e32 v0, v0
	v_mul_f32_e64 v1, |v0|, s24
	v_floor_f32_e32 v1, v1
	v_fma_f32 v4, v1, s25, |v0|
	v_cvt_u32_f32_e32 v4, v4
	v_cvt_u32_f32_e32 v1, v1
	v_ashrrev_i32_e32 v5, 31, v0
	v_xor_b32_e32 v0, v4, v5
	v_xor_b32_e32 v1, v1, v5
	v_sub_co_u32_e32 v0, vcc, v0, v5
	v_subb_co_u32_e32 v1, vcc, v1, v5, vcc
.LBB62_2437:
	s_mov_b64 s[10:11], 0
.LBB62_2438:
	s_andn2_b64 vcc, exec, s[10:11]
	s_cbranch_vccnz .LBB62_2440
; %bb.2439:
	global_load_ubyte v0, v[2:3], off
	s_movk_i32 s10, 0x7f00
	s_brev_b32 s11, 16
	s_brev_b32 s24, 1
	s_mov_b32 s25, 0x2f800000
	s_mov_b32 s26, 0xcf800000
	s_waitcnt vmcnt(0)
	v_lshlrev_b16_e32 v1, 8, v0
	v_lshlrev_b32_e32 v0, 25, v0
	v_lshrrev_b32_e32 v4, 4, v0
	v_and_or_b32 v5, v1, s10, 0.5
	v_or_b32_e32 v4, 0x70000000, v4
	v_add_f32_e32 v5, -0.5, v5
	v_mul_f32_e32 v4, 0x7800000, v4
	v_cmp_gt_u32_e32 vcc, s11, v0
	v_bfe_i32 v1, v1, 0, 16
	v_cndmask_b32_e32 v0, v4, v5, vcc
	v_and_or_b32 v0, v1, s24, v0
	v_trunc_f32_e32 v0, v0
	v_mul_f32_e64 v1, |v0|, s25
	v_floor_f32_e32 v1, v1
	v_fma_f32 v4, v1, s26, |v0|
	v_cvt_u32_f32_e32 v4, v4
	v_cvt_u32_f32_e32 v1, v1
	v_ashrrev_i32_e32 v5, 31, v0
	v_xor_b32_e32 v0, v4, v5
	v_xor_b32_e32 v1, v1, v5
	v_sub_co_u32_e32 v0, vcc, v0, v5
	v_subb_co_u32_e32 v1, vcc, v1, v5, vcc
.LBB62_2440:
	s_mov_b64 s[10:11], 0
	s_mov_b64 s[24:25], -1
.LBB62_2441:
	s_andn2_b64 vcc, exec, s[10:11]
	s_mov_b64 s[10:11], 0
	s_cbranch_vccnz .LBB62_2450
; %bb.2442:
	s_cmp_gt_i32 s13, 14
	s_cbranch_scc0 .LBB62_2445
; %bb.2443:
	s_cmp_eq_u32 s13, 15
	s_cbranch_scc0 .LBB62_2446
; %bb.2444:
	global_load_ushort v0, v[2:3], off
	s_mov_b32 s0, 0x2f800000
	s_mov_b32 s1, 0xcf800000
	s_mov_b64 s[24:25], -1
	s_waitcnt vmcnt(0)
	v_lshlrev_b32_e32 v0, 16, v0
	v_trunc_f32_e32 v0, v0
	v_mul_f32_e64 v1, |v0|, s0
	v_floor_f32_e32 v1, v1
	v_fma_f32 v4, v1, s1, |v0|
	v_cvt_u32_f32_e32 v4, v4
	v_cvt_u32_f32_e32 v1, v1
	v_ashrrev_i32_e32 v5, 31, v0
	s_mov_b64 s[0:1], 0
	v_xor_b32_e32 v0, v4, v5
	v_xor_b32_e32 v1, v1, v5
	v_sub_co_u32_e32 v0, vcc, v0, v5
	v_subb_co_u32_e32 v1, vcc, v1, v5, vcc
	s_branch .LBB62_2447
.LBB62_2445:
	s_mov_b64 s[26:27], -1
                                        ; implicit-def: $vgpr0_vgpr1
	s_branch .LBB62_2448
.LBB62_2446:
	s_mov_b64 s[0:1], -1
                                        ; implicit-def: $vgpr0_vgpr1
.LBB62_2447:
	s_mov_b64 s[26:27], 0
.LBB62_2448:
	s_and_b64 vcc, exec, s[26:27]
	s_cbranch_vccz .LBB62_2450
; %bb.2449:
	s_cmp_lg_u32 s13, 11
	s_mov_b64 s[10:11], -1
	s_cselect_b64 s[0:1], -1, 0
.LBB62_2450:
	s_and_b64 vcc, exec, s[0:1]
	s_cbranch_vccnz .LBB62_2515
; %bb.2451:
	s_andn2_b64 vcc, exec, s[10:11]
	s_cbranch_vccnz .LBB62_2453
.LBB62_2452:
	global_load_ubyte v0, v[2:3], off
	s_mov_b32 s0, 0
	s_waitcnt vmcnt(1)
	v_mov_b32_e32 v1, s0
	s_mov_b64 s[24:25], -1
	s_waitcnt vmcnt(0)
	v_cmp_ne_u16_e32 vcc, 0, v0
	v_cndmask_b32_e64 v0, 0, 1, vcc
.LBB62_2453:
	s_mov_b64 s[0:1], 0
.LBB62_2454:
	s_and_b64 vcc, exec, s[0:1]
	s_cbranch_vccz .LBB62_2503
; %bb.2455:
	s_and_b32 s10, 0xffff, s28
	s_cmp_lt_i32 s10, 5
	s_cbranch_scc1 .LBB62_2460
; %bb.2456:
	s_cmp_lt_i32 s10, 8
	s_cbranch_scc1 .LBB62_2461
; %bb.2457:
	;; [unrolled: 3-line block ×3, first 2 shown]
	s_cmp_gt_i32 s10, 9
	s_cbranch_scc0 .LBB62_2463
; %bb.2459:
	global_load_dwordx2 v[0:1], v[2:3], off
	s_movk_i32 s0, 0xffe0
	s_waitcnt vmcnt(0)
	v_trunc_f64_e32 v[0:1], v[0:1]
	v_ldexp_f64 v[4:5], v[0:1], s0
	s_mov_b32 s0, 0
	s_mov_b32 s1, 0xc1f00000
	v_floor_f64_e32 v[4:5], v[4:5]
	v_fma_f64 v[9:10], v[4:5], s[0:1], v[0:1]
	v_cvt_i32_f64_e32 v1, v[4:5]
	s_mov_b64 s[0:1], 0
	v_cvt_u32_f64_e32 v0, v[9:10]
	s_branch .LBB62_2464
.LBB62_2460:
	s_mov_b64 s[0:1], -1
                                        ; implicit-def: $vgpr0_vgpr1
	s_branch .LBB62_2482
.LBB62_2461:
	s_mov_b64 s[0:1], -1
                                        ; implicit-def: $vgpr0_vgpr1
	s_branch .LBB62_2470
.LBB62_2462:
	s_mov_b64 s[0:1], -1
                                        ; implicit-def: $vgpr0_vgpr1
	s_branch .LBB62_2467
.LBB62_2463:
	s_mov_b64 s[0:1], -1
                                        ; implicit-def: $vgpr0_vgpr1
.LBB62_2464:
	s_andn2_b64 vcc, exec, s[0:1]
	s_cbranch_vccnz .LBB62_2466
; %bb.2465:
	global_load_dword v0, v[2:3], off
	s_mov_b32 s0, 0x2f800000
	s_mov_b32 s1, 0xcf800000
	s_waitcnt vmcnt(0)
	v_trunc_f32_e32 v0, v0
	v_mul_f32_e64 v1, |v0|, s0
	v_floor_f32_e32 v1, v1
	v_cvt_u32_f32_e32 v4, v1
	v_fma_f32 v1, v1, s1, |v0|
	v_cvt_u32_f32_e32 v1, v1
	v_ashrrev_i32_e32 v5, 31, v0
	v_xor_b32_e32 v4, v4, v5
	v_xor_b32_e32 v0, v1, v5
	v_sub_co_u32_e32 v0, vcc, v0, v5
	v_subb_co_u32_e32 v1, vcc, v4, v5, vcc
.LBB62_2466:
	s_mov_b64 s[0:1], 0
.LBB62_2467:
	s_andn2_b64 vcc, exec, s[0:1]
	s_cbranch_vccnz .LBB62_2469
; %bb.2468:
	global_load_dword v0, v[2:3], off
	s_waitcnt vmcnt(0)
	v_cvt_f32_f16_e32 v0, v0
	v_cvt_i32_f32_e32 v0, v0
	v_ashrrev_i32_e32 v1, 31, v0
.LBB62_2469:
	s_mov_b64 s[0:1], 0
.LBB62_2470:
	s_andn2_b64 vcc, exec, s[0:1]
	s_cbranch_vccnz .LBB62_2481
; %bb.2471:
	s_cmp_lt_i32 s10, 6
	s_cbranch_scc1 .LBB62_2474
; %bb.2472:
	s_cmp_gt_i32 s10, 6
	s_cbranch_scc0 .LBB62_2475
; %bb.2473:
	global_load_dwordx2 v[0:1], v[2:3], off
	s_movk_i32 s0, 0xffe0
	s_waitcnt vmcnt(0)
	v_trunc_f64_e32 v[0:1], v[0:1]
	v_ldexp_f64 v[4:5], v[0:1], s0
	s_mov_b32 s0, 0
	s_mov_b32 s1, 0xc1f00000
	v_floor_f64_e32 v[4:5], v[4:5]
	v_fma_f64 v[9:10], v[4:5], s[0:1], v[0:1]
	v_cvt_i32_f64_e32 v1, v[4:5]
	s_mov_b64 s[0:1], 0
	v_cvt_u32_f64_e32 v0, v[9:10]
	s_branch .LBB62_2476
.LBB62_2474:
	s_mov_b64 s[0:1], -1
                                        ; implicit-def: $vgpr0_vgpr1
	s_branch .LBB62_2479
.LBB62_2475:
	s_mov_b64 s[0:1], -1
                                        ; implicit-def: $vgpr0_vgpr1
.LBB62_2476:
	s_andn2_b64 vcc, exec, s[0:1]
	s_cbranch_vccnz .LBB62_2478
; %bb.2477:
	global_load_dword v0, v[2:3], off
	s_mov_b32 s0, 0x2f800000
	s_mov_b32 s1, 0xcf800000
	s_waitcnt vmcnt(0)
	v_trunc_f32_e32 v0, v0
	v_mul_f32_e64 v1, |v0|, s0
	v_floor_f32_e32 v1, v1
	v_cvt_u32_f32_e32 v4, v1
	v_fma_f32 v1, v1, s1, |v0|
	v_cvt_u32_f32_e32 v1, v1
	v_ashrrev_i32_e32 v5, 31, v0
	v_xor_b32_e32 v4, v4, v5
	v_xor_b32_e32 v0, v1, v5
	v_sub_co_u32_e32 v0, vcc, v0, v5
	v_subb_co_u32_e32 v1, vcc, v4, v5, vcc
.LBB62_2478:
	s_mov_b64 s[0:1], 0
.LBB62_2479:
	s_andn2_b64 vcc, exec, s[0:1]
	s_cbranch_vccnz .LBB62_2481
; %bb.2480:
	global_load_ushort v0, v[2:3], off
	s_waitcnt vmcnt(0)
	v_cvt_f32_f16_e32 v0, v0
	v_cvt_i32_f32_e32 v0, v0
	v_ashrrev_i32_e32 v1, 31, v0
.LBB62_2481:
	s_mov_b64 s[0:1], 0
.LBB62_2482:
	s_andn2_b64 vcc, exec, s[0:1]
	s_cbranch_vccnz .LBB62_2502
; %bb.2483:
	s_cmp_lt_i32 s10, 2
	s_cbranch_scc1 .LBB62_2487
; %bb.2484:
	s_cmp_lt_i32 s10, 3
	s_cbranch_scc1 .LBB62_2488
; %bb.2485:
	s_cmp_gt_i32 s10, 3
	s_cbranch_scc0 .LBB62_2489
; %bb.2486:
	global_load_dwordx2 v[0:1], v[2:3], off
	s_mov_b64 s[0:1], 0
	s_branch .LBB62_2490
.LBB62_2487:
	s_mov_b64 s[0:1], -1
                                        ; implicit-def: $vgpr0_vgpr1
	s_branch .LBB62_2496
.LBB62_2488:
	s_mov_b64 s[0:1], -1
                                        ; implicit-def: $vgpr0_vgpr1
	s_branch .LBB62_2493
.LBB62_2489:
	s_mov_b64 s[0:1], -1
                                        ; implicit-def: $vgpr0_vgpr1
.LBB62_2490:
	s_andn2_b64 vcc, exec, s[0:1]
	s_cbranch_vccnz .LBB62_2492
; %bb.2491:
	global_load_dword v0, v[2:3], off
	s_waitcnt vmcnt(0)
	v_ashrrev_i32_e32 v1, 31, v0
.LBB62_2492:
	s_mov_b64 s[0:1], 0
.LBB62_2493:
	s_andn2_b64 vcc, exec, s[0:1]
	s_cbranch_vccnz .LBB62_2495
; %bb.2494:
	global_load_ushort v0, v[2:3], off
	s_waitcnt vmcnt(0)
	v_bfe_i32 v0, v0, 0, 16
	v_ashrrev_i32_e32 v1, 31, v0
.LBB62_2495:
	s_mov_b64 s[0:1], 0
.LBB62_2496:
	s_andn2_b64 vcc, exec, s[0:1]
	s_cbranch_vccnz .LBB62_2502
; %bb.2497:
	s_cmp_gt_i32 s10, 0
	s_cbranch_scc0 .LBB62_2499
; %bb.2498:
	global_load_sbyte v0, v[2:3], off
	s_mov_b64 s[0:1], 0
	s_waitcnt vmcnt(0)
	v_bfe_i32 v0, v0, 0, 16
	v_ashrrev_i32_e32 v1, 31, v0
	s_branch .LBB62_2500
.LBB62_2499:
	s_mov_b64 s[0:1], -1
                                        ; implicit-def: $vgpr0_vgpr1
.LBB62_2500:
	s_andn2_b64 vcc, exec, s[0:1]
	s_cbranch_vccnz .LBB62_2502
; %bb.2501:
	global_load_ubyte v0, v[2:3], off
	s_mov_b32 s0, 0
	s_waitcnt vmcnt(1)
	v_mov_b32_e32 v1, s0
	s_waitcnt vmcnt(0)
	v_and_b32_e32 v0, 0xffff, v0
.LBB62_2502:
	s_mov_b64 s[24:25], -1
.LBB62_2503:
	s_andn2_b64 vcc, exec, s[24:25]
	s_cbranch_vccnz .LBB62_2634
; %bb.2504:
	v_add_u32_e32 v2, s14, v8
	v_ashrrev_i32_e32 v3, 31, v2
	v_mov_b32_e32 v4, s3
	v_add_co_u32_e32 v2, vcc, s2, v2
	s_cmp_lt_i32 s29, 11
	v_addc_co_u32_e32 v3, vcc, v4, v3, vcc
	s_cbranch_scc1 .LBB62_2511
; %bb.2505:
	s_and_b32 s13, 0xffff, s29
	s_cmp_gt_i32 s13, 25
	s_mov_b64 s[2:3], 0
	s_cbranch_scc0 .LBB62_2512
; %bb.2506:
	s_cmp_gt_i32 s13, 28
	s_cbranch_scc0 .LBB62_2513
; %bb.2507:
	s_cmp_gt_i32 s13, 43
	;; [unrolled: 3-line block ×3, first 2 shown]
	s_cbranch_scc0 .LBB62_2516
; %bb.2509:
	s_cmp_eq_u32 s13, 46
	s_mov_b64 s[24:25], 0
	s_cbranch_scc0 .LBB62_2517
; %bb.2510:
	global_load_dword v4, v[2:3], off
	s_mov_b32 s0, 0x2f800000
	s_mov_b32 s1, 0xcf800000
	s_mov_b64 s[10:11], -1
	s_waitcnt vmcnt(0)
	v_lshlrev_b32_e32 v4, 16, v4
	v_trunc_f32_e32 v4, v4
	v_mul_f32_e64 v5, |v4|, s0
	v_floor_f32_e32 v5, v5
	v_fma_f32 v7, v5, s1, |v4|
	v_cvt_u32_f32_e32 v7, v7
	v_cvt_u32_f32_e32 v5, v5
	v_ashrrev_i32_e32 v8, 31, v4
	s_mov_b64 s[0:1], 0
	v_xor_b32_e32 v4, v7, v8
	v_xor_b32_e32 v5, v5, v8
	v_sub_co_u32_e32 v4, vcc, v4, v8
	v_subb_co_u32_e32 v5, vcc, v5, v8, vcc
	s_branch .LBB62_2518
.LBB62_2511:
	s_mov_b64 s[0:1], -1
	s_mov_b64 s[10:11], 0
                                        ; implicit-def: $vgpr4_vgpr5
	s_branch .LBB62_2580
.LBB62_2512:
	s_mov_b64 s[24:25], -1
	s_mov_b64 s[10:11], 0
	s_mov_b64 s[0:1], 0
                                        ; implicit-def: $vgpr4_vgpr5
	s_branch .LBB62_2547
.LBB62_2513:
	s_mov_b64 s[24:25], -1
	s_mov_b64 s[10:11], 0
	s_mov_b64 s[0:1], 0
                                        ; implicit-def: $vgpr4_vgpr5
	s_branch .LBB62_2528
.LBB62_2514:
	s_mov_b64 s[24:25], -1
	s_mov_b64 s[10:11], 0
	s_mov_b64 s[0:1], 0
                                        ; implicit-def: $vgpr4_vgpr5
	s_branch .LBB62_2523
.LBB62_2515:
	s_trap 2
	s_or_b64 s[18:19], s[18:19], exec
	s_cbranch_execz .LBB62_2452
	s_branch .LBB62_2453
.LBB62_2516:
	s_mov_b64 s[24:25], -1
	s_mov_b64 s[10:11], 0
	s_mov_b64 s[0:1], 0
                                        ; implicit-def: $vgpr4_vgpr5
	s_branch .LBB62_2518
.LBB62_2517:
	s_mov_b64 s[0:1], -1
                                        ; implicit-def: $vgpr4_vgpr5
	s_mov_b64 s[10:11], 0
.LBB62_2518:
	s_and_b64 vcc, exec, s[24:25]
	s_cbranch_vccz .LBB62_2522
; %bb.2519:
	s_cmp_eq_u32 s13, 44
	s_cbranch_scc0 .LBB62_2521
; %bb.2520:
	global_load_ubyte v4, v[2:3], off
	s_mov_b32 s0, 0x2f800000
	s_mov_b32 s1, 0xcf800000
	s_mov_b64 s[10:11], -1
	s_waitcnt vmcnt(0)
	v_lshlrev_b32_e32 v5, 23, v4
	v_trunc_f32_e32 v5, v5
	v_mul_f32_e64 v7, |v5|, s0
	v_floor_f32_e32 v7, v7
	v_fma_f32 v8, v7, s1, |v5|
	v_cvt_u32_f32_e32 v8, v8
	v_cvt_u32_f32_e32 v7, v7
	v_ashrrev_i32_e32 v5, 31, v5
	s_mov_b64 s[0:1], 0
	v_xor_b32_e32 v8, v8, v5
	v_xor_b32_e32 v7, v7, v5
	v_sub_co_u32_e32 v8, vcc, v8, v5
	v_subb_co_u32_e32 v5, vcc, v7, v5, vcc
	v_cmp_ne_u32_e32 vcc, 0, v4
	v_cndmask_b32_e32 v5, 0, v5, vcc
	v_cndmask_b32_e32 v4, 0, v8, vcc
	s_branch .LBB62_2522
.LBB62_2521:
	s_mov_b64 s[0:1], -1
                                        ; implicit-def: $vgpr4_vgpr5
.LBB62_2522:
	s_mov_b64 s[24:25], 0
.LBB62_2523:
	s_and_b64 vcc, exec, s[24:25]
	s_cbranch_vccz .LBB62_2527
; %bb.2524:
	s_cmp_eq_u32 s13, 29
	s_cbranch_scc0 .LBB62_2526
; %bb.2525:
	global_load_dwordx2 v[4:5], v[2:3], off
	s_mov_b64 s[0:1], 0
	s_mov_b64 s[10:11], -1
	s_branch .LBB62_2527
.LBB62_2526:
	s_mov_b64 s[0:1], -1
                                        ; implicit-def: $vgpr4_vgpr5
.LBB62_2527:
	s_mov_b64 s[24:25], 0
.LBB62_2528:
	s_and_b64 vcc, exec, s[24:25]
	s_cbranch_vccz .LBB62_2546
; %bb.2529:
	s_cmp_lt_i32 s13, 27
	s_cbranch_scc1 .LBB62_2532
; %bb.2530:
	s_cmp_gt_i32 s13, 27
	s_cbranch_scc0 .LBB62_2533
; %bb.2531:
	global_load_dword v4, v[2:3], off
	s_waitcnt vmcnt(1)
	v_mov_b32_e32 v5, 0
	s_mov_b64 s[10:11], 0
	s_branch .LBB62_2534
.LBB62_2532:
	s_mov_b64 s[10:11], -1
                                        ; implicit-def: $vgpr4_vgpr5
	s_branch .LBB62_2537
.LBB62_2533:
	s_mov_b64 s[10:11], -1
                                        ; implicit-def: $vgpr4_vgpr5
.LBB62_2534:
	s_andn2_b64 vcc, exec, s[10:11]
	s_cbranch_vccnz .LBB62_2536
; %bb.2535:
	global_load_ushort v4, v[2:3], off
	s_mov_b32 s10, 0
	s_waitcnt vmcnt(1)
	v_mov_b32_e32 v5, s10
	s_waitcnt vmcnt(0)
	v_and_b32_e32 v4, 0xffff, v4
.LBB62_2536:
	s_mov_b64 s[10:11], 0
.LBB62_2537:
	s_andn2_b64 vcc, exec, s[10:11]
	s_cbranch_vccnz .LBB62_2545
; %bb.2538:
	global_load_ubyte v7, v[2:3], off
	s_movk_i32 s10, 0x7f
	s_mov_b64 s[24:25], 0
	s_waitcnt vmcnt(0)
	v_cmp_lt_i16_e32 vcc, s10, v7
	s_and_saveexec_b64 s[10:11], vcc
	s_xor_b64 s[10:11], exec, s[10:11]
; %bb.2539:
	s_movk_i32 s14, 0x80
	v_cmp_ne_u16_e32 vcc, s14, v7
	s_and_b64 s[24:25], vcc, exec
; %bb.2540:
	s_andn2_saveexec_b64 s[10:11], s[10:11]
; %bb.2541:
	v_cmp_ne_u16_e32 vcc, 0, v7
	s_andn2_b64 s[24:25], s[24:25], exec
	s_and_b64 s[26:27], vcc, exec
	s_or_b64 s[24:25], s[24:25], s[26:27]
; %bb.2542:
	s_or_b64 exec, exec, s[10:11]
	v_mov_b32_e32 v4, 0
	v_mov_b32_e32 v5, 0
	s_and_saveexec_b64 s[10:11], s[24:25]
	s_cbranch_execz .LBB62_2544
; %bb.2543:
	v_and_b32_e32 v5, 0xffff, v7
	v_lshlrev_b32_e32 v4, 24, v7
	v_and_b32_e32 v7, 7, v5
	v_ffbh_u32_e32 v9, v7
	v_min_u32_e32 v9, 32, v9
	v_subrev_u32_e32 v10, 28, v9
	v_bfe_u32 v8, v5, 3, 4
	v_lshlrev_b32_e32 v5, v10, v5
	v_sub_u32_e32 v9, 29, v9
	v_and_b32_e32 v5, 7, v5
	v_cmp_eq_u32_e32 vcc, 0, v8
	v_cndmask_b32_e32 v8, v8, v9, vcc
	v_cndmask_b32_e32 v5, v7, v5, vcc
	v_mov_b32_e32 v7, 0x3b800000
	v_lshlrev_b32_e32 v5, 20, v5
	v_and_b32_e32 v4, 0x80000000, v4
	v_lshl_add_u32 v7, v8, 23, v7
	v_or3_b32 v4, v4, v7, v5
	v_trunc_f32_e32 v4, v4
	s_mov_b32 s14, 0x2f800000
	v_mul_f32_e64 v5, |v4|, s14
	v_floor_f32_e32 v5, v5
	s_mov_b32 s14, 0xcf800000
	v_fma_f32 v7, v5, s14, |v4|
	v_cvt_u32_f32_e32 v7, v7
	v_cvt_u32_f32_e32 v5, v5
	v_ashrrev_i32_e32 v8, 31, v4
	v_xor_b32_e32 v4, v7, v8
	v_xor_b32_e32 v5, v5, v8
	v_sub_co_u32_e32 v4, vcc, v4, v8
	v_subb_co_u32_e32 v5, vcc, v5, v8, vcc
.LBB62_2544:
	s_or_b64 exec, exec, s[10:11]
.LBB62_2545:
	s_mov_b64 s[10:11], -1
.LBB62_2546:
	s_mov_b64 s[24:25], 0
.LBB62_2547:
	s_and_b64 vcc, exec, s[24:25]
	s_cbranch_vccz .LBB62_2576
; %bb.2548:
	s_cmp_gt_i32 s13, 22
	s_cbranch_scc0 .LBB62_2558
; %bb.2549:
	s_cmp_lt_i32 s13, 24
	s_cbranch_scc1 .LBB62_2559
; %bb.2550:
	s_cmp_gt_i32 s13, 24
	s_cbranch_scc0 .LBB62_2560
; %bb.2551:
	global_load_ubyte v7, v[2:3], off
	s_movk_i32 s2, 0x7f
	s_mov_b64 s[10:11], 0
	s_waitcnt vmcnt(0)
	v_cmp_lt_i16_e32 vcc, s2, v7
	s_and_saveexec_b64 s[2:3], vcc
	s_xor_b64 s[2:3], exec, s[2:3]
; %bb.2552:
	s_movk_i32 s10, 0x80
	v_cmp_ne_u16_e32 vcc, s10, v7
	s_and_b64 s[10:11], vcc, exec
; %bb.2553:
	s_andn2_saveexec_b64 s[2:3], s[2:3]
; %bb.2554:
	v_cmp_ne_u16_e32 vcc, 0, v7
	s_andn2_b64 s[10:11], s[10:11], exec
	s_and_b64 s[24:25], vcc, exec
	s_or_b64 s[10:11], s[10:11], s[24:25]
; %bb.2555:
	s_or_b64 exec, exec, s[2:3]
	v_mov_b32_e32 v4, 0
	v_mov_b32_e32 v5, 0
	s_and_saveexec_b64 s[2:3], s[10:11]
	s_cbranch_execz .LBB62_2557
; %bb.2556:
	v_and_b32_e32 v5, 0xffff, v7
	v_lshlrev_b32_e32 v4, 24, v7
	v_and_b32_e32 v7, 3, v5
	v_ffbh_u32_e32 v9, v7
	v_min_u32_e32 v9, 32, v9
	v_subrev_u32_e32 v10, 29, v9
	v_bfe_u32 v8, v5, 2, 5
	v_lshlrev_b32_e32 v5, v10, v5
	v_sub_u32_e32 v9, 30, v9
	v_and_b32_e32 v5, 3, v5
	v_cmp_eq_u32_e32 vcc, 0, v8
	v_cndmask_b32_e32 v8, v8, v9, vcc
	v_cndmask_b32_e32 v5, v7, v5, vcc
	v_mov_b32_e32 v7, 0x37800000
	v_lshlrev_b32_e32 v5, 21, v5
	v_and_b32_e32 v4, 0x80000000, v4
	v_lshl_add_u32 v7, v8, 23, v7
	v_or3_b32 v4, v4, v7, v5
	v_trunc_f32_e32 v4, v4
	s_mov_b32 s10, 0x2f800000
	v_mul_f32_e64 v5, |v4|, s10
	v_floor_f32_e32 v5, v5
	s_mov_b32 s10, 0xcf800000
	v_fma_f32 v7, v5, s10, |v4|
	v_cvt_u32_f32_e32 v7, v7
	v_cvt_u32_f32_e32 v5, v5
	v_ashrrev_i32_e32 v8, 31, v4
	v_xor_b32_e32 v4, v7, v8
	v_xor_b32_e32 v5, v5, v8
	v_sub_co_u32_e32 v4, vcc, v4, v8
	v_subb_co_u32_e32 v5, vcc, v5, v8, vcc
.LBB62_2557:
	s_or_b64 exec, exec, s[2:3]
	s_mov_b64 s[2:3], 0
	s_branch .LBB62_2561
.LBB62_2558:
	s_mov_b64 s[2:3], -1
                                        ; implicit-def: $vgpr4_vgpr5
	s_branch .LBB62_2567
.LBB62_2559:
	s_mov_b64 s[2:3], -1
                                        ; implicit-def: $vgpr4_vgpr5
	s_branch .LBB62_2564
.LBB62_2560:
	s_mov_b64 s[2:3], -1
                                        ; implicit-def: $vgpr4_vgpr5
.LBB62_2561:
	s_and_b64 vcc, exec, s[2:3]
	s_cbranch_vccz .LBB62_2563
; %bb.2562:
	global_load_ubyte v4, v[2:3], off
	s_mov_b32 s2, 0x7f800000
	s_brev_b32 s3, 1
	s_mov_b32 s10, 0x2f800000
	s_mov_b32 s11, 0xcf800000
	s_waitcnt vmcnt(0)
	v_lshlrev_b32_e32 v4, 24, v4
	v_and_b32_e32 v5, 0x7f000000, v4
	v_ffbh_u32_e32 v7, v5
	v_min_u32_e32 v7, 32, v7
	v_sub_u32_e64 v7, v7, 4 clamp
	v_lshlrev_b32_e32 v9, v7, v5
	v_lshlrev_b32_e32 v7, 23, v7
	v_lshrrev_b32_e32 v9, 4, v9
	v_add_u32_e32 v8, 0x1000000, v5
	v_sub_u32_e32 v7, v9, v7
	v_ashrrev_i32_e32 v8, 8, v8
	v_add_u32_e32 v7, 0x3c000000, v7
	v_and_or_b32 v7, v8, s2, v7
	v_cmp_ne_u32_e32 vcc, 0, v5
	v_cndmask_b32_e32 v5, 0, v7, vcc
	v_and_or_b32 v4, v4, s3, v5
	v_trunc_f32_e32 v4, v4
	v_mul_f32_e64 v5, |v4|, s10
	v_floor_f32_e32 v5, v5
	v_fma_f32 v7, v5, s11, |v4|
	v_cvt_u32_f32_e32 v7, v7
	v_cvt_u32_f32_e32 v5, v5
	v_ashrrev_i32_e32 v8, 31, v4
	v_xor_b32_e32 v4, v7, v8
	v_xor_b32_e32 v5, v5, v8
	v_sub_co_u32_e32 v4, vcc, v4, v8
	v_subb_co_u32_e32 v5, vcc, v5, v8, vcc
.LBB62_2563:
	s_mov_b64 s[2:3], 0
.LBB62_2564:
	s_andn2_b64 vcc, exec, s[2:3]
	s_cbranch_vccnz .LBB62_2566
; %bb.2565:
	global_load_ubyte v4, v[2:3], off
	s_movk_i32 s2, 0x7f00
	s_brev_b32 s3, 16
	s_brev_b32 s10, 1
	s_mov_b32 s11, 0x2f800000
	s_mov_b32 s14, 0xcf800000
	s_waitcnt vmcnt(0)
	v_lshlrev_b16_e32 v5, 8, v4
	v_lshlrev_b32_e32 v4, 25, v4
	v_lshrrev_b32_e32 v7, 4, v4
	v_and_or_b32 v8, v5, s2, 0.5
	v_or_b32_e32 v7, 0x70000000, v7
	v_add_f32_e32 v8, -0.5, v8
	v_mul_f32_e32 v7, 0x7800000, v7
	v_cmp_gt_u32_e32 vcc, s3, v4
	v_bfe_i32 v5, v5, 0, 16
	v_cndmask_b32_e32 v4, v7, v8, vcc
	v_and_or_b32 v4, v5, s10, v4
	v_trunc_f32_e32 v4, v4
	v_mul_f32_e64 v5, |v4|, s11
	v_floor_f32_e32 v5, v5
	v_fma_f32 v7, v5, s14, |v4|
	v_cvt_u32_f32_e32 v7, v7
	v_cvt_u32_f32_e32 v5, v5
	v_ashrrev_i32_e32 v8, 31, v4
	v_xor_b32_e32 v4, v7, v8
	v_xor_b32_e32 v5, v5, v8
	v_sub_co_u32_e32 v4, vcc, v4, v8
	v_subb_co_u32_e32 v5, vcc, v5, v8, vcc
.LBB62_2566:
	s_mov_b64 s[2:3], 0
	s_mov_b64 s[10:11], -1
.LBB62_2567:
	s_andn2_b64 vcc, exec, s[2:3]
	s_mov_b64 s[2:3], 0
	s_cbranch_vccnz .LBB62_2576
; %bb.2568:
	s_cmp_gt_i32 s13, 14
	s_cbranch_scc0 .LBB62_2571
; %bb.2569:
	s_cmp_eq_u32 s13, 15
	s_cbranch_scc0 .LBB62_2572
; %bb.2570:
	global_load_ushort v4, v[2:3], off
	s_mov_b32 s0, 0x2f800000
	s_mov_b32 s1, 0xcf800000
	s_mov_b64 s[10:11], -1
	s_waitcnt vmcnt(0)
	v_lshlrev_b32_e32 v4, 16, v4
	v_trunc_f32_e32 v4, v4
	v_mul_f32_e64 v5, |v4|, s0
	v_floor_f32_e32 v5, v5
	v_fma_f32 v7, v5, s1, |v4|
	v_cvt_u32_f32_e32 v7, v7
	v_cvt_u32_f32_e32 v5, v5
	v_ashrrev_i32_e32 v8, 31, v4
	s_mov_b64 s[0:1], 0
	v_xor_b32_e32 v4, v7, v8
	v_xor_b32_e32 v5, v5, v8
	v_sub_co_u32_e32 v4, vcc, v4, v8
	v_subb_co_u32_e32 v5, vcc, v5, v8, vcc
	s_branch .LBB62_2573
.LBB62_2571:
	s_mov_b64 s[24:25], -1
                                        ; implicit-def: $vgpr4_vgpr5
	s_branch .LBB62_2574
.LBB62_2572:
	s_mov_b64 s[0:1], -1
                                        ; implicit-def: $vgpr4_vgpr5
.LBB62_2573:
	s_mov_b64 s[24:25], 0
.LBB62_2574:
	s_and_b64 vcc, exec, s[24:25]
	s_cbranch_vccz .LBB62_2576
; %bb.2575:
	s_cmp_lg_u32 s13, 11
	s_mov_b64 s[2:3], -1
	s_cselect_b64 s[0:1], -1, 0
.LBB62_2576:
	s_and_b64 vcc, exec, s[0:1]
	s_cbranch_vccnz .LBB62_3128
; %bb.2577:
	s_andn2_b64 vcc, exec, s[2:3]
	s_cbranch_vccnz .LBB62_2579
.LBB62_2578:
	global_load_ubyte v4, v[2:3], off
	s_mov_b32 s0, 0
	s_waitcnt vmcnt(1)
	v_mov_b32_e32 v5, s0
	s_mov_b64 s[10:11], -1
	s_waitcnt vmcnt(0)
	v_cmp_ne_u16_e32 vcc, 0, v4
	v_cndmask_b32_e64 v4, 0, 1, vcc
.LBB62_2579:
	s_mov_b64 s[0:1], 0
.LBB62_2580:
	s_and_b64 vcc, exec, s[0:1]
	s_cbranch_vccz .LBB62_2629
; %bb.2581:
	s_and_b32 s2, 0xffff, s29
	s_cmp_lt_i32 s2, 5
	s_cbranch_scc1 .LBB62_2586
; %bb.2582:
	s_cmp_lt_i32 s2, 8
	s_cbranch_scc1 .LBB62_2587
; %bb.2583:
	;; [unrolled: 3-line block ×3, first 2 shown]
	s_cmp_gt_i32 s2, 9
	s_cbranch_scc0 .LBB62_2589
; %bb.2585:
	global_load_dwordx2 v[4:5], v[2:3], off
	s_movk_i32 s0, 0xffe0
	s_waitcnt vmcnt(0)
	v_trunc_f64_e32 v[4:5], v[4:5]
	v_ldexp_f64 v[7:8], v[4:5], s0
	s_mov_b32 s0, 0
	s_mov_b32 s1, 0xc1f00000
	v_floor_f64_e32 v[7:8], v[7:8]
	v_fma_f64 v[9:10], v[7:8], s[0:1], v[4:5]
	v_cvt_i32_f64_e32 v5, v[7:8]
	s_mov_b64 s[0:1], 0
	v_cvt_u32_f64_e32 v4, v[9:10]
	s_branch .LBB62_2590
.LBB62_2586:
	s_mov_b64 s[0:1], -1
                                        ; implicit-def: $vgpr4_vgpr5
	s_branch .LBB62_2608
.LBB62_2587:
	s_mov_b64 s[0:1], -1
                                        ; implicit-def: $vgpr4_vgpr5
	s_branch .LBB62_2596
.LBB62_2588:
	s_mov_b64 s[0:1], -1
                                        ; implicit-def: $vgpr4_vgpr5
	s_branch .LBB62_2593
.LBB62_2589:
	s_mov_b64 s[0:1], -1
                                        ; implicit-def: $vgpr4_vgpr5
.LBB62_2590:
	s_andn2_b64 vcc, exec, s[0:1]
	s_cbranch_vccnz .LBB62_2592
; %bb.2591:
	global_load_dword v4, v[2:3], off
	s_mov_b32 s0, 0x2f800000
	s_mov_b32 s1, 0xcf800000
	s_waitcnt vmcnt(0)
	v_trunc_f32_e32 v4, v4
	v_mul_f32_e64 v5, |v4|, s0
	v_floor_f32_e32 v5, v5
	v_cvt_u32_f32_e32 v7, v5
	v_fma_f32 v5, v5, s1, |v4|
	v_cvt_u32_f32_e32 v5, v5
	v_ashrrev_i32_e32 v8, 31, v4
	v_xor_b32_e32 v7, v7, v8
	v_xor_b32_e32 v4, v5, v8
	v_sub_co_u32_e32 v4, vcc, v4, v8
	v_subb_co_u32_e32 v5, vcc, v7, v8, vcc
.LBB62_2592:
	s_mov_b64 s[0:1], 0
.LBB62_2593:
	s_andn2_b64 vcc, exec, s[0:1]
	s_cbranch_vccnz .LBB62_2595
; %bb.2594:
	global_load_dword v4, v[2:3], off
	s_waitcnt vmcnt(0)
	v_cvt_f32_f16_e32 v4, v4
	v_cvt_i32_f32_e32 v4, v4
	v_ashrrev_i32_e32 v5, 31, v4
.LBB62_2595:
	s_mov_b64 s[0:1], 0
.LBB62_2596:
	s_andn2_b64 vcc, exec, s[0:1]
	s_cbranch_vccnz .LBB62_2607
; %bb.2597:
	s_cmp_lt_i32 s2, 6
	s_cbranch_scc1 .LBB62_2600
; %bb.2598:
	s_cmp_gt_i32 s2, 6
	s_cbranch_scc0 .LBB62_2601
; %bb.2599:
	global_load_dwordx2 v[4:5], v[2:3], off
	s_movk_i32 s0, 0xffe0
	s_waitcnt vmcnt(0)
	v_trunc_f64_e32 v[4:5], v[4:5]
	v_ldexp_f64 v[7:8], v[4:5], s0
	s_mov_b32 s0, 0
	s_mov_b32 s1, 0xc1f00000
	v_floor_f64_e32 v[7:8], v[7:8]
	v_fma_f64 v[9:10], v[7:8], s[0:1], v[4:5]
	v_cvt_i32_f64_e32 v5, v[7:8]
	s_mov_b64 s[0:1], 0
	v_cvt_u32_f64_e32 v4, v[9:10]
	s_branch .LBB62_2602
.LBB62_2600:
	s_mov_b64 s[0:1], -1
                                        ; implicit-def: $vgpr4_vgpr5
	s_branch .LBB62_2605
.LBB62_2601:
	s_mov_b64 s[0:1], -1
                                        ; implicit-def: $vgpr4_vgpr5
.LBB62_2602:
	s_andn2_b64 vcc, exec, s[0:1]
	s_cbranch_vccnz .LBB62_2604
; %bb.2603:
	global_load_dword v4, v[2:3], off
	s_mov_b32 s0, 0x2f800000
	s_mov_b32 s1, 0xcf800000
	s_waitcnt vmcnt(0)
	v_trunc_f32_e32 v4, v4
	v_mul_f32_e64 v5, |v4|, s0
	v_floor_f32_e32 v5, v5
	v_cvt_u32_f32_e32 v7, v5
	v_fma_f32 v5, v5, s1, |v4|
	v_cvt_u32_f32_e32 v5, v5
	v_ashrrev_i32_e32 v8, 31, v4
	v_xor_b32_e32 v7, v7, v8
	v_xor_b32_e32 v4, v5, v8
	v_sub_co_u32_e32 v4, vcc, v4, v8
	v_subb_co_u32_e32 v5, vcc, v7, v8, vcc
.LBB62_2604:
	s_mov_b64 s[0:1], 0
.LBB62_2605:
	s_andn2_b64 vcc, exec, s[0:1]
	s_cbranch_vccnz .LBB62_2607
; %bb.2606:
	global_load_ushort v4, v[2:3], off
	s_waitcnt vmcnt(0)
	v_cvt_f32_f16_e32 v4, v4
	v_cvt_i32_f32_e32 v4, v4
	v_ashrrev_i32_e32 v5, 31, v4
.LBB62_2607:
	s_mov_b64 s[0:1], 0
.LBB62_2608:
	s_andn2_b64 vcc, exec, s[0:1]
	s_cbranch_vccnz .LBB62_2628
; %bb.2609:
	s_cmp_lt_i32 s2, 2
	s_cbranch_scc1 .LBB62_2613
; %bb.2610:
	s_cmp_lt_i32 s2, 3
	s_cbranch_scc1 .LBB62_2614
; %bb.2611:
	s_cmp_gt_i32 s2, 3
	s_cbranch_scc0 .LBB62_2615
; %bb.2612:
	global_load_dwordx2 v[4:5], v[2:3], off
	s_mov_b64 s[0:1], 0
	s_branch .LBB62_2616
.LBB62_2613:
	s_mov_b64 s[0:1], -1
                                        ; implicit-def: $vgpr4_vgpr5
	s_branch .LBB62_2622
.LBB62_2614:
	s_mov_b64 s[0:1], -1
                                        ; implicit-def: $vgpr4_vgpr5
	s_branch .LBB62_2619
.LBB62_2615:
	s_mov_b64 s[0:1], -1
                                        ; implicit-def: $vgpr4_vgpr5
.LBB62_2616:
	s_andn2_b64 vcc, exec, s[0:1]
	s_cbranch_vccnz .LBB62_2618
; %bb.2617:
	global_load_dword v4, v[2:3], off
	s_waitcnt vmcnt(0)
	v_ashrrev_i32_e32 v5, 31, v4
.LBB62_2618:
	s_mov_b64 s[0:1], 0
.LBB62_2619:
	s_andn2_b64 vcc, exec, s[0:1]
	s_cbranch_vccnz .LBB62_2621
; %bb.2620:
	global_load_ushort v4, v[2:3], off
	s_waitcnt vmcnt(0)
	v_bfe_i32 v4, v4, 0, 16
	v_ashrrev_i32_e32 v5, 31, v4
.LBB62_2621:
	s_mov_b64 s[0:1], 0
.LBB62_2622:
	s_andn2_b64 vcc, exec, s[0:1]
	s_cbranch_vccnz .LBB62_2628
; %bb.2623:
	s_cmp_gt_i32 s2, 0
	s_cbranch_scc0 .LBB62_2625
; %bb.2624:
	global_load_sbyte v4, v[2:3], off
	s_mov_b64 s[0:1], 0
	s_waitcnt vmcnt(0)
	v_bfe_i32 v4, v4, 0, 16
	v_ashrrev_i32_e32 v5, 31, v4
	s_branch .LBB62_2626
.LBB62_2625:
	s_mov_b64 s[0:1], -1
                                        ; implicit-def: $vgpr4_vgpr5
.LBB62_2626:
	s_andn2_b64 vcc, exec, s[0:1]
	s_cbranch_vccnz .LBB62_2628
; %bb.2627:
	global_load_ubyte v2, v[2:3], off
	s_mov_b32 s0, 0
	s_waitcnt vmcnt(1)
	v_mov_b32_e32 v5, s0
	s_waitcnt vmcnt(0)
	v_and_b32_e32 v4, 0xffff, v2
.LBB62_2628:
	s_mov_b64 s[10:11], -1
.LBB62_2629:
	s_andn2_b64 vcc, exec, s[10:11]
	s_cbranch_vccnz .LBB62_2634
; %bb.2630:
	s_cmp_lt_i32 s15, 1
	s_mov_b64 s[0:1], 0
	s_cbranch_scc1 .LBB62_2680
; %bb.2631:
	s_cmp_gt_i32 s15, 1
	s_cbranch_scc0 .LBB62_2681
; %bb.2632:
	s_cmp_eq_u32 s15, 2
	s_cbranch_scc0 .LBB62_2682
; %bb.2633:
	s_waitcnt vmcnt(0)
	v_cmp_le_i64_e64 s[24:25], v[0:1], v[4:5]
	s_mov_b64 s[2:3], 0
	s_branch .LBB62_2683
.LBB62_2634:
	s_mov_b64 s[0:1], 0
                                        ; implicit-def: $sgpr24_sgpr25
.LBB62_2635:
	s_mov_b64 s[2:3], 0
                                        ; implicit-def: $sgpr28
                                        ; implicit-def: $vgpr0_vgpr1
.LBB62_2636:
	s_and_b64 s[4:5], s[2:3], exec
	s_andn2_b64 s[2:3], s[16:17], exec
	s_and_b64 s[8:9], s[18:19], exec
	s_and_b64 s[0:1], s[0:1], exec
	s_or_b64 s[16:17], s[2:3], s[8:9]
.LBB62_2637:
	s_or_b64 exec, exec, s[6:7]
	s_and_saveexec_b64 s[2:3], s[16:17]
	s_cbranch_execz .LBB62_2640
; %bb.2638:
	; divergent unreachable
	s_or_b64 exec, exec, s[2:3]
	s_and_saveexec_b64 s[2:3], s[4:5]
	s_xor_b64 s[2:3], exec, s[2:3]
	s_cbranch_execnz .LBB62_2641
.LBB62_2639:
	s_or_b64 exec, exec, s[2:3]
	s_and_saveexec_b64 s[2:3], s[0:1]
	s_cbranch_execnz .LBB62_2642
	s_branch .LBB62_2679
.LBB62_2640:
	s_or_b64 exec, exec, s[2:3]
	s_and_saveexec_b64 s[2:3], s[4:5]
	s_xor_b64 s[2:3], exec, s[2:3]
	s_cbranch_execz .LBB62_2639
.LBB62_2641:
	v_cndmask_b32_e64 v2, 0, 1, s[24:25]
	s_waitcnt vmcnt(0)
	global_store_byte v[0:1], v2, off
	s_or_b64 exec, exec, s[2:3]
	s_and_saveexec_b64 s[2:3], s[0:1]
	s_cbranch_execz .LBB62_2679
.LBB62_2642:
	s_sext_i32_i16 s2, s28
	s_cmp_lt_i32 s2, 5
	s_mov_b64 s[0:1], -1
	s_cbranch_scc1 .LBB62_2663
; %bb.2643:
	s_cmp_lt_i32 s2, 8
	s_cbranch_scc1 .LBB62_2653
; %bb.2644:
	s_cmp_lt_i32 s2, 9
	s_cbranch_scc1 .LBB62_2650
; %bb.2645:
	s_cmp_gt_i32 s2, 9
	s_cbranch_scc0 .LBB62_2647
; %bb.2646:
	v_cndmask_b32_e64 v2, 0, 1, s[24:25]
	v_cvt_f64_u32_e32 v[2:3], v2
	s_waitcnt vmcnt(0)
	v_mov_b32_e32 v4, 0
	v_mov_b32_e32 v5, v4
	s_mov_b64 s[0:1], 0
	global_store_dwordx4 v[0:1], v[2:5], off
.LBB62_2647:
	s_andn2_b64 vcc, exec, s[0:1]
	s_cbranch_vccnz .LBB62_2649
; %bb.2648:
	v_cndmask_b32_e64 v2, 0, 1.0, s[24:25]
	v_mov_b32_e32 v3, 0
	s_waitcnt vmcnt(0)
	global_store_dwordx2 v[0:1], v[2:3], off
.LBB62_2649:
	s_mov_b64 s[0:1], 0
.LBB62_2650:
	s_andn2_b64 vcc, exec, s[0:1]
	s_cbranch_vccnz .LBB62_2652
; %bb.2651:
	v_cndmask_b32_e64 v2, 0, 1.0, s[24:25]
	v_cvt_f16_f32_e32 v2, v2
	s_waitcnt vmcnt(0)
	global_store_dword v[0:1], v2, off
.LBB62_2652:
	s_mov_b64 s[0:1], 0
.LBB62_2653:
	s_andn2_b64 vcc, exec, s[0:1]
	s_cbranch_vccnz .LBB62_2662
; %bb.2654:
	s_sext_i32_i16 s2, s28
	s_cmp_lt_i32 s2, 6
	s_mov_b64 s[0:1], -1
	s_cbranch_scc1 .LBB62_2660
; %bb.2655:
	s_cmp_gt_i32 s2, 6
	s_cbranch_scc0 .LBB62_2657
; %bb.2656:
	v_cndmask_b32_e64 v2, 0, 1, s[24:25]
	v_cvt_f64_u32_e32 v[2:3], v2
	s_mov_b64 s[0:1], 0
	s_waitcnt vmcnt(0)
	global_store_dwordx2 v[0:1], v[2:3], off
.LBB62_2657:
	s_andn2_b64 vcc, exec, s[0:1]
	s_cbranch_vccnz .LBB62_2659
; %bb.2658:
	v_cndmask_b32_e64 v2, 0, 1.0, s[24:25]
	s_waitcnt vmcnt(0)
	global_store_dword v[0:1], v2, off
.LBB62_2659:
	s_mov_b64 s[0:1], 0
.LBB62_2660:
	s_andn2_b64 vcc, exec, s[0:1]
	s_cbranch_vccnz .LBB62_2662
; %bb.2661:
	v_cndmask_b32_e64 v2, 0, 1.0, s[24:25]
	v_cvt_f16_f32_e32 v2, v2
	s_waitcnt vmcnt(0)
	global_store_short v[0:1], v2, off
.LBB62_2662:
	s_mov_b64 s[0:1], 0
.LBB62_2663:
	s_andn2_b64 vcc, exec, s[0:1]
	s_cbranch_vccnz .LBB62_2679
; %bb.2664:
	s_sext_i32_i16 s2, s28
	s_cmp_lt_i32 s2, 2
	s_mov_b64 s[0:1], -1
	s_cbranch_scc1 .LBB62_2674
; %bb.2665:
	s_cmp_lt_i32 s2, 3
	s_cbranch_scc1 .LBB62_2671
; %bb.2666:
	s_cmp_gt_i32 s2, 3
	s_cbranch_scc0 .LBB62_2668
; %bb.2667:
	s_mov_b32 s0, 0
	v_cndmask_b32_e64 v2, 0, 1, s[24:25]
	v_mov_b32_e32 v3, s0
	s_waitcnt vmcnt(0)
	global_store_dwordx2 v[0:1], v[2:3], off
	s_mov_b64 s[0:1], 0
.LBB62_2668:
	s_andn2_b64 vcc, exec, s[0:1]
	s_cbranch_vccnz .LBB62_2670
; %bb.2669:
	v_cndmask_b32_e64 v2, 0, 1, s[24:25]
	s_waitcnt vmcnt(0)
	global_store_dword v[0:1], v2, off
.LBB62_2670:
	s_mov_b64 s[0:1], 0
.LBB62_2671:
	s_andn2_b64 vcc, exec, s[0:1]
	s_cbranch_vccnz .LBB62_2673
; %bb.2672:
	v_cndmask_b32_e64 v2, 0, 1, s[24:25]
	s_waitcnt vmcnt(0)
	global_store_short v[0:1], v2, off
.LBB62_2673:
	s_mov_b64 s[0:1], 0
.LBB62_2674:
	s_andn2_b64 vcc, exec, s[0:1]
	s_cbranch_vccnz .LBB62_2679
; %bb.2675:
	s_sext_i32_i16 s2, s28
	s_mov_b64 s[0:1], -1
	s_cmp_gt_i32 s2, 0
	v_cndmask_b32_e64 v2, 0, 1, s[24:25]
	s_cbranch_scc0 .LBB62_2677
; %bb.2676:
	s_waitcnt vmcnt(0)
	global_store_byte v[0:1], v2, off
	s_mov_b64 s[0:1], 0
.LBB62_2677:
	s_andn2_b64 vcc, exec, s[0:1]
	s_cbranch_vccnz .LBB62_2679
; %bb.2678:
	s_waitcnt vmcnt(0)
	global_store_byte v[0:1], v2, off
	s_endpgm
.LBB62_2679:
	s_endpgm
.LBB62_2680:
	s_mov_b64 s[10:11], -1
                                        ; implicit-def: $sgpr24_sgpr25
	s_mov_b64 s[2:3], 0
	s_branch .LBB62_2687
.LBB62_2681:
	s_mov_b64 s[10:11], -1
	s_mov_b64 s[2:3], 0
                                        ; implicit-def: $sgpr24_sgpr25
	s_branch .LBB62_2684
.LBB62_2682:
	s_mov_b64 s[2:3], -1
                                        ; implicit-def: $sgpr24_sgpr25
.LBB62_2683:
	s_mov_b64 s[10:11], 0
.LBB62_2684:
	s_and_b64 vcc, exec, s[10:11]
	s_cbranch_vccz .LBB62_2686
; %bb.2685:
	s_waitcnt vmcnt(0)
	v_cmp_gt_i64_e32 vcc, v[0:1], v[4:5]
	s_andn2_b64 s[10:11], s[24:25], exec
	s_and_b64 s[24:25], vcc, exec
	s_or_b64 s[24:25], s[10:11], s[24:25]
.LBB62_2686:
	s_mov_b64 s[10:11], 0
.LBB62_2687:
	s_and_b64 vcc, exec, s[10:11]
	s_cbranch_vccz .LBB62_2769
; %bb.2688:
	s_cmp_lg_u32 s15, 0
	s_mov_b64 s[0:1], -1
	s_cselect_b64 s[2:3], -1, 0
	s_andn2_b64 vcc, exec, s[2:3]
	s_cbranch_vccz .LBB62_2770
.LBB62_2689:
	s_andn2_b64 vcc, exec, s[0:1]
	s_cbranch_vccnz .LBB62_2691
.LBB62_2690:
	s_waitcnt vmcnt(0)
	v_cmp_ge_i64_e32 vcc, v[0:1], v[4:5]
	s_andn2_b64 s[0:1], s[24:25], exec
	s_and_b64 s[2:3], vcc, exec
	s_or_b64 s[24:25], s[0:1], s[2:3]
.LBB62_2691:
	v_mul_lo_u32 v2, s12, v6
	s_waitcnt vmcnt(0)
	v_mov_b32_e32 v1, s9
	s_and_b32 s28, s33, 0xff
	s_cmp_lt_i32 s28, 11
	v_ashrrev_i32_e32 v3, 31, v2
	v_add_co_u32_e32 v0, vcc, s8, v2
	v_addc_co_u32_e32 v1, vcc, v1, v3, vcc
	s_cbranch_scc1 .LBB62_2771
; %bb.2692:
	s_and_b32 s13, 0xffff, s28
	s_mov_b64 s[14:15], -1
	s_mov_b64 s[2:3], 0
	s_cmp_gt_i32 s13, 25
	s_mov_b64 s[10:11], 0
	s_mov_b64 s[0:1], 0
	s_cbranch_scc0 .LBB62_2725
; %bb.2693:
	s_cmp_gt_i32 s13, 28
	s_cbranch_scc0 .LBB62_2708
; %bb.2694:
	s_cmp_gt_i32 s13, 43
	;; [unrolled: 3-line block ×3, first 2 shown]
	s_cbranch_scc0 .LBB62_2698
; %bb.2696:
	s_mov_b64 s[0:1], -1
	s_mov_b64 s[14:15], 0
	s_cmp_eq_u32 s13, 46
	s_cbranch_scc0 .LBB62_2698
; %bb.2697:
	v_cndmask_b32_e64 v3, 0, 1.0, s[4:5]
	v_bfe_u32 v4, v3, 16, 1
	s_movk_i32 s0, 0x7fff
	v_add3_u32 v3, v3, v4, s0
	v_lshrrev_b32_e32 v3, 16, v3
	global_store_dword v[0:1], v3, off
	s_mov_b64 s[0:1], 0
	s_mov_b64 s[10:11], -1
.LBB62_2698:
	s_and_b64 vcc, exec, s[14:15]
	s_cbranch_vccz .LBB62_2703
; %bb.2699:
	s_cmp_eq_u32 s13, 44
	s_mov_b64 s[0:1], -1
	s_cbranch_scc0 .LBB62_2703
; %bb.2700:
	v_cndmask_b32_e64 v4, 0, 1.0, s[4:5]
	v_lshrrev_b32_e32 v3, 23, v4
	s_movk_i32 s0, 0xff
	v_cmp_ne_u32_e32 vcc, s0, v3
	v_mov_b32_e32 v5, 0xff
	s_and_saveexec_b64 s[10:11], vcc
; %bb.2701:
	s_mov_b32 s0, 0x3fffff
	v_and_b32_e32 v5, 0x400000, v4
	v_and_or_b32 v4, v4, s0, v3
	v_cmp_ne_u32_e32 vcc, 0, v5
	v_cmp_ne_u32_e64 s[0:1], 0, v4
	s_and_b64 s[0:1], vcc, s[0:1]
	v_cndmask_b32_e64 v4, 0, 1, s[0:1]
	v_add_u32_e32 v5, v3, v4
; %bb.2702:
	s_or_b64 exec, exec, s[10:11]
	s_mov_b64 s[0:1], 0
	s_mov_b64 s[10:11], -1
	global_store_byte v[0:1], v5, off
.LBB62_2703:
	s_mov_b64 s[14:15], 0
.LBB62_2704:
	s_and_b64 vcc, exec, s[14:15]
	s_cbranch_vccz .LBB62_2707
; %bb.2705:
	s_cmp_eq_u32 s13, 29
	s_mov_b64 s[0:1], -1
	s_cbranch_scc0 .LBB62_2707
; %bb.2706:
	s_mov_b32 s0, 0
	v_cndmask_b32_e64 v3, 0, 1, s[4:5]
	v_mov_b32_e32 v4, s0
	global_store_dwordx2 v[0:1], v[3:4], off
	s_mov_b64 s[0:1], 0
	s_mov_b64 s[10:11], -1
.LBB62_2707:
	s_mov_b64 s[14:15], 0
.LBB62_2708:
	s_and_b64 vcc, exec, s[14:15]
	s_cbranch_vccz .LBB62_2724
; %bb.2709:
	s_cmp_lt_i32 s13, 27
	s_mov_b64 s[10:11], -1
	s_cbranch_scc1 .LBB62_2715
; %bb.2710:
	s_cmp_gt_i32 s13, 27
	s_cbranch_scc0 .LBB62_2712
; %bb.2711:
	v_cndmask_b32_e64 v3, 0, 1, s[4:5]
	s_mov_b64 s[10:11], 0
	global_store_dword v[0:1], v3, off
.LBB62_2712:
	s_andn2_b64 vcc, exec, s[10:11]
	s_cbranch_vccnz .LBB62_2714
; %bb.2713:
	v_cndmask_b32_e64 v3, 0, 1, s[4:5]
	global_store_short v[0:1], v3, off
.LBB62_2714:
	s_mov_b64 s[10:11], 0
.LBB62_2715:
	s_andn2_b64 vcc, exec, s[10:11]
	s_cbranch_vccnz .LBB62_2723
; %bb.2716:
	v_cndmask_b32_e64 v4, 0, 1.0, s[4:5]
	s_mov_b32 s10, 0x43800000
	v_cmp_gt_u32_e32 vcc, s10, v4
	v_mov_b32_e32 v5, 0x80
	s_and_saveexec_b64 s[10:11], vcc
	s_cbranch_execz .LBB62_2722
; %bb.2717:
	s_mov_b32 s14, 0x3bffffff
	v_cmp_lt_u32_e32 vcc, s14, v4
	s_mov_b64 s[14:15], 0
                                        ; implicit-def: $vgpr3
	s_and_saveexec_b64 s[26:27], vcc
	s_xor_b64 s[26:27], exec, s[26:27]
	s_cbranch_execz .LBB62_3129
; %bb.2718:
	v_bfe_u32 v3, v4, 20, 1
	s_mov_b32 s29, 0x487ffff
	v_add3_u32 v3, v4, v3, s29
	s_mov_b64 s[14:15], exec
	v_lshrrev_b32_e32 v3, 20, v3
                                        ; implicit-def: $vgpr4
	s_andn2_saveexec_b64 s[26:27], s[26:27]
	s_cbranch_execnz .LBB62_3130
.LBB62_2719:
	s_or_b64 exec, exec, s[26:27]
	v_mov_b32_e32 v5, 0
	s_and_saveexec_b64 s[26:27], s[14:15]
.LBB62_2720:
	v_mov_b32_e32 v5, v3
.LBB62_2721:
	s_or_b64 exec, exec, s[26:27]
.LBB62_2722:
	s_or_b64 exec, exec, s[10:11]
	global_store_byte v[0:1], v5, off
.LBB62_2723:
	s_mov_b64 s[10:11], -1
.LBB62_2724:
	s_mov_b64 s[14:15], 0
.LBB62_2725:
	s_and_b64 vcc, exec, s[14:15]
	s_cbranch_vccz .LBB62_2765
; %bb.2726:
	s_cmp_gt_i32 s13, 22
	s_mov_b64 s[2:3], -1
	s_cbranch_scc0 .LBB62_2758
; %bb.2727:
	s_cmp_lt_i32 s13, 24
	s_cbranch_scc1 .LBB62_2747
; %bb.2728:
	s_cmp_gt_i32 s13, 24
	s_cbranch_scc0 .LBB62_2736
; %bb.2729:
	v_cndmask_b32_e64 v4, 0, 1.0, s[4:5]
	s_mov_b32 s2, 0x47800000
	v_cmp_gt_u32_e32 vcc, s2, v4
	v_mov_b32_e32 v5, 0x80
	s_and_saveexec_b64 s[2:3], vcc
	s_cbranch_execz .LBB62_2735
; %bb.2730:
	s_mov_b32 s10, 0x37ffffff
	v_cmp_lt_u32_e32 vcc, s10, v4
	s_mov_b64 s[10:11], 0
                                        ; implicit-def: $vgpr3
	s_and_saveexec_b64 s[14:15], vcc
	s_xor_b64 s[14:15], exec, s[14:15]
	s_cbranch_execz .LBB62_3132
; %bb.2731:
	v_bfe_u32 v3, v4, 21, 1
	s_mov_b32 s26, 0x88fffff
	v_add3_u32 v3, v4, v3, s26
	s_mov_b64 s[10:11], exec
	v_lshrrev_b32_e32 v3, 21, v3
                                        ; implicit-def: $vgpr4
	s_andn2_saveexec_b64 s[14:15], s[14:15]
	s_cbranch_execnz .LBB62_3133
.LBB62_2732:
	s_or_b64 exec, exec, s[14:15]
	v_mov_b32_e32 v5, 0
	s_and_saveexec_b64 s[14:15], s[10:11]
.LBB62_2733:
	v_mov_b32_e32 v5, v3
.LBB62_2734:
	s_or_b64 exec, exec, s[14:15]
.LBB62_2735:
	s_or_b64 exec, exec, s[2:3]
	s_mov_b64 s[2:3], 0
	global_store_byte v[0:1], v5, off
.LBB62_2736:
	s_and_b64 vcc, exec, s[2:3]
	s_cbranch_vccz .LBB62_2746
; %bb.2737:
	v_cndmask_b32_e64 v3, 0, 1.0, s[4:5]
	s_mov_b32 s2, 0x43f00000
	v_cmp_gt_u32_e32 vcc, s2, v3
                                        ; implicit-def: $vgpr4
	s_and_saveexec_b64 s[2:3], vcc
	s_xor_b64 s[2:3], exec, s[2:3]
	s_cbranch_execz .LBB62_2743
; %bb.2738:
	s_mov_b32 s10, 0x3c7fffff
	v_cmp_lt_u32_e32 vcc, s10, v3
                                        ; implicit-def: $vgpr4
	s_and_saveexec_b64 s[10:11], vcc
	s_xor_b64 s[10:11], exec, s[10:11]
; %bb.2739:
	v_bfe_u32 v4, v3, 20, 1
	s_mov_b32 s14, 0x407ffff
	v_add3_u32 v3, v3, v4, s14
	v_lshrrev_b32_e32 v4, 20, v3
	v_and_b32_e32 v3, 0xff00000, v3
	s_mov_b32 s14, 0x7f00000
	v_mov_b32_e32 v5, 0x7e
	v_cmp_ne_u32_e32 vcc, s14, v3
	v_cndmask_b32_e32 v4, v5, v4, vcc
                                        ; implicit-def: $vgpr3
; %bb.2740:
	s_andn2_saveexec_b64 s[10:11], s[10:11]
; %bb.2741:
	v_add_f32_e32 v4, 0x46800000, v3
; %bb.2742:
	s_or_b64 exec, exec, s[10:11]
                                        ; implicit-def: $vgpr3
.LBB62_2743:
	s_andn2_saveexec_b64 s[2:3], s[2:3]
; %bb.2744:
	s_mov_b32 s10, 0x7f800000
	v_mov_b32_e32 v4, 0x7e
	v_mov_b32_e32 v5, 0x7f
	v_cmp_lt_u32_e32 vcc, s10, v3
	v_cndmask_b32_e32 v4, v4, v5, vcc
; %bb.2745:
	s_or_b64 exec, exec, s[2:3]
	global_store_byte v[0:1], v4, off
.LBB62_2746:
	s_mov_b64 s[2:3], 0
.LBB62_2747:
	s_andn2_b64 vcc, exec, s[2:3]
	s_cbranch_vccnz .LBB62_2757
; %bb.2748:
	v_cndmask_b32_e64 v3, 0, 1.0, s[4:5]
	s_mov_b32 s2, 0x47800000
	v_cmp_gt_u32_e32 vcc, s2, v3
                                        ; implicit-def: $vgpr4
	s_and_saveexec_b64 s[2:3], vcc
	s_xor_b64 s[2:3], exec, s[2:3]
	s_cbranch_execz .LBB62_2754
; %bb.2749:
	s_mov_b32 s10, 0x387fffff
	v_cmp_lt_u32_e32 vcc, s10, v3
                                        ; implicit-def: $vgpr4
	s_and_saveexec_b64 s[10:11], vcc
	s_xor_b64 s[10:11], exec, s[10:11]
; %bb.2750:
	v_bfe_u32 v4, v3, 21, 1
	s_mov_b32 s14, 0x80fffff
	v_add3_u32 v3, v3, v4, s14
	v_lshrrev_b32_e32 v4, 21, v3
                                        ; implicit-def: $vgpr3
; %bb.2751:
	s_andn2_saveexec_b64 s[10:11], s[10:11]
; %bb.2752:
	v_add_f32_e32 v4, 0x43000000, v3
; %bb.2753:
	s_or_b64 exec, exec, s[10:11]
                                        ; implicit-def: $vgpr3
.LBB62_2754:
	s_andn2_saveexec_b64 s[2:3], s[2:3]
; %bb.2755:
	s_mov_b32 s10, 0x7f800000
	v_mov_b32_e32 v4, 0x7c
	v_mov_b32_e32 v5, 0x7f
	v_cmp_lt_u32_e32 vcc, s10, v3
	v_cndmask_b32_e32 v4, v4, v5, vcc
; %bb.2756:
	s_or_b64 exec, exec, s[2:3]
	global_store_byte v[0:1], v4, off
.LBB62_2757:
	s_mov_b64 s[2:3], 0
	s_mov_b64 s[10:11], -1
.LBB62_2758:
	s_andn2_b64 vcc, exec, s[2:3]
	s_mov_b64 s[2:3], 0
	s_cbranch_vccnz .LBB62_2765
; %bb.2759:
	s_cmp_gt_i32 s13, 14
	s_mov_b64 s[14:15], -1
	s_cbranch_scc0 .LBB62_2763
; %bb.2760:
	s_cmp_eq_u32 s13, 15
	s_mov_b64 s[0:1], -1
	s_cbranch_scc0 .LBB62_2762
; %bb.2761:
	v_cndmask_b32_e64 v3, 0, 1.0, s[4:5]
	v_bfe_u32 v4, v3, 16, 1
	s_movk_i32 s0, 0x7fff
	v_add3_u32 v3, v3, v4, s0
	global_store_short_d16_hi v[0:1], v3, off
	s_mov_b64 s[0:1], 0
	s_mov_b64 s[10:11], -1
.LBB62_2762:
	s_mov_b64 s[14:15], 0
.LBB62_2763:
	s_and_b64 vcc, exec, s[14:15]
	s_cbranch_vccz .LBB62_2765
; %bb.2764:
	s_cmp_lg_u32 s13, 11
	s_mov_b64 s[2:3], -1
	s_cselect_b64 s[0:1], -1, 0
.LBB62_2765:
	s_and_b64 vcc, exec, s[0:1]
	s_cbranch_vccnz .LBB62_3131
; %bb.2766:
	s_andn2_b64 vcc, exec, s[2:3]
	s_cbranch_vccnz .LBB62_2768
.LBB62_2767:
	v_cndmask_b32_e64 v3, 0, 1, s[4:5]
	s_mov_b64 s[10:11], -1
	global_store_byte v[0:1], v3, off
.LBB62_2768:
	s_mov_b64 s[0:1], 0
	s_branch .LBB62_2772
.LBB62_2769:
	s_andn2_b64 vcc, exec, s[2:3]
	s_cbranch_vccnz .LBB62_2689
.LBB62_2770:
	s_waitcnt vmcnt(0)
	v_cmp_lt_i64_e32 vcc, v[0:1], v[4:5]
	s_andn2_b64 s[2:3], s[24:25], exec
	s_and_b64 s[10:11], vcc, exec
	s_or_b64 s[24:25], s[2:3], s[10:11]
	s_cbranch_execz .LBB62_2690
	s_branch .LBB62_2691
.LBB62_2771:
	s_mov_b64 s[0:1], -1
	s_mov_b64 s[10:11], 0
.LBB62_2772:
	s_and_b64 vcc, exec, s[0:1]
	s_cbranch_vccz .LBB62_2811
; %bb.2773:
	s_and_b32 s2, 0xffff, s28
	s_cmp_lt_i32 s2, 5
	s_mov_b64 s[0:1], -1
	s_cbranch_scc1 .LBB62_2794
; %bb.2774:
	s_cmp_lt_i32 s2, 8
	s_cbranch_scc1 .LBB62_2784
; %bb.2775:
	s_cmp_lt_i32 s2, 9
	s_cbranch_scc1 .LBB62_2781
; %bb.2776:
	s_cmp_gt_i32 s2, 9
	s_cbranch_scc0 .LBB62_2778
; %bb.2777:
	v_cndmask_b32_e64 v3, 0, 1, s[4:5]
	v_cvt_f64_u32_e32 v[3:4], v3
	v_mov_b32_e32 v5, 0
	v_mov_b32_e32 v6, v5
	s_mov_b64 s[0:1], 0
	global_store_dwordx4 v[0:1], v[3:6], off
.LBB62_2778:
	s_andn2_b64 vcc, exec, s[0:1]
	s_cbranch_vccnz .LBB62_2780
; %bb.2779:
	v_cndmask_b32_e64 v3, 0, 1.0, s[4:5]
	v_mov_b32_e32 v4, 0
	global_store_dwordx2 v[0:1], v[3:4], off
.LBB62_2780:
	s_mov_b64 s[0:1], 0
.LBB62_2781:
	s_andn2_b64 vcc, exec, s[0:1]
	s_cbranch_vccnz .LBB62_2783
; %bb.2782:
	v_cndmask_b32_e64 v3, 0, 1.0, s[4:5]
	v_cvt_f16_f32_e32 v3, v3
	global_store_dword v[0:1], v3, off
.LBB62_2783:
	s_mov_b64 s[0:1], 0
.LBB62_2784:
	s_andn2_b64 vcc, exec, s[0:1]
	s_cbranch_vccnz .LBB62_2793
; %bb.2785:
	s_cmp_lt_i32 s2, 6
	s_mov_b64 s[0:1], -1
	s_cbranch_scc1 .LBB62_2791
; %bb.2786:
	s_cmp_gt_i32 s2, 6
	s_cbranch_scc0 .LBB62_2788
; %bb.2787:
	v_cndmask_b32_e64 v3, 0, 1, s[4:5]
	v_cvt_f64_u32_e32 v[3:4], v3
	s_mov_b64 s[0:1], 0
	global_store_dwordx2 v[0:1], v[3:4], off
.LBB62_2788:
	s_andn2_b64 vcc, exec, s[0:1]
	s_cbranch_vccnz .LBB62_2790
; %bb.2789:
	v_cndmask_b32_e64 v3, 0, 1.0, s[4:5]
	global_store_dword v[0:1], v3, off
.LBB62_2790:
	s_mov_b64 s[0:1], 0
.LBB62_2791:
	s_andn2_b64 vcc, exec, s[0:1]
	s_cbranch_vccnz .LBB62_2793
; %bb.2792:
	v_cndmask_b32_e64 v3, 0, 1.0, s[4:5]
	v_cvt_f16_f32_e32 v3, v3
	global_store_short v[0:1], v3, off
.LBB62_2793:
	s_mov_b64 s[0:1], 0
.LBB62_2794:
	s_andn2_b64 vcc, exec, s[0:1]
	s_cbranch_vccnz .LBB62_2810
; %bb.2795:
	s_cmp_lt_i32 s2, 2
	s_mov_b64 s[0:1], -1
	s_cbranch_scc1 .LBB62_2805
; %bb.2796:
	s_cmp_lt_i32 s2, 3
	s_cbranch_scc1 .LBB62_2802
; %bb.2797:
	s_cmp_gt_i32 s2, 3
	s_cbranch_scc0 .LBB62_2799
; %bb.2798:
	s_mov_b32 s0, 0
	v_cndmask_b32_e64 v3, 0, 1, s[4:5]
	v_mov_b32_e32 v4, s0
	global_store_dwordx2 v[0:1], v[3:4], off
	s_mov_b64 s[0:1], 0
.LBB62_2799:
	s_andn2_b64 vcc, exec, s[0:1]
	s_cbranch_vccnz .LBB62_2801
; %bb.2800:
	v_cndmask_b32_e64 v3, 0, 1, s[4:5]
	global_store_dword v[0:1], v3, off
.LBB62_2801:
	s_mov_b64 s[0:1], 0
.LBB62_2802:
	s_andn2_b64 vcc, exec, s[0:1]
	s_cbranch_vccnz .LBB62_2804
; %bb.2803:
	v_cndmask_b32_e64 v3, 0, 1, s[4:5]
	global_store_short v[0:1], v3, off
.LBB62_2804:
	s_mov_b64 s[0:1], 0
.LBB62_2805:
	s_andn2_b64 vcc, exec, s[0:1]
	s_cbranch_vccnz .LBB62_2810
; %bb.2806:
	s_mov_b64 s[0:1], -1
	s_cmp_gt_i32 s2, 0
	v_cndmask_b32_e64 v3, 0, 1, s[4:5]
	s_cbranch_scc0 .LBB62_2808
; %bb.2807:
	global_store_byte v[0:1], v3, off
	s_mov_b64 s[0:1], 0
.LBB62_2808:
	s_andn2_b64 vcc, exec, s[0:1]
	s_cbranch_vccnz .LBB62_2810
; %bb.2809:
	global_store_byte v[0:1], v3, off
.LBB62_2810:
	s_mov_b64 s[10:11], -1
.LBB62_2811:
	s_andn2_b64 vcc, exec, s[10:11]
	s_cbranch_vccnz .LBB62_3126
; %bb.2812:
	s_lshl_b32 s14, s12, 7
	v_add_u32_e32 v2, s14, v2
	v_ashrrev_i32_e32 v1, 31, v2
	v_mov_b32_e32 v3, s9
	v_add_co_u32_e32 v0, vcc, s8, v2
	s_cmp_lt_i32 s28, 11
	v_addc_co_u32_e32 v1, vcc, v3, v1, vcc
	s_cbranch_scc1 .LBB62_2890
; %bb.2813:
	s_and_b32 s15, 0xffff, s28
	s_mov_b64 s[10:11], -1
	s_mov_b64 s[2:3], 0
	s_cmp_gt_i32 s15, 25
	s_mov_b64 s[4:5], 0
	s_mov_b64 s[0:1], 0
	s_cbranch_scc0 .LBB62_2846
; %bb.2814:
	s_cmp_gt_i32 s15, 28
	s_cbranch_scc0 .LBB62_2829
; %bb.2815:
	s_cmp_gt_i32 s15, 43
	;; [unrolled: 3-line block ×3, first 2 shown]
	s_cbranch_scc0 .LBB62_2819
; %bb.2817:
	s_mov_b64 s[0:1], -1
	s_mov_b64 s[10:11], 0
	s_cmp_eq_u32 s15, 46
	s_cbranch_scc0 .LBB62_2819
; %bb.2818:
	v_cndmask_b32_e64 v3, 0, 1.0, s[20:21]
	v_bfe_u32 v4, v3, 16, 1
	s_movk_i32 s0, 0x7fff
	v_add3_u32 v3, v3, v4, s0
	v_lshrrev_b32_e32 v3, 16, v3
	global_store_dword v[0:1], v3, off
	s_mov_b64 s[0:1], 0
	s_mov_b64 s[4:5], -1
.LBB62_2819:
	s_and_b64 vcc, exec, s[10:11]
	s_cbranch_vccz .LBB62_2824
; %bb.2820:
	s_cmp_eq_u32 s15, 44
	s_mov_b64 s[0:1], -1
	s_cbranch_scc0 .LBB62_2824
; %bb.2821:
	v_cndmask_b32_e64 v4, 0, 1.0, s[20:21]
	v_lshrrev_b32_e32 v3, 23, v4
	s_movk_i32 s0, 0xff
	v_cmp_ne_u32_e32 vcc, s0, v3
	v_mov_b32_e32 v5, 0xff
	s_and_saveexec_b64 s[4:5], vcc
; %bb.2822:
	s_mov_b32 s0, 0x3fffff
	v_and_b32_e32 v5, 0x400000, v4
	v_and_or_b32 v4, v4, s0, v3
	v_cmp_ne_u32_e32 vcc, 0, v5
	v_cmp_ne_u32_e64 s[0:1], 0, v4
	s_and_b64 s[0:1], vcc, s[0:1]
	v_cndmask_b32_e64 v4, 0, 1, s[0:1]
	v_add_u32_e32 v5, v3, v4
; %bb.2823:
	s_or_b64 exec, exec, s[4:5]
	s_mov_b64 s[0:1], 0
	s_mov_b64 s[4:5], -1
	global_store_byte v[0:1], v5, off
.LBB62_2824:
	s_mov_b64 s[10:11], 0
.LBB62_2825:
	s_and_b64 vcc, exec, s[10:11]
	s_cbranch_vccz .LBB62_2828
; %bb.2826:
	s_cmp_eq_u32 s15, 29
	s_mov_b64 s[0:1], -1
	s_cbranch_scc0 .LBB62_2828
; %bb.2827:
	s_mov_b32 s0, 0
	v_cndmask_b32_e64 v3, 0, 1, s[20:21]
	v_mov_b32_e32 v4, s0
	global_store_dwordx2 v[0:1], v[3:4], off
	s_mov_b64 s[0:1], 0
	s_mov_b64 s[4:5], -1
.LBB62_2828:
	s_mov_b64 s[10:11], 0
.LBB62_2829:
	s_and_b64 vcc, exec, s[10:11]
	s_cbranch_vccz .LBB62_2845
; %bb.2830:
	s_cmp_lt_i32 s15, 27
	s_mov_b64 s[4:5], -1
	s_cbranch_scc1 .LBB62_2836
; %bb.2831:
	s_cmp_gt_i32 s15, 27
	s_cbranch_scc0 .LBB62_2833
; %bb.2832:
	v_cndmask_b32_e64 v3, 0, 1, s[20:21]
	s_mov_b64 s[4:5], 0
	global_store_dword v[0:1], v3, off
.LBB62_2833:
	s_andn2_b64 vcc, exec, s[4:5]
	s_cbranch_vccnz .LBB62_2835
; %bb.2834:
	v_cndmask_b32_e64 v3, 0, 1, s[20:21]
	global_store_short v[0:1], v3, off
.LBB62_2835:
	s_mov_b64 s[4:5], 0
.LBB62_2836:
	s_andn2_b64 vcc, exec, s[4:5]
	s_cbranch_vccnz .LBB62_2844
; %bb.2837:
	v_cndmask_b32_e64 v4, 0, 1.0, s[20:21]
	s_mov_b32 s4, 0x43800000
	v_cmp_gt_u32_e32 vcc, s4, v4
	v_mov_b32_e32 v5, 0x80
	s_and_saveexec_b64 s[4:5], vcc
	s_cbranch_execz .LBB62_2843
; %bb.2838:
	s_mov_b32 s10, 0x3bffffff
	v_cmp_lt_u32_e32 vcc, s10, v4
	s_mov_b64 s[10:11], 0
                                        ; implicit-def: $vgpr3
	s_and_saveexec_b64 s[12:13], vcc
	s_xor_b64 s[12:13], exec, s[12:13]
	s_cbranch_execz .LBB62_3134
; %bb.2839:
	v_bfe_u32 v3, v4, 20, 1
	s_mov_b32 s26, 0x487ffff
	v_add3_u32 v3, v4, v3, s26
	s_mov_b64 s[10:11], exec
	v_lshrrev_b32_e32 v3, 20, v3
                                        ; implicit-def: $vgpr4
	s_andn2_saveexec_b64 s[12:13], s[12:13]
	s_cbranch_execnz .LBB62_3135
.LBB62_2840:
	s_or_b64 exec, exec, s[12:13]
	v_mov_b32_e32 v5, 0
	s_and_saveexec_b64 s[12:13], s[10:11]
.LBB62_2841:
	v_mov_b32_e32 v5, v3
.LBB62_2842:
	s_or_b64 exec, exec, s[12:13]
.LBB62_2843:
	s_or_b64 exec, exec, s[4:5]
	global_store_byte v[0:1], v5, off
.LBB62_2844:
	s_mov_b64 s[4:5], -1
.LBB62_2845:
	s_mov_b64 s[10:11], 0
.LBB62_2846:
	s_and_b64 vcc, exec, s[10:11]
	s_cbranch_vccz .LBB62_2886
; %bb.2847:
	s_cmp_gt_i32 s15, 22
	s_mov_b64 s[2:3], -1
	s_cbranch_scc0 .LBB62_2879
; %bb.2848:
	s_cmp_lt_i32 s15, 24
	s_cbranch_scc1 .LBB62_2868
; %bb.2849:
	s_cmp_gt_i32 s15, 24
	s_cbranch_scc0 .LBB62_2857
; %bb.2850:
	v_cndmask_b32_e64 v4, 0, 1.0, s[20:21]
	s_mov_b32 s2, 0x47800000
	v_cmp_gt_u32_e32 vcc, s2, v4
	v_mov_b32_e32 v5, 0x80
	s_and_saveexec_b64 s[2:3], vcc
	s_cbranch_execz .LBB62_2856
; %bb.2851:
	s_mov_b32 s4, 0x37ffffff
	v_cmp_lt_u32_e32 vcc, s4, v4
	s_mov_b64 s[4:5], 0
                                        ; implicit-def: $vgpr3
	s_and_saveexec_b64 s[10:11], vcc
	s_xor_b64 s[10:11], exec, s[10:11]
	s_cbranch_execz .LBB62_3137
; %bb.2852:
	v_bfe_u32 v3, v4, 21, 1
	s_mov_b32 s12, 0x88fffff
	v_add3_u32 v3, v4, v3, s12
	s_mov_b64 s[4:5], exec
	v_lshrrev_b32_e32 v3, 21, v3
                                        ; implicit-def: $vgpr4
	s_andn2_saveexec_b64 s[10:11], s[10:11]
	s_cbranch_execnz .LBB62_3138
.LBB62_2853:
	s_or_b64 exec, exec, s[10:11]
	v_mov_b32_e32 v5, 0
	s_and_saveexec_b64 s[10:11], s[4:5]
.LBB62_2854:
	v_mov_b32_e32 v5, v3
.LBB62_2855:
	s_or_b64 exec, exec, s[10:11]
.LBB62_2856:
	s_or_b64 exec, exec, s[2:3]
	s_mov_b64 s[2:3], 0
	global_store_byte v[0:1], v5, off
.LBB62_2857:
	s_and_b64 vcc, exec, s[2:3]
	s_cbranch_vccz .LBB62_2867
; %bb.2858:
	v_cndmask_b32_e64 v3, 0, 1.0, s[20:21]
	s_mov_b32 s2, 0x43f00000
	v_cmp_gt_u32_e32 vcc, s2, v3
                                        ; implicit-def: $vgpr4
	s_and_saveexec_b64 s[2:3], vcc
	s_xor_b64 s[2:3], exec, s[2:3]
	s_cbranch_execz .LBB62_2864
; %bb.2859:
	s_mov_b32 s4, 0x3c7fffff
	v_cmp_lt_u32_e32 vcc, s4, v3
                                        ; implicit-def: $vgpr4
	s_and_saveexec_b64 s[4:5], vcc
	s_xor_b64 s[4:5], exec, s[4:5]
; %bb.2860:
	v_bfe_u32 v4, v3, 20, 1
	s_mov_b32 s10, 0x407ffff
	v_add3_u32 v3, v3, v4, s10
	v_lshrrev_b32_e32 v4, 20, v3
	v_and_b32_e32 v3, 0xff00000, v3
	s_mov_b32 s10, 0x7f00000
	v_mov_b32_e32 v5, 0x7e
	v_cmp_ne_u32_e32 vcc, s10, v3
	v_cndmask_b32_e32 v4, v5, v4, vcc
                                        ; implicit-def: $vgpr3
; %bb.2861:
	s_andn2_saveexec_b64 s[4:5], s[4:5]
; %bb.2862:
	v_add_f32_e32 v4, 0x46800000, v3
; %bb.2863:
	s_or_b64 exec, exec, s[4:5]
                                        ; implicit-def: $vgpr3
.LBB62_2864:
	s_andn2_saveexec_b64 s[2:3], s[2:3]
; %bb.2865:
	s_mov_b32 s4, 0x7f800000
	v_mov_b32_e32 v4, 0x7e
	v_mov_b32_e32 v5, 0x7f
	v_cmp_lt_u32_e32 vcc, s4, v3
	v_cndmask_b32_e32 v4, v4, v5, vcc
; %bb.2866:
	s_or_b64 exec, exec, s[2:3]
	global_store_byte v[0:1], v4, off
.LBB62_2867:
	s_mov_b64 s[2:3], 0
.LBB62_2868:
	s_andn2_b64 vcc, exec, s[2:3]
	s_cbranch_vccnz .LBB62_2878
; %bb.2869:
	v_cndmask_b32_e64 v3, 0, 1.0, s[20:21]
	s_mov_b32 s2, 0x47800000
	v_cmp_gt_u32_e32 vcc, s2, v3
                                        ; implicit-def: $vgpr4
	s_and_saveexec_b64 s[2:3], vcc
	s_xor_b64 s[2:3], exec, s[2:3]
	s_cbranch_execz .LBB62_2875
; %bb.2870:
	s_mov_b32 s4, 0x387fffff
	v_cmp_lt_u32_e32 vcc, s4, v3
                                        ; implicit-def: $vgpr4
	s_and_saveexec_b64 s[4:5], vcc
	s_xor_b64 s[4:5], exec, s[4:5]
; %bb.2871:
	v_bfe_u32 v4, v3, 21, 1
	s_mov_b32 s10, 0x80fffff
	v_add3_u32 v3, v3, v4, s10
	v_lshrrev_b32_e32 v4, 21, v3
                                        ; implicit-def: $vgpr3
; %bb.2872:
	s_andn2_saveexec_b64 s[4:5], s[4:5]
; %bb.2873:
	v_add_f32_e32 v4, 0x43000000, v3
; %bb.2874:
	s_or_b64 exec, exec, s[4:5]
                                        ; implicit-def: $vgpr3
.LBB62_2875:
	s_andn2_saveexec_b64 s[2:3], s[2:3]
; %bb.2876:
	s_mov_b32 s4, 0x7f800000
	v_mov_b32_e32 v4, 0x7c
	v_mov_b32_e32 v5, 0x7f
	v_cmp_lt_u32_e32 vcc, s4, v3
	v_cndmask_b32_e32 v4, v4, v5, vcc
; %bb.2877:
	s_or_b64 exec, exec, s[2:3]
	global_store_byte v[0:1], v4, off
.LBB62_2878:
	s_mov_b64 s[2:3], 0
	s_mov_b64 s[4:5], -1
.LBB62_2879:
	s_andn2_b64 vcc, exec, s[2:3]
	s_mov_b64 s[2:3], 0
	s_cbranch_vccnz .LBB62_2886
; %bb.2880:
	s_cmp_gt_i32 s15, 14
	s_mov_b64 s[10:11], -1
	s_cbranch_scc0 .LBB62_2884
; %bb.2881:
	s_cmp_eq_u32 s15, 15
	s_mov_b64 s[0:1], -1
	s_cbranch_scc0 .LBB62_2883
; %bb.2882:
	v_cndmask_b32_e64 v3, 0, 1.0, s[20:21]
	v_bfe_u32 v4, v3, 16, 1
	s_movk_i32 s0, 0x7fff
	v_add3_u32 v3, v3, v4, s0
	global_store_short_d16_hi v[0:1], v3, off
	s_mov_b64 s[0:1], 0
	s_mov_b64 s[4:5], -1
.LBB62_2883:
	s_mov_b64 s[10:11], 0
.LBB62_2884:
	s_and_b64 vcc, exec, s[10:11]
	s_cbranch_vccz .LBB62_2886
; %bb.2885:
	s_cmp_lg_u32 s15, 11
	s_mov_b64 s[2:3], -1
	s_cselect_b64 s[0:1], -1, 0
.LBB62_2886:
	s_and_b64 vcc, exec, s[0:1]
	s_cbranch_vccnz .LBB62_3136
; %bb.2887:
	s_andn2_b64 vcc, exec, s[2:3]
	s_cbranch_vccnz .LBB62_2889
.LBB62_2888:
	v_cndmask_b32_e64 v3, 0, 1, s[20:21]
	s_mov_b64 s[4:5], -1
	global_store_byte v[0:1], v3, off
.LBB62_2889:
	s_mov_b64 s[0:1], 0
	s_branch .LBB62_2891
.LBB62_2890:
	s_mov_b64 s[0:1], -1
	s_mov_b64 s[4:5], 0
.LBB62_2891:
	s_and_b64 vcc, exec, s[0:1]
	s_cbranch_vccz .LBB62_2930
; %bb.2892:
	s_and_b32 s2, 0xffff, s28
	s_cmp_lt_i32 s2, 5
	s_mov_b64 s[0:1], -1
	s_cbranch_scc1 .LBB62_2913
; %bb.2893:
	s_cmp_lt_i32 s2, 8
	s_cbranch_scc1 .LBB62_2903
; %bb.2894:
	s_cmp_lt_i32 s2, 9
	s_cbranch_scc1 .LBB62_2900
; %bb.2895:
	s_cmp_gt_i32 s2, 9
	s_cbranch_scc0 .LBB62_2897
; %bb.2896:
	v_cndmask_b32_e64 v3, 0, 1, s[20:21]
	v_cvt_f64_u32_e32 v[3:4], v3
	v_mov_b32_e32 v5, 0
	v_mov_b32_e32 v6, v5
	s_mov_b64 s[0:1], 0
	global_store_dwordx4 v[0:1], v[3:6], off
.LBB62_2897:
	s_andn2_b64 vcc, exec, s[0:1]
	s_cbranch_vccnz .LBB62_2899
; %bb.2898:
	v_cndmask_b32_e64 v3, 0, 1.0, s[20:21]
	v_mov_b32_e32 v4, 0
	global_store_dwordx2 v[0:1], v[3:4], off
.LBB62_2899:
	s_mov_b64 s[0:1], 0
.LBB62_2900:
	s_andn2_b64 vcc, exec, s[0:1]
	s_cbranch_vccnz .LBB62_2902
; %bb.2901:
	v_cndmask_b32_e64 v3, 0, 1.0, s[20:21]
	v_cvt_f16_f32_e32 v3, v3
	global_store_dword v[0:1], v3, off
.LBB62_2902:
	s_mov_b64 s[0:1], 0
.LBB62_2903:
	s_andn2_b64 vcc, exec, s[0:1]
	s_cbranch_vccnz .LBB62_2912
; %bb.2904:
	s_cmp_lt_i32 s2, 6
	s_mov_b64 s[0:1], -1
	s_cbranch_scc1 .LBB62_2910
; %bb.2905:
	s_cmp_gt_i32 s2, 6
	s_cbranch_scc0 .LBB62_2907
; %bb.2906:
	v_cndmask_b32_e64 v3, 0, 1, s[20:21]
	v_cvt_f64_u32_e32 v[3:4], v3
	s_mov_b64 s[0:1], 0
	global_store_dwordx2 v[0:1], v[3:4], off
.LBB62_2907:
	s_andn2_b64 vcc, exec, s[0:1]
	s_cbranch_vccnz .LBB62_2909
; %bb.2908:
	v_cndmask_b32_e64 v3, 0, 1.0, s[20:21]
	global_store_dword v[0:1], v3, off
.LBB62_2909:
	s_mov_b64 s[0:1], 0
.LBB62_2910:
	s_andn2_b64 vcc, exec, s[0:1]
	s_cbranch_vccnz .LBB62_2912
; %bb.2911:
	v_cndmask_b32_e64 v3, 0, 1.0, s[20:21]
	v_cvt_f16_f32_e32 v3, v3
	global_store_short v[0:1], v3, off
.LBB62_2912:
	s_mov_b64 s[0:1], 0
.LBB62_2913:
	s_andn2_b64 vcc, exec, s[0:1]
	s_cbranch_vccnz .LBB62_2929
; %bb.2914:
	s_cmp_lt_i32 s2, 2
	s_mov_b64 s[0:1], -1
	s_cbranch_scc1 .LBB62_2924
; %bb.2915:
	s_cmp_lt_i32 s2, 3
	s_cbranch_scc1 .LBB62_2921
; %bb.2916:
	s_cmp_gt_i32 s2, 3
	s_cbranch_scc0 .LBB62_2918
; %bb.2917:
	s_mov_b32 s0, 0
	v_cndmask_b32_e64 v3, 0, 1, s[20:21]
	v_mov_b32_e32 v4, s0
	global_store_dwordx2 v[0:1], v[3:4], off
	s_mov_b64 s[0:1], 0
.LBB62_2918:
	s_andn2_b64 vcc, exec, s[0:1]
	s_cbranch_vccnz .LBB62_2920
; %bb.2919:
	v_cndmask_b32_e64 v3, 0, 1, s[20:21]
	global_store_dword v[0:1], v3, off
.LBB62_2920:
	s_mov_b64 s[0:1], 0
.LBB62_2921:
	s_andn2_b64 vcc, exec, s[0:1]
	s_cbranch_vccnz .LBB62_2923
; %bb.2922:
	v_cndmask_b32_e64 v3, 0, 1, s[20:21]
	global_store_short v[0:1], v3, off
.LBB62_2923:
	s_mov_b64 s[0:1], 0
.LBB62_2924:
	s_andn2_b64 vcc, exec, s[0:1]
	s_cbranch_vccnz .LBB62_2929
; %bb.2925:
	s_mov_b64 s[0:1], -1
	s_cmp_gt_i32 s2, 0
	v_cndmask_b32_e64 v3, 0, 1, s[20:21]
	s_cbranch_scc0 .LBB62_2927
; %bb.2926:
	global_store_byte v[0:1], v3, off
	s_mov_b64 s[0:1], 0
.LBB62_2927:
	s_andn2_b64 vcc, exec, s[0:1]
	s_cbranch_vccnz .LBB62_2929
; %bb.2928:
	global_store_byte v[0:1], v3, off
.LBB62_2929:
	s_mov_b64 s[4:5], -1
.LBB62_2930:
	s_andn2_b64 vcc, exec, s[4:5]
	s_cbranch_vccnz .LBB62_3126
; %bb.2931:
	v_add_u32_e32 v2, s14, v2
	v_ashrrev_i32_e32 v1, 31, v2
	v_mov_b32_e32 v3, s9
	v_add_co_u32_e32 v0, vcc, s8, v2
	s_cmp_lt_i32 s28, 11
	v_addc_co_u32_e32 v1, vcc, v3, v1, vcc
	s_cbranch_scc1 .LBB62_3009
; %bb.2932:
	s_and_b32 s15, 0xffff, s28
	s_mov_b64 s[10:11], -1
	s_mov_b64 s[2:3], 0
	s_cmp_gt_i32 s15, 25
	s_mov_b64 s[4:5], 0
	s_mov_b64 s[0:1], 0
	s_cbranch_scc0 .LBB62_2965
; %bb.2933:
	s_cmp_gt_i32 s15, 28
	s_cbranch_scc0 .LBB62_2948
; %bb.2934:
	s_cmp_gt_i32 s15, 43
	;; [unrolled: 3-line block ×3, first 2 shown]
	s_cbranch_scc0 .LBB62_2938
; %bb.2936:
	s_mov_b64 s[0:1], -1
	s_mov_b64 s[10:11], 0
	s_cmp_eq_u32 s15, 46
	s_cbranch_scc0 .LBB62_2938
; %bb.2937:
	v_cndmask_b32_e64 v3, 0, 1.0, s[22:23]
	v_bfe_u32 v4, v3, 16, 1
	s_movk_i32 s0, 0x7fff
	v_add3_u32 v3, v3, v4, s0
	v_lshrrev_b32_e32 v3, 16, v3
	global_store_dword v[0:1], v3, off
	s_mov_b64 s[0:1], 0
	s_mov_b64 s[4:5], -1
.LBB62_2938:
	s_and_b64 vcc, exec, s[10:11]
	s_cbranch_vccz .LBB62_2943
; %bb.2939:
	s_cmp_eq_u32 s15, 44
	s_mov_b64 s[0:1], -1
	s_cbranch_scc0 .LBB62_2943
; %bb.2940:
	v_cndmask_b32_e64 v4, 0, 1.0, s[22:23]
	v_lshrrev_b32_e32 v3, 23, v4
	s_movk_i32 s0, 0xff
	v_cmp_ne_u32_e32 vcc, s0, v3
	v_mov_b32_e32 v5, 0xff
	s_and_saveexec_b64 s[4:5], vcc
; %bb.2941:
	s_mov_b32 s0, 0x3fffff
	v_and_b32_e32 v5, 0x400000, v4
	v_and_or_b32 v4, v4, s0, v3
	v_cmp_ne_u32_e32 vcc, 0, v5
	v_cmp_ne_u32_e64 s[0:1], 0, v4
	s_and_b64 s[0:1], vcc, s[0:1]
	v_cndmask_b32_e64 v4, 0, 1, s[0:1]
	v_add_u32_e32 v5, v3, v4
; %bb.2942:
	s_or_b64 exec, exec, s[4:5]
	s_mov_b64 s[0:1], 0
	s_mov_b64 s[4:5], -1
	global_store_byte v[0:1], v5, off
.LBB62_2943:
	s_mov_b64 s[10:11], 0
.LBB62_2944:
	s_and_b64 vcc, exec, s[10:11]
	s_cbranch_vccz .LBB62_2947
; %bb.2945:
	s_cmp_eq_u32 s15, 29
	s_mov_b64 s[0:1], -1
	s_cbranch_scc0 .LBB62_2947
; %bb.2946:
	s_mov_b32 s0, 0
	v_cndmask_b32_e64 v3, 0, 1, s[22:23]
	v_mov_b32_e32 v4, s0
	global_store_dwordx2 v[0:1], v[3:4], off
	s_mov_b64 s[0:1], 0
	s_mov_b64 s[4:5], -1
.LBB62_2947:
	s_mov_b64 s[10:11], 0
.LBB62_2948:
	s_and_b64 vcc, exec, s[10:11]
	s_cbranch_vccz .LBB62_2964
; %bb.2949:
	s_cmp_lt_i32 s15, 27
	s_mov_b64 s[4:5], -1
	s_cbranch_scc1 .LBB62_2955
; %bb.2950:
	s_cmp_gt_i32 s15, 27
	s_cbranch_scc0 .LBB62_2952
; %bb.2951:
	v_cndmask_b32_e64 v3, 0, 1, s[22:23]
	s_mov_b64 s[4:5], 0
	global_store_dword v[0:1], v3, off
.LBB62_2952:
	s_andn2_b64 vcc, exec, s[4:5]
	s_cbranch_vccnz .LBB62_2954
; %bb.2953:
	v_cndmask_b32_e64 v3, 0, 1, s[22:23]
	global_store_short v[0:1], v3, off
.LBB62_2954:
	s_mov_b64 s[4:5], 0
.LBB62_2955:
	s_andn2_b64 vcc, exec, s[4:5]
	s_cbranch_vccnz .LBB62_2963
; %bb.2956:
	v_cndmask_b32_e64 v4, 0, 1.0, s[22:23]
	s_mov_b32 s4, 0x43800000
	v_cmp_gt_u32_e32 vcc, s4, v4
	v_mov_b32_e32 v5, 0x80
	s_and_saveexec_b64 s[4:5], vcc
	s_cbranch_execz .LBB62_2962
; %bb.2957:
	s_mov_b32 s10, 0x3bffffff
	v_cmp_lt_u32_e32 vcc, s10, v4
	s_mov_b64 s[10:11], 0
                                        ; implicit-def: $vgpr3
	s_and_saveexec_b64 s[12:13], vcc
	s_xor_b64 s[12:13], exec, s[12:13]
	s_cbranch_execz .LBB62_3139
; %bb.2958:
	v_bfe_u32 v3, v4, 20, 1
	s_mov_b32 s20, 0x487ffff
	v_add3_u32 v3, v4, v3, s20
	s_mov_b64 s[10:11], exec
	v_lshrrev_b32_e32 v3, 20, v3
                                        ; implicit-def: $vgpr4
	s_andn2_saveexec_b64 s[12:13], s[12:13]
	s_cbranch_execnz .LBB62_3140
.LBB62_2959:
	s_or_b64 exec, exec, s[12:13]
	v_mov_b32_e32 v5, 0
	s_and_saveexec_b64 s[12:13], s[10:11]
.LBB62_2960:
	v_mov_b32_e32 v5, v3
.LBB62_2961:
	s_or_b64 exec, exec, s[12:13]
.LBB62_2962:
	s_or_b64 exec, exec, s[4:5]
	global_store_byte v[0:1], v5, off
.LBB62_2963:
	s_mov_b64 s[4:5], -1
.LBB62_2964:
	s_mov_b64 s[10:11], 0
.LBB62_2965:
	s_and_b64 vcc, exec, s[10:11]
	s_cbranch_vccz .LBB62_3005
; %bb.2966:
	s_cmp_gt_i32 s15, 22
	s_mov_b64 s[2:3], -1
	s_cbranch_scc0 .LBB62_2998
; %bb.2967:
	s_cmp_lt_i32 s15, 24
	s_cbranch_scc1 .LBB62_2987
; %bb.2968:
	s_cmp_gt_i32 s15, 24
	s_cbranch_scc0 .LBB62_2976
; %bb.2969:
	v_cndmask_b32_e64 v4, 0, 1.0, s[22:23]
	s_mov_b32 s2, 0x47800000
	v_cmp_gt_u32_e32 vcc, s2, v4
	v_mov_b32_e32 v5, 0x80
	s_and_saveexec_b64 s[2:3], vcc
	s_cbranch_execz .LBB62_2975
; %bb.2970:
	s_mov_b32 s4, 0x37ffffff
	v_cmp_lt_u32_e32 vcc, s4, v4
	s_mov_b64 s[4:5], 0
                                        ; implicit-def: $vgpr3
	s_and_saveexec_b64 s[10:11], vcc
	s_xor_b64 s[10:11], exec, s[10:11]
	s_cbranch_execz .LBB62_3142
; %bb.2971:
	v_bfe_u32 v3, v4, 21, 1
	s_mov_b32 s12, 0x88fffff
	v_add3_u32 v3, v4, v3, s12
	s_mov_b64 s[4:5], exec
	v_lshrrev_b32_e32 v3, 21, v3
                                        ; implicit-def: $vgpr4
	s_andn2_saveexec_b64 s[10:11], s[10:11]
	s_cbranch_execnz .LBB62_3143
.LBB62_2972:
	s_or_b64 exec, exec, s[10:11]
	v_mov_b32_e32 v5, 0
	s_and_saveexec_b64 s[10:11], s[4:5]
.LBB62_2973:
	v_mov_b32_e32 v5, v3
.LBB62_2974:
	s_or_b64 exec, exec, s[10:11]
.LBB62_2975:
	s_or_b64 exec, exec, s[2:3]
	s_mov_b64 s[2:3], 0
	global_store_byte v[0:1], v5, off
.LBB62_2976:
	s_and_b64 vcc, exec, s[2:3]
	s_cbranch_vccz .LBB62_2986
; %bb.2977:
	v_cndmask_b32_e64 v3, 0, 1.0, s[22:23]
	s_mov_b32 s2, 0x43f00000
	v_cmp_gt_u32_e32 vcc, s2, v3
                                        ; implicit-def: $vgpr4
	s_and_saveexec_b64 s[2:3], vcc
	s_xor_b64 s[2:3], exec, s[2:3]
	s_cbranch_execz .LBB62_2983
; %bb.2978:
	s_mov_b32 s4, 0x3c7fffff
	v_cmp_lt_u32_e32 vcc, s4, v3
                                        ; implicit-def: $vgpr4
	s_and_saveexec_b64 s[4:5], vcc
	s_xor_b64 s[4:5], exec, s[4:5]
; %bb.2979:
	v_bfe_u32 v4, v3, 20, 1
	s_mov_b32 s10, 0x407ffff
	v_add3_u32 v3, v3, v4, s10
	v_lshrrev_b32_e32 v4, 20, v3
	v_and_b32_e32 v3, 0xff00000, v3
	s_mov_b32 s10, 0x7f00000
	v_mov_b32_e32 v5, 0x7e
	v_cmp_ne_u32_e32 vcc, s10, v3
	v_cndmask_b32_e32 v4, v5, v4, vcc
                                        ; implicit-def: $vgpr3
; %bb.2980:
	s_andn2_saveexec_b64 s[4:5], s[4:5]
; %bb.2981:
	v_add_f32_e32 v4, 0x46800000, v3
; %bb.2982:
	s_or_b64 exec, exec, s[4:5]
                                        ; implicit-def: $vgpr3
.LBB62_2983:
	s_andn2_saveexec_b64 s[2:3], s[2:3]
; %bb.2984:
	s_mov_b32 s4, 0x7f800000
	v_mov_b32_e32 v4, 0x7e
	v_mov_b32_e32 v5, 0x7f
	v_cmp_lt_u32_e32 vcc, s4, v3
	v_cndmask_b32_e32 v4, v4, v5, vcc
; %bb.2985:
	s_or_b64 exec, exec, s[2:3]
	global_store_byte v[0:1], v4, off
.LBB62_2986:
	s_mov_b64 s[2:3], 0
.LBB62_2987:
	s_andn2_b64 vcc, exec, s[2:3]
	s_cbranch_vccnz .LBB62_2997
; %bb.2988:
	v_cndmask_b32_e64 v3, 0, 1.0, s[22:23]
	s_mov_b32 s2, 0x47800000
	v_cmp_gt_u32_e32 vcc, s2, v3
                                        ; implicit-def: $vgpr4
	s_and_saveexec_b64 s[2:3], vcc
	s_xor_b64 s[2:3], exec, s[2:3]
	s_cbranch_execz .LBB62_2994
; %bb.2989:
	s_mov_b32 s4, 0x387fffff
	v_cmp_lt_u32_e32 vcc, s4, v3
                                        ; implicit-def: $vgpr4
	s_and_saveexec_b64 s[4:5], vcc
	s_xor_b64 s[4:5], exec, s[4:5]
; %bb.2990:
	v_bfe_u32 v4, v3, 21, 1
	s_mov_b32 s10, 0x80fffff
	v_add3_u32 v3, v3, v4, s10
	v_lshrrev_b32_e32 v4, 21, v3
                                        ; implicit-def: $vgpr3
; %bb.2991:
	s_andn2_saveexec_b64 s[4:5], s[4:5]
; %bb.2992:
	v_add_f32_e32 v4, 0x43000000, v3
; %bb.2993:
	s_or_b64 exec, exec, s[4:5]
                                        ; implicit-def: $vgpr3
.LBB62_2994:
	s_andn2_saveexec_b64 s[2:3], s[2:3]
; %bb.2995:
	s_mov_b32 s4, 0x7f800000
	v_mov_b32_e32 v4, 0x7c
	v_mov_b32_e32 v5, 0x7f
	v_cmp_lt_u32_e32 vcc, s4, v3
	v_cndmask_b32_e32 v4, v4, v5, vcc
; %bb.2996:
	s_or_b64 exec, exec, s[2:3]
	global_store_byte v[0:1], v4, off
.LBB62_2997:
	s_mov_b64 s[2:3], 0
	s_mov_b64 s[4:5], -1
.LBB62_2998:
	s_andn2_b64 vcc, exec, s[2:3]
	s_mov_b64 s[2:3], 0
	s_cbranch_vccnz .LBB62_3005
; %bb.2999:
	s_cmp_gt_i32 s15, 14
	s_mov_b64 s[10:11], -1
	s_cbranch_scc0 .LBB62_3003
; %bb.3000:
	s_cmp_eq_u32 s15, 15
	s_mov_b64 s[0:1], -1
	s_cbranch_scc0 .LBB62_3002
; %bb.3001:
	v_cndmask_b32_e64 v3, 0, 1.0, s[22:23]
	v_bfe_u32 v4, v3, 16, 1
	s_movk_i32 s0, 0x7fff
	v_add3_u32 v3, v3, v4, s0
	global_store_short_d16_hi v[0:1], v3, off
	s_mov_b64 s[0:1], 0
	s_mov_b64 s[4:5], -1
.LBB62_3002:
	s_mov_b64 s[10:11], 0
.LBB62_3003:
	s_and_b64 vcc, exec, s[10:11]
	s_cbranch_vccz .LBB62_3005
; %bb.3004:
	s_cmp_lg_u32 s15, 11
	s_mov_b64 s[2:3], -1
	s_cselect_b64 s[0:1], -1, 0
.LBB62_3005:
	s_and_b64 vcc, exec, s[0:1]
	s_cbranch_vccnz .LBB62_3141
; %bb.3006:
	s_andn2_b64 vcc, exec, s[2:3]
	s_cbranch_vccnz .LBB62_3008
.LBB62_3007:
	v_cndmask_b32_e64 v3, 0, 1, s[22:23]
	s_mov_b64 s[4:5], -1
	global_store_byte v[0:1], v3, off
.LBB62_3008:
	s_mov_b64 s[0:1], 0
	s_branch .LBB62_3010
.LBB62_3009:
	s_mov_b64 s[0:1], -1
	s_mov_b64 s[4:5], 0
.LBB62_3010:
	s_and_b64 vcc, exec, s[0:1]
	s_cbranch_vccz .LBB62_3049
; %bb.3011:
	s_and_b32 s2, 0xffff, s28
	s_cmp_lt_i32 s2, 5
	s_mov_b64 s[0:1], -1
	s_cbranch_scc1 .LBB62_3032
; %bb.3012:
	s_cmp_lt_i32 s2, 8
	s_cbranch_scc1 .LBB62_3022
; %bb.3013:
	s_cmp_lt_i32 s2, 9
	s_cbranch_scc1 .LBB62_3019
; %bb.3014:
	s_cmp_gt_i32 s2, 9
	s_cbranch_scc0 .LBB62_3016
; %bb.3015:
	v_cndmask_b32_e64 v3, 0, 1, s[22:23]
	v_cvt_f64_u32_e32 v[3:4], v3
	v_mov_b32_e32 v5, 0
	v_mov_b32_e32 v6, v5
	s_mov_b64 s[0:1], 0
	global_store_dwordx4 v[0:1], v[3:6], off
.LBB62_3016:
	s_andn2_b64 vcc, exec, s[0:1]
	s_cbranch_vccnz .LBB62_3018
; %bb.3017:
	v_cndmask_b32_e64 v3, 0, 1.0, s[22:23]
	v_mov_b32_e32 v4, 0
	global_store_dwordx2 v[0:1], v[3:4], off
.LBB62_3018:
	s_mov_b64 s[0:1], 0
.LBB62_3019:
	s_andn2_b64 vcc, exec, s[0:1]
	s_cbranch_vccnz .LBB62_3021
; %bb.3020:
	v_cndmask_b32_e64 v3, 0, 1.0, s[22:23]
	v_cvt_f16_f32_e32 v3, v3
	global_store_dword v[0:1], v3, off
.LBB62_3021:
	s_mov_b64 s[0:1], 0
.LBB62_3022:
	s_andn2_b64 vcc, exec, s[0:1]
	s_cbranch_vccnz .LBB62_3031
; %bb.3023:
	s_cmp_lt_i32 s2, 6
	s_mov_b64 s[0:1], -1
	s_cbranch_scc1 .LBB62_3029
; %bb.3024:
	s_cmp_gt_i32 s2, 6
	s_cbranch_scc0 .LBB62_3026
; %bb.3025:
	v_cndmask_b32_e64 v3, 0, 1, s[22:23]
	v_cvt_f64_u32_e32 v[3:4], v3
	s_mov_b64 s[0:1], 0
	global_store_dwordx2 v[0:1], v[3:4], off
.LBB62_3026:
	s_andn2_b64 vcc, exec, s[0:1]
	s_cbranch_vccnz .LBB62_3028
; %bb.3027:
	v_cndmask_b32_e64 v3, 0, 1.0, s[22:23]
	global_store_dword v[0:1], v3, off
.LBB62_3028:
	s_mov_b64 s[0:1], 0
.LBB62_3029:
	s_andn2_b64 vcc, exec, s[0:1]
	s_cbranch_vccnz .LBB62_3031
; %bb.3030:
	v_cndmask_b32_e64 v3, 0, 1.0, s[22:23]
	v_cvt_f16_f32_e32 v3, v3
	global_store_short v[0:1], v3, off
.LBB62_3031:
	s_mov_b64 s[0:1], 0
.LBB62_3032:
	s_andn2_b64 vcc, exec, s[0:1]
	s_cbranch_vccnz .LBB62_3048
; %bb.3033:
	s_cmp_lt_i32 s2, 2
	s_mov_b64 s[0:1], -1
	s_cbranch_scc1 .LBB62_3043
; %bb.3034:
	s_cmp_lt_i32 s2, 3
	s_cbranch_scc1 .LBB62_3040
; %bb.3035:
	s_cmp_gt_i32 s2, 3
	s_cbranch_scc0 .LBB62_3037
; %bb.3036:
	s_mov_b32 s0, 0
	v_cndmask_b32_e64 v3, 0, 1, s[22:23]
	v_mov_b32_e32 v4, s0
	global_store_dwordx2 v[0:1], v[3:4], off
	s_mov_b64 s[0:1], 0
.LBB62_3037:
	s_andn2_b64 vcc, exec, s[0:1]
	s_cbranch_vccnz .LBB62_3039
; %bb.3038:
	v_cndmask_b32_e64 v3, 0, 1, s[22:23]
	global_store_dword v[0:1], v3, off
.LBB62_3039:
	s_mov_b64 s[0:1], 0
.LBB62_3040:
	s_andn2_b64 vcc, exec, s[0:1]
	s_cbranch_vccnz .LBB62_3042
; %bb.3041:
	v_cndmask_b32_e64 v3, 0, 1, s[22:23]
	global_store_short v[0:1], v3, off
.LBB62_3042:
	s_mov_b64 s[0:1], 0
.LBB62_3043:
	s_andn2_b64 vcc, exec, s[0:1]
	s_cbranch_vccnz .LBB62_3048
; %bb.3044:
	s_mov_b64 s[0:1], -1
	s_cmp_gt_i32 s2, 0
	v_cndmask_b32_e64 v3, 0, 1, s[22:23]
	s_cbranch_scc0 .LBB62_3046
; %bb.3045:
	global_store_byte v[0:1], v3, off
	s_mov_b64 s[0:1], 0
.LBB62_3046:
	s_andn2_b64 vcc, exec, s[0:1]
	s_cbranch_vccnz .LBB62_3048
; %bb.3047:
	global_store_byte v[0:1], v3, off
.LBB62_3048:
	s_mov_b64 s[4:5], -1
.LBB62_3049:
	s_andn2_b64 vcc, exec, s[4:5]
	s_cbranch_vccnz .LBB62_3126
; %bb.3050:
	v_add_u32_e32 v0, s14, v2
	v_ashrrev_i32_e32 v1, 31, v0
	v_mov_b32_e32 v2, s9
	v_add_co_u32_e32 v0, vcc, s8, v0
	s_cmp_lt_i32 s28, 11
	v_addc_co_u32_e32 v1, vcc, v2, v1, vcc
	s_cbranch_scc1 .LBB62_3127
; %bb.3051:
	s_and_b32 s12, 0xffff, s28
	s_mov_b64 s[4:5], -1
	s_mov_b64 s[2:3], 0
	s_cmp_gt_i32 s12, 25
	s_mov_b64 s[0:1], 0
	s_cbranch_scc0 .LBB62_3084
; %bb.3052:
	s_cmp_gt_i32 s12, 28
	s_cbranch_scc0 .LBB62_3068
; %bb.3053:
	s_cmp_gt_i32 s12, 43
	;; [unrolled: 3-line block ×3, first 2 shown]
	s_cbranch_scc0 .LBB62_3058
; %bb.3055:
	s_cmp_eq_u32 s12, 46
	s_mov_b64 s[0:1], -1
	s_cbranch_scc0 .LBB62_3057
; %bb.3056:
	v_cndmask_b32_e64 v2, 0, 1.0, s[24:25]
	v_bfe_u32 v3, v2, 16, 1
	s_movk_i32 s0, 0x7fff
	v_add3_u32 v2, v2, v3, s0
	v_lshrrev_b32_e32 v2, 16, v2
	global_store_dword v[0:1], v2, off
	s_mov_b64 s[0:1], 0
.LBB62_3057:
	s_mov_b64 s[4:5], 0
.LBB62_3058:
	s_and_b64 vcc, exec, s[4:5]
	s_cbranch_vccz .LBB62_3063
; %bb.3059:
	s_cmp_eq_u32 s12, 44
	s_mov_b64 s[0:1], -1
	s_cbranch_scc0 .LBB62_3063
; %bb.3060:
	v_cndmask_b32_e64 v3, 0, 1.0, s[24:25]
	v_lshrrev_b32_e32 v2, 23, v3
	s_movk_i32 s0, 0xff
	v_cmp_ne_u32_e32 vcc, s0, v2
	v_mov_b32_e32 v4, 0xff
	s_and_saveexec_b64 s[4:5], vcc
; %bb.3061:
	s_mov_b32 s0, 0x3fffff
	v_and_b32_e32 v4, 0x400000, v3
	v_and_or_b32 v3, v3, s0, v2
	v_cmp_ne_u32_e32 vcc, 0, v4
	v_cmp_ne_u32_e64 s[0:1], 0, v3
	s_and_b64 s[0:1], vcc, s[0:1]
	v_cndmask_b32_e64 v3, 0, 1, s[0:1]
	v_add_u32_e32 v4, v2, v3
; %bb.3062:
	s_or_b64 exec, exec, s[4:5]
	s_mov_b64 s[0:1], 0
	global_store_byte v[0:1], v4, off
.LBB62_3063:
	s_mov_b64 s[4:5], 0
.LBB62_3064:
	s_and_b64 vcc, exec, s[4:5]
	s_cbranch_vccz .LBB62_3067
; %bb.3065:
	s_cmp_eq_u32 s12, 29
	s_mov_b64 s[0:1], -1
	s_cbranch_scc0 .LBB62_3067
; %bb.3066:
	s_mov_b32 s0, 0
	v_cndmask_b32_e64 v2, 0, 1, s[24:25]
	v_mov_b32_e32 v3, s0
	global_store_dwordx2 v[0:1], v[2:3], off
	s_mov_b64 s[0:1], 0
.LBB62_3067:
	s_mov_b64 s[4:5], 0
.LBB62_3068:
	s_and_b64 vcc, exec, s[4:5]
	s_cbranch_vccz .LBB62_3083
; %bb.3069:
	s_cmp_lt_i32 s12, 27
	s_mov_b64 s[4:5], -1
	s_cbranch_scc1 .LBB62_3075
; %bb.3070:
	s_cmp_gt_i32 s12, 27
	v_cndmask_b32_e64 v2, 0, 1, s[24:25]
	s_cbranch_scc0 .LBB62_3072
; %bb.3071:
	global_store_dword v[0:1], v2, off
	s_mov_b64 s[4:5], 0
.LBB62_3072:
	s_andn2_b64 vcc, exec, s[4:5]
	s_cbranch_vccnz .LBB62_3074
; %bb.3073:
	global_store_short v[0:1], v2, off
.LBB62_3074:
	s_mov_b64 s[4:5], 0
.LBB62_3075:
	s_andn2_b64 vcc, exec, s[4:5]
	s_cbranch_vccnz .LBB62_3083
; %bb.3076:
	v_cndmask_b32_e64 v3, 0, 1.0, s[24:25]
	s_mov_b32 s4, 0x43800000
	v_cmp_gt_u32_e32 vcc, s4, v3
	v_mov_b32_e32 v4, 0x80
	s_and_saveexec_b64 s[4:5], vcc
	s_cbranch_execz .LBB62_3082
; %bb.3077:
	s_mov_b32 s8, 0x3bffffff
	v_cmp_lt_u32_e32 vcc, s8, v3
	s_mov_b64 s[8:9], 0
                                        ; implicit-def: $vgpr2
	s_and_saveexec_b64 s[10:11], vcc
	s_xor_b64 s[10:11], exec, s[10:11]
	s_cbranch_execz .LBB62_3144
; %bb.3078:
	v_bfe_u32 v2, v3, 20, 1
	s_mov_b32 s13, 0x487ffff
	v_add3_u32 v2, v3, v2, s13
	s_mov_b64 s[8:9], exec
	v_lshrrev_b32_e32 v2, 20, v2
                                        ; implicit-def: $vgpr3
	s_andn2_saveexec_b64 s[10:11], s[10:11]
	s_cbranch_execnz .LBB62_3145
.LBB62_3079:
	s_or_b64 exec, exec, s[10:11]
	v_mov_b32_e32 v4, 0
	s_and_saveexec_b64 s[10:11], s[8:9]
.LBB62_3080:
	v_mov_b32_e32 v4, v2
.LBB62_3081:
	s_or_b64 exec, exec, s[10:11]
.LBB62_3082:
	s_or_b64 exec, exec, s[4:5]
	global_store_byte v[0:1], v4, off
.LBB62_3083:
	s_mov_b64 s[4:5], 0
.LBB62_3084:
	s_and_b64 vcc, exec, s[4:5]
	s_cbranch_vccz .LBB62_3124
; %bb.3085:
	s_cmp_gt_i32 s12, 22
	s_mov_b64 s[2:3], -1
	s_cbranch_scc0 .LBB62_3117
; %bb.3086:
	s_cmp_lt_i32 s12, 24
	s_cbranch_scc1 .LBB62_3106
; %bb.3087:
	s_cmp_gt_i32 s12, 24
	s_cbranch_scc0 .LBB62_3095
; %bb.3088:
	v_cndmask_b32_e64 v3, 0, 1.0, s[24:25]
	s_mov_b32 s2, 0x47800000
	v_cmp_gt_u32_e32 vcc, s2, v3
	v_mov_b32_e32 v4, 0x80
	s_and_saveexec_b64 s[2:3], vcc
	s_cbranch_execz .LBB62_3094
; %bb.3089:
	s_mov_b32 s4, 0x37ffffff
	v_cmp_lt_u32_e32 vcc, s4, v3
	s_mov_b64 s[4:5], 0
                                        ; implicit-def: $vgpr2
	s_and_saveexec_b64 s[8:9], vcc
	s_xor_b64 s[8:9], exec, s[8:9]
	s_cbranch_execz .LBB62_3147
; %bb.3090:
	v_bfe_u32 v2, v3, 21, 1
	s_mov_b32 s10, 0x88fffff
	v_add3_u32 v2, v3, v2, s10
	s_mov_b64 s[4:5], exec
	v_lshrrev_b32_e32 v2, 21, v2
                                        ; implicit-def: $vgpr3
	s_andn2_saveexec_b64 s[8:9], s[8:9]
	s_cbranch_execnz .LBB62_3148
.LBB62_3091:
	s_or_b64 exec, exec, s[8:9]
	v_mov_b32_e32 v4, 0
	s_and_saveexec_b64 s[8:9], s[4:5]
.LBB62_3092:
	v_mov_b32_e32 v4, v2
.LBB62_3093:
	s_or_b64 exec, exec, s[8:9]
.LBB62_3094:
	s_or_b64 exec, exec, s[2:3]
	s_mov_b64 s[2:3], 0
	global_store_byte v[0:1], v4, off
.LBB62_3095:
	s_and_b64 vcc, exec, s[2:3]
	s_cbranch_vccz .LBB62_3105
; %bb.3096:
	v_cndmask_b32_e64 v2, 0, 1.0, s[24:25]
	s_mov_b32 s2, 0x43f00000
	v_cmp_gt_u32_e32 vcc, s2, v2
                                        ; implicit-def: $vgpr3
	s_and_saveexec_b64 s[2:3], vcc
	s_xor_b64 s[2:3], exec, s[2:3]
	s_cbranch_execz .LBB62_3102
; %bb.3097:
	s_mov_b32 s4, 0x3c7fffff
	v_cmp_lt_u32_e32 vcc, s4, v2
                                        ; implicit-def: $vgpr3
	s_and_saveexec_b64 s[4:5], vcc
	s_xor_b64 s[4:5], exec, s[4:5]
; %bb.3098:
	v_bfe_u32 v3, v2, 20, 1
	s_mov_b32 s8, 0x407ffff
	v_add3_u32 v2, v2, v3, s8
	v_lshrrev_b32_e32 v3, 20, v2
	v_and_b32_e32 v2, 0xff00000, v2
	s_mov_b32 s8, 0x7f00000
	v_mov_b32_e32 v4, 0x7e
	v_cmp_ne_u32_e32 vcc, s8, v2
	v_cndmask_b32_e32 v3, v4, v3, vcc
                                        ; implicit-def: $vgpr2
; %bb.3099:
	s_andn2_saveexec_b64 s[4:5], s[4:5]
; %bb.3100:
	v_add_f32_e32 v3, 0x46800000, v2
; %bb.3101:
	s_or_b64 exec, exec, s[4:5]
                                        ; implicit-def: $vgpr2
.LBB62_3102:
	s_andn2_saveexec_b64 s[2:3], s[2:3]
; %bb.3103:
	s_mov_b32 s4, 0x7f800000
	v_mov_b32_e32 v3, 0x7e
	v_mov_b32_e32 v4, 0x7f
	v_cmp_lt_u32_e32 vcc, s4, v2
	v_cndmask_b32_e32 v3, v3, v4, vcc
; %bb.3104:
	s_or_b64 exec, exec, s[2:3]
	global_store_byte v[0:1], v3, off
.LBB62_3105:
	s_mov_b64 s[2:3], 0
.LBB62_3106:
	s_andn2_b64 vcc, exec, s[2:3]
	s_cbranch_vccnz .LBB62_3116
; %bb.3107:
	v_cndmask_b32_e64 v2, 0, 1.0, s[24:25]
	s_mov_b32 s2, 0x47800000
	v_cmp_gt_u32_e32 vcc, s2, v2
                                        ; implicit-def: $vgpr3
	s_and_saveexec_b64 s[2:3], vcc
	s_xor_b64 s[2:3], exec, s[2:3]
	s_cbranch_execz .LBB62_3113
; %bb.3108:
	s_mov_b32 s4, 0x387fffff
	v_cmp_lt_u32_e32 vcc, s4, v2
                                        ; implicit-def: $vgpr3
	s_and_saveexec_b64 s[4:5], vcc
	s_xor_b64 s[4:5], exec, s[4:5]
; %bb.3109:
	v_bfe_u32 v3, v2, 21, 1
	s_mov_b32 s8, 0x80fffff
	v_add3_u32 v2, v2, v3, s8
	v_lshrrev_b32_e32 v3, 21, v2
                                        ; implicit-def: $vgpr2
; %bb.3110:
	s_andn2_saveexec_b64 s[4:5], s[4:5]
; %bb.3111:
	v_add_f32_e32 v3, 0x43000000, v2
; %bb.3112:
	s_or_b64 exec, exec, s[4:5]
                                        ; implicit-def: $vgpr2
.LBB62_3113:
	s_andn2_saveexec_b64 s[2:3], s[2:3]
; %bb.3114:
	s_mov_b32 s4, 0x7f800000
	v_mov_b32_e32 v3, 0x7c
	v_mov_b32_e32 v4, 0x7f
	v_cmp_lt_u32_e32 vcc, s4, v2
	v_cndmask_b32_e32 v3, v3, v4, vcc
; %bb.3115:
	s_or_b64 exec, exec, s[2:3]
	global_store_byte v[0:1], v3, off
.LBB62_3116:
	s_mov_b64 s[2:3], 0
.LBB62_3117:
	s_andn2_b64 vcc, exec, s[2:3]
	s_mov_b64 s[2:3], 0
	s_cbranch_vccnz .LBB62_3124
; %bb.3118:
	s_cmp_gt_i32 s12, 14
	s_mov_b64 s[4:5], -1
	s_cbranch_scc0 .LBB62_3122
; %bb.3119:
	s_cmp_eq_u32 s12, 15
	s_mov_b64 s[0:1], -1
	s_cbranch_scc0 .LBB62_3121
; %bb.3120:
	v_cndmask_b32_e64 v2, 0, 1.0, s[24:25]
	v_bfe_u32 v3, v2, 16, 1
	s_movk_i32 s0, 0x7fff
	v_add3_u32 v2, v2, v3, s0
	global_store_short_d16_hi v[0:1], v2, off
	s_mov_b64 s[0:1], 0
.LBB62_3121:
	s_mov_b64 s[4:5], 0
.LBB62_3122:
	s_and_b64 vcc, exec, s[4:5]
	s_cbranch_vccz .LBB62_3124
; %bb.3123:
	s_cmp_lg_u32 s12, 11
	s_mov_b64 s[2:3], -1
	s_cselect_b64 s[0:1], -1, 0
.LBB62_3124:
	s_and_b64 vcc, exec, s[0:1]
	s_cbranch_vccnz .LBB62_3146
.LBB62_3125:
	s_mov_b64 s[0:1], 0
	s_branch .LBB62_2636
.LBB62_3126:
	s_mov_b64 s[0:1], 0
	s_branch .LBB62_2635
.LBB62_3127:
	s_mov_b64 s[2:3], 0
	s_mov_b64 s[0:1], -1
	s_branch .LBB62_2636
.LBB62_3128:
	s_trap 2
	s_or_b64 s[18:19], s[18:19], exec
	s_cbranch_execz .LBB62_2578
	s_branch .LBB62_2579
.LBB62_3129:
	s_andn2_saveexec_b64 s[26:27], s[26:27]
	s_cbranch_execz .LBB62_2719
.LBB62_3130:
	v_add_f32_e32 v3, 0x46000000, v4
	v_and_b32_e32 v3, 0xff, v3
	v_cmp_ne_u32_e32 vcc, 0, v3
	s_andn2_b64 s[14:15], s[14:15], exec
	s_and_b64 s[30:31], vcc, exec
	s_or_b64 s[14:15], s[14:15], s[30:31]
	s_or_b64 exec, exec, s[26:27]
	v_mov_b32_e32 v5, 0
	s_and_saveexec_b64 s[26:27], s[14:15]
	s_cbranch_execnz .LBB62_2720
	s_branch .LBB62_2721
.LBB62_3131:
	s_trap 2
	s_or_b64 s[18:19], s[18:19], exec
	s_cbranch_execz .LBB62_2767
	s_branch .LBB62_2768
.LBB62_3132:
	s_andn2_saveexec_b64 s[14:15], s[14:15]
	s_cbranch_execz .LBB62_2732
.LBB62_3133:
	v_add_f32_e32 v3, 0x42800000, v4
	v_and_b32_e32 v3, 0xff, v3
	v_cmp_ne_u32_e32 vcc, 0, v3
	s_andn2_b64 s[10:11], s[10:11], exec
	s_and_b64 s[26:27], vcc, exec
	s_or_b64 s[10:11], s[10:11], s[26:27]
	s_or_b64 exec, exec, s[14:15]
	v_mov_b32_e32 v5, 0
	s_and_saveexec_b64 s[14:15], s[10:11]
	s_cbranch_execnz .LBB62_2733
	s_branch .LBB62_2734
.LBB62_3134:
	s_andn2_saveexec_b64 s[12:13], s[12:13]
	s_cbranch_execz .LBB62_2840
.LBB62_3135:
	v_add_f32_e32 v3, 0x46000000, v4
	v_and_b32_e32 v3, 0xff, v3
	v_cmp_ne_u32_e32 vcc, 0, v3
	s_andn2_b64 s[10:11], s[10:11], exec
	s_and_b64 s[26:27], vcc, exec
	s_or_b64 s[10:11], s[10:11], s[26:27]
	s_or_b64 exec, exec, s[12:13]
	v_mov_b32_e32 v5, 0
	s_and_saveexec_b64 s[12:13], s[10:11]
	s_cbranch_execnz .LBB62_2841
	s_branch .LBB62_2842
.LBB62_3136:
	s_trap 2
	s_or_b64 s[18:19], s[18:19], exec
	s_cbranch_execz .LBB62_2888
	s_branch .LBB62_2889
.LBB62_3137:
	s_andn2_saveexec_b64 s[10:11], s[10:11]
	s_cbranch_execz .LBB62_2853
.LBB62_3138:
	v_add_f32_e32 v3, 0x42800000, v4
	v_and_b32_e32 v3, 0xff, v3
	v_cmp_ne_u32_e32 vcc, 0, v3
	s_andn2_b64 s[4:5], s[4:5], exec
	s_and_b64 s[12:13], vcc, exec
	s_or_b64 s[4:5], s[4:5], s[12:13]
	s_or_b64 exec, exec, s[10:11]
	v_mov_b32_e32 v5, 0
	s_and_saveexec_b64 s[10:11], s[4:5]
	s_cbranch_execnz .LBB62_2854
	s_branch .LBB62_2855
.LBB62_3139:
	s_andn2_saveexec_b64 s[12:13], s[12:13]
	s_cbranch_execz .LBB62_2959
.LBB62_3140:
	v_add_f32_e32 v3, 0x46000000, v4
	v_and_b32_e32 v3, 0xff, v3
	v_cmp_ne_u32_e32 vcc, 0, v3
	s_andn2_b64 s[10:11], s[10:11], exec
	s_and_b64 s[20:21], vcc, exec
	s_or_b64 s[10:11], s[10:11], s[20:21]
	s_or_b64 exec, exec, s[12:13]
	v_mov_b32_e32 v5, 0
	s_and_saveexec_b64 s[12:13], s[10:11]
	s_cbranch_execnz .LBB62_2960
	s_branch .LBB62_2961
.LBB62_3141:
	s_trap 2
	s_or_b64 s[18:19], s[18:19], exec
	s_cbranch_execz .LBB62_3007
	s_branch .LBB62_3008
.LBB62_3142:
	s_andn2_saveexec_b64 s[10:11], s[10:11]
	s_cbranch_execz .LBB62_2972
.LBB62_3143:
	v_add_f32_e32 v3, 0x42800000, v4
	v_and_b32_e32 v3, 0xff, v3
	v_cmp_ne_u32_e32 vcc, 0, v3
	s_andn2_b64 s[4:5], s[4:5], exec
	s_and_b64 s[12:13], vcc, exec
	s_or_b64 s[4:5], s[4:5], s[12:13]
	s_or_b64 exec, exec, s[10:11]
	v_mov_b32_e32 v5, 0
	s_and_saveexec_b64 s[10:11], s[4:5]
	s_cbranch_execnz .LBB62_2973
	s_branch .LBB62_2974
.LBB62_3144:
	s_andn2_saveexec_b64 s[10:11], s[10:11]
	s_cbranch_execz .LBB62_3079
.LBB62_3145:
	v_add_f32_e32 v2, 0x46000000, v3
	v_and_b32_e32 v2, 0xff, v2
	v_cmp_ne_u32_e32 vcc, 0, v2
	s_andn2_b64 s[8:9], s[8:9], exec
	s_and_b64 s[14:15], vcc, exec
	s_or_b64 s[8:9], s[8:9], s[14:15]
	s_or_b64 exec, exec, s[10:11]
	v_mov_b32_e32 v4, 0
	s_and_saveexec_b64 s[10:11], s[8:9]
	s_cbranch_execnz .LBB62_3080
	s_branch .LBB62_3081
.LBB62_3146:
	s_mov_b64 s[2:3], 0
	s_or_b64 s[18:19], s[18:19], exec
	s_trap 2
	s_branch .LBB62_3125
.LBB62_3147:
	s_andn2_saveexec_b64 s[8:9], s[8:9]
	s_cbranch_execz .LBB62_3091
.LBB62_3148:
	v_add_f32_e32 v2, 0x42800000, v3
	v_and_b32_e32 v2, 0xff, v2
	v_cmp_ne_u32_e32 vcc, 0, v2
	s_andn2_b64 s[4:5], s[4:5], exec
	s_and_b64 s[10:11], vcc, exec
	s_or_b64 s[4:5], s[4:5], s[10:11]
	s_or_b64 exec, exec, s[8:9]
	v_mov_b32_e32 v4, 0
	s_and_saveexec_b64 s[8:9], s[4:5]
	s_cbranch_execnz .LBB62_3092
	s_branch .LBB62_3093
	.section	.rodata,"a",@progbits
	.p2align	6, 0x0
	.amdhsa_kernel _ZN2at6native32elementwise_kernel_manual_unrollILi128ELi4EZNS0_15gpu_kernel_implINS0_12_GLOBAL__N_114CompareFunctorIlEEEEvRNS_18TensorIteratorBaseERKT_EUlibE_EEviT1_
		.amdhsa_group_segment_fixed_size 0
		.amdhsa_private_segment_fixed_size 0
		.amdhsa_kernarg_size 56
		.amdhsa_user_sgpr_count 6
		.amdhsa_user_sgpr_private_segment_buffer 1
		.amdhsa_user_sgpr_dispatch_ptr 0
		.amdhsa_user_sgpr_queue_ptr 0
		.amdhsa_user_sgpr_kernarg_segment_ptr 1
		.amdhsa_user_sgpr_dispatch_id 0
		.amdhsa_user_sgpr_flat_scratch_init 0
		.amdhsa_user_sgpr_private_segment_size 0
		.amdhsa_uses_dynamic_stack 0
		.amdhsa_system_sgpr_private_segment_wavefront_offset 0
		.amdhsa_system_sgpr_workgroup_id_x 1
		.amdhsa_system_sgpr_workgroup_id_y 0
		.amdhsa_system_sgpr_workgroup_id_z 0
		.amdhsa_system_sgpr_workgroup_info 0
		.amdhsa_system_vgpr_workitem_id 0
		.amdhsa_next_free_vgpr 13
		.amdhsa_next_free_sgpr 57
		.amdhsa_reserve_vcc 1
		.amdhsa_reserve_flat_scratch 0
		.amdhsa_float_round_mode_32 0
		.amdhsa_float_round_mode_16_64 0
		.amdhsa_float_denorm_mode_32 3
		.amdhsa_float_denorm_mode_16_64 3
		.amdhsa_dx10_clamp 1
		.amdhsa_ieee_mode 1
		.amdhsa_fp16_overflow 0
		.amdhsa_exception_fp_ieee_invalid_op 0
		.amdhsa_exception_fp_denorm_src 0
		.amdhsa_exception_fp_ieee_div_zero 0
		.amdhsa_exception_fp_ieee_overflow 0
		.amdhsa_exception_fp_ieee_underflow 0
		.amdhsa_exception_fp_ieee_inexact 0
		.amdhsa_exception_int_div_zero 0
	.end_amdhsa_kernel
	.section	.text._ZN2at6native32elementwise_kernel_manual_unrollILi128ELi4EZNS0_15gpu_kernel_implINS0_12_GLOBAL__N_114CompareFunctorIlEEEEvRNS_18TensorIteratorBaseERKT_EUlibE_EEviT1_,"axG",@progbits,_ZN2at6native32elementwise_kernel_manual_unrollILi128ELi4EZNS0_15gpu_kernel_implINS0_12_GLOBAL__N_114CompareFunctorIlEEEEvRNS_18TensorIteratorBaseERKT_EUlibE_EEviT1_,comdat
.Lfunc_end62:
	.size	_ZN2at6native32elementwise_kernel_manual_unrollILi128ELi4EZNS0_15gpu_kernel_implINS0_12_GLOBAL__N_114CompareFunctorIlEEEEvRNS_18TensorIteratorBaseERKT_EUlibE_EEviT1_, .Lfunc_end62-_ZN2at6native32elementwise_kernel_manual_unrollILi128ELi4EZNS0_15gpu_kernel_implINS0_12_GLOBAL__N_114CompareFunctorIlEEEEvRNS_18TensorIteratorBaseERKT_EUlibE_EEviT1_
                                        ; -- End function
	.set _ZN2at6native32elementwise_kernel_manual_unrollILi128ELi4EZNS0_15gpu_kernel_implINS0_12_GLOBAL__N_114CompareFunctorIlEEEEvRNS_18TensorIteratorBaseERKT_EUlibE_EEviT1_.num_vgpr, 13
	.set _ZN2at6native32elementwise_kernel_manual_unrollILi128ELi4EZNS0_15gpu_kernel_implINS0_12_GLOBAL__N_114CompareFunctorIlEEEEvRNS_18TensorIteratorBaseERKT_EUlibE_EEviT1_.num_agpr, 0
	.set _ZN2at6native32elementwise_kernel_manual_unrollILi128ELi4EZNS0_15gpu_kernel_implINS0_12_GLOBAL__N_114CompareFunctorIlEEEEvRNS_18TensorIteratorBaseERKT_EUlibE_EEviT1_.numbered_sgpr, 57
	.set _ZN2at6native32elementwise_kernel_manual_unrollILi128ELi4EZNS0_15gpu_kernel_implINS0_12_GLOBAL__N_114CompareFunctorIlEEEEvRNS_18TensorIteratorBaseERKT_EUlibE_EEviT1_.num_named_barrier, 0
	.set _ZN2at6native32elementwise_kernel_manual_unrollILi128ELi4EZNS0_15gpu_kernel_implINS0_12_GLOBAL__N_114CompareFunctorIlEEEEvRNS_18TensorIteratorBaseERKT_EUlibE_EEviT1_.private_seg_size, 0
	.set _ZN2at6native32elementwise_kernel_manual_unrollILi128ELi4EZNS0_15gpu_kernel_implINS0_12_GLOBAL__N_114CompareFunctorIlEEEEvRNS_18TensorIteratorBaseERKT_EUlibE_EEviT1_.uses_vcc, 1
	.set _ZN2at6native32elementwise_kernel_manual_unrollILi128ELi4EZNS0_15gpu_kernel_implINS0_12_GLOBAL__N_114CompareFunctorIlEEEEvRNS_18TensorIteratorBaseERKT_EUlibE_EEviT1_.uses_flat_scratch, 0
	.set _ZN2at6native32elementwise_kernel_manual_unrollILi128ELi4EZNS0_15gpu_kernel_implINS0_12_GLOBAL__N_114CompareFunctorIlEEEEvRNS_18TensorIteratorBaseERKT_EUlibE_EEviT1_.has_dyn_sized_stack, 0
	.set _ZN2at6native32elementwise_kernel_manual_unrollILi128ELi4EZNS0_15gpu_kernel_implINS0_12_GLOBAL__N_114CompareFunctorIlEEEEvRNS_18TensorIteratorBaseERKT_EUlibE_EEviT1_.has_recursion, 0
	.set _ZN2at6native32elementwise_kernel_manual_unrollILi128ELi4EZNS0_15gpu_kernel_implINS0_12_GLOBAL__N_114CompareFunctorIlEEEEvRNS_18TensorIteratorBaseERKT_EUlibE_EEviT1_.has_indirect_call, 0
	.section	.AMDGPU.csdata,"",@progbits
; Kernel info:
; codeLenInByte = 56520
; TotalNumSgprs: 61
; NumVgprs: 13
; ScratchSize: 0
; MemoryBound: 1
; FloatMode: 240
; IeeeMode: 1
; LDSByteSize: 0 bytes/workgroup (compile time only)
; SGPRBlocks: 7
; VGPRBlocks: 3
; NumSGPRsForWavesPerEU: 61
; NumVGPRsForWavesPerEU: 13
; Occupancy: 10
; WaveLimiterHint : 0
; COMPUTE_PGM_RSRC2:SCRATCH_EN: 0
; COMPUTE_PGM_RSRC2:USER_SGPR: 6
; COMPUTE_PGM_RSRC2:TRAP_HANDLER: 0
; COMPUTE_PGM_RSRC2:TGID_X_EN: 1
; COMPUTE_PGM_RSRC2:TGID_Y_EN: 0
; COMPUTE_PGM_RSRC2:TGID_Z_EN: 0
; COMPUTE_PGM_RSRC2:TIDIG_COMP_CNT: 0
	.section	.text._ZN2at6native32elementwise_kernel_manual_unrollILi128ELi4EZNS0_15gpu_kernel_implINS0_12_GLOBAL__N_114CompareFunctorIlEEEEvRNS_18TensorIteratorBaseERKT_EUlibE0_EEviT1_,"axG",@progbits,_ZN2at6native32elementwise_kernel_manual_unrollILi128ELi4EZNS0_15gpu_kernel_implINS0_12_GLOBAL__N_114CompareFunctorIlEEEEvRNS_18TensorIteratorBaseERKT_EUlibE0_EEviT1_,comdat
	.globl	_ZN2at6native32elementwise_kernel_manual_unrollILi128ELi4EZNS0_15gpu_kernel_implINS0_12_GLOBAL__N_114CompareFunctorIlEEEEvRNS_18TensorIteratorBaseERKT_EUlibE0_EEviT1_ ; -- Begin function _ZN2at6native32elementwise_kernel_manual_unrollILi128ELi4EZNS0_15gpu_kernel_implINS0_12_GLOBAL__N_114CompareFunctorIlEEEEvRNS_18TensorIteratorBaseERKT_EUlibE0_EEviT1_
	.p2align	8
	.type	_ZN2at6native32elementwise_kernel_manual_unrollILi128ELi4EZNS0_15gpu_kernel_implINS0_12_GLOBAL__N_114CompareFunctorIlEEEEvRNS_18TensorIteratorBaseERKT_EUlibE0_EEviT1_,@function
_ZN2at6native32elementwise_kernel_manual_unrollILi128ELi4EZNS0_15gpu_kernel_implINS0_12_GLOBAL__N_114CompareFunctorIlEEEEvRNS_18TensorIteratorBaseERKT_EUlibE0_EEviT1_: ; @_ZN2at6native32elementwise_kernel_manual_unrollILi128ELi4EZNS0_15gpu_kernel_implINS0_12_GLOBAL__N_114CompareFunctorIlEEEEvRNS_18TensorIteratorBaseERKT_EUlibE0_EEviT1_
; %bb.0:
	s_load_dword s68, s[4:5], 0x0
	s_load_dword s33, s[4:5], 0x8
	s_add_u32 s2, s4, 8
	s_addc_u32 s3, s5, 0
	v_lshl_or_b32 v8, s6, 9, v0
	v_or_b32_e32 v23, 0x180, v8
	s_waitcnt lgkmcnt(0)
	s_add_i32 s70, s33, -1
	s_cmp_gt_u32 s70, 1
	v_cmp_le_i32_e32 vcc, s68, v23
	s_cselect_b64 s[24:25], -1, 0
	s_mov_b64 s[6:7], 0
	s_mov_b64 s[12:13], 0
	s_and_saveexec_b64 s[0:1], vcc
	s_xor_b64 s[26:27], exec, s[0:1]
	s_cbranch_execz .LBB63_1623
; %bb.1:
	s_cmp_lg_u32 s33, 0
	s_load_dwordx4 s[16:19], s[2:3], 0x4
	s_load_dwordx2 s[30:31], s[2:3], 0x14
	s_load_dwordx8 s[8:15], s[2:3], 0x188
	s_load_dwordx4 s[20:23], s[2:3], 0xc4
	s_load_dwordx2 s[28:29], s[2:3], 0xd4
	s_cselect_b64 s[36:37], -1, 0
	s_min_u32 s73, s70, 15
	s_cmp_gt_u32 s33, 1
	s_cselect_b64 s[34:35], -1, 0
	s_waitcnt lgkmcnt(0)
	s_lshr_b32 s72, s15, 8
	s_lshr_b32 s71, s15, 16
	v_cmp_gt_i32_e32 vcc, s68, v8
	s_mov_b64 s[0:1], -1
	s_mov_b64 s[48:49], 0
	s_mov_b64 s[42:43], 0
	;; [unrolled: 1-line block ×4, first 2 shown]
	s_and_saveexec_b64 s[44:45], vcc
	s_cbranch_execz .LBB63_402
; %bb.2:
	s_andn2_b64 vcc, exec, s[24:25]
	s_cbranch_vccnz .LBB63_8
; %bb.3:
	s_andn2_b64 vcc, exec, s[36:37]
	s_cbranch_vccnz .LBB63_9
; %bb.4:
	s_add_i32 s0, s73, 1
	s_and_b32 s38, s0, 30
	s_add_u32 s0, s2, 0xffffffe8
	s_addc_u32 s1, s3, -1
	v_mov_b32_e32 v3, 0
	v_mov_b32_e32 v5, 0
	;; [unrolled: 1-line block ×4, first 2 shown]
.LBB63_5:                               ; =>This Inner Loop Header: Depth=1
	s_load_dwordx4 s[40:43], s[0:1], 0x1c
	s_load_dwordx2 s[46:47], s[0:1], 0x2c
	s_load_dwordx2 s[50:51], s[0:1], 0xec
	s_load_dwordx4 s[52:55], s[0:1], 0xdc
	s_add_u32 s0, s0, 24
	s_waitcnt lgkmcnt(0)
	v_mul_hi_u32 v2, s41, v1
	s_addc_u32 s1, s1, 0
	s_add_i32 s38, s38, -2
	s_cmp_lg_u32 s38, 0
	v_add_u32_e32 v2, v1, v2
	v_lshrrev_b32_e32 v2, s42, v2
	v_mul_lo_u32 v4, v2, s40
	v_mul_hi_u32 v6, s46, v2
	v_sub_u32_e32 v4, v1, v4
	v_add_u32_e32 v1, v2, v6
	v_lshrrev_b32_e32 v1, s47, v1
	v_mul_lo_u32 v9, v1, s43
	v_mul_lo_u32 v6, v4, s52
	;; [unrolled: 1-line block ×4, first 2 shown]
	v_sub_u32_e32 v2, v2, v9
	v_mul_lo_u32 v9, v2, s55
	v_mul_lo_u32 v10, v2, s50
	;; [unrolled: 1-line block ×3, first 2 shown]
	v_add3_u32 v0, v6, v0, v9
	v_add3_u32 v5, v7, v5, v10
	;; [unrolled: 1-line block ×3, first 2 shown]
	s_cbranch_scc1 .LBB63_5
; %bb.6:
	s_bitcmp1_b32 s73, 0
	s_cselect_b64 s[38:39], -1, 0
	s_and_b64 vcc, exec, s[38:39]
	s_cbranch_vccnz .LBB63_10
; %bb.7:
	s_load_dwordx2 s[38:39], s[0:1], 0x1c
	s_load_dword s42, s[0:1], 0x24
	s_load_dwordx2 s[40:41], s[0:1], 0xdc
	s_waitcnt lgkmcnt(0)
	v_mul_hi_u32 v2, s39, v1
	v_add_u32_e32 v2, v1, v2
	v_lshrrev_b32_e32 v2, s42, v2
	v_mul_lo_u32 v2, v2, s38
	s_load_dword s38, s[0:1], 0xe4
	v_sub_u32_e32 v2, v1, v2
	v_mad_u64_u32 v[0:1], s[0:1], v2, s40, v[0:1]
	v_mad_u64_u32 v[5:6], s[0:1], v2, s41, v[5:6]
	s_waitcnt lgkmcnt(0)
	v_mad_u64_u32 v[3:4], s[0:1], v2, s38, v[3:4]
	s_cbranch_execz .LBB63_11
	s_branch .LBB63_13
.LBB63_8:
                                        ; implicit-def: $vgpr0
                                        ; implicit-def: $vgpr5
                                        ; implicit-def: $vgpr3
	s_andn2_b64 vcc, exec, s[0:1]
	s_cbranch_vccz .LBB63_11
	s_branch .LBB63_13
.LBB63_9:
	v_mov_b32_e32 v0, 0
	v_mov_b32_e32 v5, 0
	;; [unrolled: 1-line block ×3, first 2 shown]
.LBB63_10:
	s_cbranch_execnz .LBB63_13
.LBB63_11:
	v_mul_hi_u32 v0, s17, v8
	s_andn2_b64 vcc, exec, s[34:35]
	v_add_u32_e32 v0, v8, v0
	v_lshrrev_b32_e32 v1, s18, v0
	v_mul_lo_u32 v0, v1, s16
	v_sub_u32_e32 v2, v8, v0
	v_mul_lo_u32 v0, v2, s20
	v_mul_lo_u32 v5, v2, s21
	;; [unrolled: 1-line block ×3, first 2 shown]
	s_cbranch_vccnz .LBB63_13
; %bb.12:
	v_mul_hi_u32 v2, s30, v1
	v_add_u32_e32 v2, v1, v2
	v_lshrrev_b32_e32 v2, s31, v2
	v_mul_lo_u32 v2, v2, s19
	v_sub_u32_e32 v2, v1, v2
	v_mad_u64_u32 v[0:1], s[0:1], v2, s23, v[0:1]
	v_mad_u64_u32 v[5:6], s[0:1], v2, s28, v[5:6]
	;; [unrolled: 1-line block ×3, first 2 shown]
.LBB63_13:
	v_mov_b32_e32 v1, s11
	s_and_b32 s40, s72, 0xff
	v_add_co_u32_e32 v4, vcc, s10, v5
	s_cmp_lt_i32 s40, 11
	v_addc_co_u32_e32 v5, vcc, 0, v1, vcc
	s_cbranch_scc1 .LBB63_20
; %bb.14:
	s_and_b32 s41, 0xffff, s40
	s_cmp_gt_i32 s41, 25
	s_cbranch_scc0 .LBB63_29
; %bb.15:
	s_cmp_gt_i32 s41, 28
	s_cbranch_scc0 .LBB63_36
; %bb.16:
	;; [unrolled: 3-line block ×4, first 2 shown]
	s_cmp_eq_u32 s41, 46
	s_mov_b64 s[38:39], 0
	s_cbranch_scc0 .LBB63_64
; %bb.19:
	global_load_dword v1, v[4:5], off
	s_mov_b32 s0, 0x2f800000
	s_mov_b32 s1, 0xcf800000
	s_mov_b64 s[42:43], 0
	s_waitcnt vmcnt(0)
	v_lshlrev_b32_e32 v1, 16, v1
	v_trunc_f32_e32 v1, v1
	v_mul_f32_e64 v2, |v1|, s0
	v_floor_f32_e32 v2, v2
	v_fma_f32 v6, v2, s1, |v1|
	v_cvt_u32_f32_e32 v6, v6
	v_cvt_u32_f32_e32 v2, v2
	v_ashrrev_i32_e32 v7, 31, v1
	s_mov_b64 s[0:1], -1
	v_xor_b32_e32 v1, v6, v7
	v_xor_b32_e32 v2, v2, v7
	v_sub_co_u32_e32 v1, vcc, v1, v7
	v_subb_co_u32_e32 v2, vcc, v2, v7, vcc
	s_branch .LBB63_66
.LBB63_20:
	s_mov_b64 s[42:43], 0
                                        ; implicit-def: $vgpr1_vgpr2
	s_mov_b64 s[0:1], 0
	s_cbranch_execnz .LBB63_128
.LBB63_21:
	s_andn2_b64 vcc, exec, s[0:1]
	s_cbranch_vccnz .LBB63_175
.LBB63_22:
	v_mov_b32_e32 v4, s13
	s_and_b32 s46, s71, 0xff
	v_add_co_u32_e32 v3, vcc, s12, v3
	s_cmp_lt_i32 s46, 11
	v_addc_co_u32_e32 v4, vcc, 0, v4, vcc
	s_cbranch_scc1 .LBB63_30
; %bb.23:
	s_and_b32 s47, 0xffff, s46
	s_cmp_gt_i32 s47, 25
	s_cbranch_scc0 .LBB63_37
; %bb.24:
	s_cmp_gt_i32 s47, 28
	s_cbranch_scc0 .LBB63_42
; %bb.25:
	;; [unrolled: 3-line block ×4, first 2 shown]
	s_cmp_eq_u32 s47, 46
	s_mov_b64 s[38:39], 0
	s_cbranch_scc0 .LBB63_176
; %bb.28:
	global_load_dword v5, v[3:4], off
	s_mov_b32 s0, 0x2f800000
	s_mov_b32 s1, 0xcf800000
	s_mov_b64 s[40:41], 0
	s_waitcnt vmcnt(0)
	v_lshlrev_b32_e32 v5, 16, v5
	v_trunc_f32_e32 v5, v5
	v_mul_f32_e64 v6, |v5|, s0
	v_floor_f32_e32 v6, v6
	v_fma_f32 v7, v6, s1, |v5|
	v_cvt_u32_f32_e32 v7, v7
	v_cvt_u32_f32_e32 v6, v6
	v_ashrrev_i32_e32 v9, 31, v5
	s_mov_b64 s[0:1], -1
	v_xor_b32_e32 v5, v7, v9
	v_xor_b32_e32 v6, v6, v9
	v_sub_co_u32_e32 v5, vcc, v5, v9
	v_subb_co_u32_e32 v6, vcc, v6, v9, vcc
	s_branch .LBB63_178
.LBB63_29:
	s_mov_b64 s[42:43], 0
	s_mov_b64 s[0:1], 0
                                        ; implicit-def: $vgpr1_vgpr2
	s_cbranch_execnz .LBB63_97
	s_branch .LBB63_127
.LBB63_30:
	s_mov_b64 s[40:41], 0
                                        ; implicit-def: $vgpr5_vgpr6
	s_mov_b64 s[0:1], 0
	s_cbranch_execnz .LBB63_351
.LBB63_31:
	s_andn2_b64 vcc, exec, s[0:1]
	s_cbranch_vccnz .LBB63_399
.LBB63_32:
	s_cmp_lt_i32 s14, 1
	s_mov_b64 s[0:1], 0
	s_cbranch_scc1 .LBB63_38
; %bb.33:
	s_cmp_gt_i32 s14, 1
	s_cbranch_scc0 .LBB63_43
; %bb.34:
	s_cmp_eq_u32 s14, 2
	s_cbranch_scc0 .LBB63_46
; %bb.35:
	s_waitcnt vmcnt(0)
	v_cmp_le_i64_e64 s[38:39], v[1:2], v[5:6]
	s_mov_b64 s[46:47], 0
	s_branch .LBB63_47
.LBB63_36:
	s_mov_b64 s[38:39], -1
	s_mov_b64 s[42:43], 0
	s_mov_b64 s[0:1], 0
                                        ; implicit-def: $vgpr1_vgpr2
	s_branch .LBB63_78
.LBB63_37:
	s_mov_b64 s[38:39], -1
	s_mov_b64 s[40:41], 0
	s_mov_b64 s[0:1], 0
                                        ; implicit-def: $vgpr5_vgpr6
	s_branch .LBB63_319
.LBB63_38:
                                        ; implicit-def: $sgpr38_sgpr39
	s_mov_b64 s[46:47], 0
	s_cbranch_execnz .LBB63_51
.LBB63_39:
	s_andn2_b64 vcc, exec, s[46:47]
	s_cbranch_vccnz .LBB63_52
.LBB63_40:
	s_waitcnt vmcnt(0)
	v_cmp_lt_i64_e32 vcc, v[1:2], v[5:6]
	s_andn2_b64 s[38:39], s[38:39], exec
	s_and_b64 s[46:47], vcc, exec
	s_or_b64 s[38:39], s[38:39], s[46:47]
	s_cbranch_execz .LBB63_53
	s_branch .LBB63_54
.LBB63_41:
	s_mov_b64 s[38:39], -1
	s_mov_b64 s[42:43], 0
	s_mov_b64 s[0:1], 0
                                        ; implicit-def: $vgpr1_vgpr2
	s_branch .LBB63_73
.LBB63_42:
	s_mov_b64 s[38:39], -1
	s_mov_b64 s[40:41], 0
	s_mov_b64 s[0:1], 0
                                        ; implicit-def: $vgpr5_vgpr6
	s_branch .LBB63_300
.LBB63_43:
	s_mov_b64 s[50:51], -1
	s_mov_b64 s[46:47], 0
                                        ; implicit-def: $sgpr38_sgpr39
	s_branch .LBB63_48
.LBB63_44:
	s_mov_b64 s[38:39], -1
	s_mov_b64 s[42:43], 0
	s_branch .LBB63_65
.LBB63_45:
	s_mov_b64 s[38:39], -1
	s_mov_b64 s[40:41], 0
	s_mov_b64 s[0:1], 0
                                        ; implicit-def: $vgpr5_vgpr6
	s_branch .LBB63_295
.LBB63_46:
	s_mov_b64 s[46:47], -1
                                        ; implicit-def: $sgpr38_sgpr39
.LBB63_47:
	s_mov_b64 s[50:51], 0
.LBB63_48:
	s_and_b64 vcc, exec, s[50:51]
	s_cbranch_vccz .LBB63_50
; %bb.49:
	s_waitcnt vmcnt(0)
	v_cmp_gt_i64_e32 vcc, v[1:2], v[5:6]
	s_andn2_b64 s[38:39], s[38:39], exec
	s_and_b64 s[50:51], vcc, exec
	s_or_b64 s[38:39], s[38:39], s[50:51]
.LBB63_50:
	s_branch .LBB63_39
.LBB63_51:
	s_cmp_lg_u32 s14, 0
	s_mov_b64 s[0:1], -1
	s_cselect_b64 s[46:47], -1, 0
	s_andn2_b64 vcc, exec, s[46:47]
	s_cbranch_vccz .LBB63_40
.LBB63_52:
	s_andn2_b64 vcc, exec, s[0:1]
	s_cbranch_vccnz .LBB63_54
.LBB63_53:
	s_waitcnt vmcnt(0)
	v_cmp_ge_i64_e32 vcc, v[1:2], v[5:6]
	s_andn2_b64 s[0:1], s[38:39], exec
	s_and_b64 s[38:39], vcc, exec
	s_or_b64 s[38:39], s[0:1], s[38:39]
.LBB63_54:
	s_waitcnt vmcnt(0)
	v_mov_b32_e32 v1, s9
	s_and_b32 s54, s15, 0xff
	v_add_co_u32_e32 v0, vcc, s8, v0
	s_cmp_lt_i32 s54, 11
	v_addc_co_u32_e32 v1, vcc, 0, v1, vcc
	s_cbranch_scc1 .LBB63_61
; %bb.55:
	s_and_b32 s55, 0xffff, s54
	s_cmp_gt_i32 s55, 25
	s_cbranch_scc0 .LBB63_62
; %bb.56:
	s_cmp_gt_i32 s55, 28
	s_cbranch_scc0 .LBB63_63
; %bb.57:
	;; [unrolled: 3-line block ×4, first 2 shown]
	s_mov_b64 s[50:51], 0
	s_mov_b64 s[0:1], -1
	s_cmp_eq_u32 s55, 46
	s_mov_b64 s[46:47], 0
	s_cbranch_scc0 .LBB63_182
; %bb.60:
	v_cndmask_b32_e64 v2, 0, 1.0, s[38:39]
	v_bfe_u32 v3, v2, 16, 1
	s_movk_i32 s0, 0x7fff
	v_add3_u32 v2, v2, v3, s0
	v_lshrrev_b32_e32 v2, 16, v2
	global_store_dword v[0:1], v2, off
	s_mov_b64 s[46:47], -1
	s_mov_b64 s[0:1], 0
	s_branch .LBB63_182
.LBB63_61:
	s_mov_b64 s[50:51], -1
	s_mov_b64 s[0:1], 0
	s_mov_b64 s[46:47], 0
	s_branch .LBB63_251
.LBB63_62:
	s_mov_b64 s[50:51], -1
	s_mov_b64 s[0:1], 0
	s_mov_b64 s[46:47], 0
	s_branch .LBB63_209
.LBB63_63:
	s_mov_b64 s[50:51], -1
	s_mov_b64 s[0:1], 0
	s_mov_b64 s[46:47], 0
	s_branch .LBB63_192
.LBB63_64:
	s_mov_b64 s[42:43], -1
.LBB63_65:
	s_mov_b64 s[0:1], 0
                                        ; implicit-def: $vgpr1_vgpr2
.LBB63_66:
	s_and_b64 vcc, exec, s[38:39]
	s_cbranch_vccz .LBB63_72
; %bb.67:
	s_cmp_eq_u32 s41, 44
	s_cbranch_scc0 .LBB63_71
; %bb.68:
	global_load_ubyte v1, v[4:5], off
	s_mov_b32 s0, 0x2f800000
	s_mov_b32 s1, 0xcf800000
	s_mov_b64 s[42:43], 0
	s_waitcnt vmcnt(0)
	v_lshlrev_b32_e32 v2, 23, v1
	v_trunc_f32_e32 v2, v2
	v_mul_f32_e64 v6, |v2|, s0
	v_floor_f32_e32 v6, v6
	v_fma_f32 v7, v6, s1, |v2|
	v_cvt_u32_f32_e32 v7, v7
	v_cvt_u32_f32_e32 v6, v6
	v_ashrrev_i32_e32 v2, 31, v2
	s_mov_b64 s[0:1], -1
	v_xor_b32_e32 v7, v7, v2
	v_xor_b32_e32 v6, v6, v2
	v_sub_co_u32_e32 v7, vcc, v7, v2
	v_subb_co_u32_e32 v2, vcc, v6, v2, vcc
	v_cmp_ne_u32_e32 vcc, 0, v1
	v_cndmask_b32_e32 v2, 0, v2, vcc
	v_cndmask_b32_e32 v1, 0, v7, vcc
	s_branch .LBB63_72
.LBB63_69:
	s_mov_b64 s[38:39], -1
	s_mov_b64 s[40:41], 0
	s_branch .LBB63_177
.LBB63_70:
	s_mov_b64 s[50:51], -1
	s_mov_b64 s[0:1], 0
	s_mov_b64 s[46:47], 0
	s_branch .LBB63_188
.LBB63_71:
	s_mov_b64 s[42:43], -1
                                        ; implicit-def: $vgpr1_vgpr2
.LBB63_72:
	s_mov_b64 s[38:39], 0
.LBB63_73:
	s_and_b64 vcc, exec, s[38:39]
	s_cbranch_vccz .LBB63_77
; %bb.74:
	s_cmp_eq_u32 s41, 29
	s_cbranch_scc0 .LBB63_76
; %bb.75:
	global_load_dwordx2 v[1:2], v[4:5], off
	s_mov_b64 s[0:1], -1
	s_mov_b64 s[42:43], 0
	s_branch .LBB63_77
.LBB63_76:
	s_mov_b64 s[42:43], -1
                                        ; implicit-def: $vgpr1_vgpr2
.LBB63_77:
	s_mov_b64 s[38:39], 0
.LBB63_78:
	s_and_b64 vcc, exec, s[38:39]
	s_cbranch_vccz .LBB63_96
; %bb.79:
	s_cmp_lt_i32 s41, 27
	s_cbranch_scc1 .LBB63_82
; %bb.80:
	s_cmp_gt_i32 s41, 27
	s_cbranch_scc0 .LBB63_83
; %bb.81:
	global_load_dword v1, v[4:5], off
	s_waitcnt vmcnt(1)
	v_mov_b32_e32 v2, 0
	s_mov_b64 s[0:1], 0
	s_branch .LBB63_84
.LBB63_82:
	s_mov_b64 s[0:1], -1
                                        ; implicit-def: $vgpr1_vgpr2
	s_branch .LBB63_87
.LBB63_83:
	s_mov_b64 s[0:1], -1
                                        ; implicit-def: $vgpr1_vgpr2
.LBB63_84:
	s_andn2_b64 vcc, exec, s[0:1]
	s_cbranch_vccnz .LBB63_86
; %bb.85:
	global_load_ushort v1, v[4:5], off
	s_mov_b32 s0, 0
	s_waitcnt vmcnt(1)
	v_mov_b32_e32 v2, s0
	s_waitcnt vmcnt(0)
	v_and_b32_e32 v1, 0xffff, v1
.LBB63_86:
	s_mov_b64 s[0:1], 0
.LBB63_87:
	s_andn2_b64 vcc, exec, s[0:1]
	s_cbranch_vccnz .LBB63_95
; %bb.88:
	global_load_ubyte v6, v[4:5], off
	s_movk_i32 s0, 0x7f
	s_mov_b64 s[38:39], 0
	s_waitcnt vmcnt(0)
	v_cmp_lt_i16_e32 vcc, s0, v6
	s_and_saveexec_b64 s[0:1], vcc
	s_xor_b64 s[0:1], exec, s[0:1]
; %bb.89:
	s_movk_i32 s38, 0x80
	v_cmp_ne_u16_e32 vcc, s38, v6
	s_and_b64 s[38:39], vcc, exec
; %bb.90:
	s_andn2_saveexec_b64 s[0:1], s[0:1]
; %bb.91:
	v_cmp_ne_u16_e32 vcc, 0, v6
	s_andn2_b64 s[38:39], s[38:39], exec
	s_and_b64 s[46:47], vcc, exec
	s_or_b64 s[38:39], s[38:39], s[46:47]
; %bb.92:
	s_or_b64 exec, exec, s[0:1]
	v_mov_b32_e32 v1, 0
	v_mov_b32_e32 v2, 0
	s_and_saveexec_b64 s[0:1], s[38:39]
	s_cbranch_execz .LBB63_94
; %bb.93:
	v_and_b32_e32 v2, 0xffff, v6
	v_lshlrev_b32_e32 v1, 24, v6
	v_and_b32_e32 v6, 7, v2
	v_ffbh_u32_e32 v9, v6
	v_min_u32_e32 v9, 32, v9
	v_subrev_u32_e32 v10, 28, v9
	v_bfe_u32 v7, v2, 3, 4
	v_lshlrev_b32_e32 v2, v10, v2
	v_sub_u32_e32 v9, 29, v9
	v_and_b32_e32 v2, 7, v2
	v_cmp_eq_u32_e32 vcc, 0, v7
	v_cndmask_b32_e32 v7, v7, v9, vcc
	v_cndmask_b32_e32 v2, v6, v2, vcc
	v_mov_b32_e32 v6, 0x3b800000
	v_lshlrev_b32_e32 v2, 20, v2
	v_and_b32_e32 v1, 0x80000000, v1
	v_lshl_add_u32 v6, v7, 23, v6
	v_or3_b32 v1, v1, v6, v2
	v_trunc_f32_e32 v1, v1
	s_mov_b32 s38, 0x2f800000
	v_mul_f32_e64 v2, |v1|, s38
	v_floor_f32_e32 v2, v2
	s_mov_b32 s38, 0xcf800000
	v_fma_f32 v6, v2, s38, |v1|
	v_cvt_u32_f32_e32 v6, v6
	v_cvt_u32_f32_e32 v2, v2
	v_ashrrev_i32_e32 v7, 31, v1
	v_xor_b32_e32 v1, v6, v7
	v_xor_b32_e32 v2, v2, v7
	v_sub_co_u32_e32 v1, vcc, v1, v7
	v_subb_co_u32_e32 v2, vcc, v2, v7, vcc
.LBB63_94:
	s_or_b64 exec, exec, s[0:1]
.LBB63_95:
	s_mov_b64 s[0:1], -1
.LBB63_96:
	s_branch .LBB63_127
.LBB63_97:
	s_cmp_gt_i32 s41, 22
	s_cbranch_scc0 .LBB63_107
; %bb.98:
	s_cmp_lt_i32 s41, 24
	s_cbranch_scc1 .LBB63_108
; %bb.99:
	s_cmp_gt_i32 s41, 24
	s_cbranch_scc0 .LBB63_109
; %bb.100:
	global_load_ubyte v6, v[4:5], off
	s_movk_i32 s0, 0x7f
	s_mov_b64 s[38:39], 0
	s_waitcnt vmcnt(0)
	v_cmp_lt_i16_e32 vcc, s0, v6
	s_and_saveexec_b64 s[0:1], vcc
	s_xor_b64 s[0:1], exec, s[0:1]
; %bb.101:
	s_movk_i32 s38, 0x80
	v_cmp_ne_u16_e32 vcc, s38, v6
	s_and_b64 s[38:39], vcc, exec
; %bb.102:
	s_andn2_saveexec_b64 s[0:1], s[0:1]
; %bb.103:
	v_cmp_ne_u16_e32 vcc, 0, v6
	s_andn2_b64 s[38:39], s[38:39], exec
	s_and_b64 s[46:47], vcc, exec
	s_or_b64 s[38:39], s[38:39], s[46:47]
; %bb.104:
	s_or_b64 exec, exec, s[0:1]
	v_mov_b32_e32 v1, 0
	v_mov_b32_e32 v2, 0
	s_and_saveexec_b64 s[0:1], s[38:39]
	s_cbranch_execz .LBB63_106
; %bb.105:
	v_and_b32_e32 v2, 0xffff, v6
	v_lshlrev_b32_e32 v1, 24, v6
	v_and_b32_e32 v6, 3, v2
	v_ffbh_u32_e32 v9, v6
	v_min_u32_e32 v9, 32, v9
	v_subrev_u32_e32 v10, 29, v9
	v_bfe_u32 v7, v2, 2, 5
	v_lshlrev_b32_e32 v2, v10, v2
	v_sub_u32_e32 v9, 30, v9
	v_and_b32_e32 v2, 3, v2
	v_cmp_eq_u32_e32 vcc, 0, v7
	v_cndmask_b32_e32 v7, v7, v9, vcc
	v_cndmask_b32_e32 v2, v6, v2, vcc
	v_mov_b32_e32 v6, 0x37800000
	v_lshlrev_b32_e32 v2, 21, v2
	v_and_b32_e32 v1, 0x80000000, v1
	v_lshl_add_u32 v6, v7, 23, v6
	v_or3_b32 v1, v1, v6, v2
	v_trunc_f32_e32 v1, v1
	s_mov_b32 s38, 0x2f800000
	v_mul_f32_e64 v2, |v1|, s38
	v_floor_f32_e32 v2, v2
	s_mov_b32 s38, 0xcf800000
	v_fma_f32 v6, v2, s38, |v1|
	v_cvt_u32_f32_e32 v6, v6
	v_cvt_u32_f32_e32 v2, v2
	v_ashrrev_i32_e32 v7, 31, v1
	v_xor_b32_e32 v1, v6, v7
	v_xor_b32_e32 v2, v2, v7
	v_sub_co_u32_e32 v1, vcc, v1, v7
	v_subb_co_u32_e32 v2, vcc, v2, v7, vcc
.LBB63_106:
	s_or_b64 exec, exec, s[0:1]
	s_mov_b64 s[0:1], 0
	s_branch .LBB63_110
.LBB63_107:
	s_mov_b64 s[38:39], -1
                                        ; implicit-def: $vgpr1_vgpr2
	s_branch .LBB63_116
.LBB63_108:
	s_mov_b64 s[0:1], -1
                                        ; implicit-def: $vgpr1_vgpr2
	s_branch .LBB63_113
.LBB63_109:
	s_mov_b64 s[0:1], -1
                                        ; implicit-def: $vgpr1_vgpr2
.LBB63_110:
	s_and_b64 vcc, exec, s[0:1]
	s_cbranch_vccz .LBB63_112
; %bb.111:
	global_load_ubyte v1, v[4:5], off
	s_mov_b32 s0, 0x7f800000
	s_brev_b32 s1, 1
	s_mov_b32 s38, 0x2f800000
	s_mov_b32 s39, 0xcf800000
	s_waitcnt vmcnt(0)
	v_lshlrev_b32_e32 v1, 24, v1
	v_and_b32_e32 v2, 0x7f000000, v1
	v_ffbh_u32_e32 v6, v2
	v_min_u32_e32 v6, 32, v6
	v_sub_u32_e64 v6, v6, 4 clamp
	v_lshlrev_b32_e32 v9, v6, v2
	v_lshlrev_b32_e32 v6, 23, v6
	v_lshrrev_b32_e32 v9, 4, v9
	v_add_u32_e32 v7, 0x1000000, v2
	v_sub_u32_e32 v6, v9, v6
	v_ashrrev_i32_e32 v7, 8, v7
	v_add_u32_e32 v6, 0x3c000000, v6
	v_and_or_b32 v6, v7, s0, v6
	v_cmp_ne_u32_e32 vcc, 0, v2
	v_cndmask_b32_e32 v2, 0, v6, vcc
	v_and_or_b32 v1, v1, s1, v2
	v_trunc_f32_e32 v1, v1
	v_mul_f32_e64 v2, |v1|, s38
	v_floor_f32_e32 v2, v2
	v_fma_f32 v6, v2, s39, |v1|
	v_cvt_u32_f32_e32 v6, v6
	v_cvt_u32_f32_e32 v2, v2
	v_ashrrev_i32_e32 v7, 31, v1
	v_xor_b32_e32 v1, v6, v7
	v_xor_b32_e32 v2, v2, v7
	v_sub_co_u32_e32 v1, vcc, v1, v7
	v_subb_co_u32_e32 v2, vcc, v2, v7, vcc
.LBB63_112:
	s_mov_b64 s[0:1], 0
.LBB63_113:
	s_andn2_b64 vcc, exec, s[0:1]
	s_cbranch_vccnz .LBB63_115
; %bb.114:
	global_load_ubyte v1, v[4:5], off
	s_movk_i32 s0, 0x7f00
	s_brev_b32 s1, 16
	s_brev_b32 s38, 1
	s_mov_b32 s39, 0x2f800000
	s_mov_b32 s46, 0xcf800000
	s_waitcnt vmcnt(0)
	v_lshlrev_b16_e32 v2, 8, v1
	v_lshlrev_b32_e32 v1, 25, v1
	v_lshrrev_b32_e32 v6, 4, v1
	v_and_or_b32 v7, v2, s0, 0.5
	v_or_b32_e32 v6, 0x70000000, v6
	v_add_f32_e32 v7, -0.5, v7
	v_mul_f32_e32 v6, 0x7800000, v6
	v_cmp_gt_u32_e32 vcc, s1, v1
	v_bfe_i32 v2, v2, 0, 16
	v_cndmask_b32_e32 v1, v6, v7, vcc
	v_and_or_b32 v1, v2, s38, v1
	v_trunc_f32_e32 v1, v1
	v_mul_f32_e64 v2, |v1|, s39
	v_floor_f32_e32 v2, v2
	v_fma_f32 v6, v2, s46, |v1|
	v_cvt_u32_f32_e32 v6, v6
	v_cvt_u32_f32_e32 v2, v2
	v_ashrrev_i32_e32 v7, 31, v1
	v_xor_b32_e32 v1, v6, v7
	v_xor_b32_e32 v2, v2, v7
	v_sub_co_u32_e32 v1, vcc, v1, v7
	v_subb_co_u32_e32 v2, vcc, v2, v7, vcc
.LBB63_115:
	s_mov_b64 s[38:39], 0
	s_mov_b64 s[0:1], -1
.LBB63_116:
	s_andn2_b64 vcc, exec, s[38:39]
	s_cbranch_vccnz .LBB63_127
; %bb.117:
	s_cmp_gt_i32 s41, 14
	s_cbranch_scc0 .LBB63_120
; %bb.118:
	s_cmp_eq_u32 s41, 15
	s_cbranch_scc0 .LBB63_121
; %bb.119:
	global_load_ushort v1, v[4:5], off
	s_mov_b32 s0, 0x2f800000
	s_mov_b32 s1, 0xcf800000
	s_mov_b64 s[42:43], 0
	s_waitcnt vmcnt(0)
	v_lshlrev_b32_e32 v1, 16, v1
	v_trunc_f32_e32 v1, v1
	v_mul_f32_e64 v2, |v1|, s0
	v_floor_f32_e32 v2, v2
	v_fma_f32 v6, v2, s1, |v1|
	v_cvt_u32_f32_e32 v6, v6
	v_cvt_u32_f32_e32 v2, v2
	v_ashrrev_i32_e32 v7, 31, v1
	s_mov_b64 s[0:1], -1
	v_xor_b32_e32 v1, v6, v7
	v_xor_b32_e32 v2, v2, v7
	v_sub_co_u32_e32 v1, vcc, v1, v7
	v_subb_co_u32_e32 v2, vcc, v2, v7, vcc
	s_branch .LBB63_122
.LBB63_120:
	s_mov_b64 s[38:39], -1
                                        ; implicit-def: $vgpr1_vgpr2
	s_branch .LBB63_123
.LBB63_121:
	s_mov_b64 s[42:43], -1
                                        ; implicit-def: $vgpr1_vgpr2
.LBB63_122:
	s_mov_b64 s[38:39], 0
.LBB63_123:
	s_and_b64 vcc, exec, s[38:39]
	s_cbranch_vccz .LBB63_127
; %bb.124:
	s_cmp_eq_u32 s41, 11
	s_cbranch_scc0 .LBB63_126
; %bb.125:
	global_load_ubyte v1, v[4:5], off
	s_mov_b32 s38, 0
	s_mov_b64 s[0:1], -1
	s_waitcnt vmcnt(1)
	v_mov_b32_e32 v2, s38
	s_mov_b64 s[42:43], 0
	s_waitcnt vmcnt(0)
	v_cmp_ne_u16_e32 vcc, 0, v1
	v_cndmask_b32_e64 v1, 0, 1, vcc
	s_branch .LBB63_127
.LBB63_126:
	s_mov_b64 s[42:43], -1
                                        ; implicit-def: $vgpr1_vgpr2
.LBB63_127:
	s_branch .LBB63_21
.LBB63_128:
	s_and_b32 s38, 0xffff, s40
	s_cmp_lt_i32 s38, 5
	s_cbranch_scc1 .LBB63_133
; %bb.129:
	s_cmp_lt_i32 s38, 8
	s_cbranch_scc1 .LBB63_134
; %bb.130:
	;; [unrolled: 3-line block ×3, first 2 shown]
	s_cmp_gt_i32 s38, 9
	s_cbranch_scc0 .LBB63_136
; %bb.132:
	global_load_dwordx2 v[1:2], v[4:5], off
	s_movk_i32 s0, 0xffe0
	s_waitcnt vmcnt(0)
	v_trunc_f64_e32 v[1:2], v[1:2]
	v_ldexp_f64 v[6:7], v[1:2], s0
	s_mov_b32 s0, 0
	s_mov_b32 s1, 0xc1f00000
	v_floor_f64_e32 v[6:7], v[6:7]
	v_fma_f64 v[9:10], v[6:7], s[0:1], v[1:2]
	v_cvt_i32_f64_e32 v2, v[6:7]
	s_mov_b64 s[0:1], 0
	v_cvt_u32_f64_e32 v1, v[9:10]
	s_branch .LBB63_137
.LBB63_133:
                                        ; implicit-def: $vgpr1_vgpr2
	s_branch .LBB63_155
.LBB63_134:
	s_mov_b64 s[0:1], -1
                                        ; implicit-def: $vgpr1_vgpr2
	s_branch .LBB63_143
.LBB63_135:
	s_mov_b64 s[0:1], -1
                                        ; implicit-def: $vgpr1_vgpr2
	s_branch .LBB63_140
.LBB63_136:
	s_mov_b64 s[0:1], -1
                                        ; implicit-def: $vgpr1_vgpr2
.LBB63_137:
	s_andn2_b64 vcc, exec, s[0:1]
	s_cbranch_vccnz .LBB63_139
; %bb.138:
	global_load_dword v1, v[4:5], off
	s_mov_b32 s0, 0x2f800000
	s_mov_b32 s1, 0xcf800000
	s_waitcnt vmcnt(0)
	v_trunc_f32_e32 v1, v1
	v_mul_f32_e64 v2, |v1|, s0
	v_floor_f32_e32 v2, v2
	v_cvt_u32_f32_e32 v6, v2
	v_fma_f32 v2, v2, s1, |v1|
	v_cvt_u32_f32_e32 v2, v2
	v_ashrrev_i32_e32 v7, 31, v1
	v_xor_b32_e32 v6, v6, v7
	v_xor_b32_e32 v1, v2, v7
	v_sub_co_u32_e32 v1, vcc, v1, v7
	v_subb_co_u32_e32 v2, vcc, v6, v7, vcc
.LBB63_139:
	s_mov_b64 s[0:1], 0
.LBB63_140:
	s_andn2_b64 vcc, exec, s[0:1]
	s_cbranch_vccnz .LBB63_142
; %bb.141:
	global_load_dword v1, v[4:5], off
	s_waitcnt vmcnt(0)
	v_cvt_f32_f16_e32 v1, v1
	v_cvt_i32_f32_e32 v1, v1
	v_ashrrev_i32_e32 v2, 31, v1
.LBB63_142:
	s_mov_b64 s[0:1], 0
.LBB63_143:
	s_andn2_b64 vcc, exec, s[0:1]
	s_cbranch_vccnz .LBB63_154
; %bb.144:
	s_cmp_lt_i32 s38, 6
	s_cbranch_scc1 .LBB63_147
; %bb.145:
	s_cmp_gt_i32 s38, 6
	s_cbranch_scc0 .LBB63_148
; %bb.146:
	global_load_dwordx2 v[1:2], v[4:5], off
	s_movk_i32 s0, 0xffe0
	s_waitcnt vmcnt(0)
	v_trunc_f64_e32 v[1:2], v[1:2]
	v_ldexp_f64 v[6:7], v[1:2], s0
	s_mov_b32 s0, 0
	s_mov_b32 s1, 0xc1f00000
	v_floor_f64_e32 v[6:7], v[6:7]
	v_fma_f64 v[9:10], v[6:7], s[0:1], v[1:2]
	v_cvt_i32_f64_e32 v2, v[6:7]
	s_mov_b64 s[0:1], 0
	v_cvt_u32_f64_e32 v1, v[9:10]
	s_branch .LBB63_149
.LBB63_147:
	s_mov_b64 s[0:1], -1
                                        ; implicit-def: $vgpr1_vgpr2
	s_branch .LBB63_152
.LBB63_148:
	s_mov_b64 s[0:1], -1
                                        ; implicit-def: $vgpr1_vgpr2
.LBB63_149:
	s_andn2_b64 vcc, exec, s[0:1]
	s_cbranch_vccnz .LBB63_151
; %bb.150:
	global_load_dword v1, v[4:5], off
	s_mov_b32 s0, 0x2f800000
	s_mov_b32 s1, 0xcf800000
	s_waitcnt vmcnt(0)
	v_trunc_f32_e32 v1, v1
	v_mul_f32_e64 v2, |v1|, s0
	v_floor_f32_e32 v2, v2
	v_cvt_u32_f32_e32 v6, v2
	v_fma_f32 v2, v2, s1, |v1|
	v_cvt_u32_f32_e32 v2, v2
	v_ashrrev_i32_e32 v7, 31, v1
	v_xor_b32_e32 v6, v6, v7
	v_xor_b32_e32 v1, v2, v7
	v_sub_co_u32_e32 v1, vcc, v1, v7
	v_subb_co_u32_e32 v2, vcc, v6, v7, vcc
.LBB63_151:
	s_mov_b64 s[0:1], 0
.LBB63_152:
	s_andn2_b64 vcc, exec, s[0:1]
	s_cbranch_vccnz .LBB63_154
; %bb.153:
	global_load_ushort v1, v[4:5], off
	s_waitcnt vmcnt(0)
	v_cvt_f32_f16_e32 v1, v1
	v_cvt_i32_f32_e32 v1, v1
	v_ashrrev_i32_e32 v2, 31, v1
.LBB63_154:
	s_cbranch_execnz .LBB63_174
.LBB63_155:
	s_cmp_lt_i32 s38, 2
	s_cbranch_scc1 .LBB63_159
; %bb.156:
	s_cmp_lt_i32 s38, 3
	s_cbranch_scc1 .LBB63_160
; %bb.157:
	s_cmp_gt_i32 s38, 3
	s_cbranch_scc0 .LBB63_161
; %bb.158:
	global_load_dwordx2 v[1:2], v[4:5], off
	s_mov_b64 s[0:1], 0
	s_branch .LBB63_162
.LBB63_159:
	s_mov_b64 s[0:1], -1
                                        ; implicit-def: $vgpr1_vgpr2
	s_branch .LBB63_168
.LBB63_160:
	s_mov_b64 s[0:1], -1
                                        ; implicit-def: $vgpr1_vgpr2
	s_branch .LBB63_165
.LBB63_161:
	s_mov_b64 s[0:1], -1
                                        ; implicit-def: $vgpr1_vgpr2
.LBB63_162:
	s_andn2_b64 vcc, exec, s[0:1]
	s_cbranch_vccnz .LBB63_164
; %bb.163:
	global_load_dword v1, v[4:5], off
	s_waitcnt vmcnt(0)
	v_ashrrev_i32_e32 v2, 31, v1
.LBB63_164:
	s_mov_b64 s[0:1], 0
.LBB63_165:
	s_andn2_b64 vcc, exec, s[0:1]
	s_cbranch_vccnz .LBB63_167
; %bb.166:
	global_load_ushort v1, v[4:5], off
	s_waitcnt vmcnt(0)
	v_bfe_i32 v1, v1, 0, 16
	v_ashrrev_i32_e32 v2, 31, v1
.LBB63_167:
	s_mov_b64 s[0:1], 0
.LBB63_168:
	s_andn2_b64 vcc, exec, s[0:1]
	s_cbranch_vccnz .LBB63_174
; %bb.169:
	s_cmp_gt_i32 s38, 0
	s_cbranch_scc0 .LBB63_171
; %bb.170:
	global_load_sbyte v1, v[4:5], off
	s_mov_b64 s[0:1], 0
	s_waitcnt vmcnt(0)
	v_bfe_i32 v1, v1, 0, 16
	v_ashrrev_i32_e32 v2, 31, v1
	s_branch .LBB63_172
.LBB63_171:
	s_mov_b64 s[0:1], -1
                                        ; implicit-def: $vgpr1_vgpr2
.LBB63_172:
	s_andn2_b64 vcc, exec, s[0:1]
	s_cbranch_vccnz .LBB63_174
; %bb.173:
	global_load_ubyte v1, v[4:5], off
	s_mov_b32 s0, 0
	s_waitcnt vmcnt(1)
	v_mov_b32_e32 v2, s0
	s_waitcnt vmcnt(0)
	v_and_b32_e32 v1, 0xffff, v1
.LBB63_174:
	s_branch .LBB63_22
.LBB63_175:
	s_mov_b64 s[0:1], 0
	s_mov_b64 s[40:41], 0
	s_branch .LBB63_400
.LBB63_176:
	s_mov_b64 s[40:41], -1
.LBB63_177:
	s_mov_b64 s[0:1], 0
                                        ; implicit-def: $vgpr5_vgpr6
.LBB63_178:
	s_and_b64 vcc, exec, s[38:39]
	s_cbranch_vccz .LBB63_294
; %bb.179:
	s_cmp_eq_u32 s47, 44
	s_cbranch_scc0 .LBB63_293
; %bb.180:
	global_load_ubyte v5, v[3:4], off
	s_mov_b32 s0, 0x2f800000
	s_mov_b32 s1, 0xcf800000
	s_mov_b64 s[40:41], 0
	s_waitcnt vmcnt(0)
	v_lshlrev_b32_e32 v6, 23, v5
	v_trunc_f32_e32 v6, v6
	v_mul_f32_e64 v7, |v6|, s0
	v_floor_f32_e32 v7, v7
	v_fma_f32 v9, v7, s1, |v6|
	v_cvt_u32_f32_e32 v9, v9
	v_cvt_u32_f32_e32 v7, v7
	v_ashrrev_i32_e32 v6, 31, v6
	s_mov_b64 s[0:1], -1
	v_xor_b32_e32 v9, v9, v6
	v_xor_b32_e32 v7, v7, v6
	v_sub_co_u32_e32 v9, vcc, v9, v6
	v_subb_co_u32_e32 v6, vcc, v7, v6, vcc
	v_cmp_ne_u32_e32 vcc, 0, v5
	v_cndmask_b32_e32 v6, 0, v6, vcc
	v_cndmask_b32_e32 v5, 0, v9, vcc
	s_branch .LBB63_294
.LBB63_181:
	s_mov_b64 s[50:51], -1
	s_mov_b64 s[0:1], 0
	s_mov_b64 s[46:47], 0
.LBB63_182:
	s_and_b64 vcc, exec, s[50:51]
	s_cbranch_vccz .LBB63_187
; %bb.183:
	s_cmp_eq_u32 s55, 44
	s_mov_b64 s[0:1], -1
	s_cbranch_scc0 .LBB63_187
; %bb.184:
	v_cndmask_b32_e64 v3, 0, 1.0, s[38:39]
	v_lshrrev_b32_e32 v2, 23, v3
	s_movk_i32 s0, 0xff
	v_cmp_ne_u32_e32 vcc, s0, v2
	v_mov_b32_e32 v4, 0xff
	s_and_saveexec_b64 s[46:47], vcc
; %bb.185:
	s_mov_b32 s0, 0x3fffff
	v_and_b32_e32 v4, 0x400000, v3
	v_and_or_b32 v3, v3, s0, v2
	v_cmp_ne_u32_e32 vcc, 0, v4
	v_cmp_ne_u32_e64 s[0:1], 0, v3
	s_and_b64 s[0:1], vcc, s[0:1]
	v_cndmask_b32_e64 v3, 0, 1, s[0:1]
	v_add_u32_e32 v4, v2, v3
; %bb.186:
	s_or_b64 exec, exec, s[46:47]
	s_mov_b64 s[46:47], -1
	s_mov_b64 s[0:1], 0
	global_store_byte v[0:1], v4, off
.LBB63_187:
	s_mov_b64 s[50:51], 0
.LBB63_188:
	s_and_b64 vcc, exec, s[50:51]
	s_cbranch_vccz .LBB63_191
; %bb.189:
	s_cmp_eq_u32 s55, 29
	s_mov_b64 s[0:1], -1
	s_cbranch_scc0 .LBB63_191
; %bb.190:
	s_mov_b32 s0, 0
	v_cndmask_b32_e64 v2, 0, 1, s[38:39]
	v_mov_b32_e32 v3, s0
	global_store_dwordx2 v[0:1], v[2:3], off
	s_mov_b64 s[46:47], -1
	s_mov_b64 s[0:1], 0
.LBB63_191:
	s_mov_b64 s[50:51], 0
.LBB63_192:
	s_and_b64 vcc, exec, s[50:51]
	s_cbranch_vccz .LBB63_208
; %bb.193:
	s_cmp_lt_i32 s55, 27
	s_mov_b64 s[46:47], -1
	s_cbranch_scc1 .LBB63_199
; %bb.194:
	s_cmp_gt_i32 s55, 27
	s_cbranch_scc0 .LBB63_196
; %bb.195:
	v_cndmask_b32_e64 v2, 0, 1, s[38:39]
	s_mov_b64 s[46:47], 0
	global_store_dword v[0:1], v2, off
.LBB63_196:
	s_andn2_b64 vcc, exec, s[46:47]
	s_cbranch_vccnz .LBB63_198
; %bb.197:
	v_cndmask_b32_e64 v2, 0, 1, s[38:39]
	global_store_short v[0:1], v2, off
.LBB63_198:
	s_mov_b64 s[46:47], 0
.LBB63_199:
	s_andn2_b64 vcc, exec, s[46:47]
	s_cbranch_vccnz .LBB63_207
; %bb.200:
	v_cndmask_b32_e64 v3, 0, 1.0, s[38:39]
	s_mov_b32 s46, 0x43800000
	v_cmp_gt_u32_e32 vcc, s46, v3
	v_mov_b32_e32 v4, 0x80
	s_and_saveexec_b64 s[46:47], vcc
	s_cbranch_execz .LBB63_206
; %bb.201:
	s_mov_b32 s50, 0x3bffffff
	v_cmp_lt_u32_e32 vcc, s50, v3
	s_mov_b64 s[50:51], 0
                                        ; implicit-def: $vgpr2
	s_and_saveexec_b64 s[52:53], vcc
	s_xor_b64 s[52:53], exec, s[52:53]
	s_cbranch_execz .LBB63_442
; %bb.202:
	v_bfe_u32 v2, v3, 20, 1
	s_mov_b32 s56, 0x487ffff
	v_add3_u32 v2, v3, v2, s56
	s_mov_b64 s[50:51], exec
	v_lshrrev_b32_e32 v2, 20, v2
                                        ; implicit-def: $vgpr3
	s_andn2_saveexec_b64 s[52:53], s[52:53]
	s_cbranch_execnz .LBB63_443
.LBB63_203:
	s_or_b64 exec, exec, s[52:53]
	v_mov_b32_e32 v4, 0
	s_and_saveexec_b64 s[52:53], s[50:51]
.LBB63_204:
	v_mov_b32_e32 v4, v2
.LBB63_205:
	s_or_b64 exec, exec, s[52:53]
.LBB63_206:
	s_or_b64 exec, exec, s[46:47]
	global_store_byte v[0:1], v4, off
.LBB63_207:
	s_mov_b64 s[46:47], -1
.LBB63_208:
	s_mov_b64 s[50:51], 0
.LBB63_209:
	s_and_b64 vcc, exec, s[50:51]
	s_cbranch_vccz .LBB63_250
; %bb.210:
	s_cmp_gt_i32 s55, 22
	s_mov_b64 s[50:51], -1
	s_cbranch_scc0 .LBB63_242
; %bb.211:
	s_cmp_lt_i32 s55, 24
	s_mov_b64 s[46:47], -1
	s_cbranch_scc1 .LBB63_231
; %bb.212:
	s_cmp_gt_i32 s55, 24
	s_cbranch_scc0 .LBB63_220
; %bb.213:
	v_cndmask_b32_e64 v3, 0, 1.0, s[38:39]
	s_mov_b32 s46, 0x47800000
	v_cmp_gt_u32_e32 vcc, s46, v3
	v_mov_b32_e32 v4, 0x80
	s_and_saveexec_b64 s[46:47], vcc
	s_cbranch_execz .LBB63_219
; %bb.214:
	s_mov_b32 s50, 0x37ffffff
	v_cmp_lt_u32_e32 vcc, s50, v3
	s_mov_b64 s[50:51], 0
                                        ; implicit-def: $vgpr2
	s_and_saveexec_b64 s[52:53], vcc
	s_xor_b64 s[52:53], exec, s[52:53]
	s_cbranch_execz .LBB63_557
; %bb.215:
	v_bfe_u32 v2, v3, 21, 1
	s_mov_b32 s56, 0x88fffff
	v_add3_u32 v2, v3, v2, s56
	s_mov_b64 s[50:51], exec
	v_lshrrev_b32_e32 v2, 21, v2
                                        ; implicit-def: $vgpr3
	s_andn2_saveexec_b64 s[52:53], s[52:53]
	s_cbranch_execnz .LBB63_558
.LBB63_216:
	s_or_b64 exec, exec, s[52:53]
	v_mov_b32_e32 v4, 0
	s_and_saveexec_b64 s[52:53], s[50:51]
.LBB63_217:
	v_mov_b32_e32 v4, v2
.LBB63_218:
	s_or_b64 exec, exec, s[52:53]
.LBB63_219:
	s_or_b64 exec, exec, s[46:47]
	s_mov_b64 s[46:47], 0
	global_store_byte v[0:1], v4, off
.LBB63_220:
	s_and_b64 vcc, exec, s[46:47]
	s_cbranch_vccz .LBB63_230
; %bb.221:
	v_cndmask_b32_e64 v2, 0, 1.0, s[38:39]
	s_mov_b32 s46, 0x43f00000
	v_cmp_gt_u32_e32 vcc, s46, v2
                                        ; implicit-def: $vgpr3
	s_and_saveexec_b64 s[46:47], vcc
	s_xor_b64 s[46:47], exec, s[46:47]
	s_cbranch_execz .LBB63_227
; %bb.222:
	s_mov_b32 s50, 0x3c7fffff
	v_cmp_lt_u32_e32 vcc, s50, v2
                                        ; implicit-def: $vgpr3
	s_and_saveexec_b64 s[50:51], vcc
	s_xor_b64 s[50:51], exec, s[50:51]
; %bb.223:
	v_bfe_u32 v3, v2, 20, 1
	s_mov_b32 s52, 0x407ffff
	v_add3_u32 v2, v2, v3, s52
	v_lshrrev_b32_e32 v3, 20, v2
	v_and_b32_e32 v2, 0xff00000, v2
	s_mov_b32 s52, 0x7f00000
	v_mov_b32_e32 v4, 0x7e
	v_cmp_ne_u32_e32 vcc, s52, v2
	v_cndmask_b32_e32 v3, v4, v3, vcc
                                        ; implicit-def: $vgpr2
; %bb.224:
	s_andn2_saveexec_b64 s[50:51], s[50:51]
; %bb.225:
	v_add_f32_e32 v3, 0x46800000, v2
; %bb.226:
	s_or_b64 exec, exec, s[50:51]
                                        ; implicit-def: $vgpr2
.LBB63_227:
	s_andn2_saveexec_b64 s[46:47], s[46:47]
; %bb.228:
	s_mov_b32 s50, 0x7f800000
	v_mov_b32_e32 v3, 0x7e
	v_mov_b32_e32 v4, 0x7f
	v_cmp_lt_u32_e32 vcc, s50, v2
	v_cndmask_b32_e32 v3, v3, v4, vcc
; %bb.229:
	s_or_b64 exec, exec, s[46:47]
	global_store_byte v[0:1], v3, off
.LBB63_230:
	s_mov_b64 s[46:47], 0
.LBB63_231:
	s_andn2_b64 vcc, exec, s[46:47]
	s_cbranch_vccnz .LBB63_241
; %bb.232:
	v_cndmask_b32_e64 v2, 0, 1.0, s[38:39]
	s_mov_b32 s46, 0x47800000
	v_cmp_gt_u32_e32 vcc, s46, v2
                                        ; implicit-def: $vgpr3
	s_and_saveexec_b64 s[46:47], vcc
	s_xor_b64 s[46:47], exec, s[46:47]
	s_cbranch_execz .LBB63_238
; %bb.233:
	s_mov_b32 s50, 0x387fffff
	v_cmp_lt_u32_e32 vcc, s50, v2
                                        ; implicit-def: $vgpr3
	s_and_saveexec_b64 s[50:51], vcc
	s_xor_b64 s[50:51], exec, s[50:51]
; %bb.234:
	v_bfe_u32 v3, v2, 21, 1
	s_mov_b32 s52, 0x80fffff
	v_add3_u32 v2, v2, v3, s52
	v_lshrrev_b32_e32 v3, 21, v2
                                        ; implicit-def: $vgpr2
; %bb.235:
	s_andn2_saveexec_b64 s[50:51], s[50:51]
; %bb.236:
	v_add_f32_e32 v3, 0x43000000, v2
; %bb.237:
	s_or_b64 exec, exec, s[50:51]
                                        ; implicit-def: $vgpr2
.LBB63_238:
	s_andn2_saveexec_b64 s[46:47], s[46:47]
; %bb.239:
	s_mov_b32 s50, 0x7f800000
	v_mov_b32_e32 v3, 0x7c
	v_mov_b32_e32 v4, 0x7f
	v_cmp_lt_u32_e32 vcc, s50, v2
	v_cndmask_b32_e32 v3, v3, v4, vcc
; %bb.240:
	s_or_b64 exec, exec, s[46:47]
	global_store_byte v[0:1], v3, off
.LBB63_241:
	s_mov_b64 s[50:51], 0
	s_mov_b64 s[46:47], -1
.LBB63_242:
	s_andn2_b64 vcc, exec, s[50:51]
	s_cbranch_vccnz .LBB63_250
; %bb.243:
	s_cmp_gt_i32 s55, 14
	s_mov_b64 s[50:51], -1
	s_cbranch_scc0 .LBB63_247
; %bb.244:
	s_cmp_eq_u32 s55, 15
	s_mov_b64 s[0:1], -1
	s_cbranch_scc0 .LBB63_246
; %bb.245:
	v_cndmask_b32_e64 v2, 0, 1.0, s[38:39]
	v_bfe_u32 v3, v2, 16, 1
	s_movk_i32 s0, 0x7fff
	v_add3_u32 v2, v2, v3, s0
	global_store_short_d16_hi v[0:1], v2, off
	s_mov_b64 s[46:47], -1
	s_mov_b64 s[0:1], 0
.LBB63_246:
	s_mov_b64 s[50:51], 0
.LBB63_247:
	s_and_b64 vcc, exec, s[50:51]
	s_cbranch_vccz .LBB63_250
; %bb.248:
	s_cmp_eq_u32 s55, 11
	s_mov_b64 s[0:1], -1
	s_cbranch_scc0 .LBB63_250
; %bb.249:
	v_cndmask_b32_e64 v2, 0, 1, s[38:39]
	s_mov_b64 s[46:47], -1
	s_mov_b64 s[0:1], 0
	global_store_byte v[0:1], v2, off
.LBB63_250:
	s_mov_b64 s[50:51], 0
.LBB63_251:
	s_and_b64 vcc, exec, s[50:51]
	s_cbranch_vccz .LBB63_290
; %bb.252:
	s_and_b32 s50, 0xffff, s54
	s_cmp_lt_i32 s50, 5
	s_mov_b64 s[46:47], -1
	s_cbranch_scc1 .LBB63_273
; %bb.253:
	s_cmp_lt_i32 s50, 8
	s_cbranch_scc1 .LBB63_263
; %bb.254:
	s_cmp_lt_i32 s50, 9
	s_cbranch_scc1 .LBB63_260
; %bb.255:
	s_cmp_gt_i32 s50, 9
	s_cbranch_scc0 .LBB63_257
; %bb.256:
	v_cndmask_b32_e64 v2, 0, 1, s[38:39]
	v_cvt_f64_u32_e32 v[2:3], v2
	v_mov_b32_e32 v4, 0
	v_mov_b32_e32 v5, v4
	s_mov_b64 s[46:47], 0
	global_store_dwordx4 v[0:1], v[2:5], off
.LBB63_257:
	s_andn2_b64 vcc, exec, s[46:47]
	s_cbranch_vccnz .LBB63_259
; %bb.258:
	v_cndmask_b32_e64 v2, 0, 1.0, s[38:39]
	v_mov_b32_e32 v3, 0
	global_store_dwordx2 v[0:1], v[2:3], off
.LBB63_259:
	s_mov_b64 s[46:47], 0
.LBB63_260:
	s_andn2_b64 vcc, exec, s[46:47]
	s_cbranch_vccnz .LBB63_262
; %bb.261:
	v_cndmask_b32_e64 v2, 0, 1.0, s[38:39]
	v_cvt_f16_f32_e32 v2, v2
	global_store_dword v[0:1], v2, off
.LBB63_262:
	s_mov_b64 s[46:47], 0
.LBB63_263:
	s_andn2_b64 vcc, exec, s[46:47]
	s_cbranch_vccnz .LBB63_272
; %bb.264:
	s_cmp_lt_i32 s50, 6
	s_mov_b64 s[46:47], -1
	s_cbranch_scc1 .LBB63_270
; %bb.265:
	s_cmp_gt_i32 s50, 6
	s_cbranch_scc0 .LBB63_267
; %bb.266:
	v_cndmask_b32_e64 v2, 0, 1, s[38:39]
	v_cvt_f64_u32_e32 v[2:3], v2
	s_mov_b64 s[46:47], 0
	global_store_dwordx2 v[0:1], v[2:3], off
.LBB63_267:
	s_andn2_b64 vcc, exec, s[46:47]
	s_cbranch_vccnz .LBB63_269
; %bb.268:
	v_cndmask_b32_e64 v2, 0, 1.0, s[38:39]
	global_store_dword v[0:1], v2, off
.LBB63_269:
	s_mov_b64 s[46:47], 0
.LBB63_270:
	s_andn2_b64 vcc, exec, s[46:47]
	s_cbranch_vccnz .LBB63_272
; %bb.271:
	v_cndmask_b32_e64 v2, 0, 1.0, s[38:39]
	v_cvt_f16_f32_e32 v2, v2
	global_store_short v[0:1], v2, off
.LBB63_272:
	s_mov_b64 s[46:47], 0
.LBB63_273:
	s_andn2_b64 vcc, exec, s[46:47]
	s_cbranch_vccnz .LBB63_289
; %bb.274:
	s_cmp_lt_i32 s50, 2
	s_mov_b64 s[46:47], -1
	s_cbranch_scc1 .LBB63_284
; %bb.275:
	s_cmp_lt_i32 s50, 3
	s_cbranch_scc1 .LBB63_281
; %bb.276:
	s_cmp_gt_i32 s50, 3
	s_cbranch_scc0 .LBB63_278
; %bb.277:
	s_mov_b32 s46, 0
	v_cndmask_b32_e64 v2, 0, 1, s[38:39]
	v_mov_b32_e32 v3, s46
	global_store_dwordx2 v[0:1], v[2:3], off
	s_mov_b64 s[46:47], 0
.LBB63_278:
	s_andn2_b64 vcc, exec, s[46:47]
	s_cbranch_vccnz .LBB63_280
; %bb.279:
	v_cndmask_b32_e64 v2, 0, 1, s[38:39]
	global_store_dword v[0:1], v2, off
.LBB63_280:
	s_mov_b64 s[46:47], 0
.LBB63_281:
	s_andn2_b64 vcc, exec, s[46:47]
	s_cbranch_vccnz .LBB63_283
; %bb.282:
	v_cndmask_b32_e64 v2, 0, 1, s[38:39]
	global_store_short v[0:1], v2, off
.LBB63_283:
	s_mov_b64 s[46:47], 0
.LBB63_284:
	s_andn2_b64 vcc, exec, s[46:47]
	s_cbranch_vccnz .LBB63_289
; %bb.285:
	s_cmp_gt_i32 s50, 0
	s_mov_b64 s[46:47], -1
	s_cbranch_scc0 .LBB63_287
; %bb.286:
	v_cndmask_b32_e64 v2, 0, 1, s[38:39]
	global_store_byte v[0:1], v2, off
	s_mov_b64 s[46:47], 0
.LBB63_287:
	s_andn2_b64 vcc, exec, s[46:47]
	s_cbranch_vccnz .LBB63_289
; %bb.288:
	v_cndmask_b32_e64 v2, 0, 1, s[38:39]
	global_store_byte v[0:1], v2, off
.LBB63_289:
	s_mov_b64 s[46:47], -1
.LBB63_290:
	s_andn2_b64 vcc, exec, s[46:47]
	s_cbranch_vccnz .LBB63_292
; %bb.291:
	v_add_u32_e32 v8, 0x80, v8
	s_mov_b64 s[46:47], -1
	s_branch .LBB63_401
.LBB63_292:
	s_mov_b64 s[46:47], 0
                                        ; implicit-def: $vgpr8
	s_branch .LBB63_401
.LBB63_293:
	s_mov_b64 s[40:41], -1
                                        ; implicit-def: $vgpr5_vgpr6
.LBB63_294:
	s_mov_b64 s[38:39], 0
.LBB63_295:
	s_and_b64 vcc, exec, s[38:39]
	s_cbranch_vccz .LBB63_299
; %bb.296:
	s_cmp_eq_u32 s47, 29
	s_cbranch_scc0 .LBB63_298
; %bb.297:
	global_load_dwordx2 v[5:6], v[3:4], off
	s_mov_b64 s[0:1], -1
	s_mov_b64 s[40:41], 0
	s_branch .LBB63_299
.LBB63_298:
	s_mov_b64 s[40:41], -1
                                        ; implicit-def: $vgpr5_vgpr6
.LBB63_299:
	s_mov_b64 s[38:39], 0
.LBB63_300:
	s_and_b64 vcc, exec, s[38:39]
	s_cbranch_vccz .LBB63_318
; %bb.301:
	s_cmp_lt_i32 s47, 27
	s_cbranch_scc1 .LBB63_304
; %bb.302:
	s_cmp_gt_i32 s47, 27
	s_cbranch_scc0 .LBB63_305
; %bb.303:
	global_load_dword v5, v[3:4], off
	s_waitcnt vmcnt(1)
	v_mov_b32_e32 v6, 0
	s_mov_b64 s[0:1], 0
	s_branch .LBB63_306
.LBB63_304:
	s_mov_b64 s[0:1], -1
                                        ; implicit-def: $vgpr5_vgpr6
	s_branch .LBB63_309
.LBB63_305:
	s_mov_b64 s[0:1], -1
                                        ; implicit-def: $vgpr5_vgpr6
.LBB63_306:
	s_andn2_b64 vcc, exec, s[0:1]
	s_cbranch_vccnz .LBB63_308
; %bb.307:
	global_load_ushort v5, v[3:4], off
	s_mov_b32 s0, 0
	s_waitcnt vmcnt(1)
	v_mov_b32_e32 v6, s0
	s_waitcnt vmcnt(0)
	v_and_b32_e32 v5, 0xffff, v5
.LBB63_308:
	s_mov_b64 s[0:1], 0
.LBB63_309:
	s_andn2_b64 vcc, exec, s[0:1]
	s_cbranch_vccnz .LBB63_317
; %bb.310:
	global_load_ubyte v7, v[3:4], off
	s_movk_i32 s0, 0x7f
	s_mov_b64 s[38:39], 0
	s_waitcnt vmcnt(0)
	v_cmp_lt_i16_e32 vcc, s0, v7
	s_and_saveexec_b64 s[0:1], vcc
	s_xor_b64 s[0:1], exec, s[0:1]
; %bb.311:
	s_movk_i32 s38, 0x80
	v_cmp_ne_u16_e32 vcc, s38, v7
	s_and_b64 s[38:39], vcc, exec
; %bb.312:
	s_andn2_saveexec_b64 s[0:1], s[0:1]
; %bb.313:
	v_cmp_ne_u16_e32 vcc, 0, v7
	s_andn2_b64 s[38:39], s[38:39], exec
	s_and_b64 s[50:51], vcc, exec
	s_or_b64 s[38:39], s[38:39], s[50:51]
; %bb.314:
	s_or_b64 exec, exec, s[0:1]
	v_mov_b32_e32 v5, 0
	v_mov_b32_e32 v6, 0
	s_and_saveexec_b64 s[0:1], s[38:39]
	s_cbranch_execz .LBB63_316
; %bb.315:
	v_and_b32_e32 v6, 0xffff, v7
	v_lshlrev_b32_e32 v5, 24, v7
	v_and_b32_e32 v7, 7, v6
	v_ffbh_u32_e32 v10, v7
	v_min_u32_e32 v10, 32, v10
	v_subrev_u32_e32 v11, 28, v10
	v_bfe_u32 v9, v6, 3, 4
	v_lshlrev_b32_e32 v6, v11, v6
	v_sub_u32_e32 v10, 29, v10
	v_and_b32_e32 v6, 7, v6
	v_cmp_eq_u32_e32 vcc, 0, v9
	v_cndmask_b32_e32 v9, v9, v10, vcc
	v_cndmask_b32_e32 v6, v7, v6, vcc
	v_mov_b32_e32 v7, 0x3b800000
	v_lshlrev_b32_e32 v6, 20, v6
	v_and_b32_e32 v5, 0x80000000, v5
	v_lshl_add_u32 v7, v9, 23, v7
	v_or3_b32 v5, v5, v7, v6
	v_trunc_f32_e32 v5, v5
	s_mov_b32 s38, 0x2f800000
	v_mul_f32_e64 v6, |v5|, s38
	v_floor_f32_e32 v6, v6
	s_mov_b32 s38, 0xcf800000
	v_fma_f32 v7, v6, s38, |v5|
	v_cvt_u32_f32_e32 v7, v7
	v_cvt_u32_f32_e32 v6, v6
	v_ashrrev_i32_e32 v9, 31, v5
	v_xor_b32_e32 v5, v7, v9
	v_xor_b32_e32 v6, v6, v9
	v_sub_co_u32_e32 v5, vcc, v5, v9
	v_subb_co_u32_e32 v6, vcc, v6, v9, vcc
.LBB63_316:
	s_or_b64 exec, exec, s[0:1]
.LBB63_317:
	s_mov_b64 s[0:1], -1
.LBB63_318:
	s_mov_b64 s[38:39], 0
.LBB63_319:
	s_and_b64 vcc, exec, s[38:39]
	s_cbranch_vccz .LBB63_350
; %bb.320:
	s_cmp_gt_i32 s47, 22
	s_cbranch_scc0 .LBB63_330
; %bb.321:
	s_cmp_lt_i32 s47, 24
	s_cbranch_scc1 .LBB63_331
; %bb.322:
	s_cmp_gt_i32 s47, 24
	s_cbranch_scc0 .LBB63_332
; %bb.323:
	global_load_ubyte v7, v[3:4], off
	s_movk_i32 s0, 0x7f
	s_mov_b64 s[38:39], 0
	s_waitcnt vmcnt(0)
	v_cmp_lt_i16_e32 vcc, s0, v7
	s_and_saveexec_b64 s[0:1], vcc
	s_xor_b64 s[0:1], exec, s[0:1]
; %bb.324:
	s_movk_i32 s38, 0x80
	v_cmp_ne_u16_e32 vcc, s38, v7
	s_and_b64 s[38:39], vcc, exec
; %bb.325:
	s_andn2_saveexec_b64 s[0:1], s[0:1]
; %bb.326:
	v_cmp_ne_u16_e32 vcc, 0, v7
	s_andn2_b64 s[38:39], s[38:39], exec
	s_and_b64 s[50:51], vcc, exec
	s_or_b64 s[38:39], s[38:39], s[50:51]
; %bb.327:
	s_or_b64 exec, exec, s[0:1]
	v_mov_b32_e32 v5, 0
	v_mov_b32_e32 v6, 0
	s_and_saveexec_b64 s[0:1], s[38:39]
	s_cbranch_execz .LBB63_329
; %bb.328:
	v_and_b32_e32 v6, 0xffff, v7
	v_lshlrev_b32_e32 v5, 24, v7
	v_and_b32_e32 v7, 3, v6
	v_ffbh_u32_e32 v10, v7
	v_min_u32_e32 v10, 32, v10
	v_subrev_u32_e32 v11, 29, v10
	v_bfe_u32 v9, v6, 2, 5
	v_lshlrev_b32_e32 v6, v11, v6
	v_sub_u32_e32 v10, 30, v10
	v_and_b32_e32 v6, 3, v6
	v_cmp_eq_u32_e32 vcc, 0, v9
	v_cndmask_b32_e32 v9, v9, v10, vcc
	v_cndmask_b32_e32 v6, v7, v6, vcc
	v_mov_b32_e32 v7, 0x37800000
	v_lshlrev_b32_e32 v6, 21, v6
	v_and_b32_e32 v5, 0x80000000, v5
	v_lshl_add_u32 v7, v9, 23, v7
	v_or3_b32 v5, v5, v7, v6
	v_trunc_f32_e32 v5, v5
	s_mov_b32 s38, 0x2f800000
	v_mul_f32_e64 v6, |v5|, s38
	v_floor_f32_e32 v6, v6
	s_mov_b32 s38, 0xcf800000
	v_fma_f32 v7, v6, s38, |v5|
	v_cvt_u32_f32_e32 v7, v7
	v_cvt_u32_f32_e32 v6, v6
	v_ashrrev_i32_e32 v9, 31, v5
	v_xor_b32_e32 v5, v7, v9
	v_xor_b32_e32 v6, v6, v9
	v_sub_co_u32_e32 v5, vcc, v5, v9
	v_subb_co_u32_e32 v6, vcc, v6, v9, vcc
.LBB63_329:
	s_or_b64 exec, exec, s[0:1]
	s_mov_b64 s[0:1], 0
	s_branch .LBB63_333
.LBB63_330:
	s_mov_b64 s[38:39], -1
                                        ; implicit-def: $vgpr5_vgpr6
	s_branch .LBB63_339
.LBB63_331:
	s_mov_b64 s[0:1], -1
                                        ; implicit-def: $vgpr5_vgpr6
	s_branch .LBB63_336
.LBB63_332:
	s_mov_b64 s[0:1], -1
                                        ; implicit-def: $vgpr5_vgpr6
.LBB63_333:
	s_and_b64 vcc, exec, s[0:1]
	s_cbranch_vccz .LBB63_335
; %bb.334:
	global_load_ubyte v5, v[3:4], off
	s_mov_b32 s0, 0x7f800000
	s_brev_b32 s1, 1
	s_mov_b32 s38, 0x2f800000
	s_mov_b32 s39, 0xcf800000
	s_waitcnt vmcnt(0)
	v_lshlrev_b32_e32 v5, 24, v5
	v_and_b32_e32 v6, 0x7f000000, v5
	v_ffbh_u32_e32 v7, v6
	v_min_u32_e32 v7, 32, v7
	v_sub_u32_e64 v7, v7, 4 clamp
	v_lshlrev_b32_e32 v10, v7, v6
	v_lshlrev_b32_e32 v7, 23, v7
	v_lshrrev_b32_e32 v10, 4, v10
	v_add_u32_e32 v9, 0x1000000, v6
	v_sub_u32_e32 v7, v10, v7
	v_ashrrev_i32_e32 v9, 8, v9
	v_add_u32_e32 v7, 0x3c000000, v7
	v_and_or_b32 v7, v9, s0, v7
	v_cmp_ne_u32_e32 vcc, 0, v6
	v_cndmask_b32_e32 v6, 0, v7, vcc
	v_and_or_b32 v5, v5, s1, v6
	v_trunc_f32_e32 v5, v5
	v_mul_f32_e64 v6, |v5|, s38
	v_floor_f32_e32 v6, v6
	v_fma_f32 v7, v6, s39, |v5|
	v_cvt_u32_f32_e32 v7, v7
	v_cvt_u32_f32_e32 v6, v6
	v_ashrrev_i32_e32 v9, 31, v5
	v_xor_b32_e32 v5, v7, v9
	v_xor_b32_e32 v6, v6, v9
	v_sub_co_u32_e32 v5, vcc, v5, v9
	v_subb_co_u32_e32 v6, vcc, v6, v9, vcc
.LBB63_335:
	s_mov_b64 s[0:1], 0
.LBB63_336:
	s_andn2_b64 vcc, exec, s[0:1]
	s_cbranch_vccnz .LBB63_338
; %bb.337:
	global_load_ubyte v5, v[3:4], off
	s_movk_i32 s0, 0x7f00
	s_brev_b32 s1, 16
	s_brev_b32 s38, 1
	s_mov_b32 s39, 0x2f800000
	s_mov_b32 s50, 0xcf800000
	s_waitcnt vmcnt(0)
	v_lshlrev_b16_e32 v6, 8, v5
	v_lshlrev_b32_e32 v5, 25, v5
	v_lshrrev_b32_e32 v7, 4, v5
	v_and_or_b32 v9, v6, s0, 0.5
	v_or_b32_e32 v7, 0x70000000, v7
	v_add_f32_e32 v9, -0.5, v9
	v_mul_f32_e32 v7, 0x7800000, v7
	v_cmp_gt_u32_e32 vcc, s1, v5
	v_bfe_i32 v6, v6, 0, 16
	v_cndmask_b32_e32 v5, v7, v9, vcc
	v_and_or_b32 v5, v6, s38, v5
	v_trunc_f32_e32 v5, v5
	v_mul_f32_e64 v6, |v5|, s39
	v_floor_f32_e32 v6, v6
	v_fma_f32 v7, v6, s50, |v5|
	v_cvt_u32_f32_e32 v7, v7
	v_cvt_u32_f32_e32 v6, v6
	v_ashrrev_i32_e32 v9, 31, v5
	v_xor_b32_e32 v5, v7, v9
	v_xor_b32_e32 v6, v6, v9
	v_sub_co_u32_e32 v5, vcc, v5, v9
	v_subb_co_u32_e32 v6, vcc, v6, v9, vcc
.LBB63_338:
	s_mov_b64 s[38:39], 0
	s_mov_b64 s[0:1], -1
.LBB63_339:
	s_andn2_b64 vcc, exec, s[38:39]
	s_cbranch_vccnz .LBB63_350
; %bb.340:
	s_cmp_gt_i32 s47, 14
	s_cbranch_scc0 .LBB63_343
; %bb.341:
	s_cmp_eq_u32 s47, 15
	s_cbranch_scc0 .LBB63_344
; %bb.342:
	global_load_ushort v5, v[3:4], off
	s_mov_b32 s0, 0x2f800000
	s_mov_b32 s1, 0xcf800000
	s_mov_b64 s[40:41], 0
	s_waitcnt vmcnt(0)
	v_lshlrev_b32_e32 v5, 16, v5
	v_trunc_f32_e32 v5, v5
	v_mul_f32_e64 v6, |v5|, s0
	v_floor_f32_e32 v6, v6
	v_fma_f32 v7, v6, s1, |v5|
	v_cvt_u32_f32_e32 v7, v7
	v_cvt_u32_f32_e32 v6, v6
	v_ashrrev_i32_e32 v9, 31, v5
	s_mov_b64 s[0:1], -1
	v_xor_b32_e32 v5, v7, v9
	v_xor_b32_e32 v6, v6, v9
	v_sub_co_u32_e32 v5, vcc, v5, v9
	v_subb_co_u32_e32 v6, vcc, v6, v9, vcc
	s_branch .LBB63_345
.LBB63_343:
	s_mov_b64 s[38:39], -1
                                        ; implicit-def: $vgpr5_vgpr6
	s_branch .LBB63_346
.LBB63_344:
	s_mov_b64 s[40:41], -1
                                        ; implicit-def: $vgpr5_vgpr6
.LBB63_345:
	s_mov_b64 s[38:39], 0
.LBB63_346:
	s_and_b64 vcc, exec, s[38:39]
	s_cbranch_vccz .LBB63_350
; %bb.347:
	s_cmp_eq_u32 s47, 11
	s_cbranch_scc0 .LBB63_349
; %bb.348:
	global_load_ubyte v5, v[3:4], off
	s_mov_b32 s38, 0
	s_mov_b64 s[0:1], -1
	s_waitcnt vmcnt(1)
	v_mov_b32_e32 v6, s38
	s_mov_b64 s[40:41], 0
	s_waitcnt vmcnt(0)
	v_cmp_ne_u16_e32 vcc, 0, v5
	v_cndmask_b32_e64 v5, 0, 1, vcc
	s_branch .LBB63_350
.LBB63_349:
	s_mov_b64 s[40:41], -1
                                        ; implicit-def: $vgpr5_vgpr6
.LBB63_350:
	s_branch .LBB63_31
.LBB63_351:
	s_and_b32 s38, 0xffff, s46
	s_cmp_lt_i32 s38, 5
	s_cbranch_scc1 .LBB63_356
; %bb.352:
	s_cmp_lt_i32 s38, 8
	s_cbranch_scc1 .LBB63_357
; %bb.353:
	;; [unrolled: 3-line block ×3, first 2 shown]
	s_cmp_gt_i32 s38, 9
	s_cbranch_scc0 .LBB63_359
; %bb.355:
	global_load_dwordx2 v[5:6], v[3:4], off
	s_movk_i32 s0, 0xffe0
	s_waitcnt vmcnt(0)
	v_trunc_f64_e32 v[5:6], v[5:6]
	v_ldexp_f64 v[9:10], v[5:6], s0
	s_mov_b32 s0, 0
	s_mov_b32 s1, 0xc1f00000
	v_floor_f64_e32 v[9:10], v[9:10]
	v_fma_f64 v[11:12], v[9:10], s[0:1], v[5:6]
	v_cvt_i32_f64_e32 v6, v[9:10]
	s_mov_b64 s[0:1], 0
	v_cvt_u32_f64_e32 v5, v[11:12]
	s_branch .LBB63_360
.LBB63_356:
	s_mov_b64 s[0:1], -1
                                        ; implicit-def: $vgpr5_vgpr6
	s_branch .LBB63_378
.LBB63_357:
	s_mov_b64 s[0:1], -1
                                        ; implicit-def: $vgpr5_vgpr6
	s_branch .LBB63_366
.LBB63_358:
	s_mov_b64 s[0:1], -1
                                        ; implicit-def: $vgpr5_vgpr6
	s_branch .LBB63_363
.LBB63_359:
	s_mov_b64 s[0:1], -1
                                        ; implicit-def: $vgpr5_vgpr6
.LBB63_360:
	s_andn2_b64 vcc, exec, s[0:1]
	s_cbranch_vccnz .LBB63_362
; %bb.361:
	global_load_dword v5, v[3:4], off
	s_mov_b32 s0, 0x2f800000
	s_mov_b32 s1, 0xcf800000
	s_waitcnt vmcnt(0)
	v_trunc_f32_e32 v5, v5
	v_mul_f32_e64 v6, |v5|, s0
	v_floor_f32_e32 v6, v6
	v_cvt_u32_f32_e32 v7, v6
	v_fma_f32 v6, v6, s1, |v5|
	v_cvt_u32_f32_e32 v6, v6
	v_ashrrev_i32_e32 v9, 31, v5
	v_xor_b32_e32 v7, v7, v9
	v_xor_b32_e32 v5, v6, v9
	v_sub_co_u32_e32 v5, vcc, v5, v9
	v_subb_co_u32_e32 v6, vcc, v7, v9, vcc
.LBB63_362:
	s_mov_b64 s[0:1], 0
.LBB63_363:
	s_andn2_b64 vcc, exec, s[0:1]
	s_cbranch_vccnz .LBB63_365
; %bb.364:
	global_load_dword v5, v[3:4], off
	s_waitcnt vmcnt(0)
	v_cvt_f32_f16_e32 v5, v5
	v_cvt_i32_f32_e32 v5, v5
	v_ashrrev_i32_e32 v6, 31, v5
.LBB63_365:
	s_mov_b64 s[0:1], 0
.LBB63_366:
	s_andn2_b64 vcc, exec, s[0:1]
	s_cbranch_vccnz .LBB63_377
; %bb.367:
	s_cmp_lt_i32 s38, 6
	s_cbranch_scc1 .LBB63_370
; %bb.368:
	s_cmp_gt_i32 s38, 6
	s_cbranch_scc0 .LBB63_371
; %bb.369:
	global_load_dwordx2 v[5:6], v[3:4], off
	s_movk_i32 s0, 0xffe0
	s_waitcnt vmcnt(0)
	v_trunc_f64_e32 v[5:6], v[5:6]
	v_ldexp_f64 v[9:10], v[5:6], s0
	s_mov_b32 s0, 0
	s_mov_b32 s1, 0xc1f00000
	v_floor_f64_e32 v[9:10], v[9:10]
	v_fma_f64 v[11:12], v[9:10], s[0:1], v[5:6]
	v_cvt_i32_f64_e32 v6, v[9:10]
	s_mov_b64 s[0:1], 0
	v_cvt_u32_f64_e32 v5, v[11:12]
	s_branch .LBB63_372
.LBB63_370:
	s_mov_b64 s[0:1], -1
                                        ; implicit-def: $vgpr5_vgpr6
	s_branch .LBB63_375
.LBB63_371:
	s_mov_b64 s[0:1], -1
                                        ; implicit-def: $vgpr5_vgpr6
.LBB63_372:
	s_andn2_b64 vcc, exec, s[0:1]
	s_cbranch_vccnz .LBB63_374
; %bb.373:
	global_load_dword v5, v[3:4], off
	s_mov_b32 s0, 0x2f800000
	s_mov_b32 s1, 0xcf800000
	s_waitcnt vmcnt(0)
	v_trunc_f32_e32 v5, v5
	v_mul_f32_e64 v6, |v5|, s0
	v_floor_f32_e32 v6, v6
	v_cvt_u32_f32_e32 v7, v6
	v_fma_f32 v6, v6, s1, |v5|
	v_cvt_u32_f32_e32 v6, v6
	v_ashrrev_i32_e32 v9, 31, v5
	v_xor_b32_e32 v7, v7, v9
	v_xor_b32_e32 v5, v6, v9
	v_sub_co_u32_e32 v5, vcc, v5, v9
	v_subb_co_u32_e32 v6, vcc, v7, v9, vcc
.LBB63_374:
	s_mov_b64 s[0:1], 0
.LBB63_375:
	s_andn2_b64 vcc, exec, s[0:1]
	s_cbranch_vccnz .LBB63_377
; %bb.376:
	global_load_ushort v5, v[3:4], off
	s_waitcnt vmcnt(0)
	v_cvt_f32_f16_e32 v5, v5
	v_cvt_i32_f32_e32 v5, v5
	v_ashrrev_i32_e32 v6, 31, v5
.LBB63_377:
	s_mov_b64 s[0:1], 0
.LBB63_378:
	s_andn2_b64 vcc, exec, s[0:1]
	s_cbranch_vccnz .LBB63_398
; %bb.379:
	s_cmp_lt_i32 s38, 2
	s_cbranch_scc1 .LBB63_383
; %bb.380:
	s_cmp_lt_i32 s38, 3
	s_cbranch_scc1 .LBB63_384
; %bb.381:
	s_cmp_gt_i32 s38, 3
	s_cbranch_scc0 .LBB63_385
; %bb.382:
	global_load_dwordx2 v[5:6], v[3:4], off
	s_mov_b64 s[0:1], 0
	s_branch .LBB63_386
.LBB63_383:
	s_mov_b64 s[0:1], -1
                                        ; implicit-def: $vgpr5_vgpr6
	s_branch .LBB63_392
.LBB63_384:
	s_mov_b64 s[0:1], -1
                                        ; implicit-def: $vgpr5_vgpr6
	s_branch .LBB63_389
.LBB63_385:
	s_mov_b64 s[0:1], -1
                                        ; implicit-def: $vgpr5_vgpr6
.LBB63_386:
	s_andn2_b64 vcc, exec, s[0:1]
	s_cbranch_vccnz .LBB63_388
; %bb.387:
	global_load_dword v5, v[3:4], off
	s_waitcnt vmcnt(0)
	v_ashrrev_i32_e32 v6, 31, v5
.LBB63_388:
	s_mov_b64 s[0:1], 0
.LBB63_389:
	s_andn2_b64 vcc, exec, s[0:1]
	s_cbranch_vccnz .LBB63_391
; %bb.390:
	global_load_ushort v5, v[3:4], off
	s_waitcnt vmcnt(0)
	v_bfe_i32 v5, v5, 0, 16
	v_ashrrev_i32_e32 v6, 31, v5
.LBB63_391:
	s_mov_b64 s[0:1], 0
.LBB63_392:
	s_andn2_b64 vcc, exec, s[0:1]
	s_cbranch_vccnz .LBB63_398
; %bb.393:
	s_cmp_gt_i32 s38, 0
	s_cbranch_scc0 .LBB63_395
; %bb.394:
	global_load_sbyte v5, v[3:4], off
	s_mov_b64 s[0:1], 0
	s_waitcnt vmcnt(0)
	v_bfe_i32 v5, v5, 0, 16
	v_ashrrev_i32_e32 v6, 31, v5
	s_branch .LBB63_396
.LBB63_395:
	s_mov_b64 s[0:1], -1
                                        ; implicit-def: $vgpr5_vgpr6
.LBB63_396:
	s_andn2_b64 vcc, exec, s[0:1]
	s_cbranch_vccnz .LBB63_398
; %bb.397:
	global_load_ubyte v3, v[3:4], off
	s_mov_b32 s0, 0
	s_waitcnt vmcnt(1)
	v_mov_b32_e32 v6, s0
	s_waitcnt vmcnt(0)
	v_and_b32_e32 v5, 0xffff, v3
.LBB63_398:
	s_branch .LBB63_32
.LBB63_399:
	s_mov_b64 s[0:1], 0
.LBB63_400:
                                        ; implicit-def: $vgpr8
	s_mov_b64 s[46:47], 0
.LBB63_401:
	s_and_b64 s[38:39], s[0:1], exec
	s_and_b64 s[40:41], s[40:41], exec
	;; [unrolled: 1-line block ×3, first 2 shown]
	s_orn2_b64 s[0:1], s[46:47], exec
.LBB63_402:
	s_or_b64 exec, exec, s[44:45]
	s_mov_b64 s[52:53], 0
	s_mov_b64 s[50:51], 0
                                        ; implicit-def: $sgpr74
                                        ; implicit-def: $vgpr4_vgpr5
                                        ; implicit-def: $vgpr0
                                        ; implicit-def: $vgpr3
                                        ; implicit-def: $vgpr1_vgpr2
	s_and_saveexec_b64 s[44:45], s[0:1]
	s_cbranch_execz .LBB63_410
; %bb.403:
	v_cmp_gt_i32_e32 vcc, s68, v8
	s_mov_b64 s[0:1], -1
	s_mov_b64 s[46:47], s[42:43]
	s_mov_b64 s[48:49], s[40:41]
	;; [unrolled: 1-line block ×3, first 2 shown]
	s_and_saveexec_b64 s[52:53], vcc
	s_cbranch_execz .LBB63_812
; %bb.404:
	s_andn2_b64 vcc, exec, s[24:25]
	s_cbranch_vccnz .LBB63_413
; %bb.405:
	s_andn2_b64 vcc, exec, s[36:37]
	s_cbranch_vccnz .LBB63_414
; %bb.406:
	s_add_i32 s0, s73, 1
	s_and_b32 s46, s0, 30
	s_add_u32 s0, s2, 0xffffffe8
	s_addc_u32 s1, s3, -1
	v_mov_b32_e32 v3, 0
	s_waitcnt vmcnt(0)
	v_mov_b32_e32 v5, 0
	v_mov_b32_e32 v0, 0
	;; [unrolled: 1-line block ×3, first 2 shown]
.LBB63_407:                             ; =>This Inner Loop Header: Depth=1
	s_load_dwordx4 s[48:51], s[0:1], 0x1c
	s_load_dwordx2 s[54:55], s[0:1], 0x2c
	s_load_dwordx2 s[60:61], s[0:1], 0xec
	s_load_dwordx4 s[56:59], s[0:1], 0xdc
	s_add_u32 s0, s0, 24
	s_waitcnt lgkmcnt(0)
	v_mul_hi_u32 v2, s49, v1
	s_addc_u32 s1, s1, 0
	s_add_i32 s46, s46, -2
	s_cmp_eq_u32 s46, 0
	v_add_u32_e32 v2, v1, v2
	v_lshrrev_b32_e32 v2, s50, v2
	v_mul_lo_u32 v4, v2, s48
	v_mul_hi_u32 v6, s54, v2
	v_sub_u32_e32 v4, v1, v4
	v_add_u32_e32 v1, v2, v6
	v_lshrrev_b32_e32 v1, s55, v1
	v_mul_lo_u32 v9, v1, s51
	v_mul_lo_u32 v6, v4, s56
	;; [unrolled: 1-line block ×4, first 2 shown]
	v_sub_u32_e32 v2, v2, v9
	v_mul_lo_u32 v9, v2, s59
	v_mul_lo_u32 v10, v2, s60
	v_mul_lo_u32 v2, v2, s61
	v_add3_u32 v0, v6, v0, v9
	v_add3_u32 v5, v7, v5, v10
	;; [unrolled: 1-line block ×3, first 2 shown]
	s_cbranch_scc0 .LBB63_407
; %bb.408:
	s_bitcmp1_b32 s73, 0
	s_cselect_b64 s[46:47], -1, 0
	s_and_b64 vcc, exec, s[46:47]
	s_cbranch_vccnz .LBB63_415
; %bb.409:
	s_load_dwordx2 s[46:47], s[0:1], 0x1c
	s_load_dword s50, s[0:1], 0x24
	s_load_dwordx2 s[48:49], s[0:1], 0xdc
	s_waitcnt lgkmcnt(0)
	v_mul_hi_u32 v2, s47, v1
	v_add_u32_e32 v2, v1, v2
	v_lshrrev_b32_e32 v2, s50, v2
	v_mul_lo_u32 v2, v2, s46
	s_load_dword s46, s[0:1], 0xe4
	v_sub_u32_e32 v2, v1, v2
	v_mad_u64_u32 v[0:1], s[0:1], v2, s48, v[0:1]
	v_mad_u64_u32 v[5:6], s[0:1], v2, s49, v[5:6]
	s_waitcnt lgkmcnt(0)
	v_mad_u64_u32 v[3:4], s[0:1], v2, s46, v[3:4]
	s_branch .LBB63_415
.LBB63_410:
	s_or_b64 exec, exec, s[44:45]
	s_mov_b64 s[10:11], 0
	s_and_saveexec_b64 s[0:1], s[42:43]
	s_cbranch_execnz .LBB63_1315
.LBB63_411:
	s_or_b64 exec, exec, s[0:1]
	s_and_saveexec_b64 s[0:1], s[48:49]
	s_xor_b64 s[0:1], exec, s[0:1]
	s_cbranch_execz .LBB63_1316
.LBB63_412:
	s_waitcnt vmcnt(0)
	global_load_ubyte v1, v[4:5], off
	s_mov_b32 s16, 0
	v_mov_b32_e32 v2, s16
	s_or_b64 s[50:51], s[50:51], exec
	s_waitcnt vmcnt(0)
	v_cmp_ne_u16_e32 vcc, 0, v1
	v_cndmask_b32_e64 v1, 0, 1, vcc
	s_or_b64 exec, exec, s[0:1]
	s_and_saveexec_b64 s[0:1], s[52:53]
	s_cbranch_execz .LBB63_1362
	s_branch .LBB63_1317
.LBB63_413:
                                        ; implicit-def: $vgpr0
                                        ; implicit-def: $vgpr5
                                        ; implicit-def: $vgpr3
	s_andn2_b64 vcc, exec, s[0:1]
	s_cbranch_vccz .LBB63_416
	s_branch .LBB63_418
.LBB63_414:
	v_mov_b32_e32 v0, 0
	s_waitcnt vmcnt(0)
	v_mov_b32_e32 v5, 0
	v_mov_b32_e32 v3, 0
.LBB63_415:
	s_cbranch_execnz .LBB63_418
.LBB63_416:
	v_mul_hi_u32 v0, s17, v8
	s_andn2_b64 vcc, exec, s[34:35]
	v_add_u32_e32 v0, v8, v0
	s_waitcnt vmcnt(0)
	v_lshrrev_b32_e32 v1, s18, v0
	v_mul_lo_u32 v0, v1, s16
	v_sub_u32_e32 v2, v8, v0
	v_mul_lo_u32 v0, v2, s20
	v_mul_lo_u32 v5, v2, s21
	v_mul_lo_u32 v3, v2, s22
	s_cbranch_vccnz .LBB63_418
; %bb.417:
	v_mul_hi_u32 v2, s30, v1
	v_add_u32_e32 v2, v1, v2
	v_lshrrev_b32_e32 v2, s31, v2
	v_mul_lo_u32 v2, v2, s19
	v_sub_u32_e32 v2, v1, v2
	v_mad_u64_u32 v[0:1], s[0:1], v2, s23, v[0:1]
	v_mad_u64_u32 v[5:6], s[0:1], v2, s28, v[5:6]
	;; [unrolled: 1-line block ×3, first 2 shown]
.LBB63_418:
	s_waitcnt vmcnt(0)
	v_mov_b32_e32 v1, s11
	s_and_b32 s50, s72, 0xff
	v_add_co_u32_e32 v4, vcc, s10, v5
	s_cmp_lt_i32 s50, 11
	v_addc_co_u32_e32 v5, vcc, 0, v1, vcc
	s_cbranch_scc1 .LBB63_425
; %bb.419:
	s_and_b32 s51, 0xffff, s50
	s_cmp_gt_i32 s51, 25
	s_cbranch_scc0 .LBB63_434
; %bb.420:
	s_cmp_gt_i32 s51, 28
	s_cbranch_scc0 .LBB63_436
; %bb.421:
	;; [unrolled: 3-line block ×4, first 2 shown]
	s_cmp_eq_u32 s51, 46
	s_mov_b64 s[48:49], 0
	s_cbranch_scc0 .LBB63_444
; %bb.424:
	global_load_dword v1, v[4:5], off
	s_mov_b32 s0, 0x2f800000
	s_mov_b32 s1, 0xcf800000
	s_mov_b64 s[46:47], 0
	s_waitcnt vmcnt(0)
	v_lshlrev_b32_e32 v1, 16, v1
	v_trunc_f32_e32 v1, v1
	v_mul_f32_e64 v2, |v1|, s0
	v_floor_f32_e32 v2, v2
	v_fma_f32 v6, v2, s1, |v1|
	v_cvt_u32_f32_e32 v6, v6
	v_cvt_u32_f32_e32 v2, v2
	v_ashrrev_i32_e32 v7, 31, v1
	s_mov_b64 s[0:1], -1
	v_xor_b32_e32 v1, v6, v7
	v_xor_b32_e32 v2, v2, v7
	v_sub_co_u32_e32 v1, vcc, v1, v7
	v_subb_co_u32_e32 v2, vcc, v2, v7, vcc
	s_branch .LBB63_445
.LBB63_425:
	s_mov_b64 s[0:1], 0
                                        ; implicit-def: $vgpr1_vgpr2
	s_mov_b64 s[46:47], s[42:43]
	s_cbranch_execnz .LBB63_507
.LBB63_426:
	s_andn2_b64 vcc, exec, s[0:1]
	s_cbranch_vccnz .LBB63_555
.LBB63_427:
	v_mov_b32_e32 v4, s13
	s_and_b32 s54, s71, 0xff
	v_add_co_u32_e32 v3, vcc, s12, v3
	s_cmp_lt_i32 s54, 11
	v_addc_co_u32_e32 v4, vcc, 0, v4, vcc
	s_cbranch_scc1 .LBB63_435
; %bb.428:
	s_and_b32 s55, 0xffff, s54
	s_cmp_gt_i32 s55, 25
	s_cbranch_scc0 .LBB63_437
; %bb.429:
	s_cmp_gt_i32 s55, 28
	s_cbranch_scc0 .LBB63_439
; %bb.430:
	;; [unrolled: 3-line block ×4, first 2 shown]
	s_cmp_eq_u32 s55, 46
	s_mov_b64 s[50:51], 0
	s_cbranch_scc0 .LBB63_559
; %bb.433:
	global_load_dword v5, v[3:4], off
	s_mov_b32 s0, 0x2f800000
	s_mov_b32 s1, 0xcf800000
	s_mov_b64 s[48:49], 0
	s_waitcnt vmcnt(0)
	v_lshlrev_b32_e32 v5, 16, v5
	v_trunc_f32_e32 v5, v5
	v_mul_f32_e64 v6, |v5|, s0
	v_floor_f32_e32 v6, v6
	v_fma_f32 v7, v6, s1, |v5|
	v_cvt_u32_f32_e32 v7, v7
	v_cvt_u32_f32_e32 v6, v6
	v_ashrrev_i32_e32 v9, 31, v5
	s_mov_b64 s[0:1], -1
	v_xor_b32_e32 v5, v7, v9
	v_xor_b32_e32 v6, v6, v9
	v_sub_co_u32_e32 v5, vcc, v5, v9
	v_subb_co_u32_e32 v6, vcc, v6, v9, vcc
	s_branch .LBB63_560
.LBB63_434:
	s_mov_b64 s[48:49], -1
	s_mov_b64 s[0:1], 0
	s_mov_b64 s[46:47], s[42:43]
                                        ; implicit-def: $vgpr1_vgpr2
	s_branch .LBB63_475
.LBB63_435:
	s_mov_b64 s[50:51], -1
	s_mov_b64 s[0:1], 0
                                        ; implicit-def: $vgpr5_vgpr6
	s_mov_b64 s[48:49], s[40:41]
	s_branch .LBB63_621
.LBB63_436:
	s_mov_b64 s[48:49], -1
	s_mov_b64 s[0:1], 0
	s_mov_b64 s[46:47], s[42:43]
                                        ; implicit-def: $vgpr1_vgpr2
	s_branch .LBB63_456
.LBB63_437:
	s_mov_b64 s[50:51], -1
	s_mov_b64 s[0:1], 0
	s_mov_b64 s[48:49], s[40:41]
                                        ; implicit-def: $vgpr5_vgpr6
	s_branch .LBB63_589
.LBB63_438:
	s_mov_b64 s[48:49], -1
	s_mov_b64 s[0:1], 0
	s_mov_b64 s[46:47], s[42:43]
                                        ; implicit-def: $vgpr1_vgpr2
	s_branch .LBB63_451
.LBB63_439:
	s_mov_b64 s[50:51], -1
	s_mov_b64 s[0:1], 0
	s_mov_b64 s[48:49], s[40:41]
                                        ; implicit-def: $vgpr5_vgpr6
	s_branch .LBB63_570
.LBB63_440:
	s_mov_b64 s[48:49], -1
	s_mov_b64 s[0:1], 0
	s_mov_b64 s[46:47], s[42:43]
                                        ; implicit-def: $vgpr1_vgpr2
	s_branch .LBB63_445
.LBB63_441:
	s_mov_b64 s[50:51], -1
	s_mov_b64 s[0:1], 0
	s_mov_b64 s[48:49], s[40:41]
                                        ; implicit-def: $vgpr5_vgpr6
	s_branch .LBB63_565
.LBB63_442:
	s_andn2_saveexec_b64 s[52:53], s[52:53]
	s_cbranch_execz .LBB63_203
.LBB63_443:
	v_add_f32_e32 v2, 0x46000000, v3
	v_and_b32_e32 v2, 0xff, v2
	v_cmp_ne_u32_e32 vcc, 0, v2
	s_andn2_b64 s[50:51], s[50:51], exec
	s_and_b64 s[56:57], vcc, exec
	s_or_b64 s[50:51], s[50:51], s[56:57]
	s_or_b64 exec, exec, s[52:53]
	v_mov_b32_e32 v4, 0
	s_and_saveexec_b64 s[52:53], s[50:51]
	s_cbranch_execnz .LBB63_204
	s_branch .LBB63_205
.LBB63_444:
	s_mov_b64 s[46:47], -1
                                        ; implicit-def: $vgpr1_vgpr2
	s_mov_b64 s[0:1], 0
.LBB63_445:
	s_and_b64 vcc, exec, s[48:49]
	s_cbranch_vccz .LBB63_450
; %bb.446:
	s_cmp_eq_u32 s51, 44
	s_cbranch_scc0 .LBB63_449
; %bb.447:
	global_load_ubyte v1, v[4:5], off
	s_mov_b32 s0, 0x2f800000
	s_mov_b32 s1, 0xcf800000
	s_mov_b64 s[46:47], 0
	s_waitcnt vmcnt(0)
	v_lshlrev_b32_e32 v2, 23, v1
	v_trunc_f32_e32 v2, v2
	v_mul_f32_e64 v6, |v2|, s0
	v_floor_f32_e32 v6, v6
	v_fma_f32 v7, v6, s1, |v2|
	v_cvt_u32_f32_e32 v7, v7
	v_cvt_u32_f32_e32 v6, v6
	v_ashrrev_i32_e32 v2, 31, v2
	s_mov_b64 s[0:1], -1
	v_xor_b32_e32 v7, v7, v2
	v_xor_b32_e32 v6, v6, v2
	v_sub_co_u32_e32 v7, vcc, v7, v2
	v_subb_co_u32_e32 v2, vcc, v6, v2, vcc
	v_cmp_ne_u32_e32 vcc, 0, v1
	v_cndmask_b32_e32 v2, 0, v2, vcc
	v_cndmask_b32_e32 v1, 0, v7, vcc
	s_branch .LBB63_450
.LBB63_448:
	s_mov_b64 s[50:51], -1
	s_mov_b64 s[0:1], 0
	s_mov_b64 s[48:49], s[40:41]
                                        ; implicit-def: $vgpr5_vgpr6
	s_branch .LBB63_560
.LBB63_449:
	s_mov_b64 s[46:47], -1
                                        ; implicit-def: $vgpr1_vgpr2
.LBB63_450:
	s_mov_b64 s[48:49], 0
.LBB63_451:
	s_and_b64 vcc, exec, s[48:49]
	s_cbranch_vccz .LBB63_455
; %bb.452:
	s_cmp_eq_u32 s51, 29
	s_cbranch_scc0 .LBB63_454
; %bb.453:
	global_load_dwordx2 v[1:2], v[4:5], off
	s_mov_b64 s[0:1], -1
	s_mov_b64 s[46:47], 0
	s_branch .LBB63_455
.LBB63_454:
	s_mov_b64 s[46:47], -1
                                        ; implicit-def: $vgpr1_vgpr2
.LBB63_455:
	s_mov_b64 s[48:49], 0
.LBB63_456:
	s_and_b64 vcc, exec, s[48:49]
	s_cbranch_vccz .LBB63_474
; %bb.457:
	s_cmp_lt_i32 s51, 27
	s_cbranch_scc1 .LBB63_460
; %bb.458:
	s_cmp_gt_i32 s51, 27
	s_cbranch_scc0 .LBB63_461
; %bb.459:
	global_load_dword v1, v[4:5], off
	s_waitcnt vmcnt(1)
	v_mov_b32_e32 v2, 0
	s_mov_b64 s[0:1], 0
	s_branch .LBB63_462
.LBB63_460:
	s_mov_b64 s[0:1], -1
                                        ; implicit-def: $vgpr1_vgpr2
	s_branch .LBB63_465
.LBB63_461:
	s_mov_b64 s[0:1], -1
                                        ; implicit-def: $vgpr1_vgpr2
.LBB63_462:
	s_andn2_b64 vcc, exec, s[0:1]
	s_cbranch_vccnz .LBB63_464
; %bb.463:
	global_load_ushort v1, v[4:5], off
	s_mov_b32 s0, 0
	s_waitcnt vmcnt(1)
	v_mov_b32_e32 v2, s0
	s_waitcnt vmcnt(0)
	v_and_b32_e32 v1, 0xffff, v1
.LBB63_464:
	s_mov_b64 s[0:1], 0
.LBB63_465:
	s_andn2_b64 vcc, exec, s[0:1]
	s_cbranch_vccnz .LBB63_473
; %bb.466:
	global_load_ubyte v6, v[4:5], off
	s_movk_i32 s0, 0x7f
	s_mov_b64 s[48:49], 0
	s_waitcnt vmcnt(0)
	v_cmp_lt_i16_e32 vcc, s0, v6
	s_and_saveexec_b64 s[0:1], vcc
	s_xor_b64 s[0:1], exec, s[0:1]
; %bb.467:
	s_movk_i32 s48, 0x80
	v_cmp_ne_u16_e32 vcc, s48, v6
	s_and_b64 s[48:49], vcc, exec
; %bb.468:
	s_andn2_saveexec_b64 s[0:1], s[0:1]
; %bb.469:
	v_cmp_ne_u16_e32 vcc, 0, v6
	s_andn2_b64 s[48:49], s[48:49], exec
	s_and_b64 s[54:55], vcc, exec
	s_or_b64 s[48:49], s[48:49], s[54:55]
; %bb.470:
	s_or_b64 exec, exec, s[0:1]
	v_mov_b32_e32 v1, 0
	v_mov_b32_e32 v2, 0
	s_and_saveexec_b64 s[0:1], s[48:49]
	s_cbranch_execz .LBB63_472
; %bb.471:
	v_and_b32_e32 v2, 0xffff, v6
	v_lshlrev_b32_e32 v1, 24, v6
	v_and_b32_e32 v6, 7, v2
	v_ffbh_u32_e32 v9, v6
	v_min_u32_e32 v9, 32, v9
	v_subrev_u32_e32 v10, 28, v9
	v_bfe_u32 v7, v2, 3, 4
	v_lshlrev_b32_e32 v2, v10, v2
	v_sub_u32_e32 v9, 29, v9
	v_and_b32_e32 v2, 7, v2
	v_cmp_eq_u32_e32 vcc, 0, v7
	v_cndmask_b32_e32 v7, v7, v9, vcc
	v_cndmask_b32_e32 v2, v6, v2, vcc
	v_mov_b32_e32 v6, 0x3b800000
	v_lshlrev_b32_e32 v2, 20, v2
	v_and_b32_e32 v1, 0x80000000, v1
	v_lshl_add_u32 v6, v7, 23, v6
	v_or3_b32 v1, v1, v6, v2
	v_trunc_f32_e32 v1, v1
	s_mov_b32 s48, 0x2f800000
	v_mul_f32_e64 v2, |v1|, s48
	v_floor_f32_e32 v2, v2
	s_mov_b32 s48, 0xcf800000
	v_fma_f32 v6, v2, s48, |v1|
	v_cvt_u32_f32_e32 v6, v6
	v_cvt_u32_f32_e32 v2, v2
	v_ashrrev_i32_e32 v7, 31, v1
	v_xor_b32_e32 v1, v6, v7
	v_xor_b32_e32 v2, v2, v7
	v_sub_co_u32_e32 v1, vcc, v1, v7
	v_subb_co_u32_e32 v2, vcc, v2, v7, vcc
.LBB63_472:
	s_or_b64 exec, exec, s[0:1]
.LBB63_473:
	s_mov_b64 s[0:1], -1
.LBB63_474:
	s_mov_b64 s[48:49], 0
.LBB63_475:
	s_and_b64 vcc, exec, s[48:49]
	s_cbranch_vccz .LBB63_506
; %bb.476:
	s_cmp_gt_i32 s51, 22
	s_cbranch_scc0 .LBB63_486
; %bb.477:
	s_cmp_lt_i32 s51, 24
	s_cbranch_scc1 .LBB63_487
; %bb.478:
	s_cmp_gt_i32 s51, 24
	s_cbranch_scc0 .LBB63_488
; %bb.479:
	global_load_ubyte v6, v[4:5], off
	s_movk_i32 s0, 0x7f
	s_mov_b64 s[48:49], 0
	s_waitcnt vmcnt(0)
	v_cmp_lt_i16_e32 vcc, s0, v6
	s_and_saveexec_b64 s[0:1], vcc
	s_xor_b64 s[0:1], exec, s[0:1]
; %bb.480:
	s_movk_i32 s48, 0x80
	v_cmp_ne_u16_e32 vcc, s48, v6
	s_and_b64 s[48:49], vcc, exec
; %bb.481:
	s_andn2_saveexec_b64 s[0:1], s[0:1]
; %bb.482:
	v_cmp_ne_u16_e32 vcc, 0, v6
	s_andn2_b64 s[48:49], s[48:49], exec
	s_and_b64 s[54:55], vcc, exec
	s_or_b64 s[48:49], s[48:49], s[54:55]
; %bb.483:
	s_or_b64 exec, exec, s[0:1]
	v_mov_b32_e32 v1, 0
	v_mov_b32_e32 v2, 0
	s_and_saveexec_b64 s[0:1], s[48:49]
	s_cbranch_execz .LBB63_485
; %bb.484:
	v_and_b32_e32 v2, 0xffff, v6
	v_lshlrev_b32_e32 v1, 24, v6
	v_and_b32_e32 v6, 3, v2
	v_ffbh_u32_e32 v9, v6
	v_min_u32_e32 v9, 32, v9
	v_subrev_u32_e32 v10, 29, v9
	v_bfe_u32 v7, v2, 2, 5
	v_lshlrev_b32_e32 v2, v10, v2
	v_sub_u32_e32 v9, 30, v9
	v_and_b32_e32 v2, 3, v2
	v_cmp_eq_u32_e32 vcc, 0, v7
	v_cndmask_b32_e32 v7, v7, v9, vcc
	v_cndmask_b32_e32 v2, v6, v2, vcc
	v_mov_b32_e32 v6, 0x37800000
	v_lshlrev_b32_e32 v2, 21, v2
	v_and_b32_e32 v1, 0x80000000, v1
	v_lshl_add_u32 v6, v7, 23, v6
	v_or3_b32 v1, v1, v6, v2
	v_trunc_f32_e32 v1, v1
	s_mov_b32 s48, 0x2f800000
	v_mul_f32_e64 v2, |v1|, s48
	v_floor_f32_e32 v2, v2
	s_mov_b32 s48, 0xcf800000
	v_fma_f32 v6, v2, s48, |v1|
	v_cvt_u32_f32_e32 v6, v6
	v_cvt_u32_f32_e32 v2, v2
	v_ashrrev_i32_e32 v7, 31, v1
	v_xor_b32_e32 v1, v6, v7
	v_xor_b32_e32 v2, v2, v7
	v_sub_co_u32_e32 v1, vcc, v1, v7
	v_subb_co_u32_e32 v2, vcc, v2, v7, vcc
.LBB63_485:
	s_or_b64 exec, exec, s[0:1]
	s_mov_b64 s[0:1], 0
	s_branch .LBB63_489
.LBB63_486:
	s_mov_b64 s[48:49], -1
                                        ; implicit-def: $vgpr1_vgpr2
	s_branch .LBB63_495
.LBB63_487:
	s_mov_b64 s[0:1], -1
                                        ; implicit-def: $vgpr1_vgpr2
	s_branch .LBB63_492
.LBB63_488:
	s_mov_b64 s[0:1], -1
                                        ; implicit-def: $vgpr1_vgpr2
.LBB63_489:
	s_and_b64 vcc, exec, s[0:1]
	s_cbranch_vccz .LBB63_491
; %bb.490:
	global_load_ubyte v1, v[4:5], off
	s_mov_b32 s0, 0x7f800000
	s_brev_b32 s1, 1
	s_mov_b32 s48, 0x2f800000
	s_mov_b32 s49, 0xcf800000
	s_waitcnt vmcnt(0)
	v_lshlrev_b32_e32 v1, 24, v1
	v_and_b32_e32 v2, 0x7f000000, v1
	v_ffbh_u32_e32 v6, v2
	v_min_u32_e32 v6, 32, v6
	v_sub_u32_e64 v6, v6, 4 clamp
	v_lshlrev_b32_e32 v9, v6, v2
	v_lshlrev_b32_e32 v6, 23, v6
	v_lshrrev_b32_e32 v9, 4, v9
	v_add_u32_e32 v7, 0x1000000, v2
	v_sub_u32_e32 v6, v9, v6
	v_ashrrev_i32_e32 v7, 8, v7
	v_add_u32_e32 v6, 0x3c000000, v6
	v_and_or_b32 v6, v7, s0, v6
	v_cmp_ne_u32_e32 vcc, 0, v2
	v_cndmask_b32_e32 v2, 0, v6, vcc
	v_and_or_b32 v1, v1, s1, v2
	v_trunc_f32_e32 v1, v1
	v_mul_f32_e64 v2, |v1|, s48
	v_floor_f32_e32 v2, v2
	v_fma_f32 v6, v2, s49, |v1|
	v_cvt_u32_f32_e32 v6, v6
	v_cvt_u32_f32_e32 v2, v2
	v_ashrrev_i32_e32 v7, 31, v1
	v_xor_b32_e32 v1, v6, v7
	v_xor_b32_e32 v2, v2, v7
	v_sub_co_u32_e32 v1, vcc, v1, v7
	v_subb_co_u32_e32 v2, vcc, v2, v7, vcc
.LBB63_491:
	s_mov_b64 s[0:1], 0
.LBB63_492:
	s_andn2_b64 vcc, exec, s[0:1]
	s_cbranch_vccnz .LBB63_494
; %bb.493:
	global_load_ubyte v1, v[4:5], off
	s_movk_i32 s0, 0x7f00
	s_brev_b32 s1, 16
	s_brev_b32 s48, 1
	s_mov_b32 s49, 0x2f800000
	s_mov_b32 s54, 0xcf800000
	s_waitcnt vmcnt(0)
	v_lshlrev_b16_e32 v2, 8, v1
	v_lshlrev_b32_e32 v1, 25, v1
	v_lshrrev_b32_e32 v6, 4, v1
	v_and_or_b32 v7, v2, s0, 0.5
	v_or_b32_e32 v6, 0x70000000, v6
	v_add_f32_e32 v7, -0.5, v7
	v_mul_f32_e32 v6, 0x7800000, v6
	v_cmp_gt_u32_e32 vcc, s1, v1
	v_bfe_i32 v2, v2, 0, 16
	v_cndmask_b32_e32 v1, v6, v7, vcc
	v_and_or_b32 v1, v2, s48, v1
	v_trunc_f32_e32 v1, v1
	v_mul_f32_e64 v2, |v1|, s49
	v_floor_f32_e32 v2, v2
	v_fma_f32 v6, v2, s54, |v1|
	v_cvt_u32_f32_e32 v6, v6
	v_cvt_u32_f32_e32 v2, v2
	v_ashrrev_i32_e32 v7, 31, v1
	v_xor_b32_e32 v1, v6, v7
	v_xor_b32_e32 v2, v2, v7
	v_sub_co_u32_e32 v1, vcc, v1, v7
	v_subb_co_u32_e32 v2, vcc, v2, v7, vcc
.LBB63_494:
	s_mov_b64 s[48:49], 0
	s_mov_b64 s[0:1], -1
.LBB63_495:
	s_andn2_b64 vcc, exec, s[48:49]
	s_cbranch_vccnz .LBB63_506
; %bb.496:
	s_cmp_gt_i32 s51, 14
	s_cbranch_scc0 .LBB63_499
; %bb.497:
	s_cmp_eq_u32 s51, 15
	s_cbranch_scc0 .LBB63_500
; %bb.498:
	global_load_ushort v1, v[4:5], off
	s_mov_b32 s0, 0x2f800000
	s_mov_b32 s1, 0xcf800000
	s_mov_b64 s[46:47], 0
	s_waitcnt vmcnt(0)
	v_lshlrev_b32_e32 v1, 16, v1
	v_trunc_f32_e32 v1, v1
	v_mul_f32_e64 v2, |v1|, s0
	v_floor_f32_e32 v2, v2
	v_fma_f32 v6, v2, s1, |v1|
	v_cvt_u32_f32_e32 v6, v6
	v_cvt_u32_f32_e32 v2, v2
	v_ashrrev_i32_e32 v7, 31, v1
	s_mov_b64 s[0:1], -1
	v_xor_b32_e32 v1, v6, v7
	v_xor_b32_e32 v2, v2, v7
	v_sub_co_u32_e32 v1, vcc, v1, v7
	v_subb_co_u32_e32 v2, vcc, v2, v7, vcc
	s_branch .LBB63_501
.LBB63_499:
	s_mov_b64 s[48:49], -1
                                        ; implicit-def: $vgpr1_vgpr2
	s_branch .LBB63_502
.LBB63_500:
	s_mov_b64 s[46:47], -1
                                        ; implicit-def: $vgpr1_vgpr2
.LBB63_501:
	s_mov_b64 s[48:49], 0
.LBB63_502:
	s_and_b64 vcc, exec, s[48:49]
	s_cbranch_vccz .LBB63_506
; %bb.503:
	s_cmp_eq_u32 s51, 11
	s_cbranch_scc0 .LBB63_505
; %bb.504:
	global_load_ubyte v1, v[4:5], off
	s_mov_b32 s46, 0
	s_mov_b64 s[0:1], -1
	s_waitcnt vmcnt(1)
	v_mov_b32_e32 v2, s46
	s_mov_b64 s[46:47], 0
	s_waitcnt vmcnt(0)
	v_cmp_ne_u16_e32 vcc, 0, v1
	v_cndmask_b32_e64 v1, 0, 1, vcc
	s_branch .LBB63_506
.LBB63_505:
	s_mov_b64 s[46:47], -1
                                        ; implicit-def: $vgpr1_vgpr2
.LBB63_506:
	s_branch .LBB63_426
.LBB63_507:
	s_and_b32 s48, 0xffff, s50
	s_cmp_lt_i32 s48, 5
	s_cbranch_scc1 .LBB63_512
; %bb.508:
	s_cmp_lt_i32 s48, 8
	s_cbranch_scc1 .LBB63_513
; %bb.509:
	;; [unrolled: 3-line block ×3, first 2 shown]
	s_cmp_gt_i32 s48, 9
	s_cbranch_scc0 .LBB63_515
; %bb.511:
	global_load_dwordx2 v[1:2], v[4:5], off
	s_movk_i32 s0, 0xffe0
	s_waitcnt vmcnt(0)
	v_trunc_f64_e32 v[1:2], v[1:2]
	v_ldexp_f64 v[6:7], v[1:2], s0
	s_mov_b32 s0, 0
	s_mov_b32 s1, 0xc1f00000
	v_floor_f64_e32 v[6:7], v[6:7]
	v_fma_f64 v[9:10], v[6:7], s[0:1], v[1:2]
	v_cvt_i32_f64_e32 v2, v[6:7]
	s_mov_b64 s[0:1], 0
	v_cvt_u32_f64_e32 v1, v[9:10]
	s_branch .LBB63_516
.LBB63_512:
	s_mov_b64 s[0:1], -1
                                        ; implicit-def: $vgpr1_vgpr2
	s_branch .LBB63_534
.LBB63_513:
	s_mov_b64 s[0:1], -1
                                        ; implicit-def: $vgpr1_vgpr2
	s_branch .LBB63_522
.LBB63_514:
	s_mov_b64 s[0:1], -1
                                        ; implicit-def: $vgpr1_vgpr2
	s_branch .LBB63_519
.LBB63_515:
	s_mov_b64 s[0:1], -1
                                        ; implicit-def: $vgpr1_vgpr2
.LBB63_516:
	s_andn2_b64 vcc, exec, s[0:1]
	s_cbranch_vccnz .LBB63_518
; %bb.517:
	global_load_dword v1, v[4:5], off
	s_mov_b32 s0, 0x2f800000
	s_mov_b32 s1, 0xcf800000
	s_waitcnt vmcnt(0)
	v_trunc_f32_e32 v1, v1
	v_mul_f32_e64 v2, |v1|, s0
	v_floor_f32_e32 v2, v2
	v_cvt_u32_f32_e32 v6, v2
	v_fma_f32 v2, v2, s1, |v1|
	v_cvt_u32_f32_e32 v2, v2
	v_ashrrev_i32_e32 v7, 31, v1
	v_xor_b32_e32 v6, v6, v7
	v_xor_b32_e32 v1, v2, v7
	v_sub_co_u32_e32 v1, vcc, v1, v7
	v_subb_co_u32_e32 v2, vcc, v6, v7, vcc
.LBB63_518:
	s_mov_b64 s[0:1], 0
.LBB63_519:
	s_andn2_b64 vcc, exec, s[0:1]
	s_cbranch_vccnz .LBB63_521
; %bb.520:
	global_load_dword v1, v[4:5], off
	s_waitcnt vmcnt(0)
	v_cvt_f32_f16_e32 v1, v1
	v_cvt_i32_f32_e32 v1, v1
	v_ashrrev_i32_e32 v2, 31, v1
.LBB63_521:
	s_mov_b64 s[0:1], 0
.LBB63_522:
	s_andn2_b64 vcc, exec, s[0:1]
	s_cbranch_vccnz .LBB63_533
; %bb.523:
	s_cmp_lt_i32 s48, 6
	s_cbranch_scc1 .LBB63_526
; %bb.524:
	s_cmp_gt_i32 s48, 6
	s_cbranch_scc0 .LBB63_527
; %bb.525:
	global_load_dwordx2 v[1:2], v[4:5], off
	s_movk_i32 s0, 0xffe0
	s_waitcnt vmcnt(0)
	v_trunc_f64_e32 v[1:2], v[1:2]
	v_ldexp_f64 v[6:7], v[1:2], s0
	s_mov_b32 s0, 0
	s_mov_b32 s1, 0xc1f00000
	v_floor_f64_e32 v[6:7], v[6:7]
	v_fma_f64 v[9:10], v[6:7], s[0:1], v[1:2]
	v_cvt_i32_f64_e32 v2, v[6:7]
	s_mov_b64 s[0:1], 0
	v_cvt_u32_f64_e32 v1, v[9:10]
	s_branch .LBB63_528
.LBB63_526:
	s_mov_b64 s[0:1], -1
                                        ; implicit-def: $vgpr1_vgpr2
	s_branch .LBB63_531
.LBB63_527:
	s_mov_b64 s[0:1], -1
                                        ; implicit-def: $vgpr1_vgpr2
.LBB63_528:
	s_andn2_b64 vcc, exec, s[0:1]
	s_cbranch_vccnz .LBB63_530
; %bb.529:
	global_load_dword v1, v[4:5], off
	s_mov_b32 s0, 0x2f800000
	s_mov_b32 s1, 0xcf800000
	s_waitcnt vmcnt(0)
	v_trunc_f32_e32 v1, v1
	v_mul_f32_e64 v2, |v1|, s0
	v_floor_f32_e32 v2, v2
	v_cvt_u32_f32_e32 v6, v2
	v_fma_f32 v2, v2, s1, |v1|
	v_cvt_u32_f32_e32 v2, v2
	v_ashrrev_i32_e32 v7, 31, v1
	v_xor_b32_e32 v6, v6, v7
	v_xor_b32_e32 v1, v2, v7
	v_sub_co_u32_e32 v1, vcc, v1, v7
	v_subb_co_u32_e32 v2, vcc, v6, v7, vcc
.LBB63_530:
	s_mov_b64 s[0:1], 0
.LBB63_531:
	s_andn2_b64 vcc, exec, s[0:1]
	s_cbranch_vccnz .LBB63_533
; %bb.532:
	global_load_ushort v1, v[4:5], off
	s_waitcnt vmcnt(0)
	v_cvt_f32_f16_e32 v1, v1
	v_cvt_i32_f32_e32 v1, v1
	v_ashrrev_i32_e32 v2, 31, v1
.LBB63_533:
	s_mov_b64 s[0:1], 0
.LBB63_534:
	s_andn2_b64 vcc, exec, s[0:1]
	s_cbranch_vccnz .LBB63_554
; %bb.535:
	s_cmp_lt_i32 s48, 2
	s_cbranch_scc1 .LBB63_539
; %bb.536:
	s_cmp_lt_i32 s48, 3
	s_cbranch_scc1 .LBB63_540
; %bb.537:
	s_cmp_gt_i32 s48, 3
	s_cbranch_scc0 .LBB63_541
; %bb.538:
	global_load_dwordx2 v[1:2], v[4:5], off
	s_mov_b64 s[0:1], 0
	s_branch .LBB63_542
.LBB63_539:
	s_mov_b64 s[0:1], -1
                                        ; implicit-def: $vgpr1_vgpr2
	s_branch .LBB63_548
.LBB63_540:
	s_mov_b64 s[0:1], -1
                                        ; implicit-def: $vgpr1_vgpr2
	s_branch .LBB63_545
.LBB63_541:
	s_mov_b64 s[0:1], -1
                                        ; implicit-def: $vgpr1_vgpr2
.LBB63_542:
	s_andn2_b64 vcc, exec, s[0:1]
	s_cbranch_vccnz .LBB63_544
; %bb.543:
	global_load_dword v1, v[4:5], off
	s_waitcnt vmcnt(0)
	v_ashrrev_i32_e32 v2, 31, v1
.LBB63_544:
	s_mov_b64 s[0:1], 0
.LBB63_545:
	s_andn2_b64 vcc, exec, s[0:1]
	s_cbranch_vccnz .LBB63_547
; %bb.546:
	global_load_ushort v1, v[4:5], off
	s_waitcnt vmcnt(0)
	v_bfe_i32 v1, v1, 0, 16
	v_ashrrev_i32_e32 v2, 31, v1
.LBB63_547:
	s_mov_b64 s[0:1], 0
.LBB63_548:
	s_andn2_b64 vcc, exec, s[0:1]
	s_cbranch_vccnz .LBB63_554
; %bb.549:
	s_cmp_gt_i32 s48, 0
	s_cbranch_scc0 .LBB63_551
; %bb.550:
	global_load_sbyte v1, v[4:5], off
	s_mov_b64 s[0:1], 0
	s_waitcnt vmcnt(0)
	v_bfe_i32 v1, v1, 0, 16
	v_ashrrev_i32_e32 v2, 31, v1
	s_branch .LBB63_552
.LBB63_551:
	s_mov_b64 s[0:1], -1
                                        ; implicit-def: $vgpr1_vgpr2
.LBB63_552:
	s_andn2_b64 vcc, exec, s[0:1]
	s_cbranch_vccnz .LBB63_554
; %bb.553:
	global_load_ubyte v1, v[4:5], off
	s_mov_b32 s0, 0
	s_waitcnt vmcnt(1)
	v_mov_b32_e32 v2, s0
	s_waitcnt vmcnt(0)
	v_and_b32_e32 v1, 0xffff, v1
.LBB63_554:
	s_branch .LBB63_427
.LBB63_555:
	s_mov_b64 s[54:55], 0
	s_mov_b64 s[0:1], s[38:39]
	;; [unrolled: 1-line block ×3, first 2 shown]
.LBB63_556:
                                        ; implicit-def: $vgpr8
	s_branch .LBB63_811
.LBB63_557:
	s_andn2_saveexec_b64 s[52:53], s[52:53]
	s_cbranch_execz .LBB63_216
.LBB63_558:
	v_add_f32_e32 v2, 0x42800000, v3
	v_and_b32_e32 v2, 0xff, v2
	v_cmp_ne_u32_e32 vcc, 0, v2
	s_andn2_b64 s[50:51], s[50:51], exec
	s_and_b64 s[56:57], vcc, exec
	s_or_b64 s[50:51], s[50:51], s[56:57]
	s_or_b64 exec, exec, s[52:53]
	v_mov_b32_e32 v4, 0
	s_and_saveexec_b64 s[52:53], s[50:51]
	s_cbranch_execnz .LBB63_217
	s_branch .LBB63_218
.LBB63_559:
	s_mov_b64 s[48:49], -1
                                        ; implicit-def: $vgpr5_vgpr6
	s_mov_b64 s[0:1], 0
.LBB63_560:
	s_and_b64 vcc, exec, s[50:51]
	s_cbranch_vccz .LBB63_564
; %bb.561:
	s_cmp_eq_u32 s55, 44
	s_cbranch_scc0 .LBB63_563
; %bb.562:
	global_load_ubyte v5, v[3:4], off
	s_mov_b32 s0, 0x2f800000
	s_mov_b32 s1, 0xcf800000
	s_mov_b64 s[48:49], 0
	s_waitcnt vmcnt(0)
	v_lshlrev_b32_e32 v6, 23, v5
	v_trunc_f32_e32 v6, v6
	v_mul_f32_e64 v7, |v6|, s0
	v_floor_f32_e32 v7, v7
	v_fma_f32 v9, v7, s1, |v6|
	v_cvt_u32_f32_e32 v9, v9
	v_cvt_u32_f32_e32 v7, v7
	v_ashrrev_i32_e32 v6, 31, v6
	s_mov_b64 s[0:1], -1
	v_xor_b32_e32 v9, v9, v6
	v_xor_b32_e32 v7, v7, v6
	v_sub_co_u32_e32 v9, vcc, v9, v6
	v_subb_co_u32_e32 v6, vcc, v7, v6, vcc
	v_cmp_ne_u32_e32 vcc, 0, v5
	v_cndmask_b32_e32 v6, 0, v6, vcc
	v_cndmask_b32_e32 v5, 0, v9, vcc
	s_branch .LBB63_564
.LBB63_563:
	s_mov_b64 s[48:49], -1
                                        ; implicit-def: $vgpr5_vgpr6
.LBB63_564:
	s_mov_b64 s[50:51], 0
.LBB63_565:
	s_and_b64 vcc, exec, s[50:51]
	s_cbranch_vccz .LBB63_569
; %bb.566:
	s_cmp_eq_u32 s55, 29
	s_cbranch_scc0 .LBB63_568
; %bb.567:
	global_load_dwordx2 v[5:6], v[3:4], off
	s_mov_b64 s[0:1], -1
	s_mov_b64 s[48:49], 0
	s_branch .LBB63_569
.LBB63_568:
	s_mov_b64 s[48:49], -1
                                        ; implicit-def: $vgpr5_vgpr6
.LBB63_569:
	s_mov_b64 s[50:51], 0
.LBB63_570:
	s_and_b64 vcc, exec, s[50:51]
	s_cbranch_vccz .LBB63_588
; %bb.571:
	s_cmp_lt_i32 s55, 27
	s_cbranch_scc1 .LBB63_574
; %bb.572:
	s_cmp_gt_i32 s55, 27
	s_cbranch_scc0 .LBB63_575
; %bb.573:
	global_load_dword v5, v[3:4], off
	s_waitcnt vmcnt(1)
	v_mov_b32_e32 v6, 0
	s_mov_b64 s[0:1], 0
	s_branch .LBB63_576
.LBB63_574:
	s_mov_b64 s[0:1], -1
                                        ; implicit-def: $vgpr5_vgpr6
	s_branch .LBB63_579
.LBB63_575:
	s_mov_b64 s[0:1], -1
                                        ; implicit-def: $vgpr5_vgpr6
.LBB63_576:
	s_andn2_b64 vcc, exec, s[0:1]
	s_cbranch_vccnz .LBB63_578
; %bb.577:
	global_load_ushort v5, v[3:4], off
	s_mov_b32 s0, 0
	s_waitcnt vmcnt(1)
	v_mov_b32_e32 v6, s0
	s_waitcnt vmcnt(0)
	v_and_b32_e32 v5, 0xffff, v5
.LBB63_578:
	s_mov_b64 s[0:1], 0
.LBB63_579:
	s_andn2_b64 vcc, exec, s[0:1]
	s_cbranch_vccnz .LBB63_587
; %bb.580:
	global_load_ubyte v7, v[3:4], off
	s_movk_i32 s0, 0x7f
	s_mov_b64 s[50:51], 0
	s_waitcnt vmcnt(0)
	v_cmp_lt_i16_e32 vcc, s0, v7
	s_and_saveexec_b64 s[0:1], vcc
	s_xor_b64 s[0:1], exec, s[0:1]
; %bb.581:
	s_movk_i32 s50, 0x80
	v_cmp_ne_u16_e32 vcc, s50, v7
	s_and_b64 s[50:51], vcc, exec
; %bb.582:
	s_andn2_saveexec_b64 s[0:1], s[0:1]
; %bb.583:
	v_cmp_ne_u16_e32 vcc, 0, v7
	s_andn2_b64 s[50:51], s[50:51], exec
	s_and_b64 s[56:57], vcc, exec
	s_or_b64 s[50:51], s[50:51], s[56:57]
; %bb.584:
	s_or_b64 exec, exec, s[0:1]
	v_mov_b32_e32 v5, 0
	v_mov_b32_e32 v6, 0
	s_and_saveexec_b64 s[0:1], s[50:51]
	s_cbranch_execz .LBB63_586
; %bb.585:
	v_and_b32_e32 v6, 0xffff, v7
	v_lshlrev_b32_e32 v5, 24, v7
	v_and_b32_e32 v7, 7, v6
	v_ffbh_u32_e32 v10, v7
	v_min_u32_e32 v10, 32, v10
	v_subrev_u32_e32 v11, 28, v10
	v_bfe_u32 v9, v6, 3, 4
	v_lshlrev_b32_e32 v6, v11, v6
	v_sub_u32_e32 v10, 29, v10
	v_and_b32_e32 v6, 7, v6
	v_cmp_eq_u32_e32 vcc, 0, v9
	v_cndmask_b32_e32 v9, v9, v10, vcc
	v_cndmask_b32_e32 v6, v7, v6, vcc
	v_mov_b32_e32 v7, 0x3b800000
	v_lshlrev_b32_e32 v6, 20, v6
	v_and_b32_e32 v5, 0x80000000, v5
	v_lshl_add_u32 v7, v9, 23, v7
	v_or3_b32 v5, v5, v7, v6
	v_trunc_f32_e32 v5, v5
	s_mov_b32 s50, 0x2f800000
	v_mul_f32_e64 v6, |v5|, s50
	v_floor_f32_e32 v6, v6
	s_mov_b32 s50, 0xcf800000
	v_fma_f32 v7, v6, s50, |v5|
	v_cvt_u32_f32_e32 v7, v7
	v_cvt_u32_f32_e32 v6, v6
	v_ashrrev_i32_e32 v9, 31, v5
	v_xor_b32_e32 v5, v7, v9
	v_xor_b32_e32 v6, v6, v9
	v_sub_co_u32_e32 v5, vcc, v5, v9
	v_subb_co_u32_e32 v6, vcc, v6, v9, vcc
.LBB63_586:
	s_or_b64 exec, exec, s[0:1]
.LBB63_587:
	s_mov_b64 s[0:1], -1
.LBB63_588:
	s_mov_b64 s[50:51], 0
.LBB63_589:
	s_and_b64 vcc, exec, s[50:51]
	s_cbranch_vccz .LBB63_620
; %bb.590:
	s_cmp_gt_i32 s55, 22
	s_cbranch_scc0 .LBB63_600
; %bb.591:
	s_cmp_lt_i32 s55, 24
	s_cbranch_scc1 .LBB63_601
; %bb.592:
	s_cmp_gt_i32 s55, 24
	s_cbranch_scc0 .LBB63_602
; %bb.593:
	global_load_ubyte v7, v[3:4], off
	s_movk_i32 s0, 0x7f
	s_mov_b64 s[50:51], 0
	s_waitcnt vmcnt(0)
	v_cmp_lt_i16_e32 vcc, s0, v7
	s_and_saveexec_b64 s[0:1], vcc
	s_xor_b64 s[0:1], exec, s[0:1]
; %bb.594:
	s_movk_i32 s50, 0x80
	v_cmp_ne_u16_e32 vcc, s50, v7
	s_and_b64 s[50:51], vcc, exec
; %bb.595:
	s_andn2_saveexec_b64 s[0:1], s[0:1]
; %bb.596:
	v_cmp_ne_u16_e32 vcc, 0, v7
	s_andn2_b64 s[50:51], s[50:51], exec
	s_and_b64 s[56:57], vcc, exec
	s_or_b64 s[50:51], s[50:51], s[56:57]
; %bb.597:
	s_or_b64 exec, exec, s[0:1]
	v_mov_b32_e32 v5, 0
	v_mov_b32_e32 v6, 0
	s_and_saveexec_b64 s[0:1], s[50:51]
	s_cbranch_execz .LBB63_599
; %bb.598:
	v_and_b32_e32 v6, 0xffff, v7
	v_lshlrev_b32_e32 v5, 24, v7
	v_and_b32_e32 v7, 3, v6
	v_ffbh_u32_e32 v10, v7
	v_min_u32_e32 v10, 32, v10
	v_subrev_u32_e32 v11, 29, v10
	v_bfe_u32 v9, v6, 2, 5
	v_lshlrev_b32_e32 v6, v11, v6
	v_sub_u32_e32 v10, 30, v10
	v_and_b32_e32 v6, 3, v6
	v_cmp_eq_u32_e32 vcc, 0, v9
	v_cndmask_b32_e32 v9, v9, v10, vcc
	v_cndmask_b32_e32 v6, v7, v6, vcc
	v_mov_b32_e32 v7, 0x37800000
	v_lshlrev_b32_e32 v6, 21, v6
	v_and_b32_e32 v5, 0x80000000, v5
	v_lshl_add_u32 v7, v9, 23, v7
	v_or3_b32 v5, v5, v7, v6
	v_trunc_f32_e32 v5, v5
	s_mov_b32 s50, 0x2f800000
	v_mul_f32_e64 v6, |v5|, s50
	v_floor_f32_e32 v6, v6
	s_mov_b32 s50, 0xcf800000
	v_fma_f32 v7, v6, s50, |v5|
	v_cvt_u32_f32_e32 v7, v7
	v_cvt_u32_f32_e32 v6, v6
	v_ashrrev_i32_e32 v9, 31, v5
	v_xor_b32_e32 v5, v7, v9
	v_xor_b32_e32 v6, v6, v9
	v_sub_co_u32_e32 v5, vcc, v5, v9
	v_subb_co_u32_e32 v6, vcc, v6, v9, vcc
.LBB63_599:
	s_or_b64 exec, exec, s[0:1]
	s_mov_b64 s[0:1], 0
	s_branch .LBB63_603
.LBB63_600:
	s_mov_b64 s[50:51], -1
                                        ; implicit-def: $vgpr5_vgpr6
	s_branch .LBB63_609
.LBB63_601:
	s_mov_b64 s[0:1], -1
                                        ; implicit-def: $vgpr5_vgpr6
	s_branch .LBB63_606
.LBB63_602:
	s_mov_b64 s[0:1], -1
                                        ; implicit-def: $vgpr5_vgpr6
.LBB63_603:
	s_and_b64 vcc, exec, s[0:1]
	s_cbranch_vccz .LBB63_605
; %bb.604:
	global_load_ubyte v5, v[3:4], off
	s_mov_b32 s0, 0x7f800000
	s_brev_b32 s1, 1
	s_mov_b32 s50, 0x2f800000
	s_mov_b32 s51, 0xcf800000
	s_waitcnt vmcnt(0)
	v_lshlrev_b32_e32 v5, 24, v5
	v_and_b32_e32 v6, 0x7f000000, v5
	v_ffbh_u32_e32 v7, v6
	v_min_u32_e32 v7, 32, v7
	v_sub_u32_e64 v7, v7, 4 clamp
	v_lshlrev_b32_e32 v10, v7, v6
	v_lshlrev_b32_e32 v7, 23, v7
	v_lshrrev_b32_e32 v10, 4, v10
	v_add_u32_e32 v9, 0x1000000, v6
	v_sub_u32_e32 v7, v10, v7
	v_ashrrev_i32_e32 v9, 8, v9
	v_add_u32_e32 v7, 0x3c000000, v7
	v_and_or_b32 v7, v9, s0, v7
	v_cmp_ne_u32_e32 vcc, 0, v6
	v_cndmask_b32_e32 v6, 0, v7, vcc
	v_and_or_b32 v5, v5, s1, v6
	v_trunc_f32_e32 v5, v5
	v_mul_f32_e64 v6, |v5|, s50
	v_floor_f32_e32 v6, v6
	v_fma_f32 v7, v6, s51, |v5|
	v_cvt_u32_f32_e32 v7, v7
	v_cvt_u32_f32_e32 v6, v6
	v_ashrrev_i32_e32 v9, 31, v5
	v_xor_b32_e32 v5, v7, v9
	v_xor_b32_e32 v6, v6, v9
	v_sub_co_u32_e32 v5, vcc, v5, v9
	v_subb_co_u32_e32 v6, vcc, v6, v9, vcc
.LBB63_605:
	s_mov_b64 s[0:1], 0
.LBB63_606:
	s_andn2_b64 vcc, exec, s[0:1]
	s_cbranch_vccnz .LBB63_608
; %bb.607:
	global_load_ubyte v5, v[3:4], off
	s_movk_i32 s0, 0x7f00
	s_brev_b32 s1, 16
	s_brev_b32 s50, 1
	s_mov_b32 s51, 0x2f800000
	s_mov_b32 s56, 0xcf800000
	s_waitcnt vmcnt(0)
	v_lshlrev_b16_e32 v6, 8, v5
	v_lshlrev_b32_e32 v5, 25, v5
	v_lshrrev_b32_e32 v7, 4, v5
	v_and_or_b32 v9, v6, s0, 0.5
	v_or_b32_e32 v7, 0x70000000, v7
	v_add_f32_e32 v9, -0.5, v9
	v_mul_f32_e32 v7, 0x7800000, v7
	v_cmp_gt_u32_e32 vcc, s1, v5
	v_bfe_i32 v6, v6, 0, 16
	v_cndmask_b32_e32 v5, v7, v9, vcc
	v_and_or_b32 v5, v6, s50, v5
	v_trunc_f32_e32 v5, v5
	v_mul_f32_e64 v6, |v5|, s51
	v_floor_f32_e32 v6, v6
	v_fma_f32 v7, v6, s56, |v5|
	v_cvt_u32_f32_e32 v7, v7
	v_cvt_u32_f32_e32 v6, v6
	v_ashrrev_i32_e32 v9, 31, v5
	v_xor_b32_e32 v5, v7, v9
	v_xor_b32_e32 v6, v6, v9
	v_sub_co_u32_e32 v5, vcc, v5, v9
	v_subb_co_u32_e32 v6, vcc, v6, v9, vcc
.LBB63_608:
	s_mov_b64 s[50:51], 0
	s_mov_b64 s[0:1], -1
.LBB63_609:
	s_andn2_b64 vcc, exec, s[50:51]
	s_cbranch_vccnz .LBB63_620
; %bb.610:
	s_cmp_gt_i32 s55, 14
	s_cbranch_scc0 .LBB63_613
; %bb.611:
	s_cmp_eq_u32 s55, 15
	s_cbranch_scc0 .LBB63_614
; %bb.612:
	global_load_ushort v5, v[3:4], off
	s_mov_b32 s0, 0x2f800000
	s_mov_b32 s1, 0xcf800000
	s_mov_b64 s[48:49], 0
	s_waitcnt vmcnt(0)
	v_lshlrev_b32_e32 v5, 16, v5
	v_trunc_f32_e32 v5, v5
	v_mul_f32_e64 v6, |v5|, s0
	v_floor_f32_e32 v6, v6
	v_fma_f32 v7, v6, s1, |v5|
	v_cvt_u32_f32_e32 v7, v7
	v_cvt_u32_f32_e32 v6, v6
	v_ashrrev_i32_e32 v9, 31, v5
	s_mov_b64 s[0:1], -1
	v_xor_b32_e32 v5, v7, v9
	v_xor_b32_e32 v6, v6, v9
	v_sub_co_u32_e32 v5, vcc, v5, v9
	v_subb_co_u32_e32 v6, vcc, v6, v9, vcc
	s_branch .LBB63_615
.LBB63_613:
	s_mov_b64 s[50:51], -1
                                        ; implicit-def: $vgpr5_vgpr6
	s_branch .LBB63_616
.LBB63_614:
	s_mov_b64 s[48:49], -1
                                        ; implicit-def: $vgpr5_vgpr6
.LBB63_615:
	s_mov_b64 s[50:51], 0
.LBB63_616:
	s_and_b64 vcc, exec, s[50:51]
	s_cbranch_vccz .LBB63_620
; %bb.617:
	s_cmp_eq_u32 s55, 11
	s_cbranch_scc0 .LBB63_619
; %bb.618:
	global_load_ubyte v5, v[3:4], off
	s_mov_b32 s48, 0
	s_mov_b64 s[0:1], -1
	s_waitcnt vmcnt(1)
	v_mov_b32_e32 v6, s48
	s_mov_b64 s[48:49], 0
	s_waitcnt vmcnt(0)
	v_cmp_ne_u16_e32 vcc, 0, v5
	v_cndmask_b32_e64 v5, 0, 1, vcc
	s_branch .LBB63_620
.LBB63_619:
	s_mov_b64 s[48:49], -1
                                        ; implicit-def: $vgpr5_vgpr6
.LBB63_620:
	s_mov_b64 s[50:51], 0
.LBB63_621:
	s_and_b64 vcc, exec, s[50:51]
	s_cbranch_vccz .LBB63_670
; %bb.622:
	s_and_b32 s50, 0xffff, s54
	s_cmp_lt_i32 s50, 5
	s_cbranch_scc1 .LBB63_627
; %bb.623:
	s_cmp_lt_i32 s50, 8
	s_cbranch_scc1 .LBB63_628
; %bb.624:
	;; [unrolled: 3-line block ×3, first 2 shown]
	s_cmp_gt_i32 s50, 9
	s_cbranch_scc0 .LBB63_630
; %bb.626:
	global_load_dwordx2 v[5:6], v[3:4], off
	s_movk_i32 s0, 0xffe0
	s_waitcnt vmcnt(0)
	v_trunc_f64_e32 v[5:6], v[5:6]
	v_ldexp_f64 v[9:10], v[5:6], s0
	s_mov_b32 s0, 0
	s_mov_b32 s1, 0xc1f00000
	v_floor_f64_e32 v[9:10], v[9:10]
	v_fma_f64 v[11:12], v[9:10], s[0:1], v[5:6]
	v_cvt_i32_f64_e32 v6, v[9:10]
	s_mov_b64 s[0:1], 0
	v_cvt_u32_f64_e32 v5, v[11:12]
	s_branch .LBB63_631
.LBB63_627:
	s_mov_b64 s[0:1], -1
                                        ; implicit-def: $vgpr5_vgpr6
	s_branch .LBB63_649
.LBB63_628:
	s_mov_b64 s[0:1], -1
                                        ; implicit-def: $vgpr5_vgpr6
	s_branch .LBB63_637
.LBB63_629:
	s_mov_b64 s[0:1], -1
                                        ; implicit-def: $vgpr5_vgpr6
	s_branch .LBB63_634
.LBB63_630:
	s_mov_b64 s[0:1], -1
                                        ; implicit-def: $vgpr5_vgpr6
.LBB63_631:
	s_andn2_b64 vcc, exec, s[0:1]
	s_cbranch_vccnz .LBB63_633
; %bb.632:
	global_load_dword v5, v[3:4], off
	s_mov_b32 s0, 0x2f800000
	s_mov_b32 s1, 0xcf800000
	s_waitcnt vmcnt(0)
	v_trunc_f32_e32 v5, v5
	v_mul_f32_e64 v6, |v5|, s0
	v_floor_f32_e32 v6, v6
	v_cvt_u32_f32_e32 v7, v6
	v_fma_f32 v6, v6, s1, |v5|
	v_cvt_u32_f32_e32 v6, v6
	v_ashrrev_i32_e32 v9, 31, v5
	v_xor_b32_e32 v7, v7, v9
	v_xor_b32_e32 v5, v6, v9
	v_sub_co_u32_e32 v5, vcc, v5, v9
	v_subb_co_u32_e32 v6, vcc, v7, v9, vcc
.LBB63_633:
	s_mov_b64 s[0:1], 0
.LBB63_634:
	s_andn2_b64 vcc, exec, s[0:1]
	s_cbranch_vccnz .LBB63_636
; %bb.635:
	global_load_dword v5, v[3:4], off
	s_waitcnt vmcnt(0)
	v_cvt_f32_f16_e32 v5, v5
	v_cvt_i32_f32_e32 v5, v5
	v_ashrrev_i32_e32 v6, 31, v5
.LBB63_636:
	s_mov_b64 s[0:1], 0
.LBB63_637:
	s_andn2_b64 vcc, exec, s[0:1]
	s_cbranch_vccnz .LBB63_648
; %bb.638:
	s_cmp_lt_i32 s50, 6
	s_cbranch_scc1 .LBB63_641
; %bb.639:
	s_cmp_gt_i32 s50, 6
	s_cbranch_scc0 .LBB63_642
; %bb.640:
	global_load_dwordx2 v[5:6], v[3:4], off
	s_movk_i32 s0, 0xffe0
	s_waitcnt vmcnt(0)
	v_trunc_f64_e32 v[5:6], v[5:6]
	v_ldexp_f64 v[9:10], v[5:6], s0
	s_mov_b32 s0, 0
	s_mov_b32 s1, 0xc1f00000
	v_floor_f64_e32 v[9:10], v[9:10]
	v_fma_f64 v[11:12], v[9:10], s[0:1], v[5:6]
	v_cvt_i32_f64_e32 v6, v[9:10]
	s_mov_b64 s[0:1], 0
	v_cvt_u32_f64_e32 v5, v[11:12]
	s_branch .LBB63_643
.LBB63_641:
	s_mov_b64 s[0:1], -1
                                        ; implicit-def: $vgpr5_vgpr6
	s_branch .LBB63_646
.LBB63_642:
	s_mov_b64 s[0:1], -1
                                        ; implicit-def: $vgpr5_vgpr6
.LBB63_643:
	s_andn2_b64 vcc, exec, s[0:1]
	s_cbranch_vccnz .LBB63_645
; %bb.644:
	global_load_dword v5, v[3:4], off
	s_mov_b32 s0, 0x2f800000
	s_mov_b32 s1, 0xcf800000
	s_waitcnt vmcnt(0)
	v_trunc_f32_e32 v5, v5
	v_mul_f32_e64 v6, |v5|, s0
	v_floor_f32_e32 v6, v6
	v_cvt_u32_f32_e32 v7, v6
	v_fma_f32 v6, v6, s1, |v5|
	v_cvt_u32_f32_e32 v6, v6
	v_ashrrev_i32_e32 v9, 31, v5
	v_xor_b32_e32 v7, v7, v9
	v_xor_b32_e32 v5, v6, v9
	v_sub_co_u32_e32 v5, vcc, v5, v9
	v_subb_co_u32_e32 v6, vcc, v7, v9, vcc
.LBB63_645:
	s_mov_b64 s[0:1], 0
.LBB63_646:
	s_andn2_b64 vcc, exec, s[0:1]
	s_cbranch_vccnz .LBB63_648
; %bb.647:
	global_load_ushort v5, v[3:4], off
	s_waitcnt vmcnt(0)
	v_cvt_f32_f16_e32 v5, v5
	v_cvt_i32_f32_e32 v5, v5
	v_ashrrev_i32_e32 v6, 31, v5
.LBB63_648:
	s_mov_b64 s[0:1], 0
.LBB63_649:
	s_andn2_b64 vcc, exec, s[0:1]
	s_cbranch_vccnz .LBB63_669
; %bb.650:
	s_cmp_lt_i32 s50, 2
	s_cbranch_scc1 .LBB63_654
; %bb.651:
	s_cmp_lt_i32 s50, 3
	s_cbranch_scc1 .LBB63_655
; %bb.652:
	s_cmp_gt_i32 s50, 3
	s_cbranch_scc0 .LBB63_656
; %bb.653:
	global_load_dwordx2 v[5:6], v[3:4], off
	s_mov_b64 s[0:1], 0
	s_branch .LBB63_657
.LBB63_654:
	s_mov_b64 s[0:1], -1
                                        ; implicit-def: $vgpr5_vgpr6
	s_branch .LBB63_663
.LBB63_655:
	s_mov_b64 s[0:1], -1
                                        ; implicit-def: $vgpr5_vgpr6
	s_branch .LBB63_660
.LBB63_656:
	s_mov_b64 s[0:1], -1
                                        ; implicit-def: $vgpr5_vgpr6
.LBB63_657:
	s_andn2_b64 vcc, exec, s[0:1]
	s_cbranch_vccnz .LBB63_659
; %bb.658:
	global_load_dword v5, v[3:4], off
	s_waitcnt vmcnt(0)
	v_ashrrev_i32_e32 v6, 31, v5
.LBB63_659:
	s_mov_b64 s[0:1], 0
.LBB63_660:
	s_andn2_b64 vcc, exec, s[0:1]
	s_cbranch_vccnz .LBB63_662
; %bb.661:
	global_load_ushort v5, v[3:4], off
	s_waitcnt vmcnt(0)
	v_bfe_i32 v5, v5, 0, 16
	v_ashrrev_i32_e32 v6, 31, v5
.LBB63_662:
	s_mov_b64 s[0:1], 0
.LBB63_663:
	s_andn2_b64 vcc, exec, s[0:1]
	s_cbranch_vccnz .LBB63_669
; %bb.664:
	s_cmp_gt_i32 s50, 0
	s_cbranch_scc0 .LBB63_666
; %bb.665:
	global_load_sbyte v5, v[3:4], off
	s_mov_b64 s[0:1], 0
	s_waitcnt vmcnt(0)
	v_bfe_i32 v5, v5, 0, 16
	v_ashrrev_i32_e32 v6, 31, v5
	s_branch .LBB63_667
.LBB63_666:
	s_mov_b64 s[0:1], -1
                                        ; implicit-def: $vgpr5_vgpr6
.LBB63_667:
	s_andn2_b64 vcc, exec, s[0:1]
	s_cbranch_vccnz .LBB63_669
; %bb.668:
	global_load_ubyte v3, v[3:4], off
	s_mov_b32 s0, 0
	s_waitcnt vmcnt(1)
	v_mov_b32_e32 v6, s0
	s_waitcnt vmcnt(0)
	v_and_b32_e32 v5, 0xffff, v3
.LBB63_669:
	s_mov_b64 s[0:1], -1
.LBB63_670:
	s_andn2_b64 vcc, exec, s[0:1]
	s_cbranch_vccnz .LBB63_675
; %bb.671:
	s_cmp_lt_i32 s14, 1
	s_mov_b64 s[0:1], 0
	s_cbranch_scc1 .LBB63_676
; %bb.672:
	s_cmp_gt_i32 s14, 1
	s_cbranch_scc0 .LBB63_677
; %bb.673:
	s_cmp_eq_u32 s14, 2
	s_cbranch_scc0 .LBB63_678
; %bb.674:
	s_waitcnt vmcnt(0)
	v_cmp_le_i64_e64 s[50:51], v[1:2], v[5:6]
	s_mov_b64 s[54:55], 0
	s_branch .LBB63_679
.LBB63_675:
	s_mov_b64 s[54:55], 0
                                        ; implicit-def: $vgpr8
	s_mov_b64 s[0:1], s[38:39]
	s_branch .LBB63_811
.LBB63_676:
	s_mov_b64 s[56:57], -1
                                        ; implicit-def: $sgpr50_sgpr51
	s_mov_b64 s[54:55], 0
	s_branch .LBB63_683
.LBB63_677:
	s_mov_b64 s[56:57], -1
	s_mov_b64 s[54:55], 0
                                        ; implicit-def: $sgpr50_sgpr51
	s_branch .LBB63_680
.LBB63_678:
	s_mov_b64 s[54:55], -1
                                        ; implicit-def: $sgpr50_sgpr51
.LBB63_679:
	s_mov_b64 s[56:57], 0
.LBB63_680:
	s_and_b64 vcc, exec, s[56:57]
	s_cbranch_vccz .LBB63_682
; %bb.681:
	s_waitcnt vmcnt(0)
	v_cmp_gt_i64_e32 vcc, v[1:2], v[5:6]
	s_andn2_b64 s[50:51], s[50:51], exec
	s_and_b64 s[56:57], vcc, exec
	s_or_b64 s[50:51], s[50:51], s[56:57]
.LBB63_682:
	s_mov_b64 s[56:57], 0
.LBB63_683:
	s_and_b64 vcc, exec, s[56:57]
	s_cbranch_vccz .LBB63_694
; %bb.684:
	s_cmp_lg_u32 s14, 0
	s_mov_b64 s[0:1], -1
	s_cselect_b64 s[54:55], -1, 0
	s_andn2_b64 vcc, exec, s[54:55]
	s_cbranch_vccz .LBB63_695
.LBB63_685:
	s_andn2_b64 vcc, exec, s[0:1]
	s_cbranch_vccnz .LBB63_687
.LBB63_686:
	s_waitcnt vmcnt(0)
	v_cmp_ge_i64_e32 vcc, v[1:2], v[5:6]
	s_andn2_b64 s[0:1], s[50:51], exec
	s_and_b64 s[50:51], vcc, exec
	s_or_b64 s[50:51], s[0:1], s[50:51]
.LBB63_687:
	s_waitcnt vmcnt(0)
	v_mov_b32_e32 v1, s9
	s_and_b32 s60, s15, 0xff
	v_add_co_u32_e32 v0, vcc, s8, v0
	s_cmp_lt_i32 s60, 11
	v_addc_co_u32_e32 v1, vcc, 0, v1, vcc
	s_cbranch_scc1 .LBB63_696
; %bb.688:
	s_and_b32 s61, 0xffff, s60
	s_cmp_gt_i32 s61, 25
	s_cbranch_scc0 .LBB63_697
; %bb.689:
	s_cmp_gt_i32 s61, 28
	s_cbranch_scc0 .LBB63_698
; %bb.690:
	;; [unrolled: 3-line block ×4, first 2 shown]
	s_mov_b64 s[56:57], 0
	s_mov_b64 s[0:1], -1
	s_cmp_eq_u32 s61, 46
	s_mov_b64 s[54:55], 0
	s_cbranch_scc0 .LBB63_701
; %bb.693:
	v_cndmask_b32_e64 v2, 0, 1.0, s[50:51]
	v_bfe_u32 v3, v2, 16, 1
	s_movk_i32 s0, 0x7fff
	v_add3_u32 v2, v2, v3, s0
	v_lshrrev_b32_e32 v2, 16, v2
	global_store_dword v[0:1], v2, off
	s_mov_b64 s[54:55], -1
	s_mov_b64 s[0:1], 0
	s_branch .LBB63_701
.LBB63_694:
	s_andn2_b64 vcc, exec, s[54:55]
	s_cbranch_vccnz .LBB63_685
.LBB63_695:
	s_waitcnt vmcnt(0)
	v_cmp_lt_i64_e32 vcc, v[1:2], v[5:6]
	s_andn2_b64 s[50:51], s[50:51], exec
	s_and_b64 s[54:55], vcc, exec
	s_or_b64 s[50:51], s[50:51], s[54:55]
	s_cbranch_execz .LBB63_686
	s_branch .LBB63_687
.LBB63_696:
	s_mov_b64 s[56:57], -1
	s_mov_b64 s[54:55], 0
	s_mov_b64 s[0:1], s[38:39]
	s_branch .LBB63_770
.LBB63_697:
	s_mov_b64 s[56:57], -1
	s_mov_b64 s[54:55], 0
	s_mov_b64 s[0:1], s[38:39]
	s_branch .LBB63_728
.LBB63_698:
	s_mov_b64 s[56:57], -1
	s_mov_b64 s[54:55], 0
	s_mov_b64 s[0:1], s[38:39]
	s_branch .LBB63_711
.LBB63_699:
	s_mov_b64 s[56:57], -1
	s_mov_b64 s[54:55], 0
	s_mov_b64 s[0:1], s[38:39]
	s_branch .LBB63_707
.LBB63_700:
	s_mov_b64 s[56:57], -1
	s_mov_b64 s[54:55], 0
	s_mov_b64 s[0:1], s[38:39]
.LBB63_701:
	s_and_b64 vcc, exec, s[56:57]
	s_cbranch_vccz .LBB63_706
; %bb.702:
	s_cmp_eq_u32 s61, 44
	s_mov_b64 s[0:1], -1
	s_cbranch_scc0 .LBB63_706
; %bb.703:
	v_cndmask_b32_e64 v3, 0, 1.0, s[50:51]
	v_lshrrev_b32_e32 v2, 23, v3
	s_movk_i32 s0, 0xff
	v_cmp_ne_u32_e32 vcc, s0, v2
	v_mov_b32_e32 v4, 0xff
	s_and_saveexec_b64 s[54:55], vcc
; %bb.704:
	s_mov_b32 s0, 0x3fffff
	v_and_b32_e32 v4, 0x400000, v3
	v_and_or_b32 v3, v3, s0, v2
	v_cmp_ne_u32_e32 vcc, 0, v4
	v_cmp_ne_u32_e64 s[0:1], 0, v3
	s_and_b64 s[0:1], vcc, s[0:1]
	v_cndmask_b32_e64 v3, 0, 1, s[0:1]
	v_add_u32_e32 v4, v2, v3
; %bb.705:
	s_or_b64 exec, exec, s[54:55]
	s_mov_b64 s[54:55], -1
	s_mov_b64 s[0:1], 0
	global_store_byte v[0:1], v4, off
.LBB63_706:
	s_mov_b64 s[56:57], 0
.LBB63_707:
	s_and_b64 vcc, exec, s[56:57]
	s_cbranch_vccz .LBB63_710
; %bb.708:
	s_cmp_eq_u32 s61, 29
	s_mov_b64 s[0:1], -1
	s_cbranch_scc0 .LBB63_710
; %bb.709:
	s_mov_b32 s0, 0
	v_cndmask_b32_e64 v2, 0, 1, s[50:51]
	v_mov_b32_e32 v3, s0
	global_store_dwordx2 v[0:1], v[2:3], off
	s_mov_b64 s[54:55], -1
	s_mov_b64 s[0:1], 0
.LBB63_710:
	s_mov_b64 s[56:57], 0
.LBB63_711:
	s_and_b64 vcc, exec, s[56:57]
	s_cbranch_vccz .LBB63_727
; %bb.712:
	s_cmp_lt_i32 s61, 27
	s_mov_b64 s[54:55], -1
	s_cbranch_scc1 .LBB63_718
; %bb.713:
	s_cmp_gt_i32 s61, 27
	s_cbranch_scc0 .LBB63_715
; %bb.714:
	v_cndmask_b32_e64 v2, 0, 1, s[50:51]
	s_mov_b64 s[54:55], 0
	global_store_dword v[0:1], v2, off
.LBB63_715:
	s_andn2_b64 vcc, exec, s[54:55]
	s_cbranch_vccnz .LBB63_717
; %bb.716:
	v_cndmask_b32_e64 v2, 0, 1, s[50:51]
	global_store_short v[0:1], v2, off
.LBB63_717:
	s_mov_b64 s[54:55], 0
.LBB63_718:
	s_andn2_b64 vcc, exec, s[54:55]
	s_cbranch_vccnz .LBB63_726
; %bb.719:
	v_cndmask_b32_e64 v3, 0, 1.0, s[50:51]
	s_mov_b32 s54, 0x43800000
	v_cmp_gt_u32_e32 vcc, s54, v3
	v_mov_b32_e32 v4, 0x80
	s_and_saveexec_b64 s[54:55], vcc
	s_cbranch_execz .LBB63_725
; %bb.720:
	s_mov_b32 s56, 0x3bffffff
	v_cmp_lt_u32_e32 vcc, s56, v3
	s_mov_b64 s[56:57], 0
                                        ; implicit-def: $vgpr2
	s_and_saveexec_b64 s[58:59], vcc
	s_xor_b64 s[58:59], exec, s[58:59]
	s_cbranch_execz .LBB63_839
; %bb.721:
	v_bfe_u32 v2, v3, 20, 1
	s_mov_b32 s62, 0x487ffff
	v_add3_u32 v2, v3, v2, s62
	s_mov_b64 s[56:57], exec
	v_lshrrev_b32_e32 v2, 20, v2
                                        ; implicit-def: $vgpr3
	s_andn2_saveexec_b64 s[58:59], s[58:59]
	s_cbranch_execnz .LBB63_840
.LBB63_722:
	s_or_b64 exec, exec, s[58:59]
	v_mov_b32_e32 v4, 0
	s_and_saveexec_b64 s[58:59], s[56:57]
.LBB63_723:
	v_mov_b32_e32 v4, v2
.LBB63_724:
	s_or_b64 exec, exec, s[58:59]
.LBB63_725:
	s_or_b64 exec, exec, s[54:55]
	global_store_byte v[0:1], v4, off
.LBB63_726:
	s_mov_b64 s[54:55], -1
.LBB63_727:
	s_mov_b64 s[56:57], 0
.LBB63_728:
	s_and_b64 vcc, exec, s[56:57]
	s_cbranch_vccz .LBB63_769
; %bb.729:
	s_cmp_gt_i32 s61, 22
	s_mov_b64 s[56:57], -1
	s_cbranch_scc0 .LBB63_761
; %bb.730:
	s_cmp_lt_i32 s61, 24
	s_mov_b64 s[54:55], -1
	s_cbranch_scc1 .LBB63_750
; %bb.731:
	s_cmp_gt_i32 s61, 24
	s_cbranch_scc0 .LBB63_739
; %bb.732:
	v_cndmask_b32_e64 v3, 0, 1.0, s[50:51]
	s_mov_b32 s54, 0x47800000
	v_cmp_gt_u32_e32 vcc, s54, v3
	v_mov_b32_e32 v4, 0x80
	s_and_saveexec_b64 s[54:55], vcc
	s_cbranch_execz .LBB63_738
; %bb.733:
	s_mov_b32 s56, 0x37ffffff
	v_cmp_lt_u32_e32 vcc, s56, v3
	s_mov_b64 s[56:57], 0
                                        ; implicit-def: $vgpr2
	s_and_saveexec_b64 s[58:59], vcc
	s_xor_b64 s[58:59], exec, s[58:59]
	s_cbranch_execz .LBB63_967
; %bb.734:
	v_bfe_u32 v2, v3, 21, 1
	s_mov_b32 s62, 0x88fffff
	v_add3_u32 v2, v3, v2, s62
	s_mov_b64 s[56:57], exec
	v_lshrrev_b32_e32 v2, 21, v2
                                        ; implicit-def: $vgpr3
	s_andn2_saveexec_b64 s[58:59], s[58:59]
	s_cbranch_execnz .LBB63_968
.LBB63_735:
	s_or_b64 exec, exec, s[58:59]
	v_mov_b32_e32 v4, 0
	s_and_saveexec_b64 s[58:59], s[56:57]
.LBB63_736:
	v_mov_b32_e32 v4, v2
.LBB63_737:
	s_or_b64 exec, exec, s[58:59]
.LBB63_738:
	s_or_b64 exec, exec, s[54:55]
	s_mov_b64 s[54:55], 0
	global_store_byte v[0:1], v4, off
.LBB63_739:
	s_and_b64 vcc, exec, s[54:55]
	s_cbranch_vccz .LBB63_749
; %bb.740:
	v_cndmask_b32_e64 v2, 0, 1.0, s[50:51]
	s_mov_b32 s54, 0x43f00000
	v_cmp_gt_u32_e32 vcc, s54, v2
                                        ; implicit-def: $vgpr3
	s_and_saveexec_b64 s[54:55], vcc
	s_xor_b64 s[54:55], exec, s[54:55]
	s_cbranch_execz .LBB63_746
; %bb.741:
	s_mov_b32 s56, 0x3c7fffff
	v_cmp_lt_u32_e32 vcc, s56, v2
                                        ; implicit-def: $vgpr3
	s_and_saveexec_b64 s[56:57], vcc
	s_xor_b64 s[56:57], exec, s[56:57]
; %bb.742:
	v_bfe_u32 v3, v2, 20, 1
	s_mov_b32 s58, 0x407ffff
	v_add3_u32 v2, v2, v3, s58
	v_lshrrev_b32_e32 v3, 20, v2
	v_and_b32_e32 v2, 0xff00000, v2
	s_mov_b32 s58, 0x7f00000
	v_mov_b32_e32 v4, 0x7e
	v_cmp_ne_u32_e32 vcc, s58, v2
	v_cndmask_b32_e32 v3, v4, v3, vcc
                                        ; implicit-def: $vgpr2
; %bb.743:
	s_andn2_saveexec_b64 s[56:57], s[56:57]
; %bb.744:
	v_add_f32_e32 v3, 0x46800000, v2
; %bb.745:
	s_or_b64 exec, exec, s[56:57]
                                        ; implicit-def: $vgpr2
.LBB63_746:
	s_andn2_saveexec_b64 s[54:55], s[54:55]
; %bb.747:
	s_mov_b32 s56, 0x7f800000
	v_mov_b32_e32 v3, 0x7e
	v_mov_b32_e32 v4, 0x7f
	v_cmp_lt_u32_e32 vcc, s56, v2
	v_cndmask_b32_e32 v3, v3, v4, vcc
; %bb.748:
	s_or_b64 exec, exec, s[54:55]
	global_store_byte v[0:1], v3, off
.LBB63_749:
	s_mov_b64 s[54:55], 0
.LBB63_750:
	s_andn2_b64 vcc, exec, s[54:55]
	s_cbranch_vccnz .LBB63_760
; %bb.751:
	v_cndmask_b32_e64 v2, 0, 1.0, s[50:51]
	s_mov_b32 s54, 0x47800000
	v_cmp_gt_u32_e32 vcc, s54, v2
                                        ; implicit-def: $vgpr3
	s_and_saveexec_b64 s[54:55], vcc
	s_xor_b64 s[54:55], exec, s[54:55]
	s_cbranch_execz .LBB63_757
; %bb.752:
	s_mov_b32 s56, 0x387fffff
	v_cmp_lt_u32_e32 vcc, s56, v2
                                        ; implicit-def: $vgpr3
	s_and_saveexec_b64 s[56:57], vcc
	s_xor_b64 s[56:57], exec, s[56:57]
; %bb.753:
	v_bfe_u32 v3, v2, 21, 1
	s_mov_b32 s58, 0x80fffff
	v_add3_u32 v2, v2, v3, s58
	v_lshrrev_b32_e32 v3, 21, v2
                                        ; implicit-def: $vgpr2
; %bb.754:
	s_andn2_saveexec_b64 s[56:57], s[56:57]
; %bb.755:
	v_add_f32_e32 v3, 0x43000000, v2
; %bb.756:
	s_or_b64 exec, exec, s[56:57]
                                        ; implicit-def: $vgpr2
.LBB63_757:
	s_andn2_saveexec_b64 s[54:55], s[54:55]
; %bb.758:
	s_mov_b32 s56, 0x7f800000
	v_mov_b32_e32 v3, 0x7c
	v_mov_b32_e32 v4, 0x7f
	v_cmp_lt_u32_e32 vcc, s56, v2
	v_cndmask_b32_e32 v3, v3, v4, vcc
; %bb.759:
	s_or_b64 exec, exec, s[54:55]
	global_store_byte v[0:1], v3, off
.LBB63_760:
	s_mov_b64 s[56:57], 0
	s_mov_b64 s[54:55], -1
.LBB63_761:
	s_andn2_b64 vcc, exec, s[56:57]
	s_cbranch_vccnz .LBB63_769
; %bb.762:
	s_cmp_gt_i32 s61, 14
	s_mov_b64 s[56:57], -1
	s_cbranch_scc0 .LBB63_766
; %bb.763:
	s_cmp_eq_u32 s61, 15
	s_mov_b64 s[0:1], -1
	s_cbranch_scc0 .LBB63_765
; %bb.764:
	v_cndmask_b32_e64 v2, 0, 1.0, s[50:51]
	v_bfe_u32 v3, v2, 16, 1
	s_movk_i32 s0, 0x7fff
	v_add3_u32 v2, v2, v3, s0
	global_store_short_d16_hi v[0:1], v2, off
	s_mov_b64 s[54:55], -1
	s_mov_b64 s[0:1], 0
.LBB63_765:
	s_mov_b64 s[56:57], 0
.LBB63_766:
	s_and_b64 vcc, exec, s[56:57]
	s_cbranch_vccz .LBB63_769
; %bb.767:
	s_cmp_eq_u32 s61, 11
	s_mov_b64 s[0:1], -1
	s_cbranch_scc0 .LBB63_769
; %bb.768:
	v_cndmask_b32_e64 v2, 0, 1, s[50:51]
	s_mov_b64 s[54:55], -1
	s_mov_b64 s[0:1], 0
	global_store_byte v[0:1], v2, off
.LBB63_769:
	s_mov_b64 s[56:57], 0
.LBB63_770:
	s_and_b64 vcc, exec, s[56:57]
	s_cbranch_vccz .LBB63_809
; %bb.771:
	s_and_b32 s56, 0xffff, s60
	s_cmp_lt_i32 s56, 5
	s_mov_b64 s[54:55], -1
	s_cbranch_scc1 .LBB63_792
; %bb.772:
	s_cmp_lt_i32 s56, 8
	s_cbranch_scc1 .LBB63_782
; %bb.773:
	s_cmp_lt_i32 s56, 9
	s_cbranch_scc1 .LBB63_779
; %bb.774:
	s_cmp_gt_i32 s56, 9
	s_cbranch_scc0 .LBB63_776
; %bb.775:
	v_cndmask_b32_e64 v2, 0, 1, s[50:51]
	v_cvt_f64_u32_e32 v[2:3], v2
	v_mov_b32_e32 v4, 0
	v_mov_b32_e32 v5, v4
	s_mov_b64 s[54:55], 0
	global_store_dwordx4 v[0:1], v[2:5], off
.LBB63_776:
	s_andn2_b64 vcc, exec, s[54:55]
	s_cbranch_vccnz .LBB63_778
; %bb.777:
	v_cndmask_b32_e64 v2, 0, 1.0, s[50:51]
	v_mov_b32_e32 v3, 0
	global_store_dwordx2 v[0:1], v[2:3], off
.LBB63_778:
	s_mov_b64 s[54:55], 0
.LBB63_779:
	s_andn2_b64 vcc, exec, s[54:55]
	s_cbranch_vccnz .LBB63_781
; %bb.780:
	v_cndmask_b32_e64 v2, 0, 1.0, s[50:51]
	v_cvt_f16_f32_e32 v2, v2
	global_store_dword v[0:1], v2, off
.LBB63_781:
	s_mov_b64 s[54:55], 0
.LBB63_782:
	s_andn2_b64 vcc, exec, s[54:55]
	s_cbranch_vccnz .LBB63_791
; %bb.783:
	s_cmp_lt_i32 s56, 6
	s_mov_b64 s[54:55], -1
	s_cbranch_scc1 .LBB63_789
; %bb.784:
	s_cmp_gt_i32 s56, 6
	s_cbranch_scc0 .LBB63_786
; %bb.785:
	v_cndmask_b32_e64 v2, 0, 1, s[50:51]
	v_cvt_f64_u32_e32 v[2:3], v2
	s_mov_b64 s[54:55], 0
	global_store_dwordx2 v[0:1], v[2:3], off
.LBB63_786:
	s_andn2_b64 vcc, exec, s[54:55]
	s_cbranch_vccnz .LBB63_788
; %bb.787:
	v_cndmask_b32_e64 v2, 0, 1.0, s[50:51]
	global_store_dword v[0:1], v2, off
.LBB63_788:
	s_mov_b64 s[54:55], 0
.LBB63_789:
	s_andn2_b64 vcc, exec, s[54:55]
	s_cbranch_vccnz .LBB63_791
; %bb.790:
	v_cndmask_b32_e64 v2, 0, 1.0, s[50:51]
	v_cvt_f16_f32_e32 v2, v2
	global_store_short v[0:1], v2, off
.LBB63_791:
	s_mov_b64 s[54:55], 0
.LBB63_792:
	s_andn2_b64 vcc, exec, s[54:55]
	s_cbranch_vccnz .LBB63_808
; %bb.793:
	s_cmp_lt_i32 s56, 2
	s_mov_b64 s[54:55], -1
	s_cbranch_scc1 .LBB63_803
; %bb.794:
	s_cmp_lt_i32 s56, 3
	s_cbranch_scc1 .LBB63_800
; %bb.795:
	s_cmp_gt_i32 s56, 3
	s_cbranch_scc0 .LBB63_797
; %bb.796:
	s_mov_b32 s54, 0
	v_cndmask_b32_e64 v2, 0, 1, s[50:51]
	v_mov_b32_e32 v3, s54
	s_mov_b64 s[54:55], 0
	global_store_dwordx2 v[0:1], v[2:3], off
.LBB63_797:
	s_andn2_b64 vcc, exec, s[54:55]
	s_cbranch_vccnz .LBB63_799
; %bb.798:
	v_cndmask_b32_e64 v2, 0, 1, s[50:51]
	global_store_dword v[0:1], v2, off
.LBB63_799:
	s_mov_b64 s[54:55], 0
.LBB63_800:
	s_andn2_b64 vcc, exec, s[54:55]
	s_cbranch_vccnz .LBB63_802
; %bb.801:
	v_cndmask_b32_e64 v2, 0, 1, s[50:51]
	global_store_short v[0:1], v2, off
.LBB63_802:
	s_mov_b64 s[54:55], 0
.LBB63_803:
	s_andn2_b64 vcc, exec, s[54:55]
	s_cbranch_vccnz .LBB63_808
; %bb.804:
	s_mov_b64 s[54:55], -1
	s_cmp_gt_i32 s56, 0
	v_cndmask_b32_e64 v2, 0, 1, s[50:51]
	s_cbranch_scc0 .LBB63_806
; %bb.805:
	s_mov_b64 s[54:55], 0
	global_store_byte v[0:1], v2, off
.LBB63_806:
	s_andn2_b64 vcc, exec, s[54:55]
	s_cbranch_vccnz .LBB63_808
; %bb.807:
	global_store_byte v[0:1], v2, off
.LBB63_808:
	s_mov_b64 s[54:55], -1
.LBB63_809:
	s_andn2_b64 vcc, exec, s[54:55]
	s_cbranch_vccnz .LBB63_821
; %bb.810:
	v_add_u32_e32 v8, 0x80, v8
	s_mov_b64 s[54:55], -1
.LBB63_811:
	s_andn2_b64 s[50:51], s[38:39], exec
	s_and_b64 s[0:1], s[0:1], exec
	s_or_b64 s[50:51], s[50:51], s[0:1]
	s_andn2_b64 s[0:1], s[40:41], exec
	s_and_b64 s[48:49], s[48:49], exec
	s_or_b64 s[48:49], s[0:1], s[48:49]
	;; [unrolled: 3-line block ×3, first 2 shown]
	s_orn2_b64 s[0:1], s[54:55], exec
.LBB63_812:
	s_or_b64 exec, exec, s[52:53]
	s_mov_b64 s[54:55], 0
	s_mov_b64 s[56:57], 0
	;; [unrolled: 1-line block ×3, first 2 shown]
                                        ; implicit-def: $sgpr74
                                        ; implicit-def: $vgpr4_vgpr5
                                        ; implicit-def: $vgpr0
                                        ; implicit-def: $vgpr3
                                        ; implicit-def: $vgpr1_vgpr2
	s_and_saveexec_b64 s[52:53], s[0:1]
	s_cbranch_execz .LBB63_1314
; %bb.813:
	v_cmp_gt_i32_e32 vcc, s68, v8
	s_mov_b64 s[66:67], -1
	s_mov_b64 s[0:1], s[46:47]
	s_mov_b64 s[58:59], s[48:49]
	;; [unrolled: 1-line block ×3, first 2 shown]
	s_and_saveexec_b64 s[54:55], vcc
	s_cbranch_execz .LBB63_1222
; %bb.814:
	s_andn2_b64 vcc, exec, s[24:25]
	s_cbranch_vccnz .LBB63_820
; %bb.815:
	s_andn2_b64 vcc, exec, s[36:37]
	s_cbranch_vccnz .LBB63_822
; %bb.816:
	s_add_i32 s0, s73, 1
	s_and_b32 s56, s0, 30
	s_add_u32 s0, s2, 0xffffffe8
	s_addc_u32 s1, s3, -1
	v_mov_b32_e32 v3, 0
	s_waitcnt vmcnt(0)
	v_mov_b32_e32 v5, 0
	v_mov_b32_e32 v0, 0
	;; [unrolled: 1-line block ×3, first 2 shown]
.LBB63_817:                             ; =>This Inner Loop Header: Depth=1
	s_load_dwordx4 s[60:63], s[0:1], 0x1c
	s_load_dwordx2 s[58:59], s[0:1], 0x2c
	s_load_dwordx2 s[74:75], s[0:1], 0xec
	s_load_dwordx4 s[64:67], s[0:1], 0xdc
	s_add_u32 s0, s0, 24
	s_waitcnt lgkmcnt(0)
	v_mul_hi_u32 v2, s61, v1
	s_addc_u32 s1, s1, 0
	s_add_i32 s56, s56, -2
	s_cmp_eq_u32 s56, 0
	v_add_u32_e32 v2, v1, v2
	v_lshrrev_b32_e32 v2, s62, v2
	v_mul_lo_u32 v4, v2, s60
	v_mul_hi_u32 v6, s58, v2
	v_sub_u32_e32 v4, v1, v4
	v_add_u32_e32 v1, v2, v6
	v_lshrrev_b32_e32 v1, s59, v1
	v_mul_lo_u32 v9, v1, s63
	v_mul_lo_u32 v6, v4, s64
	;; [unrolled: 1-line block ×4, first 2 shown]
	v_sub_u32_e32 v2, v2, v9
	v_mul_lo_u32 v9, v2, s67
	v_mul_lo_u32 v10, v2, s74
	;; [unrolled: 1-line block ×3, first 2 shown]
	v_add3_u32 v0, v6, v0, v9
	v_add3_u32 v5, v7, v5, v10
	;; [unrolled: 1-line block ×3, first 2 shown]
	s_cbranch_scc0 .LBB63_817
; %bb.818:
	s_bitcmp1_b32 s73, 0
	s_cselect_b64 s[56:57], -1, 0
	s_and_b64 vcc, exec, s[56:57]
	s_cbranch_vccnz .LBB63_823
; %bb.819:
	s_load_dwordx2 s[56:57], s[0:1], 0x1c
	s_load_dword s60, s[0:1], 0x24
	s_load_dwordx2 s[58:59], s[0:1], 0xdc
	s_waitcnt lgkmcnt(0)
	v_mul_hi_u32 v2, s57, v1
	v_add_u32_e32 v2, v1, v2
	v_lshrrev_b32_e32 v2, s60, v2
	v_mul_lo_u32 v2, v2, s56
	s_load_dword s56, s[0:1], 0xe4
	v_sub_u32_e32 v2, v1, v2
	v_mad_u64_u32 v[0:1], s[0:1], v2, s58, v[0:1]
	v_mad_u64_u32 v[5:6], s[0:1], v2, s59, v[5:6]
	s_waitcnt lgkmcnt(0)
	v_mad_u64_u32 v[3:4], s[0:1], v2, s56, v[3:4]
	s_branch .LBB63_823
.LBB63_820:
	s_mov_b64 s[0:1], -1
                                        ; implicit-def: $vgpr0
                                        ; implicit-def: $vgpr5
                                        ; implicit-def: $vgpr3
	s_branch .LBB63_824
.LBB63_821:
	s_mov_b64 s[54:55], 0
	s_branch .LBB63_556
.LBB63_822:
	v_mov_b32_e32 v0, 0
	s_waitcnt vmcnt(0)
	v_mov_b32_e32 v5, 0
	v_mov_b32_e32 v3, 0
.LBB63_823:
	s_mov_b64 s[0:1], 0
.LBB63_824:
	s_andn2_b64 vcc, exec, s[0:1]
	s_cbranch_vccnz .LBB63_827
; %bb.825:
	v_mul_hi_u32 v0, s17, v8
	s_andn2_b64 vcc, exec, s[34:35]
	v_add_u32_e32 v0, v8, v0
	s_waitcnt vmcnt(0)
	v_lshrrev_b32_e32 v1, s18, v0
	v_mul_lo_u32 v0, v1, s16
	v_sub_u32_e32 v2, v8, v0
	v_mul_lo_u32 v0, v2, s20
	v_mul_lo_u32 v5, v2, s21
	;; [unrolled: 1-line block ×3, first 2 shown]
	s_cbranch_vccnz .LBB63_827
; %bb.826:
	v_mul_hi_u32 v2, s30, v1
	v_add_u32_e32 v2, v1, v2
	v_lshrrev_b32_e32 v2, s31, v2
	v_mul_lo_u32 v2, v2, s19
	v_sub_u32_e32 v2, v1, v2
	v_mad_u64_u32 v[0:1], s[0:1], v2, s23, v[0:1]
	v_mad_u64_u32 v[5:6], s[0:1], v2, s28, v[5:6]
	;; [unrolled: 1-line block ×3, first 2 shown]
.LBB63_827:
	s_waitcnt vmcnt(0)
	v_mov_b32_e32 v1, s11
	s_and_b32 s60, s72, 0xff
	v_add_co_u32_e32 v4, vcc, s10, v5
	s_cmp_lt_i32 s60, 11
	v_addc_co_u32_e32 v5, vcc, 0, v1, vcc
	s_cbranch_scc1 .LBB63_834
; %bb.828:
	s_and_b32 s61, 0xffff, s60
	s_cmp_gt_i32 s61, 25
	s_cbranch_scc0 .LBB63_835
; %bb.829:
	s_cmp_gt_i32 s61, 28
	s_cbranch_scc0 .LBB63_836
; %bb.830:
	;; [unrolled: 3-line block ×4, first 2 shown]
	s_cmp_eq_u32 s61, 46
	s_mov_b64 s[58:59], 0
	s_cbranch_scc0 .LBB63_841
; %bb.833:
	global_load_dword v1, v[4:5], off
	s_mov_b32 s0, 0x2f800000
	s_mov_b32 s1, 0xcf800000
	s_mov_b64 s[56:57], 0
	s_waitcnt vmcnt(0)
	v_lshlrev_b32_e32 v1, 16, v1
	v_trunc_f32_e32 v1, v1
	v_mul_f32_e64 v2, |v1|, s0
	v_floor_f32_e32 v2, v2
	v_fma_f32 v6, v2, s1, |v1|
	v_cvt_u32_f32_e32 v6, v6
	v_cvt_u32_f32_e32 v2, v2
	v_ashrrev_i32_e32 v7, 31, v1
	s_mov_b64 s[0:1], -1
	v_xor_b32_e32 v1, v6, v7
	v_xor_b32_e32 v2, v2, v7
	v_sub_co_u32_e32 v1, vcc, v1, v7
	v_subb_co_u32_e32 v2, vcc, v2, v7, vcc
	s_branch .LBB63_842
.LBB63_834:
	s_mov_b64 s[58:59], -1
	s_mov_b64 s[0:1], 0
                                        ; implicit-def: $vgpr1_vgpr2
	s_mov_b64 s[56:57], s[46:47]
	s_branch .LBB63_903
.LBB63_835:
	s_mov_b64 s[58:59], -1
	s_mov_b64 s[0:1], 0
	s_mov_b64 s[56:57], s[46:47]
                                        ; implicit-def: $vgpr1_vgpr2
	s_branch .LBB63_871
.LBB63_836:
	s_mov_b64 s[58:59], -1
	s_mov_b64 s[0:1], 0
	s_mov_b64 s[56:57], s[46:47]
                                        ; implicit-def: $vgpr1_vgpr2
	s_branch .LBB63_852
.LBB63_837:
	s_mov_b64 s[58:59], -1
	s_mov_b64 s[0:1], 0
	s_mov_b64 s[56:57], s[46:47]
                                        ; implicit-def: $vgpr1_vgpr2
	s_branch .LBB63_847
.LBB63_838:
	s_mov_b64 s[58:59], -1
	s_mov_b64 s[0:1], 0
	s_mov_b64 s[56:57], s[46:47]
                                        ; implicit-def: $vgpr1_vgpr2
	s_branch .LBB63_842
.LBB63_839:
	s_andn2_saveexec_b64 s[58:59], s[58:59]
	s_cbranch_execz .LBB63_722
.LBB63_840:
	v_add_f32_e32 v2, 0x46000000, v3
	v_and_b32_e32 v2, 0xff, v2
	v_cmp_ne_u32_e32 vcc, 0, v2
	s_andn2_b64 s[56:57], s[56:57], exec
	s_and_b64 s[62:63], vcc, exec
	s_or_b64 s[56:57], s[56:57], s[62:63]
	s_or_b64 exec, exec, s[58:59]
	v_mov_b32_e32 v4, 0
	s_and_saveexec_b64 s[58:59], s[56:57]
	s_cbranch_execnz .LBB63_723
	s_branch .LBB63_724
.LBB63_841:
	s_mov_b64 s[56:57], -1
                                        ; implicit-def: $vgpr1_vgpr2
	s_mov_b64 s[0:1], 0
.LBB63_842:
	s_and_b64 vcc, exec, s[58:59]
	s_cbranch_vccz .LBB63_846
; %bb.843:
	s_cmp_eq_u32 s61, 44
	s_cbranch_scc0 .LBB63_845
; %bb.844:
	global_load_ubyte v1, v[4:5], off
	s_mov_b32 s0, 0x2f800000
	s_mov_b32 s1, 0xcf800000
	s_mov_b64 s[56:57], 0
	s_waitcnt vmcnt(0)
	v_lshlrev_b32_e32 v2, 23, v1
	v_trunc_f32_e32 v2, v2
	v_mul_f32_e64 v6, |v2|, s0
	v_floor_f32_e32 v6, v6
	v_fma_f32 v7, v6, s1, |v2|
	v_cvt_u32_f32_e32 v7, v7
	v_cvt_u32_f32_e32 v6, v6
	v_ashrrev_i32_e32 v2, 31, v2
	s_mov_b64 s[0:1], -1
	v_xor_b32_e32 v7, v7, v2
	v_xor_b32_e32 v6, v6, v2
	v_sub_co_u32_e32 v7, vcc, v7, v2
	v_subb_co_u32_e32 v2, vcc, v6, v2, vcc
	v_cmp_ne_u32_e32 vcc, 0, v1
	v_cndmask_b32_e32 v2, 0, v2, vcc
	v_cndmask_b32_e32 v1, 0, v7, vcc
	s_branch .LBB63_846
.LBB63_845:
	s_mov_b64 s[56:57], -1
                                        ; implicit-def: $vgpr1_vgpr2
.LBB63_846:
	s_mov_b64 s[58:59], 0
.LBB63_847:
	s_and_b64 vcc, exec, s[58:59]
	s_cbranch_vccz .LBB63_851
; %bb.848:
	s_cmp_eq_u32 s61, 29
	s_cbranch_scc0 .LBB63_850
; %bb.849:
	global_load_dwordx2 v[1:2], v[4:5], off
	s_mov_b64 s[0:1], -1
	s_mov_b64 s[56:57], 0
	s_branch .LBB63_851
.LBB63_850:
	s_mov_b64 s[56:57], -1
                                        ; implicit-def: $vgpr1_vgpr2
.LBB63_851:
	s_mov_b64 s[58:59], 0
.LBB63_852:
	s_and_b64 vcc, exec, s[58:59]
	s_cbranch_vccz .LBB63_870
; %bb.853:
	s_cmp_lt_i32 s61, 27
	s_cbranch_scc1 .LBB63_856
; %bb.854:
	s_cmp_gt_i32 s61, 27
	s_cbranch_scc0 .LBB63_857
; %bb.855:
	global_load_dword v1, v[4:5], off
	s_waitcnt vmcnt(1)
	v_mov_b32_e32 v2, 0
	s_mov_b64 s[0:1], 0
	s_branch .LBB63_858
.LBB63_856:
	s_mov_b64 s[0:1], -1
                                        ; implicit-def: $vgpr1_vgpr2
	s_branch .LBB63_861
.LBB63_857:
	s_mov_b64 s[0:1], -1
                                        ; implicit-def: $vgpr1_vgpr2
.LBB63_858:
	s_andn2_b64 vcc, exec, s[0:1]
	s_cbranch_vccnz .LBB63_860
; %bb.859:
	global_load_ushort v1, v[4:5], off
	s_mov_b32 s0, 0
	s_waitcnt vmcnt(1)
	v_mov_b32_e32 v2, s0
	s_waitcnt vmcnt(0)
	v_and_b32_e32 v1, 0xffff, v1
.LBB63_860:
	s_mov_b64 s[0:1], 0
.LBB63_861:
	s_andn2_b64 vcc, exec, s[0:1]
	s_cbranch_vccnz .LBB63_869
; %bb.862:
	global_load_ubyte v6, v[4:5], off
	s_movk_i32 s0, 0x7f
	s_mov_b64 s[58:59], 0
	s_waitcnt vmcnt(0)
	v_cmp_lt_i16_e32 vcc, s0, v6
	s_and_saveexec_b64 s[0:1], vcc
	s_xor_b64 s[0:1], exec, s[0:1]
; %bb.863:
	s_movk_i32 s58, 0x80
	v_cmp_ne_u16_e32 vcc, s58, v6
	s_and_b64 s[58:59], vcc, exec
; %bb.864:
	s_andn2_saveexec_b64 s[0:1], s[0:1]
; %bb.865:
	v_cmp_ne_u16_e32 vcc, 0, v6
	s_andn2_b64 s[58:59], s[58:59], exec
	s_and_b64 s[62:63], vcc, exec
	s_or_b64 s[58:59], s[58:59], s[62:63]
; %bb.866:
	s_or_b64 exec, exec, s[0:1]
	v_mov_b32_e32 v1, 0
	v_mov_b32_e32 v2, 0
	s_and_saveexec_b64 s[0:1], s[58:59]
	s_cbranch_execz .LBB63_868
; %bb.867:
	v_and_b32_e32 v2, 0xffff, v6
	v_lshlrev_b32_e32 v1, 24, v6
	v_and_b32_e32 v6, 7, v2
	v_ffbh_u32_e32 v9, v6
	v_min_u32_e32 v9, 32, v9
	v_subrev_u32_e32 v10, 28, v9
	v_bfe_u32 v7, v2, 3, 4
	v_lshlrev_b32_e32 v2, v10, v2
	v_sub_u32_e32 v9, 29, v9
	v_and_b32_e32 v2, 7, v2
	v_cmp_eq_u32_e32 vcc, 0, v7
	v_cndmask_b32_e32 v7, v7, v9, vcc
	v_cndmask_b32_e32 v2, v6, v2, vcc
	v_mov_b32_e32 v6, 0x3b800000
	v_lshlrev_b32_e32 v2, 20, v2
	v_and_b32_e32 v1, 0x80000000, v1
	v_lshl_add_u32 v6, v7, 23, v6
	v_or3_b32 v1, v1, v6, v2
	v_trunc_f32_e32 v1, v1
	s_mov_b32 s58, 0x2f800000
	v_mul_f32_e64 v2, |v1|, s58
	v_floor_f32_e32 v2, v2
	s_mov_b32 s58, 0xcf800000
	v_fma_f32 v6, v2, s58, |v1|
	v_cvt_u32_f32_e32 v6, v6
	v_cvt_u32_f32_e32 v2, v2
	v_ashrrev_i32_e32 v7, 31, v1
	v_xor_b32_e32 v1, v6, v7
	v_xor_b32_e32 v2, v2, v7
	v_sub_co_u32_e32 v1, vcc, v1, v7
	v_subb_co_u32_e32 v2, vcc, v2, v7, vcc
.LBB63_868:
	s_or_b64 exec, exec, s[0:1]
.LBB63_869:
	s_mov_b64 s[0:1], -1
.LBB63_870:
	s_mov_b64 s[58:59], 0
.LBB63_871:
	s_and_b64 vcc, exec, s[58:59]
	s_cbranch_vccz .LBB63_902
; %bb.872:
	s_cmp_gt_i32 s61, 22
	s_cbranch_scc0 .LBB63_882
; %bb.873:
	s_cmp_lt_i32 s61, 24
	s_cbranch_scc1 .LBB63_883
; %bb.874:
	s_cmp_gt_i32 s61, 24
	s_cbranch_scc0 .LBB63_884
; %bb.875:
	global_load_ubyte v6, v[4:5], off
	s_movk_i32 s0, 0x7f
	s_mov_b64 s[58:59], 0
	s_waitcnt vmcnt(0)
	v_cmp_lt_i16_e32 vcc, s0, v6
	s_and_saveexec_b64 s[0:1], vcc
	s_xor_b64 s[0:1], exec, s[0:1]
; %bb.876:
	s_movk_i32 s58, 0x80
	v_cmp_ne_u16_e32 vcc, s58, v6
	s_and_b64 s[58:59], vcc, exec
; %bb.877:
	s_andn2_saveexec_b64 s[0:1], s[0:1]
; %bb.878:
	v_cmp_ne_u16_e32 vcc, 0, v6
	s_andn2_b64 s[58:59], s[58:59], exec
	s_and_b64 s[62:63], vcc, exec
	s_or_b64 s[58:59], s[58:59], s[62:63]
; %bb.879:
	s_or_b64 exec, exec, s[0:1]
	v_mov_b32_e32 v1, 0
	v_mov_b32_e32 v2, 0
	s_and_saveexec_b64 s[0:1], s[58:59]
	s_cbranch_execz .LBB63_881
; %bb.880:
	v_and_b32_e32 v2, 0xffff, v6
	v_lshlrev_b32_e32 v1, 24, v6
	v_and_b32_e32 v6, 3, v2
	v_ffbh_u32_e32 v9, v6
	v_min_u32_e32 v9, 32, v9
	v_subrev_u32_e32 v10, 29, v9
	v_bfe_u32 v7, v2, 2, 5
	v_lshlrev_b32_e32 v2, v10, v2
	v_sub_u32_e32 v9, 30, v9
	v_and_b32_e32 v2, 3, v2
	v_cmp_eq_u32_e32 vcc, 0, v7
	v_cndmask_b32_e32 v7, v7, v9, vcc
	v_cndmask_b32_e32 v2, v6, v2, vcc
	v_mov_b32_e32 v6, 0x37800000
	v_lshlrev_b32_e32 v2, 21, v2
	v_and_b32_e32 v1, 0x80000000, v1
	v_lshl_add_u32 v6, v7, 23, v6
	v_or3_b32 v1, v1, v6, v2
	v_trunc_f32_e32 v1, v1
	s_mov_b32 s58, 0x2f800000
	v_mul_f32_e64 v2, |v1|, s58
	v_floor_f32_e32 v2, v2
	s_mov_b32 s58, 0xcf800000
	v_fma_f32 v6, v2, s58, |v1|
	v_cvt_u32_f32_e32 v6, v6
	v_cvt_u32_f32_e32 v2, v2
	v_ashrrev_i32_e32 v7, 31, v1
	v_xor_b32_e32 v1, v6, v7
	v_xor_b32_e32 v2, v2, v7
	v_sub_co_u32_e32 v1, vcc, v1, v7
	v_subb_co_u32_e32 v2, vcc, v2, v7, vcc
.LBB63_881:
	s_or_b64 exec, exec, s[0:1]
	s_mov_b64 s[0:1], 0
	s_branch .LBB63_885
.LBB63_882:
	s_mov_b64 s[58:59], -1
                                        ; implicit-def: $vgpr1_vgpr2
	s_branch .LBB63_891
.LBB63_883:
	s_mov_b64 s[0:1], -1
                                        ; implicit-def: $vgpr1_vgpr2
	s_branch .LBB63_888
.LBB63_884:
	s_mov_b64 s[0:1], -1
                                        ; implicit-def: $vgpr1_vgpr2
.LBB63_885:
	s_and_b64 vcc, exec, s[0:1]
	s_cbranch_vccz .LBB63_887
; %bb.886:
	global_load_ubyte v1, v[4:5], off
	s_mov_b32 s0, 0x7f800000
	s_brev_b32 s1, 1
	s_mov_b32 s58, 0x2f800000
	s_mov_b32 s59, 0xcf800000
	s_waitcnt vmcnt(0)
	v_lshlrev_b32_e32 v1, 24, v1
	v_and_b32_e32 v2, 0x7f000000, v1
	v_ffbh_u32_e32 v6, v2
	v_min_u32_e32 v6, 32, v6
	v_sub_u32_e64 v6, v6, 4 clamp
	v_lshlrev_b32_e32 v9, v6, v2
	v_lshlrev_b32_e32 v6, 23, v6
	v_lshrrev_b32_e32 v9, 4, v9
	v_add_u32_e32 v7, 0x1000000, v2
	v_sub_u32_e32 v6, v9, v6
	v_ashrrev_i32_e32 v7, 8, v7
	v_add_u32_e32 v6, 0x3c000000, v6
	v_and_or_b32 v6, v7, s0, v6
	v_cmp_ne_u32_e32 vcc, 0, v2
	v_cndmask_b32_e32 v2, 0, v6, vcc
	v_and_or_b32 v1, v1, s1, v2
	v_trunc_f32_e32 v1, v1
	v_mul_f32_e64 v2, |v1|, s58
	v_floor_f32_e32 v2, v2
	v_fma_f32 v6, v2, s59, |v1|
	v_cvt_u32_f32_e32 v6, v6
	v_cvt_u32_f32_e32 v2, v2
	v_ashrrev_i32_e32 v7, 31, v1
	v_xor_b32_e32 v1, v6, v7
	v_xor_b32_e32 v2, v2, v7
	v_sub_co_u32_e32 v1, vcc, v1, v7
	v_subb_co_u32_e32 v2, vcc, v2, v7, vcc
.LBB63_887:
	s_mov_b64 s[0:1], 0
.LBB63_888:
	s_andn2_b64 vcc, exec, s[0:1]
	s_cbranch_vccnz .LBB63_890
; %bb.889:
	global_load_ubyte v1, v[4:5], off
	s_movk_i32 s0, 0x7f00
	s_brev_b32 s1, 16
	s_brev_b32 s58, 1
	s_mov_b32 s59, 0x2f800000
	s_mov_b32 s62, 0xcf800000
	s_waitcnt vmcnt(0)
	v_lshlrev_b16_e32 v2, 8, v1
	v_lshlrev_b32_e32 v1, 25, v1
	v_lshrrev_b32_e32 v6, 4, v1
	v_and_or_b32 v7, v2, s0, 0.5
	v_or_b32_e32 v6, 0x70000000, v6
	v_add_f32_e32 v7, -0.5, v7
	v_mul_f32_e32 v6, 0x7800000, v6
	v_cmp_gt_u32_e32 vcc, s1, v1
	v_bfe_i32 v2, v2, 0, 16
	v_cndmask_b32_e32 v1, v6, v7, vcc
	v_and_or_b32 v1, v2, s58, v1
	v_trunc_f32_e32 v1, v1
	v_mul_f32_e64 v2, |v1|, s59
	v_floor_f32_e32 v2, v2
	v_fma_f32 v6, v2, s62, |v1|
	v_cvt_u32_f32_e32 v6, v6
	v_cvt_u32_f32_e32 v2, v2
	v_ashrrev_i32_e32 v7, 31, v1
	v_xor_b32_e32 v1, v6, v7
	v_xor_b32_e32 v2, v2, v7
	v_sub_co_u32_e32 v1, vcc, v1, v7
	v_subb_co_u32_e32 v2, vcc, v2, v7, vcc
.LBB63_890:
	s_mov_b64 s[58:59], 0
	s_mov_b64 s[0:1], -1
.LBB63_891:
	s_andn2_b64 vcc, exec, s[58:59]
	s_cbranch_vccnz .LBB63_902
; %bb.892:
	s_cmp_gt_i32 s61, 14
	s_cbranch_scc0 .LBB63_895
; %bb.893:
	s_cmp_eq_u32 s61, 15
	s_cbranch_scc0 .LBB63_896
; %bb.894:
	global_load_ushort v1, v[4:5], off
	s_mov_b32 s0, 0x2f800000
	s_mov_b32 s1, 0xcf800000
	s_mov_b64 s[56:57], 0
	s_waitcnt vmcnt(0)
	v_lshlrev_b32_e32 v1, 16, v1
	v_trunc_f32_e32 v1, v1
	v_mul_f32_e64 v2, |v1|, s0
	v_floor_f32_e32 v2, v2
	v_fma_f32 v6, v2, s1, |v1|
	v_cvt_u32_f32_e32 v6, v6
	v_cvt_u32_f32_e32 v2, v2
	v_ashrrev_i32_e32 v7, 31, v1
	s_mov_b64 s[0:1], -1
	v_xor_b32_e32 v1, v6, v7
	v_xor_b32_e32 v2, v2, v7
	v_sub_co_u32_e32 v1, vcc, v1, v7
	v_subb_co_u32_e32 v2, vcc, v2, v7, vcc
	s_branch .LBB63_897
.LBB63_895:
	s_mov_b64 s[58:59], -1
                                        ; implicit-def: $vgpr1_vgpr2
	s_branch .LBB63_898
.LBB63_896:
	s_mov_b64 s[56:57], -1
                                        ; implicit-def: $vgpr1_vgpr2
.LBB63_897:
	s_mov_b64 s[58:59], 0
.LBB63_898:
	s_and_b64 vcc, exec, s[58:59]
	s_cbranch_vccz .LBB63_902
; %bb.899:
	s_cmp_eq_u32 s61, 11
	s_cbranch_scc0 .LBB63_901
; %bb.900:
	global_load_ubyte v1, v[4:5], off
	s_mov_b32 s56, 0
	s_mov_b64 s[0:1], -1
	s_waitcnt vmcnt(1)
	v_mov_b32_e32 v2, s56
	s_mov_b64 s[56:57], 0
	s_waitcnt vmcnt(0)
	v_cmp_ne_u16_e32 vcc, 0, v1
	v_cndmask_b32_e64 v1, 0, 1, vcc
	s_branch .LBB63_902
.LBB63_901:
	s_mov_b64 s[56:57], -1
                                        ; implicit-def: $vgpr1_vgpr2
.LBB63_902:
	s_mov_b64 s[58:59], 0
.LBB63_903:
	s_and_b64 vcc, exec, s[58:59]
	s_cbranch_vccz .LBB63_952
; %bb.904:
	s_and_b32 s58, 0xffff, s60
	s_cmp_lt_i32 s58, 5
	s_cbranch_scc1 .LBB63_909
; %bb.905:
	s_cmp_lt_i32 s58, 8
	s_cbranch_scc1 .LBB63_910
; %bb.906:
	;; [unrolled: 3-line block ×3, first 2 shown]
	s_cmp_gt_i32 s58, 9
	s_cbranch_scc0 .LBB63_912
; %bb.908:
	global_load_dwordx2 v[1:2], v[4:5], off
	s_movk_i32 s0, 0xffe0
	s_waitcnt vmcnt(0)
	v_trunc_f64_e32 v[1:2], v[1:2]
	v_ldexp_f64 v[6:7], v[1:2], s0
	s_mov_b32 s0, 0
	s_mov_b32 s1, 0xc1f00000
	v_floor_f64_e32 v[6:7], v[6:7]
	v_fma_f64 v[9:10], v[6:7], s[0:1], v[1:2]
	v_cvt_i32_f64_e32 v2, v[6:7]
	s_mov_b64 s[0:1], 0
	v_cvt_u32_f64_e32 v1, v[9:10]
	s_branch .LBB63_913
.LBB63_909:
	s_mov_b64 s[0:1], -1
                                        ; implicit-def: $vgpr1_vgpr2
	s_branch .LBB63_931
.LBB63_910:
	s_mov_b64 s[0:1], -1
                                        ; implicit-def: $vgpr1_vgpr2
	s_branch .LBB63_919
.LBB63_911:
	s_mov_b64 s[0:1], -1
                                        ; implicit-def: $vgpr1_vgpr2
	s_branch .LBB63_916
.LBB63_912:
	s_mov_b64 s[0:1], -1
                                        ; implicit-def: $vgpr1_vgpr2
.LBB63_913:
	s_andn2_b64 vcc, exec, s[0:1]
	s_cbranch_vccnz .LBB63_915
; %bb.914:
	global_load_dword v1, v[4:5], off
	s_mov_b32 s0, 0x2f800000
	s_mov_b32 s1, 0xcf800000
	s_waitcnt vmcnt(0)
	v_trunc_f32_e32 v1, v1
	v_mul_f32_e64 v2, |v1|, s0
	v_floor_f32_e32 v2, v2
	v_cvt_u32_f32_e32 v6, v2
	v_fma_f32 v2, v2, s1, |v1|
	v_cvt_u32_f32_e32 v2, v2
	v_ashrrev_i32_e32 v7, 31, v1
	v_xor_b32_e32 v6, v6, v7
	v_xor_b32_e32 v1, v2, v7
	v_sub_co_u32_e32 v1, vcc, v1, v7
	v_subb_co_u32_e32 v2, vcc, v6, v7, vcc
.LBB63_915:
	s_mov_b64 s[0:1], 0
.LBB63_916:
	s_andn2_b64 vcc, exec, s[0:1]
	s_cbranch_vccnz .LBB63_918
; %bb.917:
	global_load_dword v1, v[4:5], off
	s_waitcnt vmcnt(0)
	v_cvt_f32_f16_e32 v1, v1
	v_cvt_i32_f32_e32 v1, v1
	v_ashrrev_i32_e32 v2, 31, v1
.LBB63_918:
	s_mov_b64 s[0:1], 0
.LBB63_919:
	s_andn2_b64 vcc, exec, s[0:1]
	s_cbranch_vccnz .LBB63_930
; %bb.920:
	s_cmp_lt_i32 s58, 6
	s_cbranch_scc1 .LBB63_923
; %bb.921:
	s_cmp_gt_i32 s58, 6
	s_cbranch_scc0 .LBB63_924
; %bb.922:
	global_load_dwordx2 v[1:2], v[4:5], off
	s_movk_i32 s0, 0xffe0
	s_waitcnt vmcnt(0)
	v_trunc_f64_e32 v[1:2], v[1:2]
	v_ldexp_f64 v[6:7], v[1:2], s0
	s_mov_b32 s0, 0
	s_mov_b32 s1, 0xc1f00000
	v_floor_f64_e32 v[6:7], v[6:7]
	v_fma_f64 v[9:10], v[6:7], s[0:1], v[1:2]
	v_cvt_i32_f64_e32 v2, v[6:7]
	s_mov_b64 s[0:1], 0
	v_cvt_u32_f64_e32 v1, v[9:10]
	s_branch .LBB63_925
.LBB63_923:
	s_mov_b64 s[0:1], -1
                                        ; implicit-def: $vgpr1_vgpr2
	s_branch .LBB63_928
.LBB63_924:
	s_mov_b64 s[0:1], -1
                                        ; implicit-def: $vgpr1_vgpr2
.LBB63_925:
	s_andn2_b64 vcc, exec, s[0:1]
	s_cbranch_vccnz .LBB63_927
; %bb.926:
	global_load_dword v1, v[4:5], off
	s_mov_b32 s0, 0x2f800000
	s_mov_b32 s1, 0xcf800000
	s_waitcnt vmcnt(0)
	v_trunc_f32_e32 v1, v1
	v_mul_f32_e64 v2, |v1|, s0
	v_floor_f32_e32 v2, v2
	v_cvt_u32_f32_e32 v6, v2
	v_fma_f32 v2, v2, s1, |v1|
	v_cvt_u32_f32_e32 v2, v2
	v_ashrrev_i32_e32 v7, 31, v1
	v_xor_b32_e32 v6, v6, v7
	v_xor_b32_e32 v1, v2, v7
	v_sub_co_u32_e32 v1, vcc, v1, v7
	v_subb_co_u32_e32 v2, vcc, v6, v7, vcc
.LBB63_927:
	s_mov_b64 s[0:1], 0
.LBB63_928:
	s_andn2_b64 vcc, exec, s[0:1]
	s_cbranch_vccnz .LBB63_930
; %bb.929:
	global_load_ushort v1, v[4:5], off
	s_waitcnt vmcnt(0)
	v_cvt_f32_f16_e32 v1, v1
	v_cvt_i32_f32_e32 v1, v1
	v_ashrrev_i32_e32 v2, 31, v1
.LBB63_930:
	s_mov_b64 s[0:1], 0
.LBB63_931:
	s_andn2_b64 vcc, exec, s[0:1]
	s_cbranch_vccnz .LBB63_951
; %bb.932:
	s_cmp_lt_i32 s58, 2
	s_cbranch_scc1 .LBB63_936
; %bb.933:
	s_cmp_lt_i32 s58, 3
	s_cbranch_scc1 .LBB63_937
; %bb.934:
	s_cmp_gt_i32 s58, 3
	s_cbranch_scc0 .LBB63_938
; %bb.935:
	global_load_dwordx2 v[1:2], v[4:5], off
	s_mov_b64 s[0:1], 0
	s_branch .LBB63_939
.LBB63_936:
	s_mov_b64 s[0:1], -1
                                        ; implicit-def: $vgpr1_vgpr2
	s_branch .LBB63_945
.LBB63_937:
	s_mov_b64 s[0:1], -1
                                        ; implicit-def: $vgpr1_vgpr2
	s_branch .LBB63_942
.LBB63_938:
	s_mov_b64 s[0:1], -1
                                        ; implicit-def: $vgpr1_vgpr2
.LBB63_939:
	s_andn2_b64 vcc, exec, s[0:1]
	s_cbranch_vccnz .LBB63_941
; %bb.940:
	global_load_dword v1, v[4:5], off
	s_waitcnt vmcnt(0)
	v_ashrrev_i32_e32 v2, 31, v1
.LBB63_941:
	s_mov_b64 s[0:1], 0
.LBB63_942:
	s_andn2_b64 vcc, exec, s[0:1]
	s_cbranch_vccnz .LBB63_944
; %bb.943:
	global_load_ushort v1, v[4:5], off
	s_waitcnt vmcnt(0)
	v_bfe_i32 v1, v1, 0, 16
	v_ashrrev_i32_e32 v2, 31, v1
.LBB63_944:
	s_mov_b64 s[0:1], 0
.LBB63_945:
	s_andn2_b64 vcc, exec, s[0:1]
	s_cbranch_vccnz .LBB63_951
; %bb.946:
	s_cmp_gt_i32 s58, 0
	s_cbranch_scc0 .LBB63_948
; %bb.947:
	global_load_sbyte v1, v[4:5], off
	s_mov_b64 s[0:1], 0
	s_waitcnt vmcnt(0)
	v_bfe_i32 v1, v1, 0, 16
	v_ashrrev_i32_e32 v2, 31, v1
	s_branch .LBB63_949
.LBB63_948:
	s_mov_b64 s[0:1], -1
                                        ; implicit-def: $vgpr1_vgpr2
.LBB63_949:
	s_andn2_b64 vcc, exec, s[0:1]
	s_cbranch_vccnz .LBB63_951
; %bb.950:
	global_load_ubyte v1, v[4:5], off
	s_mov_b32 s0, 0
	s_waitcnt vmcnt(1)
	v_mov_b32_e32 v2, s0
	s_waitcnt vmcnt(0)
	v_and_b32_e32 v1, 0xffff, v1
.LBB63_951:
	s_mov_b64 s[0:1], -1
.LBB63_952:
	s_andn2_b64 vcc, exec, s[0:1]
	s_cbranch_vccnz .LBB63_960
; %bb.953:
	v_mov_b32_e32 v4, s13
	s_and_b32 s62, s71, 0xff
	v_add_co_u32_e32 v3, vcc, s12, v3
	s_cmp_lt_i32 s62, 11
	v_addc_co_u32_e32 v4, vcc, 0, v4, vcc
	s_cbranch_scc1 .LBB63_962
; %bb.954:
	s_and_b32 s63, 0xffff, s62
	s_cmp_gt_i32 s63, 25
	s_cbranch_scc0 .LBB63_963
; %bb.955:
	s_cmp_gt_i32 s63, 28
	s_cbranch_scc0 .LBB63_964
; %bb.956:
	;; [unrolled: 3-line block ×4, first 2 shown]
	s_cmp_eq_u32 s63, 46
	s_mov_b64 s[60:61], 0
	s_cbranch_scc0 .LBB63_969
; %bb.959:
	global_load_dword v5, v[3:4], off
	s_mov_b32 s0, 0x2f800000
	s_mov_b32 s1, 0xcf800000
	s_mov_b64 s[58:59], 0
	s_waitcnt vmcnt(0)
	v_lshlrev_b32_e32 v5, 16, v5
	v_trunc_f32_e32 v5, v5
	v_mul_f32_e64 v6, |v5|, s0
	v_floor_f32_e32 v6, v6
	v_fma_f32 v7, v6, s1, |v5|
	v_cvt_u32_f32_e32 v7, v7
	v_cvt_u32_f32_e32 v6, v6
	v_ashrrev_i32_e32 v9, 31, v5
	s_mov_b64 s[0:1], -1
	v_xor_b32_e32 v5, v7, v9
	v_xor_b32_e32 v6, v6, v9
	v_sub_co_u32_e32 v5, vcc, v5, v9
	v_subb_co_u32_e32 v6, vcc, v6, v9, vcc
	s_branch .LBB63_970
.LBB63_960:
	s_mov_b64 s[62:63], 0
	s_mov_b64 s[0:1], s[50:51]
	;; [unrolled: 1-line block ×3, first 2 shown]
.LBB63_961:
                                        ; implicit-def: $vgpr8
	s_branch .LBB63_1221
.LBB63_962:
	s_mov_b64 s[60:61], -1
	s_mov_b64 s[0:1], 0
                                        ; implicit-def: $vgpr5_vgpr6
	s_mov_b64 s[58:59], s[48:49]
	s_branch .LBB63_1031
.LBB63_963:
	s_mov_b64 s[60:61], -1
	s_mov_b64 s[0:1], 0
	s_mov_b64 s[58:59], s[48:49]
                                        ; implicit-def: $vgpr5_vgpr6
	s_branch .LBB63_999
.LBB63_964:
	s_mov_b64 s[60:61], -1
	s_mov_b64 s[0:1], 0
	s_mov_b64 s[58:59], s[48:49]
                                        ; implicit-def: $vgpr5_vgpr6
	s_branch .LBB63_980
.LBB63_965:
	s_mov_b64 s[60:61], -1
	s_mov_b64 s[0:1], 0
	s_mov_b64 s[58:59], s[48:49]
                                        ; implicit-def: $vgpr5_vgpr6
	s_branch .LBB63_975
.LBB63_966:
	s_mov_b64 s[60:61], -1
	s_mov_b64 s[0:1], 0
	s_mov_b64 s[58:59], s[48:49]
                                        ; implicit-def: $vgpr5_vgpr6
	s_branch .LBB63_970
.LBB63_967:
	s_andn2_saveexec_b64 s[58:59], s[58:59]
	s_cbranch_execz .LBB63_735
.LBB63_968:
	v_add_f32_e32 v2, 0x42800000, v3
	v_and_b32_e32 v2, 0xff, v2
	v_cmp_ne_u32_e32 vcc, 0, v2
	s_andn2_b64 s[56:57], s[56:57], exec
	s_and_b64 s[62:63], vcc, exec
	s_or_b64 s[56:57], s[56:57], s[62:63]
	s_or_b64 exec, exec, s[58:59]
	v_mov_b32_e32 v4, 0
	s_and_saveexec_b64 s[58:59], s[56:57]
	s_cbranch_execnz .LBB63_736
	s_branch .LBB63_737
.LBB63_969:
	s_mov_b64 s[58:59], -1
                                        ; implicit-def: $vgpr5_vgpr6
	s_mov_b64 s[0:1], 0
.LBB63_970:
	s_and_b64 vcc, exec, s[60:61]
	s_cbranch_vccz .LBB63_974
; %bb.971:
	s_cmp_eq_u32 s63, 44
	s_cbranch_scc0 .LBB63_973
; %bb.972:
	global_load_ubyte v5, v[3:4], off
	s_mov_b32 s0, 0x2f800000
	s_mov_b32 s1, 0xcf800000
	s_mov_b64 s[58:59], 0
	s_waitcnt vmcnt(0)
	v_lshlrev_b32_e32 v6, 23, v5
	v_trunc_f32_e32 v6, v6
	v_mul_f32_e64 v7, |v6|, s0
	v_floor_f32_e32 v7, v7
	v_fma_f32 v9, v7, s1, |v6|
	v_cvt_u32_f32_e32 v9, v9
	v_cvt_u32_f32_e32 v7, v7
	v_ashrrev_i32_e32 v6, 31, v6
	s_mov_b64 s[0:1], -1
	v_xor_b32_e32 v9, v9, v6
	v_xor_b32_e32 v7, v7, v6
	v_sub_co_u32_e32 v9, vcc, v9, v6
	v_subb_co_u32_e32 v6, vcc, v7, v6, vcc
	v_cmp_ne_u32_e32 vcc, 0, v5
	v_cndmask_b32_e32 v6, 0, v6, vcc
	v_cndmask_b32_e32 v5, 0, v9, vcc
	s_branch .LBB63_974
.LBB63_973:
	s_mov_b64 s[58:59], -1
                                        ; implicit-def: $vgpr5_vgpr6
.LBB63_974:
	s_mov_b64 s[60:61], 0
.LBB63_975:
	s_and_b64 vcc, exec, s[60:61]
	s_cbranch_vccz .LBB63_979
; %bb.976:
	s_cmp_eq_u32 s63, 29
	s_cbranch_scc0 .LBB63_978
; %bb.977:
	global_load_dwordx2 v[5:6], v[3:4], off
	s_mov_b64 s[0:1], -1
	s_mov_b64 s[58:59], 0
	s_branch .LBB63_979
.LBB63_978:
	s_mov_b64 s[58:59], -1
                                        ; implicit-def: $vgpr5_vgpr6
.LBB63_979:
	s_mov_b64 s[60:61], 0
.LBB63_980:
	s_and_b64 vcc, exec, s[60:61]
	s_cbranch_vccz .LBB63_998
; %bb.981:
	s_cmp_lt_i32 s63, 27
	s_cbranch_scc1 .LBB63_984
; %bb.982:
	s_cmp_gt_i32 s63, 27
	s_cbranch_scc0 .LBB63_985
; %bb.983:
	global_load_dword v5, v[3:4], off
	s_waitcnt vmcnt(1)
	v_mov_b32_e32 v6, 0
	s_mov_b64 s[0:1], 0
	s_branch .LBB63_986
.LBB63_984:
	s_mov_b64 s[0:1], -1
                                        ; implicit-def: $vgpr5_vgpr6
	s_branch .LBB63_989
.LBB63_985:
	s_mov_b64 s[0:1], -1
                                        ; implicit-def: $vgpr5_vgpr6
.LBB63_986:
	s_andn2_b64 vcc, exec, s[0:1]
	s_cbranch_vccnz .LBB63_988
; %bb.987:
	global_load_ushort v5, v[3:4], off
	s_mov_b32 s0, 0
	s_waitcnt vmcnt(1)
	v_mov_b32_e32 v6, s0
	s_waitcnt vmcnt(0)
	v_and_b32_e32 v5, 0xffff, v5
.LBB63_988:
	s_mov_b64 s[0:1], 0
.LBB63_989:
	s_andn2_b64 vcc, exec, s[0:1]
	s_cbranch_vccnz .LBB63_997
; %bb.990:
	global_load_ubyte v7, v[3:4], off
	s_movk_i32 s0, 0x7f
	s_mov_b64 s[60:61], 0
	s_waitcnt vmcnt(0)
	v_cmp_lt_i16_e32 vcc, s0, v7
	s_and_saveexec_b64 s[0:1], vcc
	s_xor_b64 s[0:1], exec, s[0:1]
; %bb.991:
	s_movk_i32 s60, 0x80
	v_cmp_ne_u16_e32 vcc, s60, v7
	s_and_b64 s[60:61], vcc, exec
; %bb.992:
	s_andn2_saveexec_b64 s[0:1], s[0:1]
; %bb.993:
	v_cmp_ne_u16_e32 vcc, 0, v7
	s_andn2_b64 s[60:61], s[60:61], exec
	s_and_b64 s[64:65], vcc, exec
	s_or_b64 s[60:61], s[60:61], s[64:65]
; %bb.994:
	s_or_b64 exec, exec, s[0:1]
	v_mov_b32_e32 v5, 0
	v_mov_b32_e32 v6, 0
	s_and_saveexec_b64 s[0:1], s[60:61]
	s_cbranch_execz .LBB63_996
; %bb.995:
	v_and_b32_e32 v6, 0xffff, v7
	v_lshlrev_b32_e32 v5, 24, v7
	v_and_b32_e32 v7, 7, v6
	v_ffbh_u32_e32 v10, v7
	v_min_u32_e32 v10, 32, v10
	v_subrev_u32_e32 v11, 28, v10
	v_bfe_u32 v9, v6, 3, 4
	v_lshlrev_b32_e32 v6, v11, v6
	v_sub_u32_e32 v10, 29, v10
	v_and_b32_e32 v6, 7, v6
	v_cmp_eq_u32_e32 vcc, 0, v9
	v_cndmask_b32_e32 v9, v9, v10, vcc
	v_cndmask_b32_e32 v6, v7, v6, vcc
	v_mov_b32_e32 v7, 0x3b800000
	v_lshlrev_b32_e32 v6, 20, v6
	v_and_b32_e32 v5, 0x80000000, v5
	v_lshl_add_u32 v7, v9, 23, v7
	v_or3_b32 v5, v5, v7, v6
	v_trunc_f32_e32 v5, v5
	s_mov_b32 s60, 0x2f800000
	v_mul_f32_e64 v6, |v5|, s60
	v_floor_f32_e32 v6, v6
	s_mov_b32 s60, 0xcf800000
	v_fma_f32 v7, v6, s60, |v5|
	v_cvt_u32_f32_e32 v7, v7
	v_cvt_u32_f32_e32 v6, v6
	v_ashrrev_i32_e32 v9, 31, v5
	v_xor_b32_e32 v5, v7, v9
	v_xor_b32_e32 v6, v6, v9
	v_sub_co_u32_e32 v5, vcc, v5, v9
	v_subb_co_u32_e32 v6, vcc, v6, v9, vcc
.LBB63_996:
	s_or_b64 exec, exec, s[0:1]
.LBB63_997:
	s_mov_b64 s[0:1], -1
.LBB63_998:
	s_mov_b64 s[60:61], 0
.LBB63_999:
	s_and_b64 vcc, exec, s[60:61]
	s_cbranch_vccz .LBB63_1030
; %bb.1000:
	s_cmp_gt_i32 s63, 22
	s_cbranch_scc0 .LBB63_1010
; %bb.1001:
	s_cmp_lt_i32 s63, 24
	s_cbranch_scc1 .LBB63_1011
; %bb.1002:
	s_cmp_gt_i32 s63, 24
	s_cbranch_scc0 .LBB63_1012
; %bb.1003:
	global_load_ubyte v7, v[3:4], off
	s_movk_i32 s0, 0x7f
	s_mov_b64 s[60:61], 0
	s_waitcnt vmcnt(0)
	v_cmp_lt_i16_e32 vcc, s0, v7
	s_and_saveexec_b64 s[0:1], vcc
	s_xor_b64 s[0:1], exec, s[0:1]
; %bb.1004:
	s_movk_i32 s60, 0x80
	v_cmp_ne_u16_e32 vcc, s60, v7
	s_and_b64 s[60:61], vcc, exec
; %bb.1005:
	s_andn2_saveexec_b64 s[0:1], s[0:1]
; %bb.1006:
	v_cmp_ne_u16_e32 vcc, 0, v7
	s_andn2_b64 s[60:61], s[60:61], exec
	s_and_b64 s[64:65], vcc, exec
	s_or_b64 s[60:61], s[60:61], s[64:65]
; %bb.1007:
	s_or_b64 exec, exec, s[0:1]
	v_mov_b32_e32 v5, 0
	v_mov_b32_e32 v6, 0
	s_and_saveexec_b64 s[0:1], s[60:61]
	s_cbranch_execz .LBB63_1009
; %bb.1008:
	v_and_b32_e32 v6, 0xffff, v7
	v_lshlrev_b32_e32 v5, 24, v7
	v_and_b32_e32 v7, 3, v6
	v_ffbh_u32_e32 v10, v7
	v_min_u32_e32 v10, 32, v10
	v_subrev_u32_e32 v11, 29, v10
	v_bfe_u32 v9, v6, 2, 5
	v_lshlrev_b32_e32 v6, v11, v6
	v_sub_u32_e32 v10, 30, v10
	v_and_b32_e32 v6, 3, v6
	v_cmp_eq_u32_e32 vcc, 0, v9
	v_cndmask_b32_e32 v9, v9, v10, vcc
	v_cndmask_b32_e32 v6, v7, v6, vcc
	v_mov_b32_e32 v7, 0x37800000
	v_lshlrev_b32_e32 v6, 21, v6
	v_and_b32_e32 v5, 0x80000000, v5
	v_lshl_add_u32 v7, v9, 23, v7
	v_or3_b32 v5, v5, v7, v6
	v_trunc_f32_e32 v5, v5
	s_mov_b32 s60, 0x2f800000
	v_mul_f32_e64 v6, |v5|, s60
	v_floor_f32_e32 v6, v6
	s_mov_b32 s60, 0xcf800000
	v_fma_f32 v7, v6, s60, |v5|
	v_cvt_u32_f32_e32 v7, v7
	v_cvt_u32_f32_e32 v6, v6
	v_ashrrev_i32_e32 v9, 31, v5
	v_xor_b32_e32 v5, v7, v9
	v_xor_b32_e32 v6, v6, v9
	v_sub_co_u32_e32 v5, vcc, v5, v9
	v_subb_co_u32_e32 v6, vcc, v6, v9, vcc
.LBB63_1009:
	s_or_b64 exec, exec, s[0:1]
	s_mov_b64 s[0:1], 0
	s_branch .LBB63_1013
.LBB63_1010:
	s_mov_b64 s[60:61], -1
                                        ; implicit-def: $vgpr5_vgpr6
	s_branch .LBB63_1019
.LBB63_1011:
	s_mov_b64 s[0:1], -1
                                        ; implicit-def: $vgpr5_vgpr6
	s_branch .LBB63_1016
.LBB63_1012:
	s_mov_b64 s[0:1], -1
                                        ; implicit-def: $vgpr5_vgpr6
.LBB63_1013:
	s_and_b64 vcc, exec, s[0:1]
	s_cbranch_vccz .LBB63_1015
; %bb.1014:
	global_load_ubyte v5, v[3:4], off
	s_mov_b32 s0, 0x7f800000
	s_brev_b32 s1, 1
	s_mov_b32 s60, 0x2f800000
	s_mov_b32 s61, 0xcf800000
	s_waitcnt vmcnt(0)
	v_lshlrev_b32_e32 v5, 24, v5
	v_and_b32_e32 v6, 0x7f000000, v5
	v_ffbh_u32_e32 v7, v6
	v_min_u32_e32 v7, 32, v7
	v_sub_u32_e64 v7, v7, 4 clamp
	v_lshlrev_b32_e32 v10, v7, v6
	v_lshlrev_b32_e32 v7, 23, v7
	v_lshrrev_b32_e32 v10, 4, v10
	v_add_u32_e32 v9, 0x1000000, v6
	v_sub_u32_e32 v7, v10, v7
	v_ashrrev_i32_e32 v9, 8, v9
	v_add_u32_e32 v7, 0x3c000000, v7
	v_and_or_b32 v7, v9, s0, v7
	v_cmp_ne_u32_e32 vcc, 0, v6
	v_cndmask_b32_e32 v6, 0, v7, vcc
	v_and_or_b32 v5, v5, s1, v6
	v_trunc_f32_e32 v5, v5
	v_mul_f32_e64 v6, |v5|, s60
	v_floor_f32_e32 v6, v6
	v_fma_f32 v7, v6, s61, |v5|
	v_cvt_u32_f32_e32 v7, v7
	v_cvt_u32_f32_e32 v6, v6
	v_ashrrev_i32_e32 v9, 31, v5
	v_xor_b32_e32 v5, v7, v9
	v_xor_b32_e32 v6, v6, v9
	v_sub_co_u32_e32 v5, vcc, v5, v9
	v_subb_co_u32_e32 v6, vcc, v6, v9, vcc
.LBB63_1015:
	s_mov_b64 s[0:1], 0
.LBB63_1016:
	s_andn2_b64 vcc, exec, s[0:1]
	s_cbranch_vccnz .LBB63_1018
; %bb.1017:
	global_load_ubyte v5, v[3:4], off
	s_movk_i32 s0, 0x7f00
	s_brev_b32 s1, 16
	s_brev_b32 s60, 1
	s_mov_b32 s61, 0x2f800000
	s_mov_b32 s64, 0xcf800000
	s_waitcnt vmcnt(0)
	v_lshlrev_b16_e32 v6, 8, v5
	v_lshlrev_b32_e32 v5, 25, v5
	v_lshrrev_b32_e32 v7, 4, v5
	v_and_or_b32 v9, v6, s0, 0.5
	v_or_b32_e32 v7, 0x70000000, v7
	v_add_f32_e32 v9, -0.5, v9
	v_mul_f32_e32 v7, 0x7800000, v7
	v_cmp_gt_u32_e32 vcc, s1, v5
	v_bfe_i32 v6, v6, 0, 16
	v_cndmask_b32_e32 v5, v7, v9, vcc
	v_and_or_b32 v5, v6, s60, v5
	v_trunc_f32_e32 v5, v5
	v_mul_f32_e64 v6, |v5|, s61
	v_floor_f32_e32 v6, v6
	v_fma_f32 v7, v6, s64, |v5|
	v_cvt_u32_f32_e32 v7, v7
	v_cvt_u32_f32_e32 v6, v6
	v_ashrrev_i32_e32 v9, 31, v5
	v_xor_b32_e32 v5, v7, v9
	v_xor_b32_e32 v6, v6, v9
	v_sub_co_u32_e32 v5, vcc, v5, v9
	v_subb_co_u32_e32 v6, vcc, v6, v9, vcc
.LBB63_1018:
	s_mov_b64 s[60:61], 0
	s_mov_b64 s[0:1], -1
.LBB63_1019:
	s_andn2_b64 vcc, exec, s[60:61]
	s_cbranch_vccnz .LBB63_1030
; %bb.1020:
	s_cmp_gt_i32 s63, 14
	s_cbranch_scc0 .LBB63_1023
; %bb.1021:
	s_cmp_eq_u32 s63, 15
	s_cbranch_scc0 .LBB63_1024
; %bb.1022:
	global_load_ushort v5, v[3:4], off
	s_mov_b32 s0, 0x2f800000
	s_mov_b32 s1, 0xcf800000
	s_mov_b64 s[58:59], 0
	s_waitcnt vmcnt(0)
	v_lshlrev_b32_e32 v5, 16, v5
	v_trunc_f32_e32 v5, v5
	v_mul_f32_e64 v6, |v5|, s0
	v_floor_f32_e32 v6, v6
	v_fma_f32 v7, v6, s1, |v5|
	v_cvt_u32_f32_e32 v7, v7
	v_cvt_u32_f32_e32 v6, v6
	v_ashrrev_i32_e32 v9, 31, v5
	s_mov_b64 s[0:1], -1
	v_xor_b32_e32 v5, v7, v9
	v_xor_b32_e32 v6, v6, v9
	v_sub_co_u32_e32 v5, vcc, v5, v9
	v_subb_co_u32_e32 v6, vcc, v6, v9, vcc
	s_branch .LBB63_1025
.LBB63_1023:
	s_mov_b64 s[60:61], -1
                                        ; implicit-def: $vgpr5_vgpr6
	s_branch .LBB63_1026
.LBB63_1024:
	s_mov_b64 s[58:59], -1
                                        ; implicit-def: $vgpr5_vgpr6
.LBB63_1025:
	s_mov_b64 s[60:61], 0
.LBB63_1026:
	s_and_b64 vcc, exec, s[60:61]
	s_cbranch_vccz .LBB63_1030
; %bb.1027:
	s_cmp_eq_u32 s63, 11
	s_cbranch_scc0 .LBB63_1029
; %bb.1028:
	global_load_ubyte v5, v[3:4], off
	s_mov_b32 s58, 0
	s_mov_b64 s[0:1], -1
	s_waitcnt vmcnt(1)
	v_mov_b32_e32 v6, s58
	s_mov_b64 s[58:59], 0
	s_waitcnt vmcnt(0)
	v_cmp_ne_u16_e32 vcc, 0, v5
	v_cndmask_b32_e64 v5, 0, 1, vcc
	s_branch .LBB63_1030
.LBB63_1029:
	s_mov_b64 s[58:59], -1
                                        ; implicit-def: $vgpr5_vgpr6
.LBB63_1030:
	s_mov_b64 s[60:61], 0
.LBB63_1031:
	s_and_b64 vcc, exec, s[60:61]
	s_cbranch_vccz .LBB63_1080
; %bb.1032:
	s_and_b32 s60, 0xffff, s62
	s_cmp_lt_i32 s60, 5
	s_cbranch_scc1 .LBB63_1037
; %bb.1033:
	s_cmp_lt_i32 s60, 8
	s_cbranch_scc1 .LBB63_1038
; %bb.1034:
	;; [unrolled: 3-line block ×3, first 2 shown]
	s_cmp_gt_i32 s60, 9
	s_cbranch_scc0 .LBB63_1040
; %bb.1036:
	global_load_dwordx2 v[5:6], v[3:4], off
	s_movk_i32 s0, 0xffe0
	s_waitcnt vmcnt(0)
	v_trunc_f64_e32 v[5:6], v[5:6]
	v_ldexp_f64 v[9:10], v[5:6], s0
	s_mov_b32 s0, 0
	s_mov_b32 s1, 0xc1f00000
	v_floor_f64_e32 v[9:10], v[9:10]
	v_fma_f64 v[11:12], v[9:10], s[0:1], v[5:6]
	v_cvt_i32_f64_e32 v6, v[9:10]
	s_mov_b64 s[0:1], 0
	v_cvt_u32_f64_e32 v5, v[11:12]
	s_branch .LBB63_1041
.LBB63_1037:
	s_mov_b64 s[0:1], -1
                                        ; implicit-def: $vgpr5_vgpr6
	s_branch .LBB63_1059
.LBB63_1038:
	s_mov_b64 s[0:1], -1
                                        ; implicit-def: $vgpr5_vgpr6
	s_branch .LBB63_1047
.LBB63_1039:
	s_mov_b64 s[0:1], -1
                                        ; implicit-def: $vgpr5_vgpr6
	s_branch .LBB63_1044
.LBB63_1040:
	s_mov_b64 s[0:1], -1
                                        ; implicit-def: $vgpr5_vgpr6
.LBB63_1041:
	s_andn2_b64 vcc, exec, s[0:1]
	s_cbranch_vccnz .LBB63_1043
; %bb.1042:
	global_load_dword v5, v[3:4], off
	s_mov_b32 s0, 0x2f800000
	s_mov_b32 s1, 0xcf800000
	s_waitcnt vmcnt(0)
	v_trunc_f32_e32 v5, v5
	v_mul_f32_e64 v6, |v5|, s0
	v_floor_f32_e32 v6, v6
	v_cvt_u32_f32_e32 v7, v6
	v_fma_f32 v6, v6, s1, |v5|
	v_cvt_u32_f32_e32 v6, v6
	v_ashrrev_i32_e32 v9, 31, v5
	v_xor_b32_e32 v7, v7, v9
	v_xor_b32_e32 v5, v6, v9
	v_sub_co_u32_e32 v5, vcc, v5, v9
	v_subb_co_u32_e32 v6, vcc, v7, v9, vcc
.LBB63_1043:
	s_mov_b64 s[0:1], 0
.LBB63_1044:
	s_andn2_b64 vcc, exec, s[0:1]
	s_cbranch_vccnz .LBB63_1046
; %bb.1045:
	global_load_dword v5, v[3:4], off
	s_waitcnt vmcnt(0)
	v_cvt_f32_f16_e32 v5, v5
	v_cvt_i32_f32_e32 v5, v5
	v_ashrrev_i32_e32 v6, 31, v5
.LBB63_1046:
	s_mov_b64 s[0:1], 0
.LBB63_1047:
	s_andn2_b64 vcc, exec, s[0:1]
	s_cbranch_vccnz .LBB63_1058
; %bb.1048:
	s_cmp_lt_i32 s60, 6
	s_cbranch_scc1 .LBB63_1051
; %bb.1049:
	s_cmp_gt_i32 s60, 6
	s_cbranch_scc0 .LBB63_1052
; %bb.1050:
	global_load_dwordx2 v[5:6], v[3:4], off
	s_movk_i32 s0, 0xffe0
	s_waitcnt vmcnt(0)
	v_trunc_f64_e32 v[5:6], v[5:6]
	v_ldexp_f64 v[9:10], v[5:6], s0
	s_mov_b32 s0, 0
	s_mov_b32 s1, 0xc1f00000
	v_floor_f64_e32 v[9:10], v[9:10]
	v_fma_f64 v[11:12], v[9:10], s[0:1], v[5:6]
	v_cvt_i32_f64_e32 v6, v[9:10]
	s_mov_b64 s[0:1], 0
	v_cvt_u32_f64_e32 v5, v[11:12]
	s_branch .LBB63_1053
.LBB63_1051:
	s_mov_b64 s[0:1], -1
                                        ; implicit-def: $vgpr5_vgpr6
	s_branch .LBB63_1056
.LBB63_1052:
	s_mov_b64 s[0:1], -1
                                        ; implicit-def: $vgpr5_vgpr6
.LBB63_1053:
	s_andn2_b64 vcc, exec, s[0:1]
	s_cbranch_vccnz .LBB63_1055
; %bb.1054:
	global_load_dword v5, v[3:4], off
	s_mov_b32 s0, 0x2f800000
	s_mov_b32 s1, 0xcf800000
	s_waitcnt vmcnt(0)
	v_trunc_f32_e32 v5, v5
	v_mul_f32_e64 v6, |v5|, s0
	v_floor_f32_e32 v6, v6
	v_cvt_u32_f32_e32 v7, v6
	v_fma_f32 v6, v6, s1, |v5|
	v_cvt_u32_f32_e32 v6, v6
	v_ashrrev_i32_e32 v9, 31, v5
	v_xor_b32_e32 v7, v7, v9
	v_xor_b32_e32 v5, v6, v9
	v_sub_co_u32_e32 v5, vcc, v5, v9
	v_subb_co_u32_e32 v6, vcc, v7, v9, vcc
.LBB63_1055:
	s_mov_b64 s[0:1], 0
.LBB63_1056:
	s_andn2_b64 vcc, exec, s[0:1]
	s_cbranch_vccnz .LBB63_1058
; %bb.1057:
	global_load_ushort v5, v[3:4], off
	s_waitcnt vmcnt(0)
	v_cvt_f32_f16_e32 v5, v5
	v_cvt_i32_f32_e32 v5, v5
	v_ashrrev_i32_e32 v6, 31, v5
.LBB63_1058:
	s_mov_b64 s[0:1], 0
.LBB63_1059:
	s_andn2_b64 vcc, exec, s[0:1]
	s_cbranch_vccnz .LBB63_1079
; %bb.1060:
	s_cmp_lt_i32 s60, 2
	s_cbranch_scc1 .LBB63_1064
; %bb.1061:
	s_cmp_lt_i32 s60, 3
	s_cbranch_scc1 .LBB63_1065
; %bb.1062:
	s_cmp_gt_i32 s60, 3
	s_cbranch_scc0 .LBB63_1066
; %bb.1063:
	global_load_dwordx2 v[5:6], v[3:4], off
	s_mov_b64 s[0:1], 0
	s_branch .LBB63_1067
.LBB63_1064:
	s_mov_b64 s[0:1], -1
                                        ; implicit-def: $vgpr5_vgpr6
	s_branch .LBB63_1073
.LBB63_1065:
	s_mov_b64 s[0:1], -1
                                        ; implicit-def: $vgpr5_vgpr6
	s_branch .LBB63_1070
.LBB63_1066:
	s_mov_b64 s[0:1], -1
                                        ; implicit-def: $vgpr5_vgpr6
.LBB63_1067:
	s_andn2_b64 vcc, exec, s[0:1]
	s_cbranch_vccnz .LBB63_1069
; %bb.1068:
	global_load_dword v5, v[3:4], off
	s_waitcnt vmcnt(0)
	v_ashrrev_i32_e32 v6, 31, v5
.LBB63_1069:
	s_mov_b64 s[0:1], 0
.LBB63_1070:
	s_andn2_b64 vcc, exec, s[0:1]
	s_cbranch_vccnz .LBB63_1072
; %bb.1071:
	global_load_ushort v5, v[3:4], off
	s_waitcnt vmcnt(0)
	v_bfe_i32 v5, v5, 0, 16
	v_ashrrev_i32_e32 v6, 31, v5
.LBB63_1072:
	s_mov_b64 s[0:1], 0
.LBB63_1073:
	s_andn2_b64 vcc, exec, s[0:1]
	s_cbranch_vccnz .LBB63_1079
; %bb.1074:
	s_cmp_gt_i32 s60, 0
	s_cbranch_scc0 .LBB63_1076
; %bb.1075:
	global_load_sbyte v5, v[3:4], off
	s_mov_b64 s[0:1], 0
	s_waitcnt vmcnt(0)
	v_bfe_i32 v5, v5, 0, 16
	v_ashrrev_i32_e32 v6, 31, v5
	s_branch .LBB63_1077
.LBB63_1076:
	s_mov_b64 s[0:1], -1
                                        ; implicit-def: $vgpr5_vgpr6
.LBB63_1077:
	s_andn2_b64 vcc, exec, s[0:1]
	s_cbranch_vccnz .LBB63_1079
; %bb.1078:
	global_load_ubyte v3, v[3:4], off
	s_mov_b32 s0, 0
	s_waitcnt vmcnt(1)
	v_mov_b32_e32 v6, s0
	s_waitcnt vmcnt(0)
	v_and_b32_e32 v5, 0xffff, v3
.LBB63_1079:
	s_mov_b64 s[0:1], -1
.LBB63_1080:
	s_andn2_b64 vcc, exec, s[0:1]
	s_cbranch_vccnz .LBB63_1085
; %bb.1081:
	s_cmp_lt_i32 s14, 1
	s_mov_b64 s[0:1], 0
	s_cbranch_scc1 .LBB63_1086
; %bb.1082:
	s_cmp_gt_i32 s14, 1
	s_cbranch_scc0 .LBB63_1087
; %bb.1083:
	s_cmp_eq_u32 s14, 2
	s_cbranch_scc0 .LBB63_1088
; %bb.1084:
	s_waitcnt vmcnt(0)
	v_cmp_le_i64_e64 s[60:61], v[1:2], v[5:6]
	s_mov_b64 s[62:63], 0
	s_branch .LBB63_1089
.LBB63_1085:
	s_mov_b64 s[62:63], 0
                                        ; implicit-def: $vgpr8
	s_mov_b64 s[0:1], s[50:51]
	s_branch .LBB63_1221
.LBB63_1086:
	s_mov_b64 s[64:65], -1
                                        ; implicit-def: $sgpr60_sgpr61
	s_mov_b64 s[62:63], 0
	s_branch .LBB63_1093
.LBB63_1087:
	s_mov_b64 s[64:65], -1
	s_mov_b64 s[62:63], 0
                                        ; implicit-def: $sgpr60_sgpr61
	s_branch .LBB63_1090
.LBB63_1088:
	s_mov_b64 s[62:63], -1
                                        ; implicit-def: $sgpr60_sgpr61
.LBB63_1089:
	s_mov_b64 s[64:65], 0
.LBB63_1090:
	s_and_b64 vcc, exec, s[64:65]
	s_cbranch_vccz .LBB63_1092
; %bb.1091:
	s_waitcnt vmcnt(0)
	v_cmp_gt_i64_e32 vcc, v[1:2], v[5:6]
	s_andn2_b64 s[60:61], s[60:61], exec
	s_and_b64 s[64:65], vcc, exec
	s_or_b64 s[60:61], s[60:61], s[64:65]
.LBB63_1092:
	s_mov_b64 s[64:65], 0
.LBB63_1093:
	s_and_b64 vcc, exec, s[64:65]
	s_cbranch_vccz .LBB63_1104
; %bb.1094:
	s_cmp_lg_u32 s14, 0
	s_mov_b64 s[0:1], -1
	s_cselect_b64 s[62:63], -1, 0
	s_andn2_b64 vcc, exec, s[62:63]
	s_cbranch_vccz .LBB63_1105
.LBB63_1095:
	s_andn2_b64 vcc, exec, s[0:1]
	s_cbranch_vccnz .LBB63_1097
.LBB63_1096:
	s_waitcnt vmcnt(0)
	v_cmp_ge_i64_e32 vcc, v[1:2], v[5:6]
	s_andn2_b64 s[0:1], s[60:61], exec
	s_and_b64 s[60:61], vcc, exec
	s_or_b64 s[60:61], s[0:1], s[60:61]
.LBB63_1097:
	s_waitcnt vmcnt(0)
	v_mov_b32_e32 v1, s9
	s_and_b32 s69, s15, 0xff
	v_add_co_u32_e32 v0, vcc, s8, v0
	s_cmp_lt_i32 s69, 11
	v_addc_co_u32_e32 v1, vcc, 0, v1, vcc
	s_cbranch_scc1 .LBB63_1106
; %bb.1098:
	s_and_b32 s74, 0xffff, s69
	s_cmp_gt_i32 s74, 25
	s_cbranch_scc0 .LBB63_1107
; %bb.1099:
	s_cmp_gt_i32 s74, 28
	s_cbranch_scc0 .LBB63_1108
; %bb.1100:
	;; [unrolled: 3-line block ×4, first 2 shown]
	s_mov_b64 s[64:65], 0
	s_mov_b64 s[0:1], -1
	s_cmp_eq_u32 s74, 46
	s_mov_b64 s[62:63], 0
	s_cbranch_scc0 .LBB63_1111
; %bb.1103:
	v_cndmask_b32_e64 v2, 0, 1.0, s[60:61]
	v_bfe_u32 v3, v2, 16, 1
	s_movk_i32 s0, 0x7fff
	v_add3_u32 v2, v2, v3, s0
	v_lshrrev_b32_e32 v2, 16, v2
	global_store_dword v[0:1], v2, off
	s_mov_b64 s[62:63], -1
	s_mov_b64 s[0:1], 0
	s_branch .LBB63_1111
.LBB63_1104:
	s_andn2_b64 vcc, exec, s[62:63]
	s_cbranch_vccnz .LBB63_1095
.LBB63_1105:
	s_waitcnt vmcnt(0)
	v_cmp_lt_i64_e32 vcc, v[1:2], v[5:6]
	s_andn2_b64 s[60:61], s[60:61], exec
	s_and_b64 s[62:63], vcc, exec
	s_or_b64 s[60:61], s[60:61], s[62:63]
	s_cbranch_execz .LBB63_1096
	s_branch .LBB63_1097
.LBB63_1106:
	s_mov_b64 s[64:65], -1
	s_mov_b64 s[62:63], 0
	s_mov_b64 s[0:1], s[50:51]
	s_branch .LBB63_1180
.LBB63_1107:
	s_mov_b64 s[64:65], -1
	s_mov_b64 s[62:63], 0
	s_mov_b64 s[0:1], s[50:51]
	s_branch .LBB63_1138
.LBB63_1108:
	s_mov_b64 s[64:65], -1
	s_mov_b64 s[62:63], 0
	s_mov_b64 s[0:1], s[50:51]
	s_branch .LBB63_1121
.LBB63_1109:
	s_mov_b64 s[64:65], -1
	s_mov_b64 s[62:63], 0
	s_mov_b64 s[0:1], s[50:51]
	s_branch .LBB63_1117
.LBB63_1110:
	s_mov_b64 s[64:65], -1
	s_mov_b64 s[62:63], 0
	s_mov_b64 s[0:1], s[50:51]
.LBB63_1111:
	s_and_b64 vcc, exec, s[64:65]
	s_cbranch_vccz .LBB63_1116
; %bb.1112:
	s_cmp_eq_u32 s74, 44
	s_mov_b64 s[0:1], -1
	s_cbranch_scc0 .LBB63_1116
; %bb.1113:
	v_cndmask_b32_e64 v3, 0, 1.0, s[60:61]
	v_lshrrev_b32_e32 v2, 23, v3
	s_movk_i32 s0, 0xff
	v_cmp_ne_u32_e32 vcc, s0, v2
	v_mov_b32_e32 v4, 0xff
	s_and_saveexec_b64 s[62:63], vcc
; %bb.1114:
	s_mov_b32 s0, 0x3fffff
	v_and_b32_e32 v4, 0x400000, v3
	v_and_or_b32 v3, v3, s0, v2
	v_cmp_ne_u32_e32 vcc, 0, v4
	v_cmp_ne_u32_e64 s[0:1], 0, v3
	s_and_b64 s[0:1], vcc, s[0:1]
	v_cndmask_b32_e64 v3, 0, 1, s[0:1]
	v_add_u32_e32 v4, v2, v3
; %bb.1115:
	s_or_b64 exec, exec, s[62:63]
	s_mov_b64 s[62:63], -1
	s_mov_b64 s[0:1], 0
	global_store_byte v[0:1], v4, off
.LBB63_1116:
	s_mov_b64 s[64:65], 0
.LBB63_1117:
	s_and_b64 vcc, exec, s[64:65]
	s_cbranch_vccz .LBB63_1120
; %bb.1118:
	s_cmp_eq_u32 s74, 29
	s_mov_b64 s[0:1], -1
	s_cbranch_scc0 .LBB63_1120
; %bb.1119:
	s_mov_b32 s0, 0
	v_cndmask_b32_e64 v2, 0, 1, s[60:61]
	v_mov_b32_e32 v3, s0
	global_store_dwordx2 v[0:1], v[2:3], off
	s_mov_b64 s[62:63], -1
	s_mov_b64 s[0:1], 0
.LBB63_1120:
	s_mov_b64 s[64:65], 0
.LBB63_1121:
	s_and_b64 vcc, exec, s[64:65]
	s_cbranch_vccz .LBB63_1137
; %bb.1122:
	s_cmp_lt_i32 s74, 27
	s_mov_b64 s[62:63], -1
	s_cbranch_scc1 .LBB63_1128
; %bb.1123:
	s_cmp_gt_i32 s74, 27
	s_cbranch_scc0 .LBB63_1125
; %bb.1124:
	v_cndmask_b32_e64 v2, 0, 1, s[60:61]
	s_mov_b64 s[62:63], 0
	global_store_dword v[0:1], v2, off
.LBB63_1125:
	s_andn2_b64 vcc, exec, s[62:63]
	s_cbranch_vccnz .LBB63_1127
; %bb.1126:
	v_cndmask_b32_e64 v2, 0, 1, s[60:61]
	global_store_short v[0:1], v2, off
.LBB63_1127:
	s_mov_b64 s[62:63], 0
.LBB63_1128:
	s_andn2_b64 vcc, exec, s[62:63]
	s_cbranch_vccnz .LBB63_1136
; %bb.1129:
	v_cndmask_b32_e64 v3, 0, 1.0, s[60:61]
	s_mov_b32 s62, 0x43800000
	v_cmp_gt_u32_e32 vcc, s62, v3
	v_mov_b32_e32 v4, 0x80
	s_and_saveexec_b64 s[62:63], vcc
	s_cbranch_execz .LBB63_1135
; %bb.1130:
	s_mov_b32 s64, 0x3bffffff
	v_cmp_lt_u32_e32 vcc, s64, v3
	s_mov_b64 s[64:65], 0
                                        ; implicit-def: $vgpr2
	s_and_saveexec_b64 s[66:67], vcc
	s_xor_b64 s[66:67], exec, s[66:67]
	s_cbranch_execz .LBB63_1249
; %bb.1131:
	v_bfe_u32 v2, v3, 20, 1
	s_mov_b32 s75, 0x487ffff
	v_add3_u32 v2, v3, v2, s75
	s_mov_b64 s[64:65], exec
	v_lshrrev_b32_e32 v2, 20, v2
                                        ; implicit-def: $vgpr3
	s_andn2_saveexec_b64 s[66:67], s[66:67]
	s_cbranch_execnz .LBB63_1250
.LBB63_1132:
	s_or_b64 exec, exec, s[66:67]
	v_mov_b32_e32 v4, 0
	s_and_saveexec_b64 s[66:67], s[64:65]
.LBB63_1133:
	v_mov_b32_e32 v4, v2
.LBB63_1134:
	s_or_b64 exec, exec, s[66:67]
.LBB63_1135:
	s_or_b64 exec, exec, s[62:63]
	global_store_byte v[0:1], v4, off
.LBB63_1136:
	s_mov_b64 s[62:63], -1
.LBB63_1137:
	s_mov_b64 s[64:65], 0
.LBB63_1138:
	s_and_b64 vcc, exec, s[64:65]
	s_cbranch_vccz .LBB63_1179
; %bb.1139:
	s_cmp_gt_i32 s74, 22
	s_mov_b64 s[64:65], -1
	s_cbranch_scc0 .LBB63_1171
; %bb.1140:
	s_cmp_lt_i32 s74, 24
	s_mov_b64 s[62:63], -1
	s_cbranch_scc1 .LBB63_1160
; %bb.1141:
	s_cmp_gt_i32 s74, 24
	s_cbranch_scc0 .LBB63_1149
; %bb.1142:
	v_cndmask_b32_e64 v3, 0, 1.0, s[60:61]
	s_mov_b32 s62, 0x47800000
	v_cmp_gt_u32_e32 vcc, s62, v3
	v_mov_b32_e32 v4, 0x80
	s_and_saveexec_b64 s[62:63], vcc
	s_cbranch_execz .LBB63_1148
; %bb.1143:
	s_mov_b32 s64, 0x37ffffff
	v_cmp_lt_u32_e32 vcc, s64, v3
	s_mov_b64 s[64:65], 0
                                        ; implicit-def: $vgpr2
	s_and_saveexec_b64 s[66:67], vcc
	s_xor_b64 s[66:67], exec, s[66:67]
	s_cbranch_execz .LBB63_2335
; %bb.1144:
	v_bfe_u32 v2, v3, 21, 1
	s_mov_b32 s75, 0x88fffff
	v_add3_u32 v2, v3, v2, s75
	s_mov_b64 s[64:65], exec
	v_lshrrev_b32_e32 v2, 21, v2
                                        ; implicit-def: $vgpr3
	s_andn2_saveexec_b64 s[66:67], s[66:67]
	s_cbranch_execnz .LBB63_2336
.LBB63_1145:
	s_or_b64 exec, exec, s[66:67]
	v_mov_b32_e32 v4, 0
	s_and_saveexec_b64 s[66:67], s[64:65]
.LBB63_1146:
	v_mov_b32_e32 v4, v2
.LBB63_1147:
	s_or_b64 exec, exec, s[66:67]
.LBB63_1148:
	s_or_b64 exec, exec, s[62:63]
	s_mov_b64 s[62:63], 0
	global_store_byte v[0:1], v4, off
.LBB63_1149:
	s_and_b64 vcc, exec, s[62:63]
	s_cbranch_vccz .LBB63_1159
; %bb.1150:
	v_cndmask_b32_e64 v2, 0, 1.0, s[60:61]
	s_mov_b32 s62, 0x43f00000
	v_cmp_gt_u32_e32 vcc, s62, v2
                                        ; implicit-def: $vgpr3
	s_and_saveexec_b64 s[62:63], vcc
	s_xor_b64 s[62:63], exec, s[62:63]
	s_cbranch_execz .LBB63_1156
; %bb.1151:
	s_mov_b32 s64, 0x3c7fffff
	v_cmp_lt_u32_e32 vcc, s64, v2
                                        ; implicit-def: $vgpr3
	s_and_saveexec_b64 s[64:65], vcc
	s_xor_b64 s[64:65], exec, s[64:65]
; %bb.1152:
	v_bfe_u32 v3, v2, 20, 1
	s_mov_b32 s66, 0x407ffff
	v_add3_u32 v2, v2, v3, s66
	v_lshrrev_b32_e32 v3, 20, v2
	v_and_b32_e32 v2, 0xff00000, v2
	s_mov_b32 s66, 0x7f00000
	v_mov_b32_e32 v4, 0x7e
	v_cmp_ne_u32_e32 vcc, s66, v2
	v_cndmask_b32_e32 v3, v4, v3, vcc
                                        ; implicit-def: $vgpr2
; %bb.1153:
	s_andn2_saveexec_b64 s[64:65], s[64:65]
; %bb.1154:
	v_add_f32_e32 v3, 0x46800000, v2
; %bb.1155:
	s_or_b64 exec, exec, s[64:65]
                                        ; implicit-def: $vgpr2
.LBB63_1156:
	s_andn2_saveexec_b64 s[62:63], s[62:63]
; %bb.1157:
	s_mov_b32 s64, 0x7f800000
	v_mov_b32_e32 v3, 0x7e
	v_mov_b32_e32 v4, 0x7f
	v_cmp_lt_u32_e32 vcc, s64, v2
	v_cndmask_b32_e32 v3, v3, v4, vcc
; %bb.1158:
	s_or_b64 exec, exec, s[62:63]
	global_store_byte v[0:1], v3, off
.LBB63_1159:
	s_mov_b64 s[62:63], 0
.LBB63_1160:
	s_andn2_b64 vcc, exec, s[62:63]
	s_cbranch_vccnz .LBB63_1170
; %bb.1161:
	v_cndmask_b32_e64 v2, 0, 1.0, s[60:61]
	s_mov_b32 s62, 0x47800000
	v_cmp_gt_u32_e32 vcc, s62, v2
                                        ; implicit-def: $vgpr3
	s_and_saveexec_b64 s[62:63], vcc
	s_xor_b64 s[62:63], exec, s[62:63]
	s_cbranch_execz .LBB63_1167
; %bb.1162:
	s_mov_b32 s64, 0x387fffff
	v_cmp_lt_u32_e32 vcc, s64, v2
                                        ; implicit-def: $vgpr3
	s_and_saveexec_b64 s[64:65], vcc
	s_xor_b64 s[64:65], exec, s[64:65]
; %bb.1163:
	v_bfe_u32 v3, v2, 21, 1
	s_mov_b32 s66, 0x80fffff
	v_add3_u32 v2, v2, v3, s66
	v_lshrrev_b32_e32 v3, 21, v2
                                        ; implicit-def: $vgpr2
; %bb.1164:
	s_andn2_saveexec_b64 s[64:65], s[64:65]
; %bb.1165:
	v_add_f32_e32 v3, 0x43000000, v2
; %bb.1166:
	s_or_b64 exec, exec, s[64:65]
                                        ; implicit-def: $vgpr2
.LBB63_1167:
	s_andn2_saveexec_b64 s[62:63], s[62:63]
; %bb.1168:
	s_mov_b32 s64, 0x7f800000
	v_mov_b32_e32 v3, 0x7c
	v_mov_b32_e32 v4, 0x7f
	v_cmp_lt_u32_e32 vcc, s64, v2
	v_cndmask_b32_e32 v3, v3, v4, vcc
; %bb.1169:
	s_or_b64 exec, exec, s[62:63]
	global_store_byte v[0:1], v3, off
.LBB63_1170:
	s_mov_b64 s[64:65], 0
	s_mov_b64 s[62:63], -1
.LBB63_1171:
	s_andn2_b64 vcc, exec, s[64:65]
	s_cbranch_vccnz .LBB63_1179
; %bb.1172:
	s_cmp_gt_i32 s74, 14
	s_mov_b64 s[64:65], -1
	s_cbranch_scc0 .LBB63_1176
; %bb.1173:
	s_cmp_eq_u32 s74, 15
	s_mov_b64 s[0:1], -1
	s_cbranch_scc0 .LBB63_1175
; %bb.1174:
	v_cndmask_b32_e64 v2, 0, 1.0, s[60:61]
	v_bfe_u32 v3, v2, 16, 1
	s_movk_i32 s0, 0x7fff
	v_add3_u32 v2, v2, v3, s0
	global_store_short_d16_hi v[0:1], v2, off
	s_mov_b64 s[62:63], -1
	s_mov_b64 s[0:1], 0
.LBB63_1175:
	s_mov_b64 s[64:65], 0
.LBB63_1176:
	s_and_b64 vcc, exec, s[64:65]
	s_cbranch_vccz .LBB63_1179
; %bb.1177:
	s_cmp_eq_u32 s74, 11
	s_mov_b64 s[0:1], -1
	s_cbranch_scc0 .LBB63_1179
; %bb.1178:
	v_cndmask_b32_e64 v2, 0, 1, s[60:61]
	s_mov_b64 s[62:63], -1
	s_mov_b64 s[0:1], 0
	global_store_byte v[0:1], v2, off
.LBB63_1179:
	s_mov_b64 s[64:65], 0
.LBB63_1180:
	s_and_b64 vcc, exec, s[64:65]
	s_cbranch_vccz .LBB63_1219
; %bb.1181:
	s_and_b32 s64, 0xffff, s69
	s_cmp_lt_i32 s64, 5
	s_mov_b64 s[62:63], -1
	s_cbranch_scc1 .LBB63_1202
; %bb.1182:
	s_cmp_lt_i32 s64, 8
	s_cbranch_scc1 .LBB63_1192
; %bb.1183:
	s_cmp_lt_i32 s64, 9
	s_cbranch_scc1 .LBB63_1189
; %bb.1184:
	s_cmp_gt_i32 s64, 9
	s_cbranch_scc0 .LBB63_1186
; %bb.1185:
	v_cndmask_b32_e64 v2, 0, 1, s[60:61]
	v_cvt_f64_u32_e32 v[2:3], v2
	v_mov_b32_e32 v4, 0
	v_mov_b32_e32 v5, v4
	s_mov_b64 s[62:63], 0
	global_store_dwordx4 v[0:1], v[2:5], off
.LBB63_1186:
	s_andn2_b64 vcc, exec, s[62:63]
	s_cbranch_vccnz .LBB63_1188
; %bb.1187:
	v_cndmask_b32_e64 v2, 0, 1.0, s[60:61]
	v_mov_b32_e32 v3, 0
	global_store_dwordx2 v[0:1], v[2:3], off
.LBB63_1188:
	s_mov_b64 s[62:63], 0
.LBB63_1189:
	s_andn2_b64 vcc, exec, s[62:63]
	s_cbranch_vccnz .LBB63_1191
; %bb.1190:
	v_cndmask_b32_e64 v2, 0, 1.0, s[60:61]
	v_cvt_f16_f32_e32 v2, v2
	global_store_dword v[0:1], v2, off
.LBB63_1191:
	s_mov_b64 s[62:63], 0
.LBB63_1192:
	s_andn2_b64 vcc, exec, s[62:63]
	s_cbranch_vccnz .LBB63_1201
; %bb.1193:
	s_cmp_lt_i32 s64, 6
	s_mov_b64 s[62:63], -1
	s_cbranch_scc1 .LBB63_1199
; %bb.1194:
	s_cmp_gt_i32 s64, 6
	s_cbranch_scc0 .LBB63_1196
; %bb.1195:
	v_cndmask_b32_e64 v2, 0, 1, s[60:61]
	v_cvt_f64_u32_e32 v[2:3], v2
	s_mov_b64 s[62:63], 0
	global_store_dwordx2 v[0:1], v[2:3], off
.LBB63_1196:
	s_andn2_b64 vcc, exec, s[62:63]
	s_cbranch_vccnz .LBB63_1198
; %bb.1197:
	v_cndmask_b32_e64 v2, 0, 1.0, s[60:61]
	global_store_dword v[0:1], v2, off
.LBB63_1198:
	s_mov_b64 s[62:63], 0
.LBB63_1199:
	s_andn2_b64 vcc, exec, s[62:63]
	s_cbranch_vccnz .LBB63_1201
; %bb.1200:
	v_cndmask_b32_e64 v2, 0, 1.0, s[60:61]
	v_cvt_f16_f32_e32 v2, v2
	global_store_short v[0:1], v2, off
.LBB63_1201:
	s_mov_b64 s[62:63], 0
.LBB63_1202:
	s_andn2_b64 vcc, exec, s[62:63]
	s_cbranch_vccnz .LBB63_1218
; %bb.1203:
	s_cmp_lt_i32 s64, 2
	s_mov_b64 s[62:63], -1
	s_cbranch_scc1 .LBB63_1213
; %bb.1204:
	s_cmp_lt_i32 s64, 3
	s_cbranch_scc1 .LBB63_1210
; %bb.1205:
	s_cmp_gt_i32 s64, 3
	s_cbranch_scc0 .LBB63_1207
; %bb.1206:
	s_mov_b32 s62, 0
	v_cndmask_b32_e64 v2, 0, 1, s[60:61]
	v_mov_b32_e32 v3, s62
	s_mov_b64 s[62:63], 0
	global_store_dwordx2 v[0:1], v[2:3], off
.LBB63_1207:
	s_andn2_b64 vcc, exec, s[62:63]
	s_cbranch_vccnz .LBB63_1209
; %bb.1208:
	v_cndmask_b32_e64 v2, 0, 1, s[60:61]
	global_store_dword v[0:1], v2, off
.LBB63_1209:
	s_mov_b64 s[62:63], 0
.LBB63_1210:
	s_andn2_b64 vcc, exec, s[62:63]
	s_cbranch_vccnz .LBB63_1212
; %bb.1211:
	v_cndmask_b32_e64 v2, 0, 1, s[60:61]
	global_store_short v[0:1], v2, off
.LBB63_1212:
	s_mov_b64 s[62:63], 0
.LBB63_1213:
	s_andn2_b64 vcc, exec, s[62:63]
	s_cbranch_vccnz .LBB63_1218
; %bb.1214:
	s_mov_b64 s[62:63], -1
	s_cmp_gt_i32 s64, 0
	v_cndmask_b32_e64 v2, 0, 1, s[60:61]
	s_cbranch_scc0 .LBB63_1216
; %bb.1215:
	s_mov_b64 s[62:63], 0
	global_store_byte v[0:1], v2, off
.LBB63_1216:
	s_andn2_b64 vcc, exec, s[62:63]
	s_cbranch_vccnz .LBB63_1218
; %bb.1217:
	global_store_byte v[0:1], v2, off
.LBB63_1218:
	s_mov_b64 s[62:63], -1
.LBB63_1219:
	s_andn2_b64 vcc, exec, s[62:63]
	s_cbranch_vccnz .LBB63_1231
; %bb.1220:
	v_add_u32_e32 v8, 0x80, v8
	s_mov_b64 s[62:63], -1
.LBB63_1221:
	s_andn2_b64 s[60:61], s[50:51], exec
	s_and_b64 s[0:1], s[0:1], exec
	s_or_b64 s[60:61], s[60:61], s[0:1]
	s_andn2_b64 s[0:1], s[48:49], exec
	s_and_b64 s[58:59], s[58:59], exec
	s_or_b64 s[58:59], s[0:1], s[58:59]
	;; [unrolled: 3-line block ×3, first 2 shown]
	s_orn2_b64 s[66:67], s[62:63], exec
.LBB63_1222:
	s_or_b64 exec, exec, s[54:55]
	s_mov_b64 s[62:63], 0
	s_mov_b64 s[56:57], 0
	;; [unrolled: 1-line block ×3, first 2 shown]
                                        ; implicit-def: $sgpr74
                                        ; implicit-def: $vgpr4_vgpr5
                                        ; implicit-def: $vgpr0
                                        ; implicit-def: $vgpr3
                                        ; implicit-def: $vgpr1_vgpr2
	s_and_saveexec_b64 s[54:55], s[66:67]
	s_cbranch_execz .LBB63_1313
; %bb.1223:
	v_cmp_gt_i32_e32 vcc, s68, v8
	s_mov_b64 s[66:67], s[0:1]
	s_mov_b64 s[68:69], 0
                                        ; implicit-def: $sgpr74
                                        ; implicit-def: $vgpr4_vgpr5
                                        ; implicit-def: $vgpr0
                                        ; implicit-def: $vgpr3
                                        ; implicit-def: $vgpr1_vgpr2
	s_and_saveexec_b64 s[56:57], vcc
	s_cbranch_execz .LBB63_1312
; %bb.1224:
	s_andn2_b64 vcc, exec, s[24:25]
	s_cbranch_vccnz .LBB63_1230
; %bb.1225:
	s_andn2_b64 vcc, exec, s[36:37]
	s_cbranch_vccnz .LBB63_1232
; %bb.1226:
	s_add_i32 s36, s73, 1
	s_and_b32 s62, s36, 30
	s_add_u32 s36, s2, 0xffffffe8
	s_addc_u32 s37, s3, -1
	v_mov_b32_e32 v3, 0
	s_waitcnt vmcnt(0)
	v_mov_b32_e32 v5, 0
	v_mov_b32_e32 v0, 0
	;; [unrolled: 1-line block ×3, first 2 shown]
.LBB63_1227:                            ; =>This Inner Loop Header: Depth=1
	s_load_dwordx4 s[64:67], s[36:37], 0x1c
	s_load_dwordx2 s[68:69], s[36:37], 0x2c
	s_load_dwordx2 s[74:75], s[36:37], 0xec
	s_load_dwordx4 s[76:79], s[36:37], 0xdc
	s_add_u32 s36, s36, 24
	s_waitcnt lgkmcnt(0)
	v_mul_hi_u32 v2, s65, v1
	s_addc_u32 s37, s37, 0
	s_add_i32 s62, s62, -2
	s_cmp_eq_u32 s62, 0
	v_add_u32_e32 v2, v1, v2
	v_lshrrev_b32_e32 v2, s66, v2
	v_mul_lo_u32 v4, v2, s64
	v_mul_hi_u32 v6, s68, v2
	v_sub_u32_e32 v4, v1, v4
	v_add_u32_e32 v1, v2, v6
	v_lshrrev_b32_e32 v1, s69, v1
	v_mul_lo_u32 v9, v1, s67
	v_mul_lo_u32 v6, v4, s76
	;; [unrolled: 1-line block ×4, first 2 shown]
	v_sub_u32_e32 v2, v2, v9
	v_mul_lo_u32 v9, v2, s79
	v_mul_lo_u32 v10, v2, s74
	;; [unrolled: 1-line block ×3, first 2 shown]
	v_add3_u32 v0, v6, v0, v9
	v_add3_u32 v5, v7, v5, v10
	;; [unrolled: 1-line block ×3, first 2 shown]
	s_cbranch_scc0 .LBB63_1227
; %bb.1228:
	s_bitcmp1_b32 s73, 0
	s_cselect_b64 s[62:63], -1, 0
	s_and_b64 vcc, exec, s[62:63]
	s_cbranch_vccnz .LBB63_1233
; %bb.1229:
	s_load_dwordx2 s[62:63], s[36:37], 0x1c
	s_load_dword s66, s[36:37], 0x24
	s_load_dwordx2 s[64:65], s[36:37], 0xdc
	s_waitcnt lgkmcnt(0)
	v_mul_hi_u32 v2, s63, v1
	v_add_u32_e32 v2, v1, v2
	v_lshrrev_b32_e32 v2, s66, v2
	v_mul_lo_u32 v2, v2, s62
	s_load_dword s62, s[36:37], 0xe4
	v_sub_u32_e32 v2, v1, v2
	v_mad_u64_u32 v[0:1], s[36:37], v2, s64, v[0:1]
	v_mad_u64_u32 v[5:6], s[36:37], v2, s65, v[5:6]
	s_waitcnt lgkmcnt(0)
	v_mad_u64_u32 v[3:4], s[36:37], v2, s62, v[3:4]
	s_branch .LBB63_1233
.LBB63_1230:
	s_mov_b64 s[36:37], -1
                                        ; implicit-def: $vgpr0
                                        ; implicit-def: $vgpr5
                                        ; implicit-def: $vgpr3
	s_branch .LBB63_1234
.LBB63_1231:
	s_mov_b64 s[62:63], 0
	s_branch .LBB63_961
.LBB63_1232:
	v_mov_b32_e32 v0, 0
	s_waitcnt vmcnt(0)
	v_mov_b32_e32 v5, 0
	v_mov_b32_e32 v3, 0
.LBB63_1233:
	s_mov_b64 s[36:37], 0
.LBB63_1234:
	s_andn2_b64 vcc, exec, s[36:37]
	s_cbranch_vccnz .LBB63_1237
; %bb.1235:
	v_mul_hi_u32 v0, s17, v8
	s_andn2_b64 vcc, exec, s[34:35]
	v_add_u32_e32 v0, v8, v0
	s_waitcnt vmcnt(0)
	v_lshrrev_b32_e32 v1, s18, v0
	v_mul_lo_u32 v0, v1, s16
	v_sub_u32_e32 v2, v8, v0
	v_mul_lo_u32 v0, v2, s20
	v_mul_lo_u32 v5, v2, s21
	;; [unrolled: 1-line block ×3, first 2 shown]
	s_cbranch_vccnz .LBB63_1237
; %bb.1236:
	v_mul_hi_u32 v2, s30, v1
	v_add_u32_e32 v2, v1, v2
	v_lshrrev_b32_e32 v2, s31, v2
	v_mul_lo_u32 v2, v2, s19
	v_sub_u32_e32 v2, v1, v2
	v_mad_u64_u32 v[0:1], s[16:17], v2, s23, v[0:1]
	v_mad_u64_u32 v[5:6], s[16:17], v2, s28, v[5:6]
	;; [unrolled: 1-line block ×3, first 2 shown]
.LBB63_1237:
	s_waitcnt vmcnt(0)
	v_mov_b32_e32 v1, s11
	s_and_b32 s74, s72, 0xff
	v_add_co_u32_e32 v4, vcc, s10, v5
	s_cmp_lt_i32 s74, 11
	v_addc_co_u32_e32 v5, vcc, 0, v1, vcc
	s_cbranch_scc1 .LBB63_1244
; %bb.1238:
	s_and_b32 s22, 0xffff, s74
	s_cmp_gt_i32 s22, 25
	s_mov_b64 s[16:17], 0
	s_cbranch_scc0 .LBB63_1245
; %bb.1239:
	s_cmp_gt_i32 s22, 28
	s_cbranch_scc0 .LBB63_1246
; %bb.1240:
	s_cmp_gt_i32 s22, 43
	;; [unrolled: 3-line block ×3, first 2 shown]
	s_cbranch_scc0 .LBB63_1248
; %bb.1242:
	s_cmp_eq_u32 s22, 46
	s_mov_b64 s[20:21], 0
	s_cbranch_scc0 .LBB63_1251
; %bb.1243:
	global_load_dword v1, v[4:5], off
	s_mov_b32 s10, 0x2f800000
	s_mov_b32 s11, 0xcf800000
	s_mov_b64 s[18:19], -1
	s_waitcnt vmcnt(0)
	v_lshlrev_b32_e32 v1, 16, v1
	v_trunc_f32_e32 v1, v1
	v_mul_f32_e64 v2, |v1|, s10
	v_floor_f32_e32 v2, v2
	v_fma_f32 v6, v2, s11, |v1|
	v_cvt_u32_f32_e32 v6, v6
	v_cvt_u32_f32_e32 v2, v2
	v_ashrrev_i32_e32 v7, 31, v1
	s_mov_b64 s[10:11], 0
	v_xor_b32_e32 v1, v6, v7
	v_xor_b32_e32 v2, v2, v7
	v_sub_co_u32_e32 v1, vcc, v1, v7
	v_subb_co_u32_e32 v2, vcc, v2, v7, vcc
	s_branch .LBB63_1252
.LBB63_1244:
	s_mov_b64 s[20:21], -1
	s_mov_b64 s[18:19], 0
	s_mov_b64 s[16:17], 0
	s_mov_b64 s[10:11], s[0:1]
                                        ; implicit-def: $vgpr1_vgpr2
	s_branch .LBB63_1311
.LBB63_1245:
	s_mov_b64 s[20:21], -1
	s_mov_b64 s[18:19], 0
	s_mov_b64 s[10:11], s[0:1]
                                        ; implicit-def: $vgpr1_vgpr2
	s_branch .LBB63_1281
.LBB63_1246:
	s_mov_b64 s[20:21], -1
	s_mov_b64 s[18:19], 0
	s_mov_b64 s[10:11], s[0:1]
                                        ; implicit-def: $vgpr1_vgpr2
	s_branch .LBB63_1262
.LBB63_1247:
	s_mov_b64 s[20:21], -1
	s_mov_b64 s[18:19], 0
	s_mov_b64 s[10:11], s[0:1]
                                        ; implicit-def: $vgpr1_vgpr2
	s_branch .LBB63_1257
.LBB63_1248:
	s_mov_b64 s[20:21], -1
	s_mov_b64 s[18:19], 0
	s_mov_b64 s[10:11], s[0:1]
                                        ; implicit-def: $vgpr1_vgpr2
	s_branch .LBB63_1252
.LBB63_1249:
	s_andn2_saveexec_b64 s[66:67], s[66:67]
	s_cbranch_execz .LBB63_1132
.LBB63_1250:
	v_add_f32_e32 v2, 0x46000000, v3
	v_and_b32_e32 v2, 0xff, v2
	v_cmp_ne_u32_e32 vcc, 0, v2
	s_andn2_b64 s[64:65], s[64:65], exec
	s_and_b64 s[76:77], vcc, exec
	s_or_b64 s[64:65], s[64:65], s[76:77]
	s_or_b64 exec, exec, s[66:67]
	v_mov_b32_e32 v4, 0
	s_and_saveexec_b64 s[66:67], s[64:65]
	s_cbranch_execnz .LBB63_1133
	s_branch .LBB63_1134
.LBB63_1251:
	s_mov_b64 s[10:11], -1
                                        ; implicit-def: $vgpr1_vgpr2
	s_mov_b64 s[18:19], 0
.LBB63_1252:
	s_and_b64 vcc, exec, s[20:21]
	s_cbranch_vccz .LBB63_1256
; %bb.1253:
	s_cmp_eq_u32 s22, 44
	s_cbranch_scc0 .LBB63_1255
; %bb.1254:
	global_load_ubyte v1, v[4:5], off
	s_mov_b32 s10, 0x2f800000
	s_mov_b32 s11, 0xcf800000
	s_mov_b64 s[18:19], -1
	s_waitcnt vmcnt(0)
	v_lshlrev_b32_e32 v2, 23, v1
	v_trunc_f32_e32 v2, v2
	v_mul_f32_e64 v6, |v2|, s10
	v_floor_f32_e32 v6, v6
	v_fma_f32 v7, v6, s11, |v2|
	v_cvt_u32_f32_e32 v7, v7
	v_cvt_u32_f32_e32 v6, v6
	v_ashrrev_i32_e32 v2, 31, v2
	s_mov_b64 s[10:11], 0
	v_xor_b32_e32 v7, v7, v2
	v_xor_b32_e32 v6, v6, v2
	v_sub_co_u32_e32 v7, vcc, v7, v2
	v_subb_co_u32_e32 v2, vcc, v6, v2, vcc
	v_cmp_ne_u32_e32 vcc, 0, v1
	v_cndmask_b32_e32 v2, 0, v2, vcc
	v_cndmask_b32_e32 v1, 0, v7, vcc
	s_branch .LBB63_1256
.LBB63_1255:
	s_mov_b64 s[10:11], -1
                                        ; implicit-def: $vgpr1_vgpr2
.LBB63_1256:
	s_mov_b64 s[20:21], 0
.LBB63_1257:
	s_and_b64 vcc, exec, s[20:21]
	s_cbranch_vccz .LBB63_1261
; %bb.1258:
	s_cmp_eq_u32 s22, 29
	s_cbranch_scc0 .LBB63_1260
; %bb.1259:
	global_load_dwordx2 v[1:2], v[4:5], off
	s_mov_b64 s[10:11], 0
	s_mov_b64 s[18:19], -1
	s_branch .LBB63_1261
.LBB63_1260:
	s_mov_b64 s[10:11], -1
                                        ; implicit-def: $vgpr1_vgpr2
.LBB63_1261:
	s_mov_b64 s[20:21], 0
.LBB63_1262:
	s_and_b64 vcc, exec, s[20:21]
	s_cbranch_vccz .LBB63_1280
; %bb.1263:
	s_cmp_lt_i32 s22, 27
	s_cbranch_scc1 .LBB63_1266
; %bb.1264:
	s_cmp_gt_i32 s22, 27
	s_cbranch_scc0 .LBB63_1267
; %bb.1265:
	global_load_dword v1, v[4:5], off
	s_waitcnt vmcnt(1)
	v_mov_b32_e32 v2, 0
	s_mov_b64 s[18:19], 0
	s_branch .LBB63_1268
.LBB63_1266:
	s_mov_b64 s[18:19], -1
                                        ; implicit-def: $vgpr1_vgpr2
	s_branch .LBB63_1271
.LBB63_1267:
	s_mov_b64 s[18:19], -1
                                        ; implicit-def: $vgpr1_vgpr2
.LBB63_1268:
	s_andn2_b64 vcc, exec, s[18:19]
	s_cbranch_vccnz .LBB63_1270
; %bb.1269:
	global_load_ushort v1, v[4:5], off
	s_mov_b32 s18, 0
	s_waitcnt vmcnt(1)
	v_mov_b32_e32 v2, s18
	s_waitcnt vmcnt(0)
	v_and_b32_e32 v1, 0xffff, v1
.LBB63_1270:
	s_mov_b64 s[18:19], 0
.LBB63_1271:
	s_andn2_b64 vcc, exec, s[18:19]
	s_cbranch_vccnz .LBB63_1279
; %bb.1272:
	global_load_ubyte v6, v[4:5], off
	s_movk_i32 s18, 0x7f
	s_mov_b64 s[20:21], 0
	s_waitcnt vmcnt(0)
	v_cmp_lt_i16_e32 vcc, s18, v6
	s_and_saveexec_b64 s[18:19], vcc
	s_xor_b64 s[18:19], exec, s[18:19]
; %bb.1273:
	s_movk_i32 s20, 0x80
	v_cmp_ne_u16_e32 vcc, s20, v6
	s_and_b64 s[20:21], vcc, exec
; %bb.1274:
	s_andn2_saveexec_b64 s[18:19], s[18:19]
; %bb.1275:
	v_cmp_ne_u16_e32 vcc, 0, v6
	s_andn2_b64 s[20:21], s[20:21], exec
	s_and_b64 s[28:29], vcc, exec
	s_or_b64 s[20:21], s[20:21], s[28:29]
; %bb.1276:
	s_or_b64 exec, exec, s[18:19]
	v_mov_b32_e32 v1, 0
	v_mov_b32_e32 v2, 0
	s_and_saveexec_b64 s[18:19], s[20:21]
	s_cbranch_execz .LBB63_1278
; %bb.1277:
	v_and_b32_e32 v2, 0xffff, v6
	v_lshlrev_b32_e32 v1, 24, v6
	v_and_b32_e32 v6, 7, v2
	v_ffbh_u32_e32 v8, v6
	v_min_u32_e32 v8, 32, v8
	v_subrev_u32_e32 v9, 28, v8
	v_bfe_u32 v7, v2, 3, 4
	v_lshlrev_b32_e32 v2, v9, v2
	v_sub_u32_e32 v8, 29, v8
	v_and_b32_e32 v2, 7, v2
	v_cmp_eq_u32_e32 vcc, 0, v7
	v_cndmask_b32_e32 v7, v7, v8, vcc
	v_cndmask_b32_e32 v2, v6, v2, vcc
	v_mov_b32_e32 v6, 0x3b800000
	v_lshlrev_b32_e32 v2, 20, v2
	v_and_b32_e32 v1, 0x80000000, v1
	v_lshl_add_u32 v6, v7, 23, v6
	v_or3_b32 v1, v1, v6, v2
	v_trunc_f32_e32 v1, v1
	s_mov_b32 s20, 0x2f800000
	v_mul_f32_e64 v2, |v1|, s20
	v_floor_f32_e32 v2, v2
	s_mov_b32 s20, 0xcf800000
	v_fma_f32 v6, v2, s20, |v1|
	v_cvt_u32_f32_e32 v6, v6
	v_cvt_u32_f32_e32 v2, v2
	v_ashrrev_i32_e32 v7, 31, v1
	v_xor_b32_e32 v1, v6, v7
	v_xor_b32_e32 v2, v2, v7
	v_sub_co_u32_e32 v1, vcc, v1, v7
	v_subb_co_u32_e32 v2, vcc, v2, v7, vcc
.LBB63_1278:
	s_or_b64 exec, exec, s[18:19]
.LBB63_1279:
	s_mov_b64 s[18:19], -1
.LBB63_1280:
	s_mov_b64 s[20:21], 0
.LBB63_1281:
	s_and_b64 vcc, exec, s[20:21]
	s_cbranch_vccz .LBB63_1310
; %bb.1282:
	s_cmp_gt_i32 s22, 22
	s_cbranch_scc0 .LBB63_1292
; %bb.1283:
	s_cmp_lt_i32 s22, 24
	s_cbranch_scc1 .LBB63_1293
; %bb.1284:
	s_cmp_gt_i32 s22, 24
	s_cbranch_scc0 .LBB63_1294
; %bb.1285:
	global_load_ubyte v6, v[4:5], off
	s_movk_i32 s16, 0x7f
	s_mov_b64 s[18:19], 0
	s_waitcnt vmcnt(0)
	v_cmp_lt_i16_e32 vcc, s16, v6
	s_and_saveexec_b64 s[16:17], vcc
	s_xor_b64 s[16:17], exec, s[16:17]
; %bb.1286:
	s_movk_i32 s18, 0x80
	v_cmp_ne_u16_e32 vcc, s18, v6
	s_and_b64 s[18:19], vcc, exec
; %bb.1287:
	s_andn2_saveexec_b64 s[16:17], s[16:17]
; %bb.1288:
	v_cmp_ne_u16_e32 vcc, 0, v6
	s_andn2_b64 s[18:19], s[18:19], exec
	s_and_b64 s[20:21], vcc, exec
	s_or_b64 s[18:19], s[18:19], s[20:21]
; %bb.1289:
	s_or_b64 exec, exec, s[16:17]
	v_mov_b32_e32 v1, 0
	v_mov_b32_e32 v2, 0
	s_and_saveexec_b64 s[16:17], s[18:19]
	s_cbranch_execz .LBB63_1291
; %bb.1290:
	v_and_b32_e32 v2, 0xffff, v6
	v_lshlrev_b32_e32 v1, 24, v6
	v_and_b32_e32 v6, 3, v2
	v_ffbh_u32_e32 v8, v6
	v_min_u32_e32 v8, 32, v8
	v_subrev_u32_e32 v9, 29, v8
	v_bfe_u32 v7, v2, 2, 5
	v_lshlrev_b32_e32 v2, v9, v2
	v_sub_u32_e32 v8, 30, v8
	v_and_b32_e32 v2, 3, v2
	v_cmp_eq_u32_e32 vcc, 0, v7
	v_cndmask_b32_e32 v7, v7, v8, vcc
	v_cndmask_b32_e32 v2, v6, v2, vcc
	v_mov_b32_e32 v6, 0x37800000
	v_lshlrev_b32_e32 v2, 21, v2
	v_and_b32_e32 v1, 0x80000000, v1
	v_lshl_add_u32 v6, v7, 23, v6
	v_or3_b32 v1, v1, v6, v2
	v_trunc_f32_e32 v1, v1
	s_mov_b32 s18, 0x2f800000
	v_mul_f32_e64 v2, |v1|, s18
	v_floor_f32_e32 v2, v2
	s_mov_b32 s18, 0xcf800000
	v_fma_f32 v6, v2, s18, |v1|
	v_cvt_u32_f32_e32 v6, v6
	v_cvt_u32_f32_e32 v2, v2
	v_ashrrev_i32_e32 v7, 31, v1
	v_xor_b32_e32 v1, v6, v7
	v_xor_b32_e32 v2, v2, v7
	v_sub_co_u32_e32 v1, vcc, v1, v7
	v_subb_co_u32_e32 v2, vcc, v2, v7, vcc
.LBB63_1291:
	s_or_b64 exec, exec, s[16:17]
	s_mov_b64 s[16:17], 0
	s_branch .LBB63_1295
.LBB63_1292:
	s_mov_b64 s[16:17], -1
                                        ; implicit-def: $vgpr1_vgpr2
	s_branch .LBB63_1301
.LBB63_1293:
	s_mov_b64 s[16:17], -1
                                        ; implicit-def: $vgpr1_vgpr2
	s_branch .LBB63_1298
.LBB63_1294:
	s_mov_b64 s[16:17], -1
                                        ; implicit-def: $vgpr1_vgpr2
.LBB63_1295:
	s_and_b64 vcc, exec, s[16:17]
	s_cbranch_vccz .LBB63_1297
; %bb.1296:
	global_load_ubyte v1, v[4:5], off
	s_mov_b32 s16, 0x7f800000
	s_brev_b32 s17, 1
	s_mov_b32 s18, 0x2f800000
	s_mov_b32 s19, 0xcf800000
	s_waitcnt vmcnt(0)
	v_lshlrev_b32_e32 v1, 24, v1
	v_and_b32_e32 v2, 0x7f000000, v1
	v_ffbh_u32_e32 v6, v2
	v_min_u32_e32 v6, 32, v6
	v_sub_u32_e64 v6, v6, 4 clamp
	v_lshlrev_b32_e32 v8, v6, v2
	v_lshlrev_b32_e32 v6, 23, v6
	v_lshrrev_b32_e32 v8, 4, v8
	v_add_u32_e32 v7, 0x1000000, v2
	v_sub_u32_e32 v6, v8, v6
	v_ashrrev_i32_e32 v7, 8, v7
	v_add_u32_e32 v6, 0x3c000000, v6
	v_and_or_b32 v6, v7, s16, v6
	v_cmp_ne_u32_e32 vcc, 0, v2
	v_cndmask_b32_e32 v2, 0, v6, vcc
	v_and_or_b32 v1, v1, s17, v2
	v_trunc_f32_e32 v1, v1
	v_mul_f32_e64 v2, |v1|, s18
	v_floor_f32_e32 v2, v2
	v_fma_f32 v6, v2, s19, |v1|
	v_cvt_u32_f32_e32 v6, v6
	v_cvt_u32_f32_e32 v2, v2
	v_ashrrev_i32_e32 v7, 31, v1
	v_xor_b32_e32 v1, v6, v7
	v_xor_b32_e32 v2, v2, v7
	v_sub_co_u32_e32 v1, vcc, v1, v7
	v_subb_co_u32_e32 v2, vcc, v2, v7, vcc
.LBB63_1297:
	s_mov_b64 s[16:17], 0
.LBB63_1298:
	s_andn2_b64 vcc, exec, s[16:17]
	s_cbranch_vccnz .LBB63_1300
; %bb.1299:
	global_load_ubyte v1, v[4:5], off
	s_movk_i32 s16, 0x7f00
	s_brev_b32 s17, 16
	s_brev_b32 s18, 1
	s_mov_b32 s19, 0x2f800000
	s_mov_b32 s20, 0xcf800000
	s_waitcnt vmcnt(0)
	v_lshlrev_b16_e32 v2, 8, v1
	v_lshlrev_b32_e32 v1, 25, v1
	v_lshrrev_b32_e32 v6, 4, v1
	v_and_or_b32 v7, v2, s16, 0.5
	v_or_b32_e32 v6, 0x70000000, v6
	v_add_f32_e32 v7, -0.5, v7
	v_mul_f32_e32 v6, 0x7800000, v6
	v_cmp_gt_u32_e32 vcc, s17, v1
	v_bfe_i32 v2, v2, 0, 16
	v_cndmask_b32_e32 v1, v6, v7, vcc
	v_and_or_b32 v1, v2, s18, v1
	v_trunc_f32_e32 v1, v1
	v_mul_f32_e64 v2, |v1|, s19
	v_floor_f32_e32 v2, v2
	v_fma_f32 v6, v2, s20, |v1|
	v_cvt_u32_f32_e32 v6, v6
	v_cvt_u32_f32_e32 v2, v2
	v_ashrrev_i32_e32 v7, 31, v1
	v_xor_b32_e32 v1, v6, v7
	v_xor_b32_e32 v2, v2, v7
	v_sub_co_u32_e32 v1, vcc, v1, v7
	v_subb_co_u32_e32 v2, vcc, v2, v7, vcc
.LBB63_1300:
	s_mov_b64 s[16:17], 0
	s_mov_b64 s[18:19], -1
.LBB63_1301:
	s_andn2_b64 vcc, exec, s[16:17]
	s_mov_b64 s[16:17], 0
	s_cbranch_vccnz .LBB63_1310
; %bb.1302:
	s_cmp_gt_i32 s22, 14
	s_cbranch_scc0 .LBB63_1305
; %bb.1303:
	s_cmp_eq_u32 s22, 15
	s_cbranch_scc0 .LBB63_1306
; %bb.1304:
	global_load_ushort v1, v[4:5], off
	s_mov_b32 s10, 0x2f800000
	s_mov_b32 s11, 0xcf800000
	s_mov_b64 s[18:19], -1
	s_waitcnt vmcnt(0)
	v_lshlrev_b32_e32 v1, 16, v1
	v_trunc_f32_e32 v1, v1
	v_mul_f32_e64 v2, |v1|, s10
	v_floor_f32_e32 v2, v2
	v_fma_f32 v6, v2, s11, |v1|
	v_cvt_u32_f32_e32 v6, v6
	v_cvt_u32_f32_e32 v2, v2
	v_ashrrev_i32_e32 v7, 31, v1
	s_mov_b64 s[10:11], 0
	v_xor_b32_e32 v1, v6, v7
	v_xor_b32_e32 v2, v2, v7
	v_sub_co_u32_e32 v1, vcc, v1, v7
	v_subb_co_u32_e32 v2, vcc, v2, v7, vcc
	s_branch .LBB63_1307
.LBB63_1305:
	s_mov_b64 s[20:21], -1
                                        ; implicit-def: $vgpr1_vgpr2
	s_branch .LBB63_1308
.LBB63_1306:
	s_mov_b64 s[10:11], -1
                                        ; implicit-def: $vgpr1_vgpr2
.LBB63_1307:
	s_mov_b64 s[20:21], 0
.LBB63_1308:
	s_and_b64 vcc, exec, s[20:21]
	s_cbranch_vccz .LBB63_1310
; %bb.1309:
	s_cmp_lg_u32 s22, 11
	s_cselect_b64 s[20:21], -1, 0
	s_andn2_b64 s[10:11], s[10:11], exec
	s_and_b64 s[20:21], s[20:21], exec
	s_mov_b64 s[16:17], -1
	s_or_b64 s[10:11], s[10:11], s[20:21]
.LBB63_1310:
	s_mov_b64 s[20:21], 0
.LBB63_1311:
	s_and_b64 s[62:63], s[16:17], exec
	s_andn2_b64 s[16:17], s[0:1], exec
	s_and_b64 s[10:11], s[10:11], exec
	s_and_b64 s[64:65], s[18:19], exec
	;; [unrolled: 1-line block ×3, first 2 shown]
	s_or_b64 s[66:67], s[16:17], s[10:11]
.LBB63_1312:
	s_or_b64 exec, exec, s[56:57]
	s_andn2_b64 s[0:1], s[0:1], exec
	s_and_b64 s[10:11], s[66:67], exec
	s_and_b64 s[64:65], s[64:65], exec
	;; [unrolled: 1-line block ×4, first 2 shown]
	s_or_b64 s[0:1], s[0:1], s[10:11]
.LBB63_1313:
	s_or_b64 exec, exec, s[54:55]
	s_andn2_b64 s[10:11], s[50:51], exec
	s_and_b64 s[16:17], s[60:61], exec
	s_or_b64 s[50:51], s[10:11], s[16:17]
	s_andn2_b64 s[10:11], s[48:49], exec
	s_and_b64 s[16:17], s[58:59], exec
	s_or_b64 s[48:49], s[10:11], s[16:17]
	s_andn2_b64 s[10:11], s[46:47], exec
	s_and_b64 s[0:1], s[0:1], exec
	s_and_b64 s[58:59], s[64:65], exec
	;; [unrolled: 1-line block ×4, first 2 shown]
	s_or_b64 s[46:47], s[10:11], s[0:1]
.LBB63_1314:
	s_or_b64 exec, exec, s[52:53]
	s_andn2_b64 s[0:1], s[38:39], exec
	s_and_b64 s[10:11], s[50:51], exec
	s_or_b64 s[38:39], s[0:1], s[10:11]
	s_andn2_b64 s[0:1], s[40:41], exec
	s_and_b64 s[10:11], s[48:49], exec
	s_or_b64 s[40:41], s[0:1], s[10:11]
	s_andn2_b64 s[0:1], s[42:43], exec
	s_and_b64 s[10:11], s[46:47], exec
	s_and_b64 s[50:51], s[58:59], exec
	s_and_b64 s[52:53], s[56:57], exec
	s_and_b64 s[48:49], s[54:55], exec
	s_or_b64 s[42:43], s[0:1], s[10:11]
	s_or_b64 exec, exec, s[44:45]
	s_mov_b64 s[10:11], 0
	s_and_saveexec_b64 s[0:1], s[42:43]
	s_cbranch_execz .LBB63_411
.LBB63_1315:
	s_mov_b64 s[10:11], exec
	s_andn2_b64 s[48:49], s[48:49], exec
	s_trap 2
	s_or_b64 exec, exec, s[0:1]
	s_and_saveexec_b64 s[0:1], s[48:49]
	s_xor_b64 s[0:1], exec, s[0:1]
	s_cbranch_execnz .LBB63_412
.LBB63_1316:
	s_or_b64 exec, exec, s[0:1]
	s_and_saveexec_b64 s[0:1], s[52:53]
	s_cbranch_execz .LBB63_1362
.LBB63_1317:
	s_sext_i32_i16 s16, s74
	s_cmp_lt_i32 s16, 5
	s_cbranch_scc1 .LBB63_1322
; %bb.1318:
	s_cmp_lt_i32 s16, 8
	s_cbranch_scc1 .LBB63_1323
; %bb.1319:
	;; [unrolled: 3-line block ×3, first 2 shown]
	s_cmp_gt_i32 s16, 9
	s_cbranch_scc0 .LBB63_1325
; %bb.1321:
	s_waitcnt vmcnt(0)
	global_load_dwordx2 v[1:2], v[4:5], off
	s_movk_i32 s16, 0xffe0
	s_waitcnt vmcnt(0)
	v_trunc_f64_e32 v[1:2], v[1:2]
	v_ldexp_f64 v[6:7], v[1:2], s16
	s_mov_b32 s16, 0
	s_mov_b32 s17, 0xc1f00000
	v_floor_f64_e32 v[6:7], v[6:7]
	v_fma_f64 v[8:9], v[6:7], s[16:17], v[1:2]
	v_cvt_i32_f64_e32 v2, v[6:7]
	s_mov_b64 s[16:17], 0
	v_cvt_u32_f64_e32 v1, v[8:9]
	s_branch .LBB63_1326
.LBB63_1322:
                                        ; implicit-def: $vgpr1_vgpr2
	s_branch .LBB63_1343
.LBB63_1323:
                                        ; implicit-def: $vgpr1_vgpr2
	s_branch .LBB63_1332
.LBB63_1324:
	s_mov_b64 s[16:17], -1
                                        ; implicit-def: $vgpr1_vgpr2
	s_branch .LBB63_1329
.LBB63_1325:
	s_mov_b64 s[16:17], -1
                                        ; implicit-def: $vgpr1_vgpr2
.LBB63_1326:
	s_andn2_b64 vcc, exec, s[16:17]
	s_cbranch_vccnz .LBB63_1328
; %bb.1327:
	s_waitcnt vmcnt(0)
	global_load_dword v1, v[4:5], off
	s_mov_b32 s16, 0x2f800000
	s_mov_b32 s17, 0xcf800000
	s_waitcnt vmcnt(0)
	v_trunc_f32_e32 v1, v1
	v_mul_f32_e64 v2, |v1|, s16
	v_floor_f32_e32 v2, v2
	v_cvt_u32_f32_e32 v6, v2
	v_fma_f32 v2, v2, s17, |v1|
	v_cvt_u32_f32_e32 v2, v2
	v_ashrrev_i32_e32 v7, 31, v1
	v_xor_b32_e32 v6, v6, v7
	v_xor_b32_e32 v1, v2, v7
	v_sub_co_u32_e32 v1, vcc, v1, v7
	v_subb_co_u32_e32 v2, vcc, v6, v7, vcc
.LBB63_1328:
	s_mov_b64 s[16:17], 0
.LBB63_1329:
	s_andn2_b64 vcc, exec, s[16:17]
	s_cbranch_vccnz .LBB63_1331
; %bb.1330:
	s_waitcnt vmcnt(0)
	global_load_dword v1, v[4:5], off
	s_waitcnt vmcnt(0)
	v_cvt_f32_f16_e32 v1, v1
	v_cvt_i32_f32_e32 v1, v1
	v_ashrrev_i32_e32 v2, 31, v1
.LBB63_1331:
	s_cbranch_execnz .LBB63_1342
.LBB63_1332:
	s_sext_i32_i16 s16, s74
	s_cmp_lt_i32 s16, 6
	s_cbranch_scc1 .LBB63_1335
; %bb.1333:
	s_cmp_gt_i32 s16, 6
	s_cbranch_scc0 .LBB63_1336
; %bb.1334:
	s_waitcnt vmcnt(0)
	global_load_dwordx2 v[1:2], v[4:5], off
	s_movk_i32 s16, 0xffe0
	s_waitcnt vmcnt(0)
	v_trunc_f64_e32 v[1:2], v[1:2]
	v_ldexp_f64 v[6:7], v[1:2], s16
	s_mov_b32 s16, 0
	s_mov_b32 s17, 0xc1f00000
	v_floor_f64_e32 v[6:7], v[6:7]
	v_fma_f64 v[8:9], v[6:7], s[16:17], v[1:2]
	v_cvt_i32_f64_e32 v2, v[6:7]
	s_mov_b64 s[16:17], 0
	v_cvt_u32_f64_e32 v1, v[8:9]
	s_branch .LBB63_1337
.LBB63_1335:
	s_mov_b64 s[16:17], -1
                                        ; implicit-def: $vgpr1_vgpr2
	s_branch .LBB63_1340
.LBB63_1336:
	s_mov_b64 s[16:17], -1
                                        ; implicit-def: $vgpr1_vgpr2
.LBB63_1337:
	s_andn2_b64 vcc, exec, s[16:17]
	s_cbranch_vccnz .LBB63_1339
; %bb.1338:
	s_waitcnt vmcnt(0)
	global_load_dword v1, v[4:5], off
	s_mov_b32 s16, 0x2f800000
	s_mov_b32 s17, 0xcf800000
	s_waitcnt vmcnt(0)
	v_trunc_f32_e32 v1, v1
	v_mul_f32_e64 v2, |v1|, s16
	v_floor_f32_e32 v2, v2
	v_cvt_u32_f32_e32 v6, v2
	v_fma_f32 v2, v2, s17, |v1|
	v_cvt_u32_f32_e32 v2, v2
	v_ashrrev_i32_e32 v7, 31, v1
	v_xor_b32_e32 v6, v6, v7
	v_xor_b32_e32 v1, v2, v7
	v_sub_co_u32_e32 v1, vcc, v1, v7
	v_subb_co_u32_e32 v2, vcc, v6, v7, vcc
.LBB63_1339:
	s_mov_b64 s[16:17], 0
.LBB63_1340:
	s_andn2_b64 vcc, exec, s[16:17]
	s_cbranch_vccnz .LBB63_1342
; %bb.1341:
	s_waitcnt vmcnt(0)
	global_load_ushort v1, v[4:5], off
	s_waitcnt vmcnt(0)
	v_cvt_f32_f16_e32 v1, v1
	v_cvt_i32_f32_e32 v1, v1
	v_ashrrev_i32_e32 v2, 31, v1
.LBB63_1342:
	s_cbranch_execnz .LBB63_1361
.LBB63_1343:
	s_sext_i32_i16 s16, s74
	s_cmp_lt_i32 s16, 2
	s_cbranch_scc1 .LBB63_1347
; %bb.1344:
	s_cmp_lt_i32 s16, 3
	s_cbranch_scc1 .LBB63_1348
; %bb.1345:
	s_cmp_gt_i32 s16, 3
	s_cbranch_scc0 .LBB63_1349
; %bb.1346:
	s_waitcnt vmcnt(0)
	global_load_dwordx2 v[1:2], v[4:5], off
	s_mov_b64 s[16:17], 0
	s_branch .LBB63_1350
.LBB63_1347:
                                        ; implicit-def: $vgpr1_vgpr2
	s_branch .LBB63_1356
.LBB63_1348:
	s_mov_b64 s[16:17], -1
                                        ; implicit-def: $vgpr1_vgpr2
	s_branch .LBB63_1353
.LBB63_1349:
	s_mov_b64 s[16:17], -1
                                        ; implicit-def: $vgpr1_vgpr2
.LBB63_1350:
	s_andn2_b64 vcc, exec, s[16:17]
	s_cbranch_vccnz .LBB63_1352
; %bb.1351:
	s_waitcnt vmcnt(0)
	global_load_dword v1, v[4:5], off
	s_waitcnt vmcnt(0)
	v_ashrrev_i32_e32 v2, 31, v1
.LBB63_1352:
	s_mov_b64 s[16:17], 0
.LBB63_1353:
	s_andn2_b64 vcc, exec, s[16:17]
	s_cbranch_vccnz .LBB63_1355
; %bb.1354:
	s_waitcnt vmcnt(0)
	global_load_ushort v1, v[4:5], off
	s_waitcnt vmcnt(0)
	v_bfe_i32 v1, v1, 0, 16
	v_ashrrev_i32_e32 v2, 31, v1
.LBB63_1355:
	s_cbranch_execnz .LBB63_1361
.LBB63_1356:
	s_sext_i32_i16 s16, s74
	s_cmp_gt_i32 s16, 0
	s_cbranch_scc0 .LBB63_1358
; %bb.1357:
	s_waitcnt vmcnt(0)
	global_load_sbyte v1, v[4:5], off
	s_mov_b64 s[16:17], 0
	s_waitcnt vmcnt(0)
	v_bfe_i32 v1, v1, 0, 16
	v_ashrrev_i32_e32 v2, 31, v1
	s_branch .LBB63_1359
.LBB63_1358:
	s_mov_b64 s[16:17], -1
                                        ; implicit-def: $vgpr1_vgpr2
.LBB63_1359:
	s_andn2_b64 vcc, exec, s[16:17]
	s_cbranch_vccnz .LBB63_1361
; %bb.1360:
	s_waitcnt vmcnt(0)
	global_load_ubyte v1, v[4:5], off
	s_mov_b32 s16, 0
	v_mov_b32_e32 v2, s16
	s_waitcnt vmcnt(0)
	v_and_b32_e32 v1, 0xffff, v1
.LBB63_1361:
	s_or_b64 s[50:51], s[50:51], exec
.LBB63_1362:
	s_or_b64 exec, exec, s[0:1]
	s_mov_b64 s[16:17], 0
	s_mov_b64 s[20:21], 0
	s_mov_b64 s[18:19], 0
                                        ; implicit-def: $sgpr22
                                        ; implicit-def: $vgpr4_vgpr5
                                        ; implicit-def: $vgpr6_vgpr7
	s_and_saveexec_b64 s[0:1], s[50:51]
	s_cbranch_execz .LBB63_1370
; %bb.1363:
	s_waitcnt vmcnt(0)
	v_mov_b32_e32 v5, s13
	s_and_b32 s22, s71, 0xff
	v_add_co_u32_e32 v4, vcc, s12, v3
	s_cmp_lt_i32 s22, 11
	v_addc_co_u32_e32 v5, vcc, 0, v5, vcc
	s_cbranch_scc1 .LBB63_1373
; %bb.1364:
	s_and_b32 s23, 0xffff, s22
	s_cmp_gt_i32 s23, 25
	s_cbranch_scc0 .LBB63_1374
; %bb.1365:
	s_cmp_gt_i32 s23, 28
	s_cbranch_scc0 .LBB63_1375
; %bb.1366:
	;; [unrolled: 3-line block ×4, first 2 shown]
	s_cmp_eq_u32 s23, 46
	s_cbranch_scc0 .LBB63_1378
; %bb.1369:
	global_load_dword v3, v[4:5], off
	s_mov_b32 s12, 0x2f800000
	s_mov_b32 s13, 0xcf800000
	s_mov_b64 s[18:19], -1
	s_waitcnt vmcnt(0)
	v_lshlrev_b32_e32 v3, 16, v3
	v_trunc_f32_e32 v3, v3
	v_mul_f32_e64 v6, |v3|, s12
	v_floor_f32_e32 v6, v6
	v_fma_f32 v7, v6, s13, |v3|
	v_cvt_u32_f32_e32 v6, v6
	v_cvt_u32_f32_e32 v7, v7
	v_ashrrev_i32_e32 v3, 31, v3
	s_mov_b64 s[12:13], 0
	v_xor_b32_e32 v8, v6, v3
	v_xor_b32_e32 v6, v7, v3
	v_sub_co_u32_e32 v6, vcc, v6, v3
	v_subb_co_u32_e32 v7, vcc, v8, v3, vcc
	s_branch .LBB63_1380
.LBB63_1370:
	s_or_b64 exec, exec, s[0:1]
	s_and_saveexec_b64 s[0:1], s[40:41]
	s_cbranch_execnz .LBB63_1439
.LBB63_1371:
	s_or_b64 exec, exec, s[0:1]
	s_and_saveexec_b64 s[0:1], s[16:17]
	s_xor_b64 s[0:1], exec, s[0:1]
	s_cbranch_execz .LBB63_1440
.LBB63_1372:
	s_waitcnt vmcnt(0)
	global_load_ubyte v3, v[4:5], off
	s_mov_b32 s12, 0
	v_mov_b32_e32 v7, s12
	s_or_b64 s[18:19], s[18:19], exec
	s_waitcnt vmcnt(0)
	v_cmp_ne_u16_e32 vcc, 0, v3
	v_cndmask_b32_e64 v6, 0, 1, vcc
	s_or_b64 exec, exec, s[0:1]
	s_and_saveexec_b64 s[0:1], s[20:21]
	s_cbranch_execz .LBB63_1486
	s_branch .LBB63_1441
.LBB63_1373:
	s_mov_b64 s[20:21], -1
                                        ; implicit-def: $vgpr6_vgpr7
	s_mov_b64 s[12:13], s[40:41]
	s_branch .LBB63_1438
.LBB63_1374:
	s_mov_b64 s[12:13], s[40:41]
                                        ; implicit-def: $vgpr6_vgpr7
	s_cbranch_execnz .LBB63_1409
	s_branch .LBB63_1437
.LBB63_1375:
	s_mov_b64 s[20:21], -1
	s_mov_b64 s[12:13], s[40:41]
                                        ; implicit-def: $vgpr6_vgpr7
	s_branch .LBB63_1390
.LBB63_1376:
	s_mov_b64 s[20:21], -1
	s_mov_b64 s[12:13], s[40:41]
                                        ; implicit-def: $vgpr6_vgpr7
	s_branch .LBB63_1385
.LBB63_1377:
	s_mov_b64 s[20:21], -1
	s_mov_b64 s[12:13], s[40:41]
	s_branch .LBB63_1379
.LBB63_1378:
	s_mov_b64 s[12:13], -1
.LBB63_1379:
                                        ; implicit-def: $vgpr6_vgpr7
.LBB63_1380:
	s_and_b64 vcc, exec, s[20:21]
	s_cbranch_vccz .LBB63_1384
; %bb.1381:
	s_cmp_eq_u32 s23, 44
	s_cbranch_scc0 .LBB63_1383
; %bb.1382:
	global_load_ubyte v3, v[4:5], off
	s_mov_b32 s12, 0x2f800000
	s_mov_b32 s13, 0xcf800000
	s_mov_b64 s[18:19], -1
	s_waitcnt vmcnt(0)
	v_lshlrev_b32_e32 v6, 23, v3
	v_trunc_f32_e32 v6, v6
	v_mul_f32_e64 v7, |v6|, s12
	v_floor_f32_e32 v7, v7
	v_fma_f32 v8, v7, s13, |v6|
	v_cvt_u32_f32_e32 v8, v8
	v_cvt_u32_f32_e32 v7, v7
	v_ashrrev_i32_e32 v6, 31, v6
	s_mov_b64 s[12:13], 0
	v_xor_b32_e32 v8, v8, v6
	v_xor_b32_e32 v7, v7, v6
	v_sub_co_u32_e32 v8, vcc, v8, v6
	v_subb_co_u32_e32 v6, vcc, v7, v6, vcc
	v_cmp_ne_u32_e32 vcc, 0, v3
	v_cndmask_b32_e32 v7, 0, v6, vcc
	v_cndmask_b32_e32 v6, 0, v8, vcc
	s_branch .LBB63_1384
.LBB63_1383:
	s_mov_b64 s[12:13], -1
                                        ; implicit-def: $vgpr6_vgpr7
.LBB63_1384:
	s_mov_b64 s[20:21], 0
.LBB63_1385:
	s_and_b64 vcc, exec, s[20:21]
	s_cbranch_vccz .LBB63_1389
; %bb.1386:
	s_cmp_eq_u32 s23, 29
	s_cbranch_scc0 .LBB63_1388
; %bb.1387:
	global_load_dwordx2 v[6:7], v[4:5], off
	s_mov_b64 s[12:13], 0
	s_mov_b64 s[18:19], -1
	s_branch .LBB63_1389
.LBB63_1388:
	s_mov_b64 s[12:13], -1
                                        ; implicit-def: $vgpr6_vgpr7
.LBB63_1389:
	s_mov_b64 s[20:21], 0
.LBB63_1390:
	s_and_b64 vcc, exec, s[20:21]
	s_cbranch_vccz .LBB63_1408
; %bb.1391:
	s_cmp_lt_i32 s23, 27
	s_cbranch_scc1 .LBB63_1394
; %bb.1392:
	s_cmp_gt_i32 s23, 27
	s_cbranch_scc0 .LBB63_1395
; %bb.1393:
	global_load_dword v6, v[4:5], off
	s_waitcnt vmcnt(1)
	v_mov_b32_e32 v7, 0
	s_mov_b64 s[18:19], 0
	s_branch .LBB63_1396
.LBB63_1394:
	s_mov_b64 s[18:19], -1
                                        ; implicit-def: $vgpr6_vgpr7
	s_branch .LBB63_1399
.LBB63_1395:
	s_mov_b64 s[18:19], -1
                                        ; implicit-def: $vgpr6_vgpr7
.LBB63_1396:
	s_andn2_b64 vcc, exec, s[18:19]
	s_cbranch_vccnz .LBB63_1398
; %bb.1397:
	global_load_ushort v3, v[4:5], off
	s_mov_b32 s18, 0
	s_waitcnt vmcnt(1)
	v_mov_b32_e32 v7, s18
	s_waitcnt vmcnt(0)
	v_and_b32_e32 v6, 0xffff, v3
.LBB63_1398:
	s_mov_b64 s[18:19], 0
.LBB63_1399:
	s_andn2_b64 vcc, exec, s[18:19]
	s_cbranch_vccnz .LBB63_1407
; %bb.1400:
	global_load_ubyte v3, v[4:5], off
	s_movk_i32 s18, 0x7f
	s_mov_b64 s[20:21], 0
	s_waitcnt vmcnt(0)
	v_cmp_lt_i16_e32 vcc, s18, v3
	s_and_saveexec_b64 s[18:19], vcc
	s_xor_b64 s[18:19], exec, s[18:19]
; %bb.1401:
	s_movk_i32 s20, 0x80
	v_cmp_ne_u16_e32 vcc, s20, v3
	s_and_b64 s[20:21], vcc, exec
; %bb.1402:
	s_andn2_saveexec_b64 s[18:19], s[18:19]
; %bb.1403:
	v_cmp_ne_u16_e32 vcc, 0, v3
	s_andn2_b64 s[20:21], s[20:21], exec
	s_and_b64 s[28:29], vcc, exec
	s_or_b64 s[20:21], s[20:21], s[28:29]
; %bb.1404:
	s_or_b64 exec, exec, s[18:19]
	v_mov_b32_e32 v6, 0
	v_mov_b32_e32 v7, 0
	s_and_saveexec_b64 s[18:19], s[20:21]
	s_cbranch_execz .LBB63_1406
; %bb.1405:
	v_lshlrev_b32_e32 v6, 24, v3
	v_and_b32_e32 v3, 0xffff, v3
	v_and_b32_e32 v7, 7, v3
	v_ffbh_u32_e32 v9, v7
	v_min_u32_e32 v9, 32, v9
	v_subrev_u32_e32 v10, 28, v9
	v_bfe_u32 v8, v3, 3, 4
	v_lshlrev_b32_e32 v3, v10, v3
	v_sub_u32_e32 v9, 29, v9
	v_and_b32_e32 v3, 7, v3
	v_cmp_eq_u32_e32 vcc, 0, v8
	v_cndmask_b32_e32 v8, v8, v9, vcc
	v_cndmask_b32_e32 v3, v7, v3, vcc
	v_mov_b32_e32 v7, 0x3b800000
	v_lshlrev_b32_e32 v3, 20, v3
	v_and_b32_e32 v6, 0x80000000, v6
	v_lshl_add_u32 v7, v8, 23, v7
	v_or3_b32 v3, v6, v7, v3
	v_trunc_f32_e32 v3, v3
	s_mov_b32 s20, 0x2f800000
	v_mul_f32_e64 v6, |v3|, s20
	v_floor_f32_e32 v6, v6
	s_mov_b32 s20, 0xcf800000
	v_fma_f32 v7, v6, s20, |v3|
	v_cvt_u32_f32_e32 v6, v6
	v_cvt_u32_f32_e32 v7, v7
	v_ashrrev_i32_e32 v3, 31, v3
	v_xor_b32_e32 v8, v6, v3
	v_xor_b32_e32 v6, v7, v3
	v_sub_co_u32_e32 v6, vcc, v6, v3
	v_subb_co_u32_e32 v7, vcc, v8, v3, vcc
.LBB63_1406:
	s_or_b64 exec, exec, s[18:19]
.LBB63_1407:
	s_mov_b64 s[18:19], -1
.LBB63_1408:
	s_branch .LBB63_1437
.LBB63_1409:
	s_cmp_gt_i32 s23, 22
	s_cbranch_scc0 .LBB63_1419
; %bb.1410:
	s_cmp_lt_i32 s23, 24
	s_cbranch_scc1 .LBB63_1420
; %bb.1411:
	s_cmp_gt_i32 s23, 24
	s_cbranch_scc0 .LBB63_1421
; %bb.1412:
	global_load_ubyte v3, v[4:5], off
	s_movk_i32 s16, 0x7f
	s_mov_b64 s[18:19], 0
	s_waitcnt vmcnt(0)
	v_cmp_lt_i16_e32 vcc, s16, v3
	s_and_saveexec_b64 s[16:17], vcc
	s_xor_b64 s[16:17], exec, s[16:17]
; %bb.1413:
	s_movk_i32 s18, 0x80
	v_cmp_ne_u16_e32 vcc, s18, v3
	s_and_b64 s[18:19], vcc, exec
; %bb.1414:
	s_andn2_saveexec_b64 s[16:17], s[16:17]
; %bb.1415:
	v_cmp_ne_u16_e32 vcc, 0, v3
	s_andn2_b64 s[18:19], s[18:19], exec
	s_and_b64 s[20:21], vcc, exec
	s_or_b64 s[18:19], s[18:19], s[20:21]
; %bb.1416:
	s_or_b64 exec, exec, s[16:17]
	v_mov_b32_e32 v6, 0
	v_mov_b32_e32 v7, 0
	s_and_saveexec_b64 s[16:17], s[18:19]
	s_cbranch_execz .LBB63_1418
; %bb.1417:
	v_lshlrev_b32_e32 v6, 24, v3
	v_and_b32_e32 v3, 0xffff, v3
	v_and_b32_e32 v7, 3, v3
	v_ffbh_u32_e32 v9, v7
	v_min_u32_e32 v9, 32, v9
	v_subrev_u32_e32 v10, 29, v9
	v_bfe_u32 v8, v3, 2, 5
	v_lshlrev_b32_e32 v3, v10, v3
	v_sub_u32_e32 v9, 30, v9
	v_and_b32_e32 v3, 3, v3
	v_cmp_eq_u32_e32 vcc, 0, v8
	v_cndmask_b32_e32 v8, v8, v9, vcc
	v_cndmask_b32_e32 v3, v7, v3, vcc
	v_mov_b32_e32 v7, 0x37800000
	v_lshlrev_b32_e32 v3, 21, v3
	v_and_b32_e32 v6, 0x80000000, v6
	v_lshl_add_u32 v7, v8, 23, v7
	v_or3_b32 v3, v6, v7, v3
	v_trunc_f32_e32 v3, v3
	s_mov_b32 s18, 0x2f800000
	v_mul_f32_e64 v6, |v3|, s18
	v_floor_f32_e32 v6, v6
	s_mov_b32 s18, 0xcf800000
	v_fma_f32 v7, v6, s18, |v3|
	v_cvt_u32_f32_e32 v6, v6
	v_cvt_u32_f32_e32 v7, v7
	v_ashrrev_i32_e32 v3, 31, v3
	v_xor_b32_e32 v8, v6, v3
	v_xor_b32_e32 v6, v7, v3
	v_sub_co_u32_e32 v6, vcc, v6, v3
	v_subb_co_u32_e32 v7, vcc, v8, v3, vcc
.LBB63_1418:
	s_or_b64 exec, exec, s[16:17]
	s_mov_b64 s[16:17], 0
	s_branch .LBB63_1422
.LBB63_1419:
	s_mov_b64 s[16:17], -1
                                        ; implicit-def: $vgpr6_vgpr7
	s_branch .LBB63_1428
.LBB63_1420:
	s_mov_b64 s[16:17], -1
                                        ; implicit-def: $vgpr6_vgpr7
	s_branch .LBB63_1425
.LBB63_1421:
	s_mov_b64 s[16:17], -1
                                        ; implicit-def: $vgpr6_vgpr7
.LBB63_1422:
	s_and_b64 vcc, exec, s[16:17]
	s_cbranch_vccz .LBB63_1424
; %bb.1423:
	global_load_ubyte v3, v[4:5], off
	s_mov_b32 s16, 0x7f800000
	s_brev_b32 s17, 1
	s_mov_b32 s18, 0x2f800000
	s_mov_b32 s19, 0xcf800000
	s_waitcnt vmcnt(0)
	v_lshlrev_b32_e32 v3, 24, v3
	v_and_b32_e32 v6, 0x7f000000, v3
	v_ffbh_u32_e32 v7, v6
	v_min_u32_e32 v7, 32, v7
	v_sub_u32_e64 v7, v7, 4 clamp
	v_lshlrev_b32_e32 v9, v7, v6
	v_lshlrev_b32_e32 v7, 23, v7
	v_lshrrev_b32_e32 v9, 4, v9
	v_add_u32_e32 v8, 0x1000000, v6
	v_sub_u32_e32 v7, v9, v7
	v_ashrrev_i32_e32 v8, 8, v8
	v_add_u32_e32 v7, 0x3c000000, v7
	v_and_or_b32 v7, v8, s16, v7
	v_cmp_ne_u32_e32 vcc, 0, v6
	v_cndmask_b32_e32 v6, 0, v7, vcc
	v_and_or_b32 v3, v3, s17, v6
	v_trunc_f32_e32 v3, v3
	v_mul_f32_e64 v6, |v3|, s18
	v_floor_f32_e32 v6, v6
	v_fma_f32 v7, v6, s19, |v3|
	v_cvt_u32_f32_e32 v6, v6
	v_cvt_u32_f32_e32 v7, v7
	v_ashrrev_i32_e32 v3, 31, v3
	v_xor_b32_e32 v8, v6, v3
	v_xor_b32_e32 v6, v7, v3
	v_sub_co_u32_e32 v6, vcc, v6, v3
	v_subb_co_u32_e32 v7, vcc, v8, v3, vcc
.LBB63_1424:
	s_mov_b64 s[16:17], 0
.LBB63_1425:
	s_andn2_b64 vcc, exec, s[16:17]
	s_cbranch_vccnz .LBB63_1427
; %bb.1426:
	global_load_ubyte v3, v[4:5], off
	s_movk_i32 s16, 0x7f00
	s_brev_b32 s17, 16
	s_brev_b32 s18, 1
	s_mov_b32 s19, 0x2f800000
	s_mov_b32 s20, 0xcf800000
	s_waitcnt vmcnt(0)
	v_lshlrev_b16_e32 v6, 8, v3
	v_lshlrev_b32_e32 v3, 25, v3
	v_lshrrev_b32_e32 v7, 4, v3
	v_and_or_b32 v8, v6, s16, 0.5
	v_or_b32_e32 v7, 0x70000000, v7
	v_add_f32_e32 v8, -0.5, v8
	v_mul_f32_e32 v7, 0x7800000, v7
	v_cmp_gt_u32_e32 vcc, s17, v3
	v_bfe_i32 v6, v6, 0, 16
	v_cndmask_b32_e32 v3, v7, v8, vcc
	v_and_or_b32 v3, v6, s18, v3
	v_trunc_f32_e32 v3, v3
	v_mul_f32_e64 v6, |v3|, s19
	v_floor_f32_e32 v6, v6
	v_fma_f32 v7, v6, s20, |v3|
	v_cvt_u32_f32_e32 v6, v6
	v_cvt_u32_f32_e32 v7, v7
	v_ashrrev_i32_e32 v3, 31, v3
	v_xor_b32_e32 v8, v6, v3
	v_xor_b32_e32 v6, v7, v3
	v_sub_co_u32_e32 v6, vcc, v6, v3
	v_subb_co_u32_e32 v7, vcc, v8, v3, vcc
.LBB63_1427:
	s_mov_b64 s[16:17], 0
	s_mov_b64 s[18:19], -1
.LBB63_1428:
	s_andn2_b64 vcc, exec, s[16:17]
	s_mov_b64 s[16:17], 0
	s_cbranch_vccnz .LBB63_1437
; %bb.1429:
	s_cmp_gt_i32 s23, 14
	s_cbranch_scc0 .LBB63_1432
; %bb.1430:
	s_cmp_eq_u32 s23, 15
	s_cbranch_scc0 .LBB63_1433
; %bb.1431:
	global_load_ushort v3, v[4:5], off
	s_mov_b32 s12, 0x2f800000
	s_mov_b32 s13, 0xcf800000
	s_mov_b64 s[18:19], -1
	s_waitcnt vmcnt(0)
	v_lshlrev_b32_e32 v3, 16, v3
	v_trunc_f32_e32 v3, v3
	v_mul_f32_e64 v6, |v3|, s12
	v_floor_f32_e32 v6, v6
	v_fma_f32 v7, v6, s13, |v3|
	v_cvt_u32_f32_e32 v6, v6
	v_cvt_u32_f32_e32 v7, v7
	v_ashrrev_i32_e32 v3, 31, v3
	s_mov_b64 s[12:13], 0
	v_xor_b32_e32 v8, v6, v3
	v_xor_b32_e32 v6, v7, v3
	v_sub_co_u32_e32 v6, vcc, v6, v3
	v_subb_co_u32_e32 v7, vcc, v8, v3, vcc
	s_branch .LBB63_1434
.LBB63_1432:
	s_mov_b64 s[20:21], -1
                                        ; implicit-def: $vgpr6_vgpr7
	s_branch .LBB63_1435
.LBB63_1433:
	s_mov_b64 s[12:13], -1
                                        ; implicit-def: $vgpr6_vgpr7
.LBB63_1434:
	s_mov_b64 s[20:21], 0
.LBB63_1435:
	s_and_b64 vcc, exec, s[20:21]
	s_cbranch_vccz .LBB63_1437
; %bb.1436:
	s_cmp_lg_u32 s23, 11
	s_cselect_b64 s[20:21], -1, 0
	s_andn2_b64 s[12:13], s[12:13], exec
	s_and_b64 s[20:21], s[20:21], exec
	s_mov_b64 s[16:17], -1
	s_or_b64 s[12:13], s[12:13], s[20:21]
.LBB63_1437:
	s_mov_b64 s[20:21], 0
.LBB63_1438:
	s_andn2_b64 s[28:29], s[40:41], exec
	s_and_b64 s[12:13], s[12:13], exec
	s_and_b64 s[18:19], s[18:19], exec
	;; [unrolled: 1-line block ×4, first 2 shown]
	s_or_b64 s[40:41], s[28:29], s[12:13]
	s_or_b64 exec, exec, s[0:1]
	s_and_saveexec_b64 s[0:1], s[40:41]
	s_cbranch_execz .LBB63_1371
.LBB63_1439:
	s_or_b64 s[10:11], s[10:11], exec
	s_andn2_b64 s[16:17], s[16:17], exec
	s_trap 2
	s_or_b64 exec, exec, s[0:1]
	s_and_saveexec_b64 s[0:1], s[16:17]
	s_xor_b64 s[0:1], exec, s[0:1]
	s_cbranch_execnz .LBB63_1372
.LBB63_1440:
	s_or_b64 exec, exec, s[0:1]
	s_and_saveexec_b64 s[0:1], s[20:21]
	s_cbranch_execz .LBB63_1486
.LBB63_1441:
	s_sext_i32_i16 s12, s22
	s_cmp_lt_i32 s12, 5
	s_cbranch_scc1 .LBB63_1446
; %bb.1442:
	s_cmp_lt_i32 s12, 8
	s_cbranch_scc1 .LBB63_1447
; %bb.1443:
	;; [unrolled: 3-line block ×3, first 2 shown]
	s_cmp_gt_i32 s12, 9
	s_cbranch_scc0 .LBB63_1449
; %bb.1445:
	s_waitcnt vmcnt(0)
	global_load_dwordx2 v[6:7], v[4:5], off
	s_movk_i32 s12, 0xffe0
	s_waitcnt vmcnt(0)
	v_trunc_f64_e32 v[6:7], v[6:7]
	v_ldexp_f64 v[8:9], v[6:7], s12
	s_mov_b32 s12, 0
	s_mov_b32 s13, 0xc1f00000
	v_floor_f64_e32 v[8:9], v[8:9]
	v_fma_f64 v[10:11], v[8:9], s[12:13], v[6:7]
	v_cvt_i32_f64_e32 v7, v[8:9]
	s_mov_b64 s[12:13], 0
	v_cvt_u32_f64_e32 v6, v[10:11]
	s_branch .LBB63_1450
.LBB63_1446:
                                        ; implicit-def: $vgpr6_vgpr7
	s_branch .LBB63_1467
.LBB63_1447:
                                        ; implicit-def: $vgpr6_vgpr7
	s_branch .LBB63_1456
.LBB63_1448:
	s_mov_b64 s[12:13], -1
                                        ; implicit-def: $vgpr6_vgpr7
	s_branch .LBB63_1453
.LBB63_1449:
	s_mov_b64 s[12:13], -1
                                        ; implicit-def: $vgpr6_vgpr7
.LBB63_1450:
	s_andn2_b64 vcc, exec, s[12:13]
	s_cbranch_vccnz .LBB63_1452
; %bb.1451:
	s_waitcnt vmcnt(0)
	global_load_dword v3, v[4:5], off
	s_mov_b32 s12, 0x2f800000
	s_mov_b32 s13, 0xcf800000
	s_waitcnt vmcnt(0)
	v_trunc_f32_e32 v3, v3
	v_mul_f32_e64 v6, |v3|, s12
	v_floor_f32_e32 v6, v6
	v_cvt_u32_f32_e32 v7, v6
	v_fma_f32 v6, v6, s13, |v3|
	v_cvt_u32_f32_e32 v6, v6
	v_ashrrev_i32_e32 v3, 31, v3
	v_xor_b32_e32 v7, v7, v3
	v_xor_b32_e32 v6, v6, v3
	v_sub_co_u32_e32 v6, vcc, v6, v3
	v_subb_co_u32_e32 v7, vcc, v7, v3, vcc
.LBB63_1452:
	s_mov_b64 s[12:13], 0
.LBB63_1453:
	s_andn2_b64 vcc, exec, s[12:13]
	s_cbranch_vccnz .LBB63_1455
; %bb.1454:
	s_waitcnt vmcnt(0)
	global_load_dword v3, v[4:5], off
	s_waitcnt vmcnt(0)
	v_cvt_f32_f16_e32 v3, v3
	v_cvt_i32_f32_e32 v6, v3
	v_ashrrev_i32_e32 v7, 31, v6
.LBB63_1455:
	s_cbranch_execnz .LBB63_1466
.LBB63_1456:
	s_sext_i32_i16 s12, s22
	s_cmp_lt_i32 s12, 6
	s_cbranch_scc1 .LBB63_1459
; %bb.1457:
	s_cmp_gt_i32 s12, 6
	s_cbranch_scc0 .LBB63_1460
; %bb.1458:
	s_waitcnt vmcnt(0)
	global_load_dwordx2 v[6:7], v[4:5], off
	s_movk_i32 s12, 0xffe0
	s_waitcnt vmcnt(0)
	v_trunc_f64_e32 v[6:7], v[6:7]
	v_ldexp_f64 v[8:9], v[6:7], s12
	s_mov_b32 s12, 0
	s_mov_b32 s13, 0xc1f00000
	v_floor_f64_e32 v[8:9], v[8:9]
	v_fma_f64 v[10:11], v[8:9], s[12:13], v[6:7]
	v_cvt_i32_f64_e32 v7, v[8:9]
	s_mov_b64 s[12:13], 0
	v_cvt_u32_f64_e32 v6, v[10:11]
	s_branch .LBB63_1461
.LBB63_1459:
	s_mov_b64 s[12:13], -1
                                        ; implicit-def: $vgpr6_vgpr7
	s_branch .LBB63_1464
.LBB63_1460:
	s_mov_b64 s[12:13], -1
                                        ; implicit-def: $vgpr6_vgpr7
.LBB63_1461:
	s_andn2_b64 vcc, exec, s[12:13]
	s_cbranch_vccnz .LBB63_1463
; %bb.1462:
	s_waitcnt vmcnt(0)
	global_load_dword v3, v[4:5], off
	s_mov_b32 s12, 0x2f800000
	s_mov_b32 s13, 0xcf800000
	s_waitcnt vmcnt(0)
	v_trunc_f32_e32 v3, v3
	v_mul_f32_e64 v6, |v3|, s12
	v_floor_f32_e32 v6, v6
	v_cvt_u32_f32_e32 v7, v6
	v_fma_f32 v6, v6, s13, |v3|
	v_cvt_u32_f32_e32 v6, v6
	v_ashrrev_i32_e32 v3, 31, v3
	v_xor_b32_e32 v7, v7, v3
	v_xor_b32_e32 v6, v6, v3
	v_sub_co_u32_e32 v6, vcc, v6, v3
	v_subb_co_u32_e32 v7, vcc, v7, v3, vcc
.LBB63_1463:
	s_mov_b64 s[12:13], 0
.LBB63_1464:
	s_andn2_b64 vcc, exec, s[12:13]
	s_cbranch_vccnz .LBB63_1466
; %bb.1465:
	s_waitcnt vmcnt(0)
	global_load_ushort v3, v[4:5], off
	s_waitcnt vmcnt(0)
	v_cvt_f32_f16_e32 v3, v3
	v_cvt_i32_f32_e32 v6, v3
	v_ashrrev_i32_e32 v7, 31, v6
.LBB63_1466:
	s_cbranch_execnz .LBB63_1485
.LBB63_1467:
	s_sext_i32_i16 s12, s22
	s_cmp_lt_i32 s12, 2
	s_cbranch_scc1 .LBB63_1471
; %bb.1468:
	s_cmp_lt_i32 s12, 3
	s_cbranch_scc1 .LBB63_1472
; %bb.1469:
	s_cmp_gt_i32 s12, 3
	s_cbranch_scc0 .LBB63_1473
; %bb.1470:
	s_waitcnt vmcnt(0)
	global_load_dwordx2 v[6:7], v[4:5], off
	s_mov_b64 s[12:13], 0
	s_branch .LBB63_1474
.LBB63_1471:
                                        ; implicit-def: $vgpr6_vgpr7
	s_branch .LBB63_1480
.LBB63_1472:
	s_mov_b64 s[12:13], -1
                                        ; implicit-def: $vgpr6_vgpr7
	s_branch .LBB63_1477
.LBB63_1473:
	s_mov_b64 s[12:13], -1
                                        ; implicit-def: $vgpr6_vgpr7
.LBB63_1474:
	s_andn2_b64 vcc, exec, s[12:13]
	s_cbranch_vccnz .LBB63_1476
; %bb.1475:
	s_waitcnt vmcnt(0)
	global_load_dword v6, v[4:5], off
	s_waitcnt vmcnt(0)
	v_ashrrev_i32_e32 v7, 31, v6
.LBB63_1476:
	s_mov_b64 s[12:13], 0
.LBB63_1477:
	s_andn2_b64 vcc, exec, s[12:13]
	s_cbranch_vccnz .LBB63_1479
; %bb.1478:
	s_waitcnt vmcnt(0)
	global_load_ushort v3, v[4:5], off
	s_waitcnt vmcnt(0)
	v_bfe_i32 v6, v3, 0, 16
	v_ashrrev_i32_e32 v7, 31, v6
.LBB63_1479:
	s_cbranch_execnz .LBB63_1485
.LBB63_1480:
	s_sext_i32_i16 s12, s22
	s_cmp_gt_i32 s12, 0
	s_cbranch_scc0 .LBB63_1482
; %bb.1481:
	s_waitcnt vmcnt(0)
	global_load_sbyte v3, v[4:5], off
	s_mov_b64 s[12:13], 0
	s_waitcnt vmcnt(0)
	v_bfe_i32 v6, v3, 0, 16
	v_ashrrev_i32_e32 v7, 31, v6
	s_branch .LBB63_1483
.LBB63_1482:
	s_mov_b64 s[12:13], -1
                                        ; implicit-def: $vgpr6_vgpr7
.LBB63_1483:
	s_andn2_b64 vcc, exec, s[12:13]
	s_cbranch_vccnz .LBB63_1485
; %bb.1484:
	s_waitcnt vmcnt(0)
	global_load_ubyte v3, v[4:5], off
	s_mov_b32 s12, 0
	v_mov_b32_e32 v7, s12
	s_waitcnt vmcnt(0)
	v_and_b32_e32 v6, 0xffff, v3
.LBB63_1485:
	s_or_b64 s[18:19], s[18:19], exec
.LBB63_1486:
	s_or_b64 exec, exec, s[0:1]
	s_mov_b64 s[22:23], 0
	s_mov_b64 s[20:21], 0
                                        ; implicit-def: $sgpr12_sgpr13
                                        ; implicit-def: $sgpr28
                                        ; implicit-def: $vgpr3_vgpr4
	s_and_saveexec_b64 s[16:17], s[18:19]
	s_cbranch_execz .LBB63_1491
; %bb.1487:
	s_cmp_lt_i32 s14, 1
	s_mov_b64 s[0:1], 0
	s_cbranch_scc1 .LBB63_1494
; %bb.1488:
	s_cmp_gt_i32 s14, 1
	s_cbranch_scc0 .LBB63_1495
; %bb.1489:
	s_cmp_eq_u32 s14, 2
	s_cbranch_scc0 .LBB63_1496
; %bb.1490:
	s_waitcnt vmcnt(0)
	v_cmp_le_i64_e64 s[12:13], v[1:2], v[6:7]
	s_mov_b64 s[18:19], 0
	s_branch .LBB63_1498
.LBB63_1491:
	s_or_b64 exec, exec, s[16:17]
	s_and_saveexec_b64 s[0:1], s[38:39]
	s_cbranch_execnz .LBB63_1583
.LBB63_1492:
	s_or_b64 exec, exec, s[0:1]
	s_and_saveexec_b64 s[0:1], s[22:23]
	s_xor_b64 s[0:1], exec, s[0:1]
	s_cbranch_execz .LBB63_1584
.LBB63_1493:
	v_cndmask_b32_e64 v0, 0, 1, s[12:13]
	global_store_byte v[3:4], v0, off
	s_or_b64 exec, exec, s[0:1]
	s_and_saveexec_b64 s[0:1], s[20:21]
	s_xor_b64 s[0:1], exec, s[0:1]
	s_cbranch_execz .LBB63_1622
	s_branch .LBB63_1585
.LBB63_1494:
                                        ; implicit-def: $sgpr12_sgpr13
	s_mov_b64 s[18:19], 0
	s_cbranch_execnz .LBB63_1501
	s_branch .LBB63_1502
.LBB63_1495:
	s_mov_b64 s[20:21], -1
	s_mov_b64 s[18:19], 0
	s_branch .LBB63_1497
.LBB63_1496:
	s_mov_b64 s[18:19], -1
.LBB63_1497:
                                        ; implicit-def: $sgpr12_sgpr13
.LBB63_1498:
	s_and_b64 vcc, exec, s[20:21]
	s_cbranch_vccz .LBB63_1500
; %bb.1499:
	s_waitcnt vmcnt(0)
	v_cmp_gt_i64_e32 vcc, v[1:2], v[6:7]
	s_andn2_b64 s[12:13], s[12:13], exec
	s_and_b64 s[20:21], vcc, exec
	s_or_b64 s[12:13], s[12:13], s[20:21]
.LBB63_1500:
	s_branch .LBB63_1502
.LBB63_1501:
	s_cmp_lg_u32 s14, 0
	s_mov_b64 s[0:1], -1
	s_cselect_b64 s[18:19], -1, 0
.LBB63_1502:
	s_andn2_b64 vcc, exec, s[18:19]
	s_cbranch_vccnz .LBB63_1504
; %bb.1503:
	s_waitcnt vmcnt(0)
	v_cmp_lt_i64_e32 vcc, v[1:2], v[6:7]
	s_andn2_b64 s[12:13], s[12:13], exec
	s_and_b64 s[18:19], vcc, exec
	s_or_b64 s[12:13], s[12:13], s[18:19]
	s_cbranch_execz .LBB63_1505
	s_branch .LBB63_1506
.LBB63_1504:
	s_andn2_b64 vcc, exec, s[0:1]
	s_cbranch_vccnz .LBB63_1506
.LBB63_1505:
	s_waitcnt vmcnt(0)
	v_cmp_ge_i64_e32 vcc, v[1:2], v[6:7]
	s_andn2_b64 s[0:1], s[12:13], exec
	s_and_b64 s[12:13], vcc, exec
	s_or_b64 s[12:13], s[0:1], s[12:13]
.LBB63_1506:
	s_waitcnt vmcnt(0)
	v_mov_b32_e32 v1, s9
	s_and_b32 s28, s15, 0xff
	v_add_co_u32_e32 v3, vcc, s8, v0
	s_cmp_lt_i32 s28, 11
	v_addc_co_u32_e32 v4, vcc, 0, v1, vcc
	s_cbranch_scc1 .LBB63_1580
; %bb.1507:
	s_and_b32 s22, 0xffff, s28
	s_mov_b64 s[14:15], -1
	s_cmp_gt_i32 s22, 25
	s_mov_b64 s[0:1], s[38:39]
	s_cbranch_scc0 .LBB63_1540
; %bb.1508:
	s_mov_b64 s[8:9], -1
	s_cmp_gt_i32 s22, 28
	s_mov_b64 s[0:1], s[38:39]
	s_cbranch_scc0 .LBB63_1524
; %bb.1509:
	s_cmp_gt_i32 s22, 43
	s_mov_b64 s[0:1], s[38:39]
	s_cbranch_scc0 .LBB63_1520
; %bb.1510:
	;; [unrolled: 4-line block ×3, first 2 shown]
	s_cmp_eq_u32 s22, 46
	s_mov_b64 s[0:1], -1
	s_cbranch_scc0 .LBB63_1513
; %bb.1512:
	v_cndmask_b32_e64 v0, 0, 1.0, s[12:13]
	v_bfe_u32 v1, v0, 16, 1
	s_movk_i32 s0, 0x7fff
	v_add3_u32 v0, v0, v1, s0
	v_lshrrev_b32_e32 v0, 16, v0
	global_store_dword v[3:4], v0, off
	s_mov_b64 s[0:1], 0
.LBB63_1513:
	s_mov_b64 s[8:9], 0
.LBB63_1514:
	s_and_b64 vcc, exec, s[8:9]
	s_cbranch_vccz .LBB63_1519
; %bb.1515:
	s_cmp_eq_u32 s22, 44
	s_mov_b64 s[0:1], -1
	s_cbranch_scc0 .LBB63_1519
; %bb.1516:
	v_cndmask_b32_e64 v1, 0, 1.0, s[12:13]
	v_lshrrev_b32_e32 v0, 23, v1
	s_movk_i32 s0, 0xff
	v_cmp_ne_u32_e32 vcc, s0, v0
	v_mov_b32_e32 v2, 0xff
	s_and_saveexec_b64 s[8:9], vcc
; %bb.1517:
	s_mov_b32 s0, 0x3fffff
	v_and_b32_e32 v2, 0x400000, v1
	v_and_or_b32 v1, v1, s0, v0
	v_cmp_ne_u32_e32 vcc, 0, v2
	v_cmp_ne_u32_e64 s[0:1], 0, v1
	s_and_b64 s[0:1], vcc, s[0:1]
	v_cndmask_b32_e64 v1, 0, 1, s[0:1]
	v_add_u32_e32 v2, v0, v1
; %bb.1518:
	s_or_b64 exec, exec, s[8:9]
	s_mov_b64 s[0:1], 0
	global_store_byte v[3:4], v2, off
.LBB63_1519:
	s_mov_b64 s[8:9], 0
.LBB63_1520:
	s_and_b64 vcc, exec, s[8:9]
	s_cbranch_vccz .LBB63_1523
; %bb.1521:
	s_cmp_eq_u32 s22, 29
	s_mov_b64 s[0:1], -1
	s_cbranch_scc0 .LBB63_1523
; %bb.1522:
	s_mov_b32 s0, 0
	v_cndmask_b32_e64 v0, 0, 1, s[12:13]
	v_mov_b32_e32 v1, s0
	global_store_dwordx2 v[3:4], v[0:1], off
	s_mov_b64 s[0:1], 0
.LBB63_1523:
	s_mov_b64 s[8:9], 0
.LBB63_1524:
	s_and_b64 vcc, exec, s[8:9]
	s_cbranch_vccz .LBB63_1539
; %bb.1525:
	s_cmp_lt_i32 s22, 27
	s_mov_b64 s[8:9], -1
	s_cbranch_scc1 .LBB63_1531
; %bb.1526:
	s_cmp_gt_i32 s22, 27
	s_cbranch_scc0 .LBB63_1528
; %bb.1527:
	v_cndmask_b32_e64 v0, 0, 1, s[12:13]
	s_mov_b64 s[8:9], 0
	global_store_dword v[3:4], v0, off
.LBB63_1528:
	s_andn2_b64 vcc, exec, s[8:9]
	s_cbranch_vccnz .LBB63_1530
; %bb.1529:
	v_cndmask_b32_e64 v0, 0, 1, s[12:13]
	global_store_short v[3:4], v0, off
.LBB63_1530:
	s_mov_b64 s[8:9], 0
.LBB63_1531:
	s_andn2_b64 vcc, exec, s[8:9]
	s_cbranch_vccnz .LBB63_1539
; %bb.1532:
	v_cndmask_b32_e64 v1, 0, 1.0, s[12:13]
	s_mov_b32 s8, 0x43800000
	v_cmp_gt_u32_e32 vcc, s8, v1
	v_mov_b32_e32 v2, 0x80
	s_and_saveexec_b64 s[8:9], vcc
	s_cbranch_execz .LBB63_1538
; %bb.1533:
	s_mov_b32 s14, 0x3bffffff
	v_cmp_lt_u32_e32 vcc, s14, v1
	s_mov_b64 s[14:15], 0
                                        ; implicit-def: $vgpr0
	s_and_saveexec_b64 s[18:19], vcc
	s_xor_b64 s[18:19], exec, s[18:19]
	s_cbranch_execz .LBB63_1681
; %bb.1534:
	v_bfe_u32 v0, v1, 20, 1
	s_mov_b32 s20, 0x487ffff
	v_add3_u32 v0, v1, v0, s20
	s_mov_b64 s[14:15], exec
	v_lshrrev_b32_e32 v0, 20, v0
                                        ; implicit-def: $vgpr1
	s_andn2_saveexec_b64 s[18:19], s[18:19]
	s_cbranch_execnz .LBB63_1682
.LBB63_1535:
	s_or_b64 exec, exec, s[18:19]
	v_mov_b32_e32 v2, 0
	s_and_saveexec_b64 s[18:19], s[14:15]
.LBB63_1536:
	v_mov_b32_e32 v2, v0
.LBB63_1537:
	s_or_b64 exec, exec, s[18:19]
.LBB63_1538:
	s_or_b64 exec, exec, s[8:9]
	global_store_byte v[3:4], v2, off
.LBB63_1539:
	s_mov_b64 s[14:15], 0
.LBB63_1540:
	s_mov_b64 s[8:9], 0
	s_and_b64 vcc, exec, s[14:15]
	s_cbranch_vccz .LBB63_1581
; %bb.1541:
	s_cmp_gt_i32 s22, 22
	s_mov_b64 s[14:15], -1
	s_cbranch_scc0 .LBB63_1573
; %bb.1542:
	s_cmp_lt_i32 s22, 24
	s_cbranch_scc1 .LBB63_1562
; %bb.1543:
	s_cmp_gt_i32 s22, 24
	s_cbranch_scc0 .LBB63_1551
; %bb.1544:
	v_cndmask_b32_e64 v1, 0, 1.0, s[12:13]
	s_mov_b32 s14, 0x47800000
	v_cmp_gt_u32_e32 vcc, s14, v1
	v_mov_b32_e32 v2, 0x80
	s_and_saveexec_b64 s[14:15], vcc
	s_cbranch_execz .LBB63_1550
; %bb.1545:
	s_mov_b32 s18, 0x37ffffff
	v_cmp_lt_u32_e32 vcc, s18, v1
	s_mov_b64 s[18:19], 0
                                        ; implicit-def: $vgpr0
	s_and_saveexec_b64 s[20:21], vcc
	s_xor_b64 s[20:21], exec, s[20:21]
	s_cbranch_execz .LBB63_1801
; %bb.1546:
	v_bfe_u32 v0, v1, 21, 1
	s_mov_b32 s23, 0x88fffff
	v_add3_u32 v0, v1, v0, s23
	s_mov_b64 s[18:19], exec
	v_lshrrev_b32_e32 v0, 21, v0
                                        ; implicit-def: $vgpr1
	s_andn2_saveexec_b64 s[20:21], s[20:21]
	s_cbranch_execnz .LBB63_1802
.LBB63_1547:
	s_or_b64 exec, exec, s[20:21]
	v_mov_b32_e32 v2, 0
	s_and_saveexec_b64 s[20:21], s[18:19]
.LBB63_1548:
	v_mov_b32_e32 v2, v0
.LBB63_1549:
	s_or_b64 exec, exec, s[20:21]
.LBB63_1550:
	s_or_b64 exec, exec, s[14:15]
	s_mov_b64 s[14:15], 0
	global_store_byte v[3:4], v2, off
.LBB63_1551:
	s_and_b64 vcc, exec, s[14:15]
	s_cbranch_vccz .LBB63_1561
; %bb.1552:
	v_cndmask_b32_e64 v0, 0, 1.0, s[12:13]
	s_mov_b32 s14, 0x43f00000
	v_cmp_gt_u32_e32 vcc, s14, v0
                                        ; implicit-def: $vgpr1
	s_and_saveexec_b64 s[14:15], vcc
	s_xor_b64 s[14:15], exec, s[14:15]
	s_cbranch_execz .LBB63_1558
; %bb.1553:
	s_mov_b32 s18, 0x3c7fffff
	v_cmp_lt_u32_e32 vcc, s18, v0
                                        ; implicit-def: $vgpr1
	s_and_saveexec_b64 s[18:19], vcc
	s_xor_b64 s[18:19], exec, s[18:19]
; %bb.1554:
	v_bfe_u32 v1, v0, 20, 1
	s_mov_b32 s20, 0x407ffff
	v_add3_u32 v0, v0, v1, s20
	v_lshrrev_b32_e32 v1, 20, v0
	v_and_b32_e32 v0, 0xff00000, v0
	s_mov_b32 s20, 0x7f00000
	v_mov_b32_e32 v2, 0x7e
	v_cmp_ne_u32_e32 vcc, s20, v0
	v_cndmask_b32_e32 v1, v2, v1, vcc
                                        ; implicit-def: $vgpr0
; %bb.1555:
	s_andn2_saveexec_b64 s[18:19], s[18:19]
; %bb.1556:
	v_add_f32_e32 v1, 0x46800000, v0
; %bb.1557:
	s_or_b64 exec, exec, s[18:19]
                                        ; implicit-def: $vgpr0
.LBB63_1558:
	s_andn2_saveexec_b64 s[14:15], s[14:15]
; %bb.1559:
	s_mov_b32 s18, 0x7f800000
	v_mov_b32_e32 v1, 0x7e
	v_mov_b32_e32 v2, 0x7f
	v_cmp_lt_u32_e32 vcc, s18, v0
	v_cndmask_b32_e32 v1, v1, v2, vcc
; %bb.1560:
	s_or_b64 exec, exec, s[14:15]
	global_store_byte v[3:4], v1, off
.LBB63_1561:
	s_mov_b64 s[14:15], 0
.LBB63_1562:
	s_andn2_b64 vcc, exec, s[14:15]
	s_cbranch_vccnz .LBB63_1572
; %bb.1563:
	v_cndmask_b32_e64 v0, 0, 1.0, s[12:13]
	s_mov_b32 s14, 0x47800000
	v_cmp_gt_u32_e32 vcc, s14, v0
                                        ; implicit-def: $vgpr1
	s_and_saveexec_b64 s[14:15], vcc
	s_xor_b64 s[14:15], exec, s[14:15]
	s_cbranch_execz .LBB63_1569
; %bb.1564:
	s_mov_b32 s18, 0x387fffff
	v_cmp_lt_u32_e32 vcc, s18, v0
                                        ; implicit-def: $vgpr1
	s_and_saveexec_b64 s[18:19], vcc
	s_xor_b64 s[18:19], exec, s[18:19]
; %bb.1565:
	v_bfe_u32 v1, v0, 21, 1
	s_mov_b32 s20, 0x80fffff
	v_add3_u32 v0, v0, v1, s20
	v_lshrrev_b32_e32 v1, 21, v0
                                        ; implicit-def: $vgpr0
; %bb.1566:
	s_andn2_saveexec_b64 s[18:19], s[18:19]
; %bb.1567:
	v_add_f32_e32 v1, 0x43000000, v0
; %bb.1568:
	s_or_b64 exec, exec, s[18:19]
                                        ; implicit-def: $vgpr0
.LBB63_1569:
	s_andn2_saveexec_b64 s[14:15], s[14:15]
; %bb.1570:
	s_mov_b32 s18, 0x7f800000
	v_mov_b32_e32 v1, 0x7c
	v_mov_b32_e32 v2, 0x7f
	v_cmp_lt_u32_e32 vcc, s18, v0
	v_cndmask_b32_e32 v1, v1, v2, vcc
; %bb.1571:
	s_or_b64 exec, exec, s[14:15]
	global_store_byte v[3:4], v1, off
.LBB63_1572:
	s_mov_b64 s[14:15], 0
.LBB63_1573:
	s_andn2_b64 vcc, exec, s[14:15]
	s_mov_b64 s[14:15], 0
	s_cbranch_vccnz .LBB63_1582
; %bb.1574:
	s_cmp_gt_i32 s22, 14
	s_mov_b64 s[18:19], -1
	s_cbranch_scc0 .LBB63_1578
; %bb.1575:
	s_cmp_eq_u32 s22, 15
	s_mov_b64 s[0:1], -1
	s_cbranch_scc0 .LBB63_1577
; %bb.1576:
	v_cndmask_b32_e64 v0, 0, 1.0, s[12:13]
	v_bfe_u32 v1, v0, 16, 1
	s_movk_i32 s0, 0x7fff
	v_add3_u32 v0, v0, v1, s0
	global_store_short_d16_hi v[3:4], v0, off
	s_mov_b64 s[0:1], 0
.LBB63_1577:
	s_mov_b64 s[18:19], 0
.LBB63_1578:
	s_and_b64 vcc, exec, s[18:19]
	s_cbranch_vccz .LBB63_1582
; %bb.1579:
	s_cmp_lg_u32 s22, 11
	s_cselect_b64 s[18:19], -1, 0
	s_andn2_b64 s[0:1], s[0:1], exec
	s_and_b64 s[18:19], s[18:19], exec
	s_mov_b64 s[14:15], -1
	s_or_b64 s[0:1], s[0:1], s[18:19]
	s_branch .LBB63_1582
.LBB63_1580:
	s_mov_b64 s[14:15], 0
	s_mov_b64 s[8:9], -1
	s_mov_b64 s[0:1], s[38:39]
	s_branch .LBB63_1582
.LBB63_1581:
	s_mov_b64 s[14:15], 0
.LBB63_1582:
	s_and_b64 s[20:21], s[8:9], exec
	s_andn2_b64 s[8:9], s[38:39], exec
	s_and_b64 s[0:1], s[0:1], exec
	s_and_b64 s[22:23], s[14:15], exec
	s_or_b64 s[38:39], s[8:9], s[0:1]
	s_or_b64 exec, exec, s[16:17]
	s_and_saveexec_b64 s[0:1], s[38:39]
	s_cbranch_execz .LBB63_1492
.LBB63_1583:
	s_or_b64 s[10:11], s[10:11], exec
	s_andn2_b64 s[22:23], s[22:23], exec
	s_trap 2
	s_or_b64 exec, exec, s[0:1]
	s_and_saveexec_b64 s[0:1], s[22:23]
	s_xor_b64 s[0:1], exec, s[0:1]
	s_cbranch_execnz .LBB63_1493
.LBB63_1584:
	s_or_b64 exec, exec, s[0:1]
	s_and_saveexec_b64 s[0:1], s[20:21]
	s_xor_b64 s[0:1], exec, s[0:1]
	s_cbranch_execz .LBB63_1622
.LBB63_1585:
	s_sext_i32_i16 s14, s28
	s_cmp_lt_i32 s14, 5
	s_mov_b64 s[8:9], -1
	s_cbranch_scc1 .LBB63_1606
; %bb.1586:
	s_cmp_lt_i32 s14, 8
	s_cbranch_scc1 .LBB63_1596
; %bb.1587:
	s_cmp_lt_i32 s14, 9
	s_cbranch_scc1 .LBB63_1593
; %bb.1588:
	s_cmp_gt_i32 s14, 9
	s_cbranch_scc0 .LBB63_1590
; %bb.1589:
	v_cndmask_b32_e64 v0, 0, 1, s[12:13]
	s_waitcnt vmcnt(0)
	v_cvt_f64_u32_e32 v[5:6], v0
	v_mov_b32_e32 v7, 0
	v_mov_b32_e32 v8, v7
	s_mov_b64 s[8:9], 0
	global_store_dwordx4 v[3:4], v[5:8], off
.LBB63_1590:
	s_andn2_b64 vcc, exec, s[8:9]
	s_cbranch_vccnz .LBB63_1592
; %bb.1591:
	v_cndmask_b32_e64 v0, 0, 1.0, s[12:13]
	s_waitcnt vmcnt(0)
	v_mov_b32_e32 v1, 0
	global_store_dwordx2 v[3:4], v[0:1], off
.LBB63_1592:
	s_mov_b64 s[8:9], 0
.LBB63_1593:
	s_andn2_b64 vcc, exec, s[8:9]
	s_cbranch_vccnz .LBB63_1595
; %bb.1594:
	v_cndmask_b32_e64 v0, 0, 1.0, s[12:13]
	v_cvt_f16_f32_e32 v0, v0
	global_store_dword v[3:4], v0, off
.LBB63_1595:
	s_mov_b64 s[8:9], 0
.LBB63_1596:
	s_andn2_b64 vcc, exec, s[8:9]
	s_cbranch_vccnz .LBB63_1605
; %bb.1597:
	s_sext_i32_i16 s14, s28
	s_cmp_lt_i32 s14, 6
	s_mov_b64 s[8:9], -1
	s_cbranch_scc1 .LBB63_1603
; %bb.1598:
	s_cmp_gt_i32 s14, 6
	s_cbranch_scc0 .LBB63_1600
; %bb.1599:
	v_cndmask_b32_e64 v0, 0, 1, s[12:13]
	s_waitcnt vmcnt(0)
	v_cvt_f64_u32_e32 v[0:1], v0
	s_mov_b64 s[8:9], 0
	global_store_dwordx2 v[3:4], v[0:1], off
.LBB63_1600:
	s_andn2_b64 vcc, exec, s[8:9]
	s_cbranch_vccnz .LBB63_1602
; %bb.1601:
	v_cndmask_b32_e64 v0, 0, 1.0, s[12:13]
	global_store_dword v[3:4], v0, off
.LBB63_1602:
	s_mov_b64 s[8:9], 0
.LBB63_1603:
	s_andn2_b64 vcc, exec, s[8:9]
	s_cbranch_vccnz .LBB63_1605
; %bb.1604:
	v_cndmask_b32_e64 v0, 0, 1.0, s[12:13]
	v_cvt_f16_f32_e32 v0, v0
	global_store_short v[3:4], v0, off
.LBB63_1605:
	s_mov_b64 s[8:9], 0
.LBB63_1606:
	s_andn2_b64 vcc, exec, s[8:9]
	s_cbranch_vccnz .LBB63_1622
; %bb.1607:
	s_sext_i32_i16 s14, s28
	s_cmp_lt_i32 s14, 2
	s_mov_b64 s[8:9], -1
	s_cbranch_scc1 .LBB63_1617
; %bb.1608:
	s_cmp_lt_i32 s14, 3
	s_cbranch_scc1 .LBB63_1614
; %bb.1609:
	s_cmp_gt_i32 s14, 3
	s_cbranch_scc0 .LBB63_1611
; %bb.1610:
	s_mov_b32 s8, 0
	v_cndmask_b32_e64 v0, 0, 1, s[12:13]
	s_waitcnt vmcnt(0)
	v_mov_b32_e32 v1, s8
	s_mov_b64 s[8:9], 0
	global_store_dwordx2 v[3:4], v[0:1], off
.LBB63_1611:
	s_andn2_b64 vcc, exec, s[8:9]
	s_cbranch_vccnz .LBB63_1613
; %bb.1612:
	v_cndmask_b32_e64 v0, 0, 1, s[12:13]
	global_store_dword v[3:4], v0, off
.LBB63_1613:
	s_mov_b64 s[8:9], 0
.LBB63_1614:
	s_andn2_b64 vcc, exec, s[8:9]
	s_cbranch_vccnz .LBB63_1616
; %bb.1615:
	v_cndmask_b32_e64 v0, 0, 1, s[12:13]
	global_store_short v[3:4], v0, off
.LBB63_1616:
	s_mov_b64 s[8:9], 0
.LBB63_1617:
	s_andn2_b64 vcc, exec, s[8:9]
	s_cbranch_vccnz .LBB63_1622
; %bb.1618:
	s_sext_i32_i16 s14, s28
	s_mov_b64 s[8:9], -1
	s_cmp_gt_i32 s14, 0
	v_cndmask_b32_e64 v0, 0, 1, s[12:13]
	s_cbranch_scc0 .LBB63_1620
; %bb.1619:
	s_mov_b64 s[8:9], 0
	global_store_byte v[3:4], v0, off
.LBB63_1620:
	s_andn2_b64 vcc, exec, s[8:9]
	s_cbranch_vccnz .LBB63_1622
; %bb.1621:
	global_store_byte v[3:4], v0, off
.LBB63_1622:
	s_or_b64 exec, exec, s[0:1]
	s_and_b64 s[12:13], s[10:11], exec
                                        ; implicit-def: $vgpr23
                                        ; implicit-def: $vgpr8
.LBB63_1623:
	s_or_saveexec_b64 s[14:15], s[26:27]
	s_mov_b64 s[0:1], 0
                                        ; implicit-def: $sgpr10_sgpr11
                                        ; implicit-def: $vgpr0_vgpr1
                                        ; implicit-def: $sgpr26
	s_xor_b64 exec, exec, s[14:15]
	s_cbranch_execz .LBB63_2726
; %bb.1624:
	v_cndmask_b32_e64 v0, 0, 1, s[24:25]
	v_cmp_ne_u32_e64 s[0:1], 1, v0
	s_andn2_b64 vcc, exec, s[24:25]
	s_cbranch_vccnz .LBB63_1630
; %bb.1625:
	s_cmp_lg_u32 s33, 0
	s_cbranch_scc0 .LBB63_1631
; %bb.1626:
	s_min_u32 s8, s70, 15
	s_add_i32 s6, s8, 1
	s_and_b32 s9, s6, 30
	s_add_u32 s6, s2, 0xffffffe8
	s_addc_u32 s7, s3, -1
	v_mov_b32_e32 v19, 0
	v_mov_b32_e32 v21, 0
	s_waitcnt vmcnt(0)
	v_mov_b32_e32 v6, 0
	v_mov_b32_e32 v0, v8
.LBB63_1627:                            ; =>This Inner Loop Header: Depth=1
	s_load_dwordx4 s[16:19], s[6:7], 0x1c
	s_load_dwordx2 s[10:11], s[6:7], 0x2c
	s_load_dwordx2 s[24:25], s[6:7], 0xec
	s_load_dwordx4 s[20:23], s[6:7], 0xdc
	s_add_u32 s6, s6, 24
	s_waitcnt lgkmcnt(0)
	v_mul_hi_u32 v1, s17, v0
	s_addc_u32 s7, s7, 0
	s_add_i32 s9, s9, -2
	s_cmp_lg_u32 s9, 0
	v_add_u32_e32 v1, v0, v1
	v_lshrrev_b32_e32 v1, s18, v1
	v_mul_lo_u32 v2, v1, s16
	v_mul_hi_u32 v3, s10, v1
	v_sub_u32_e32 v2, v0, v2
	v_add_u32_e32 v0, v1, v3
	v_lshrrev_b32_e32 v0, s11, v0
	v_mul_lo_u32 v5, v0, s19
	v_mul_lo_u32 v3, v2, s20
	;; [unrolled: 1-line block ×4, first 2 shown]
	v_sub_u32_e32 v1, v1, v5
	v_mul_lo_u32 v5, v1, s23
	v_mul_lo_u32 v7, v1, s24
	;; [unrolled: 1-line block ×3, first 2 shown]
	v_add3_u32 v6, v3, v6, v5
	v_add3_u32 v21, v4, v21, v7
	v_add3_u32 v19, v2, v19, v1
	s_cbranch_scc1 .LBB63_1627
; %bb.1628:
	s_bitcmp1_b32 s8, 0
	s_cselect_b64 s[8:9], -1, 0
	s_and_b64 vcc, exec, s[8:9]
	s_cbranch_vccnz .LBB63_1632
; %bb.1629:
	s_load_dwordx2 s[8:9], s[6:7], 0x1c
	s_load_dword s16, s[6:7], 0x24
	s_load_dwordx2 s[10:11], s[6:7], 0xdc
	s_waitcnt lgkmcnt(0)
	v_mul_hi_u32 v1, s9, v0
	v_add_u32_e32 v1, v0, v1
	v_lshrrev_b32_e32 v1, s16, v1
	v_mul_lo_u32 v1, v1, s8
	s_load_dword s8, s[6:7], 0xe4
	v_sub_u32_e32 v0, v0, v1
	v_mad_u64_u32 v[6:7], s[6:7], v0, s10, v[6:7]
	v_mad_u64_u32 v[21:22], s[6:7], v0, s11, v[21:22]
	s_waitcnt lgkmcnt(0)
	v_mad_u64_u32 v[19:20], s[6:7], v0, s8, v[19:20]
	s_cbranch_execz .LBB63_1633
	s_branch .LBB63_1635
.LBB63_1630:
                                        ; implicit-def: $vgpr6
                                        ; implicit-def: $vgpr21
                                        ; implicit-def: $vgpr19
	s_branch .LBB63_1633
.LBB63_1631:
	s_waitcnt vmcnt(0)
	v_mov_b32_e32 v6, 0
	v_mov_b32_e32 v21, 0
	;; [unrolled: 1-line block ×3, first 2 shown]
.LBB63_1632:
	s_cbranch_execnz .LBB63_1635
.LBB63_1633:
	s_load_dwordx4 s[8:11], s[2:3], 0x4
	s_load_dwordx4 s[16:19], s[2:3], 0xc4
	s_cmp_lt_u32 s33, 2
	s_waitcnt lgkmcnt(0)
	v_mul_hi_u32 v0, s9, v8
	v_add_u32_e32 v0, v8, v0
	v_lshrrev_b32_e32 v0, s10, v0
	s_waitcnt vmcnt(0)
	v_mul_lo_u32 v1, v0, s8
	v_sub_u32_e32 v1, v8, v1
	v_mul_lo_u32 v6, v1, s16
	v_mul_lo_u32 v21, v1, s17
	;; [unrolled: 1-line block ×3, first 2 shown]
	s_cbranch_scc1 .LBB63_1635
; %bb.1634:
	s_load_dwordx4 s[8:11], s[2:3], 0x10
	s_load_dwordx4 s[16:19], s[2:3], 0xd0
	s_waitcnt lgkmcnt(0)
	v_mul_hi_u32 v1, s9, v0
	v_add_u32_e32 v1, v0, v1
	v_lshrrev_b32_e32 v1, s10, v1
	v_mul_lo_u32 v1, v1, s8
	v_sub_u32_e32 v0, v0, v1
	v_mad_u64_u32 v[6:7], s[6:7], v0, s16, v[6:7]
	v_mad_u64_u32 v[21:22], s[6:7], v0, s17, v[21:22]
	;; [unrolled: 1-line block ×3, first 2 shown]
.LBB63_1635:
	s_and_b64 vcc, exec, s[0:1]
	v_add_u32_e32 v0, 0x80, v8
	s_cbranch_vccnz .LBB63_1641
; %bb.1636:
	s_cmp_lg_u32 s33, 0
	s_cbranch_scc0 .LBB63_1642
; %bb.1637:
	s_min_u32 s8, s70, 15
	s_add_i32 s6, s8, 1
	s_and_b32 s9, s6, 30
	s_add_u32 s6, s2, 0xffffffe8
	s_addc_u32 s7, s3, -1
	v_mov_b32_e32 v15, 0
	v_mov_b32_e32 v17, 0
	;; [unrolled: 1-line block ×3, first 2 shown]
	s_waitcnt vmcnt(0)
	v_mov_b32_e32 v1, v0
.LBB63_1638:                            ; =>This Inner Loop Header: Depth=1
	s_load_dwordx4 s[16:19], s[6:7], 0x1c
	s_load_dwordx2 s[10:11], s[6:7], 0x2c
	s_load_dwordx2 s[24:25], s[6:7], 0xec
	s_load_dwordx4 s[20:23], s[6:7], 0xdc
	s_add_u32 s6, s6, 24
	s_waitcnt lgkmcnt(0)
	v_mul_hi_u32 v2, s17, v1
	s_addc_u32 s7, s7, 0
	s_add_i32 s9, s9, -2
	s_cmp_lg_u32 s9, 0
	v_add_u32_e32 v2, v1, v2
	v_lshrrev_b32_e32 v2, s18, v2
	v_mul_lo_u32 v3, v2, s16
	v_mul_hi_u32 v5, s10, v2
	v_sub_u32_e32 v3, v1, v3
	v_add_u32_e32 v1, v2, v5
	v_lshrrev_b32_e32 v1, s11, v1
	v_mul_lo_u32 v9, v1, s19
	v_mul_lo_u32 v5, v3, s20
	;; [unrolled: 1-line block ×4, first 2 shown]
	v_sub_u32_e32 v2, v2, v9
	v_mul_lo_u32 v9, v2, s23
	v_mul_lo_u32 v10, v2, s24
	;; [unrolled: 1-line block ×3, first 2 shown]
	v_add3_u32 v4, v5, v4, v9
	v_add3_u32 v17, v7, v17, v10
	;; [unrolled: 1-line block ×3, first 2 shown]
	s_cbranch_scc1 .LBB63_1638
; %bb.1639:
	s_bitcmp1_b32 s8, 0
	s_cselect_b64 s[8:9], -1, 0
	s_and_b64 vcc, exec, s[8:9]
	s_cbranch_vccnz .LBB63_1643
; %bb.1640:
	s_load_dwordx2 s[8:9], s[6:7], 0x1c
	s_load_dword s16, s[6:7], 0x24
	s_load_dwordx2 s[10:11], s[6:7], 0xdc
	s_waitcnt lgkmcnt(0)
	v_mul_hi_u32 v2, s9, v1
	v_add_u32_e32 v2, v1, v2
	v_lshrrev_b32_e32 v2, s16, v2
	v_mul_lo_u32 v2, v2, s8
	s_load_dword s8, s[6:7], 0xe4
	v_sub_u32_e32 v1, v1, v2
	v_mad_u64_u32 v[4:5], s[6:7], v1, s10, v[4:5]
	v_mad_u64_u32 v[17:18], s[6:7], v1, s11, v[17:18]
	s_waitcnt lgkmcnt(0)
	v_mad_u64_u32 v[15:16], s[6:7], v1, s8, v[15:16]
	s_cbranch_execz .LBB63_1644
	s_branch .LBB63_1646
.LBB63_1641:
                                        ; implicit-def: $vgpr4
                                        ; implicit-def: $vgpr17
                                        ; implicit-def: $vgpr15
	s_branch .LBB63_1644
.LBB63_1642:
	v_mov_b32_e32 v4, 0
	v_mov_b32_e32 v17, 0
	;; [unrolled: 1-line block ×3, first 2 shown]
.LBB63_1643:
	s_cbranch_execnz .LBB63_1646
.LBB63_1644:
	s_load_dwordx4 s[8:11], s[2:3], 0x4
	s_load_dwordx4 s[16:19], s[2:3], 0xc4
	s_cmp_lt_u32 s33, 2
	s_waitcnt vmcnt(0) lgkmcnt(0)
	v_mul_hi_u32 v1, s9, v0
	v_add_u32_e32 v1, v0, v1
	v_lshrrev_b32_e32 v1, s10, v1
	v_mul_lo_u32 v2, v1, s8
	v_sub_u32_e32 v0, v0, v2
	v_mul_lo_u32 v4, v0, s16
	v_mul_lo_u32 v17, v0, s17
	;; [unrolled: 1-line block ×3, first 2 shown]
	s_cbranch_scc1 .LBB63_1646
; %bb.1645:
	s_load_dwordx4 s[8:11], s[2:3], 0x10
	s_load_dwordx4 s[16:19], s[2:3], 0xd0
	s_waitcnt lgkmcnt(0)
	v_mul_hi_u32 v0, s9, v1
	v_add_u32_e32 v0, v1, v0
	v_lshrrev_b32_e32 v0, s10, v0
	v_mul_lo_u32 v0, v0, s8
	v_sub_u32_e32 v0, v1, v0
	v_mad_u64_u32 v[4:5], s[6:7], v0, s16, v[4:5]
	v_mad_u64_u32 v[17:18], s[6:7], v0, s17, v[17:18]
	v_mad_u64_u32 v[15:16], s[6:7], v0, s18, v[15:16]
.LBB63_1646:
	s_and_b64 vcc, exec, s[0:1]
	v_add_u32_e32 v0, 0x100, v8
	s_cbranch_vccnz .LBB63_1652
; %bb.1647:
	s_cmp_lg_u32 s33, 0
	s_cbranch_scc0 .LBB63_1653
; %bb.1648:
	s_min_u32 s8, s70, 15
	s_add_i32 s6, s8, 1
	s_and_b32 s9, s6, 30
	s_add_u32 s6, s2, 0xffffffe8
	s_addc_u32 s7, s3, -1
	v_mov_b32_e32 v11, 0
	v_mov_b32_e32 v13, 0
	s_waitcnt vmcnt(0)
	v_mov_b32_e32 v2, 0
	v_mov_b32_e32 v1, v0
.LBB63_1649:                            ; =>This Inner Loop Header: Depth=1
	s_load_dwordx4 s[16:19], s[6:7], 0x1c
	s_load_dwordx2 s[10:11], s[6:7], 0x2c
	s_load_dwordx2 s[24:25], s[6:7], 0xec
	s_load_dwordx4 s[20:23], s[6:7], 0xdc
	s_add_u32 s6, s6, 24
	s_waitcnt lgkmcnt(0)
	v_mul_hi_u32 v3, s17, v1
	s_addc_u32 s7, s7, 0
	s_add_i32 s9, s9, -2
	s_cmp_lg_u32 s9, 0
	v_add_u32_e32 v3, v1, v3
	v_lshrrev_b32_e32 v3, s18, v3
	v_mul_lo_u32 v5, v3, s16
	v_mul_hi_u32 v7, s10, v3
	v_sub_u32_e32 v5, v1, v5
	v_add_u32_e32 v1, v3, v7
	v_lshrrev_b32_e32 v1, s11, v1
	v_mul_lo_u32 v9, v1, s19
	v_mul_lo_u32 v7, v5, s20
	;; [unrolled: 1-line block ×4, first 2 shown]
	v_sub_u32_e32 v3, v3, v9
	v_mul_lo_u32 v9, v3, s23
	v_mul_lo_u32 v10, v3, s24
	;; [unrolled: 1-line block ×3, first 2 shown]
	v_add3_u32 v2, v7, v2, v9
	v_add3_u32 v13, v8, v13, v10
	;; [unrolled: 1-line block ×3, first 2 shown]
	s_cbranch_scc1 .LBB63_1649
; %bb.1650:
	s_bitcmp1_b32 s8, 0
	s_cselect_b64 s[8:9], -1, 0
	s_and_b64 vcc, exec, s[8:9]
	s_cbranch_vccnz .LBB63_1654
; %bb.1651:
	s_load_dwordx2 s[8:9], s[6:7], 0x1c
	s_load_dword s16, s[6:7], 0x24
	s_load_dwordx2 s[10:11], s[6:7], 0xdc
	s_waitcnt lgkmcnt(0)
	v_mul_hi_u32 v3, s9, v1
	v_add_u32_e32 v3, v1, v3
	v_lshrrev_b32_e32 v3, s16, v3
	v_mul_lo_u32 v3, v3, s8
	s_load_dword s8, s[6:7], 0xe4
	v_sub_u32_e32 v1, v1, v3
	v_mad_u64_u32 v[2:3], s[6:7], v1, s10, v[2:3]
	v_mad_u64_u32 v[13:14], s[6:7], v1, s11, v[13:14]
	s_waitcnt lgkmcnt(0)
	v_mad_u64_u32 v[11:12], s[6:7], v1, s8, v[11:12]
	s_cbranch_execz .LBB63_1655
	s_branch .LBB63_1657
.LBB63_1652:
                                        ; implicit-def: $vgpr2
                                        ; implicit-def: $vgpr13
                                        ; implicit-def: $vgpr11
	s_branch .LBB63_1655
.LBB63_1653:
	s_waitcnt vmcnt(0)
	v_mov_b32_e32 v2, 0
	v_mov_b32_e32 v13, 0
	;; [unrolled: 1-line block ×3, first 2 shown]
.LBB63_1654:
	s_cbranch_execnz .LBB63_1657
.LBB63_1655:
	s_load_dwordx4 s[8:11], s[2:3], 0x4
	s_load_dwordx4 s[16:19], s[2:3], 0xc4
	s_cmp_lt_u32 s33, 2
	s_waitcnt vmcnt(0) lgkmcnt(0)
	v_mul_hi_u32 v1, s9, v0
	v_add_u32_e32 v1, v0, v1
	v_lshrrev_b32_e32 v1, s10, v1
	v_mul_lo_u32 v2, v1, s8
	v_sub_u32_e32 v0, v0, v2
	v_mul_lo_u32 v2, v0, s16
	v_mul_lo_u32 v13, v0, s17
	v_mul_lo_u32 v11, v0, s18
	s_cbranch_scc1 .LBB63_1657
; %bb.1656:
	s_load_dwordx4 s[8:11], s[2:3], 0x10
	s_load_dwordx4 s[16:19], s[2:3], 0xd0
	s_waitcnt lgkmcnt(0)
	v_mul_hi_u32 v0, s9, v1
	v_add_u32_e32 v0, v1, v0
	v_lshrrev_b32_e32 v0, s10, v0
	v_mul_lo_u32 v0, v0, s8
	v_sub_u32_e32 v0, v1, v0
	v_mad_u64_u32 v[2:3], s[6:7], v0, s16, v[2:3]
	v_mad_u64_u32 v[13:14], s[6:7], v0, s17, v[13:14]
	;; [unrolled: 1-line block ×3, first 2 shown]
.LBB63_1657:
	s_and_b64 vcc, exec, s[0:1]
	s_cbranch_vccnz .LBB63_1663
; %bb.1658:
	s_cmp_lg_u32 s33, 0
	s_cbranch_scc0 .LBB63_1664
; %bb.1659:
	s_min_u32 s6, s70, 15
	s_add_i32 s0, s6, 1
	s_and_b32 s7, s0, 30
	s_add_u32 s0, s2, 0xffffffe8
	s_addc_u32 s1, s3, -1
	s_waitcnt vmcnt(0)
	v_mov_b32_e32 v7, 0
	v_mov_b32_e32 v9, 0
	;; [unrolled: 1-line block ×4, first 2 shown]
.LBB63_1660:                            ; =>This Inner Loop Header: Depth=1
	s_load_dwordx4 s[8:11], s[0:1], 0x1c
	s_load_dwordx2 s[20:21], s[0:1], 0x2c
	s_load_dwordx2 s[22:23], s[0:1], 0xec
	s_load_dwordx4 s[16:19], s[0:1], 0xdc
	s_add_u32 s0, s0, 24
	s_waitcnt lgkmcnt(0)
	v_mul_hi_u32 v3, s9, v1
	s_addc_u32 s1, s1, 0
	s_add_i32 s7, s7, -2
	s_cmp_lg_u32 s7, 0
	v_add_u32_e32 v3, v1, v3
	v_lshrrev_b32_e32 v3, s10, v3
	v_mul_lo_u32 v5, v3, s8
	v_mul_hi_u32 v8, s20, v3
	v_sub_u32_e32 v5, v1, v5
	v_add_u32_e32 v1, v3, v8
	v_lshrrev_b32_e32 v1, s21, v1
	v_mul_lo_u32 v12, v1, s11
	v_mul_lo_u32 v8, v5, s16
	;; [unrolled: 1-line block ×4, first 2 shown]
	v_sub_u32_e32 v3, v3, v12
	v_mul_lo_u32 v12, v3, s19
	v_mul_lo_u32 v14, v3, s22
	;; [unrolled: 1-line block ×3, first 2 shown]
	v_add3_u32 v0, v8, v0, v12
	v_add3_u32 v9, v10, v9, v14
	;; [unrolled: 1-line block ×3, first 2 shown]
	s_cbranch_scc1 .LBB63_1660
; %bb.1661:
	s_bitcmp1_b32 s6, 0
	s_cselect_b64 s[6:7], -1, 0
	s_and_b64 vcc, exec, s[6:7]
	s_cbranch_vccnz .LBB63_1665
; %bb.1662:
	s_load_dwordx2 s[6:7], s[0:1], 0x1c
	s_load_dword s10, s[0:1], 0x24
	s_load_dwordx2 s[8:9], s[0:1], 0xdc
	s_waitcnt lgkmcnt(0)
	v_mul_hi_u32 v3, s7, v1
	v_add_u32_e32 v3, v1, v3
	v_lshrrev_b32_e32 v3, s10, v3
	v_mul_lo_u32 v3, v3, s6
	s_load_dword s6, s[0:1], 0xe4
	v_sub_u32_e32 v3, v1, v3
	v_mad_u64_u32 v[0:1], s[0:1], v3, s8, v[0:1]
	v_mad_u64_u32 v[9:10], s[0:1], v3, s9, v[9:10]
	s_waitcnt lgkmcnt(0)
	v_mad_u64_u32 v[7:8], s[0:1], v3, s6, v[7:8]
	s_cbranch_execz .LBB63_1666
	s_branch .LBB63_1668
.LBB63_1663:
                                        ; implicit-def: $vgpr0
                                        ; implicit-def: $vgpr9
                                        ; implicit-def: $vgpr7
	s_branch .LBB63_1666
.LBB63_1664:
	v_mov_b32_e32 v0, 0
	v_mov_b32_e32 v9, 0
	s_waitcnt vmcnt(0)
	v_mov_b32_e32 v7, 0
.LBB63_1665:
	s_cbranch_execnz .LBB63_1668
.LBB63_1666:
	s_load_dwordx4 s[8:11], s[2:3], 0x4
	s_load_dwordx4 s[16:19], s[2:3], 0xc4
	s_cmp_lt_u32 s33, 2
	s_waitcnt lgkmcnt(0)
	v_mul_hi_u32 v0, s9, v23
	v_add_u32_e32 v0, v23, v0
	s_waitcnt vmcnt(0)
	v_lshrrev_b32_e32 v1, s10, v0
	v_mul_lo_u32 v0, v1, s8
	v_sub_u32_e32 v3, v23, v0
	v_mul_lo_u32 v0, v3, s16
	v_mul_lo_u32 v9, v3, s17
	;; [unrolled: 1-line block ×3, first 2 shown]
	s_cbranch_scc1 .LBB63_1668
; %bb.1667:
	s_load_dwordx4 s[8:11], s[2:3], 0x10
	s_load_dwordx4 s[16:19], s[2:3], 0xd0
	s_waitcnt lgkmcnt(0)
	v_mul_hi_u32 v3, s9, v1
	v_add_u32_e32 v3, v1, v3
	v_lshrrev_b32_e32 v3, s10, v3
	v_mul_lo_u32 v3, v3, s8
	v_sub_u32_e32 v3, v1, v3
	v_mad_u64_u32 v[0:1], s[0:1], v3, s16, v[0:1]
	v_mad_u64_u32 v[9:10], s[0:1], v3, s17, v[9:10]
	v_mad_u64_u32 v[7:8], s[0:1], v3, s18, v[7:8]
.LBB63_1668:
	s_load_dwordx4 s[8:11], s[2:3], 0x188
	s_load_dword s22, s[4:5], 0x1ac
	s_waitcnt vmcnt(0) lgkmcnt(0)
	v_mov_b32_e32 v1, s11
	s_bfe_u32 s18, s22, 0x80008
	v_add_co_u32_e32 v22, vcc, s10, v21
	s_cmp_lt_i32 s18, 11
	v_addc_co_u32_e32 v23, vcc, 0, v1, vcc
	s_cbranch_scc1 .LBB63_1675
; %bb.1669:
	s_and_b32 s19, 0xffff, s18
	s_cmp_gt_i32 s19, 25
	s_mov_b64 s[6:7], 0
	s_cbranch_scc0 .LBB63_1677
; %bb.1670:
	s_cmp_gt_i32 s19, 28
	s_cbranch_scc0 .LBB63_1678
; %bb.1671:
	s_cmp_gt_i32 s19, 43
	;; [unrolled: 3-line block ×3, first 2 shown]
	s_cbranch_scc0 .LBB63_1680
; %bb.1673:
	s_cmp_eq_u32 s19, 46
	s_mov_b64 s[4:5], 0
	s_cbranch_scc0 .LBB63_1683
; %bb.1674:
	global_load_dword v1, v[22:23], off
	s_mov_b32 s0, 0x2f800000
	s_mov_b32 s1, 0xcf800000
	s_mov_b64 s[16:17], -1
	s_waitcnt vmcnt(0)
	v_lshlrev_b32_e32 v1, 16, v1
	v_trunc_f32_e32 v1, v1
	v_mul_f32_e64 v3, |v1|, s0
	v_floor_f32_e32 v3, v3
	v_fma_f32 v5, v3, s1, |v1|
	v_cvt_u32_f32_e32 v5, v5
	v_cvt_u32_f32_e32 v3, v3
	v_ashrrev_i32_e32 v1, 31, v1
	s_mov_b64 s[0:1], 0
	v_xor_b32_e32 v5, v5, v1
	v_xor_b32_e32 v3, v3, v1
	v_sub_co_u32_e32 v20, vcc, v5, v1
	v_subb_co_u32_e32 v21, vcc, v3, v1, vcc
	s_branch .LBB63_1684
.LBB63_1675:
	s_mov_b64 s[16:17], 0
                                        ; implicit-def: $vgpr20_vgpr21
	s_mov_b64 s[4:5], s[12:13]
	s_cbranch_execnz .LBB63_1742
.LBB63_1676:
	s_andn2_b64 vcc, exec, s[16:17]
	s_cbranch_vccz .LBB63_1787
	s_branch .LBB63_2723
.LBB63_1677:
	s_mov_b64 s[16:17], 0
	s_mov_b64 s[0:1], 0
                                        ; implicit-def: $vgpr20_vgpr21
	s_cbranch_execnz .LBB63_1711
	s_branch .LBB63_1738
.LBB63_1678:
	s_mov_b64 s[16:17], 0
	s_mov_b64 s[0:1], 0
                                        ; implicit-def: $vgpr20_vgpr21
	s_cbranch_execz .LBB63_1710
	s_branch .LBB63_1693
.LBB63_1679:
	s_mov_b64 s[16:17], 0
	s_mov_b64 s[0:1], 0
                                        ; implicit-def: $vgpr20_vgpr21
	s_cbranch_execnz .LBB63_1689
	s_branch .LBB63_1692
.LBB63_1680:
	s_mov_b64 s[4:5], -1
	s_mov_b64 s[16:17], 0
	s_mov_b64 s[0:1], 0
                                        ; implicit-def: $vgpr20_vgpr21
	s_branch .LBB63_1684
.LBB63_1681:
	s_andn2_saveexec_b64 s[18:19], s[18:19]
	s_cbranch_execz .LBB63_1535
.LBB63_1682:
	v_add_f32_e32 v0, 0x46000000, v1
	v_and_b32_e32 v0, 0xff, v0
	v_cmp_ne_u32_e32 vcc, 0, v0
	s_andn2_b64 s[14:15], s[14:15], exec
	s_and_b64 s[20:21], vcc, exec
	s_or_b64 s[14:15], s[14:15], s[20:21]
	s_or_b64 exec, exec, s[18:19]
	v_mov_b32_e32 v2, 0
	s_and_saveexec_b64 s[18:19], s[14:15]
	s_cbranch_execnz .LBB63_1536
	s_branch .LBB63_1537
.LBB63_1683:
	s_mov_b64 s[0:1], -1
                                        ; implicit-def: $vgpr20_vgpr21
	s_mov_b64 s[16:17], 0
.LBB63_1684:
	s_and_b64 vcc, exec, s[4:5]
	s_cbranch_vccz .LBB63_1687
; %bb.1685:
	s_cmp_eq_u32 s19, 44
	s_cbranch_scc0 .LBB63_1688
; %bb.1686:
	global_load_ubyte v1, v[22:23], off
	s_mov_b32 s0, 0x2f800000
	s_mov_b32 s1, 0xcf800000
	s_mov_b64 s[16:17], -1
	s_waitcnt vmcnt(0)
	v_lshlrev_b32_e32 v3, 23, v1
	v_trunc_f32_e32 v3, v3
	v_mul_f32_e64 v5, |v3|, s0
	v_floor_f32_e32 v5, v5
	v_fma_f32 v8, v5, s1, |v3|
	v_cvt_u32_f32_e32 v8, v8
	v_cvt_u32_f32_e32 v5, v5
	v_ashrrev_i32_e32 v3, 31, v3
	s_mov_b64 s[0:1], 0
	v_xor_b32_e32 v8, v8, v3
	v_xor_b32_e32 v5, v5, v3
	v_sub_co_u32_e32 v8, vcc, v8, v3
	v_subb_co_u32_e32 v3, vcc, v5, v3, vcc
	v_cmp_ne_u32_e32 vcc, 0, v1
	v_cndmask_b32_e32 v21, 0, v3, vcc
	v_cndmask_b32_e32 v20, 0, v8, vcc
.LBB63_1687:
	s_branch .LBB63_1692
.LBB63_1688:
	s_mov_b64 s[0:1], -1
                                        ; implicit-def: $vgpr20_vgpr21
	s_branch .LBB63_1692
.LBB63_1689:
	s_cmp_eq_u32 s19, 29
	s_cbranch_scc0 .LBB63_1691
; %bb.1690:
	global_load_dwordx2 v[20:21], v[22:23], off
	s_mov_b64 s[0:1], 0
	s_mov_b64 s[16:17], -1
	s_branch .LBB63_1692
.LBB63_1691:
	s_mov_b64 s[0:1], -1
                                        ; implicit-def: $vgpr20_vgpr21
.LBB63_1692:
	s_branch .LBB63_1710
.LBB63_1693:
	s_cmp_lt_i32 s19, 27
	s_cbranch_scc1 .LBB63_1696
; %bb.1694:
	s_cmp_gt_i32 s19, 27
	s_cbranch_scc0 .LBB63_1697
; %bb.1695:
	global_load_dword v20, v[22:23], off
	s_waitcnt vmcnt(1)
	v_mov_b32_e32 v21, 0
	s_mov_b64 s[4:5], 0
	s_branch .LBB63_1698
.LBB63_1696:
	s_mov_b64 s[4:5], -1
                                        ; implicit-def: $vgpr20_vgpr21
	s_branch .LBB63_1701
.LBB63_1697:
	s_mov_b64 s[4:5], -1
                                        ; implicit-def: $vgpr20_vgpr21
.LBB63_1698:
	s_andn2_b64 vcc, exec, s[4:5]
	s_cbranch_vccnz .LBB63_1700
; %bb.1699:
	global_load_ushort v1, v[22:23], off
	s_mov_b32 s4, 0
	s_waitcnt vmcnt(1)
	v_mov_b32_e32 v21, s4
	s_waitcnt vmcnt(0)
	v_and_b32_e32 v20, 0xffff, v1
.LBB63_1700:
	s_mov_b64 s[4:5], 0
.LBB63_1701:
	s_andn2_b64 vcc, exec, s[4:5]
	s_cbranch_vccnz .LBB63_1709
; %bb.1702:
	global_load_ubyte v1, v[22:23], off
	s_movk_i32 s4, 0x7f
	s_mov_b64 s[16:17], 0
	s_waitcnt vmcnt(0)
	v_cmp_lt_i16_e32 vcc, s4, v1
	s_and_saveexec_b64 s[4:5], vcc
	s_xor_b64 s[4:5], exec, s[4:5]
; %bb.1703:
	s_movk_i32 s16, 0x80
	v_cmp_ne_u16_e32 vcc, s16, v1
	s_and_b64 s[16:17], vcc, exec
; %bb.1704:
	s_andn2_saveexec_b64 s[4:5], s[4:5]
; %bb.1705:
	v_cmp_ne_u16_e32 vcc, 0, v1
	s_andn2_b64 s[16:17], s[16:17], exec
	s_and_b64 s[20:21], vcc, exec
	s_or_b64 s[16:17], s[16:17], s[20:21]
; %bb.1706:
	s_or_b64 exec, exec, s[4:5]
	v_mov_b32_e32 v20, 0
	v_mov_b32_e32 v21, 0
	s_and_saveexec_b64 s[4:5], s[16:17]
	s_cbranch_execz .LBB63_1708
; %bb.1707:
	v_lshlrev_b32_e32 v3, 24, v1
	v_and_b32_e32 v1, 0xffff, v1
	v_and_b32_e32 v5, 7, v1
	v_ffbh_u32_e32 v10, v5
	v_min_u32_e32 v10, 32, v10
	v_subrev_u32_e32 v12, 28, v10
	v_bfe_u32 v8, v1, 3, 4
	v_lshlrev_b32_e32 v1, v12, v1
	v_sub_u32_e32 v10, 29, v10
	v_and_b32_e32 v1, 7, v1
	v_cmp_eq_u32_e32 vcc, 0, v8
	v_cndmask_b32_e32 v8, v8, v10, vcc
	v_cndmask_b32_e32 v1, v5, v1, vcc
	v_mov_b32_e32 v5, 0x3b800000
	v_lshlrev_b32_e32 v1, 20, v1
	v_and_b32_e32 v3, 0x80000000, v3
	v_lshl_add_u32 v5, v8, 23, v5
	v_or3_b32 v1, v3, v5, v1
	v_trunc_f32_e32 v1, v1
	s_mov_b32 s16, 0x2f800000
	v_mul_f32_e64 v3, |v1|, s16
	v_floor_f32_e32 v3, v3
	s_mov_b32 s16, 0xcf800000
	v_fma_f32 v5, v3, s16, |v1|
	v_cvt_u32_f32_e32 v5, v5
	v_cvt_u32_f32_e32 v3, v3
	v_ashrrev_i32_e32 v1, 31, v1
	v_xor_b32_e32 v5, v5, v1
	v_xor_b32_e32 v3, v3, v1
	v_sub_co_u32_e32 v20, vcc, v5, v1
	v_subb_co_u32_e32 v21, vcc, v3, v1, vcc
.LBB63_1708:
	s_or_b64 exec, exec, s[4:5]
.LBB63_1709:
	s_mov_b64 s[16:17], -1
.LBB63_1710:
	s_branch .LBB63_1738
.LBB63_1711:
	s_cmp_gt_i32 s19, 22
	s_cbranch_scc0 .LBB63_1721
; %bb.1712:
	s_cmp_lt_i32 s19, 24
	s_cbranch_scc1 .LBB63_1722
; %bb.1713:
	s_cmp_gt_i32 s19, 24
	s_cbranch_scc0 .LBB63_1723
; %bb.1714:
	global_load_ubyte v1, v[22:23], off
	s_movk_i32 s4, 0x7f
	s_waitcnt vmcnt(0)
	v_cmp_lt_i16_e32 vcc, s4, v1
	s_and_saveexec_b64 s[4:5], vcc
	s_xor_b64 s[4:5], exec, s[4:5]
; %bb.1715:
	s_movk_i32 s6, 0x80
	v_cmp_ne_u16_e32 vcc, s6, v1
	s_and_b64 s[6:7], vcc, exec
; %bb.1716:
	s_andn2_saveexec_b64 s[4:5], s[4:5]
; %bb.1717:
	v_cmp_ne_u16_e32 vcc, 0, v1
	s_andn2_b64 s[6:7], s[6:7], exec
	s_and_b64 s[16:17], vcc, exec
	s_or_b64 s[6:7], s[6:7], s[16:17]
; %bb.1718:
	s_or_b64 exec, exec, s[4:5]
	v_mov_b32_e32 v20, 0
	v_mov_b32_e32 v21, 0
	s_and_saveexec_b64 s[4:5], s[6:7]
	s_cbranch_execz .LBB63_1720
; %bb.1719:
	v_lshlrev_b32_e32 v3, 24, v1
	v_and_b32_e32 v1, 0xffff, v1
	v_and_b32_e32 v5, 3, v1
	v_ffbh_u32_e32 v10, v5
	v_min_u32_e32 v10, 32, v10
	v_subrev_u32_e32 v12, 29, v10
	v_bfe_u32 v8, v1, 2, 5
	v_lshlrev_b32_e32 v1, v12, v1
	v_sub_u32_e32 v10, 30, v10
	v_and_b32_e32 v1, 3, v1
	v_cmp_eq_u32_e32 vcc, 0, v8
	v_cndmask_b32_e32 v8, v8, v10, vcc
	v_cndmask_b32_e32 v1, v5, v1, vcc
	v_mov_b32_e32 v5, 0x37800000
	v_lshlrev_b32_e32 v1, 21, v1
	v_and_b32_e32 v3, 0x80000000, v3
	v_lshl_add_u32 v5, v8, 23, v5
	v_or3_b32 v1, v3, v5, v1
	v_trunc_f32_e32 v1, v1
	s_mov_b32 s6, 0x2f800000
	v_mul_f32_e64 v3, |v1|, s6
	v_floor_f32_e32 v3, v3
	s_mov_b32 s6, 0xcf800000
	v_fma_f32 v5, v3, s6, |v1|
	v_cvt_u32_f32_e32 v5, v5
	v_cvt_u32_f32_e32 v3, v3
	v_ashrrev_i32_e32 v1, 31, v1
	v_xor_b32_e32 v5, v5, v1
	v_xor_b32_e32 v3, v3, v1
	v_sub_co_u32_e32 v20, vcc, v5, v1
	v_subb_co_u32_e32 v21, vcc, v3, v1, vcc
.LBB63_1720:
	s_or_b64 exec, exec, s[4:5]
	s_mov_b64 s[4:5], 0
	s_branch .LBB63_1724
.LBB63_1721:
                                        ; implicit-def: $vgpr20_vgpr21
	s_mov_b64 s[6:7], 0
	s_branch .LBB63_1730
.LBB63_1722:
	s_mov_b64 s[4:5], -1
                                        ; implicit-def: $vgpr20_vgpr21
	s_branch .LBB63_1727
.LBB63_1723:
	s_mov_b64 s[4:5], -1
                                        ; implicit-def: $vgpr20_vgpr21
.LBB63_1724:
	s_and_b64 vcc, exec, s[4:5]
	s_cbranch_vccz .LBB63_1726
; %bb.1725:
	global_load_ubyte v1, v[22:23], off
	s_mov_b32 s4, 0x7f800000
	s_brev_b32 s5, 1
	s_mov_b32 s6, 0x2f800000
	s_mov_b32 s7, 0xcf800000
	s_waitcnt vmcnt(0)
	v_lshlrev_b32_e32 v1, 24, v1
	v_and_b32_e32 v3, 0x7f000000, v1
	v_ffbh_u32_e32 v5, v3
	v_min_u32_e32 v5, 32, v5
	v_sub_u32_e64 v5, v5, 4 clamp
	v_lshlrev_b32_e32 v10, v5, v3
	v_lshlrev_b32_e32 v5, 23, v5
	v_lshrrev_b32_e32 v10, 4, v10
	v_add_u32_e32 v8, 0x1000000, v3
	v_sub_u32_e32 v5, v10, v5
	v_ashrrev_i32_e32 v8, 8, v8
	v_add_u32_e32 v5, 0x3c000000, v5
	v_and_or_b32 v5, v8, s4, v5
	v_cmp_ne_u32_e32 vcc, 0, v3
	v_cndmask_b32_e32 v3, 0, v5, vcc
	v_and_or_b32 v1, v1, s5, v3
	v_trunc_f32_e32 v1, v1
	v_mul_f32_e64 v3, |v1|, s6
	v_floor_f32_e32 v3, v3
	v_fma_f32 v5, v3, s7, |v1|
	v_cvt_u32_f32_e32 v5, v5
	v_cvt_u32_f32_e32 v3, v3
	v_ashrrev_i32_e32 v1, 31, v1
	v_xor_b32_e32 v5, v5, v1
	v_xor_b32_e32 v3, v3, v1
	v_sub_co_u32_e32 v20, vcc, v5, v1
	v_subb_co_u32_e32 v21, vcc, v3, v1, vcc
.LBB63_1726:
	s_mov_b64 s[4:5], 0
.LBB63_1727:
	s_andn2_b64 vcc, exec, s[4:5]
	s_cbranch_vccnz .LBB63_1729
; %bb.1728:
	global_load_ubyte v1, v[22:23], off
	s_movk_i32 s4, 0x7f00
	s_brev_b32 s5, 16
	s_brev_b32 s6, 1
	s_mov_b32 s7, 0x2f800000
	s_mov_b32 s16, 0xcf800000
	s_waitcnt vmcnt(0)
	v_lshlrev_b16_e32 v3, 8, v1
	v_lshlrev_b32_e32 v1, 25, v1
	v_lshrrev_b32_e32 v5, 4, v1
	v_and_or_b32 v8, v3, s4, 0.5
	v_or_b32_e32 v5, 0x70000000, v5
	v_add_f32_e32 v8, -0.5, v8
	v_mul_f32_e32 v5, 0x7800000, v5
	v_cmp_gt_u32_e32 vcc, s5, v1
	v_bfe_i32 v3, v3, 0, 16
	v_cndmask_b32_e32 v1, v5, v8, vcc
	v_and_or_b32 v1, v3, s6, v1
	v_trunc_f32_e32 v1, v1
	v_mul_f32_e64 v3, |v1|, s7
	v_floor_f32_e32 v3, v3
	v_fma_f32 v5, v3, s16, |v1|
	v_cvt_u32_f32_e32 v5, v5
	v_cvt_u32_f32_e32 v3, v3
	v_ashrrev_i32_e32 v1, 31, v1
	v_xor_b32_e32 v5, v5, v1
	v_xor_b32_e32 v3, v3, v1
	v_sub_co_u32_e32 v20, vcc, v5, v1
	v_subb_co_u32_e32 v21, vcc, v3, v1, vcc
.LBB63_1729:
	s_mov_b64 s[16:17], -1
	s_mov_b64 s[6:7], 0
	s_cbranch_execnz .LBB63_1738
.LBB63_1730:
	s_cmp_gt_i32 s19, 14
	s_cbranch_scc0 .LBB63_1733
; %bb.1731:
	s_cmp_eq_u32 s19, 15
	s_cbranch_scc0 .LBB63_1734
; %bb.1732:
	global_load_ushort v1, v[22:23], off
	s_mov_b32 s0, 0x2f800000
	s_mov_b32 s1, 0xcf800000
	s_mov_b64 s[16:17], -1
	s_waitcnt vmcnt(0)
	v_lshlrev_b32_e32 v1, 16, v1
	v_trunc_f32_e32 v1, v1
	v_mul_f32_e64 v3, |v1|, s0
	v_floor_f32_e32 v3, v3
	v_fma_f32 v5, v3, s1, |v1|
	v_cvt_u32_f32_e32 v5, v5
	v_cvt_u32_f32_e32 v3, v3
	v_ashrrev_i32_e32 v1, 31, v1
	s_mov_b64 s[0:1], 0
	v_xor_b32_e32 v5, v5, v1
	v_xor_b32_e32 v3, v3, v1
	v_sub_co_u32_e32 v20, vcc, v5, v1
	v_subb_co_u32_e32 v21, vcc, v3, v1, vcc
	s_branch .LBB63_1735
.LBB63_1733:
	s_mov_b64 s[4:5], -1
                                        ; implicit-def: $vgpr20_vgpr21
	s_branch .LBB63_1736
.LBB63_1734:
	s_mov_b64 s[0:1], -1
                                        ; implicit-def: $vgpr20_vgpr21
.LBB63_1735:
	s_mov_b64 s[4:5], 0
.LBB63_1736:
	s_and_b64 vcc, exec, s[4:5]
	s_cbranch_vccz .LBB63_1738
; %bb.1737:
	s_cmp_lg_u32 s19, 11
	s_mov_b64 s[6:7], -1
	s_cselect_b64 s[0:1], -1, 0
.LBB63_1738:
	s_and_b64 vcc, exec, s[0:1]
	s_mov_b64 s[4:5], s[12:13]
	s_cbranch_vccnz .LBB63_1799
; %bb.1739:
	s_andn2_b64 vcc, exec, s[6:7]
	s_cbranch_vccnz .LBB63_1741
.LBB63_1740:
	global_load_ubyte v1, v[22:23], off
	s_mov_b32 s0, 0
	s_waitcnt vmcnt(1)
	v_mov_b32_e32 v21, s0
	s_mov_b64 s[16:17], -1
	s_waitcnt vmcnt(0)
	v_cmp_ne_u16_e32 vcc, 0, v1
	v_cndmask_b32_e64 v20, 0, 1, vcc
.LBB63_1741:
	s_branch .LBB63_1676
.LBB63_1742:
	s_and_b32 s6, 0xffff, s18
	s_cmp_lt_i32 s6, 5
	s_cbranch_scc1 .LBB63_1747
; %bb.1743:
	s_cmp_lt_i32 s6, 8
	s_cbranch_scc1 .LBB63_1748
; %bb.1744:
	;; [unrolled: 3-line block ×3, first 2 shown]
	s_cmp_gt_i32 s6, 9
	s_cbranch_scc0 .LBB63_1750
; %bb.1746:
	global_load_dwordx2 v[20:21], v[22:23], off
	s_movk_i32 s0, 0xffe0
	s_waitcnt vmcnt(0)
	v_trunc_f64_e32 v[20:21], v[20:21]
	v_ldexp_f64 v[24:25], v[20:21], s0
	s_mov_b32 s0, 0
	s_mov_b32 s1, 0xc1f00000
	v_floor_f64_e32 v[24:25], v[24:25]
	v_fma_f64 v[26:27], v[24:25], s[0:1], v[20:21]
	v_cvt_i32_f64_e32 v21, v[24:25]
	s_mov_b64 s[0:1], 0
	v_cvt_u32_f64_e32 v20, v[26:27]
	s_branch .LBB63_1751
.LBB63_1747:
                                        ; implicit-def: $vgpr20_vgpr21
	s_branch .LBB63_1768
.LBB63_1748:
                                        ; implicit-def: $vgpr20_vgpr21
	s_branch .LBB63_1757
.LBB63_1749:
	s_mov_b64 s[0:1], -1
                                        ; implicit-def: $vgpr20_vgpr21
	s_branch .LBB63_1754
.LBB63_1750:
	s_mov_b64 s[0:1], -1
                                        ; implicit-def: $vgpr20_vgpr21
.LBB63_1751:
	s_andn2_b64 vcc, exec, s[0:1]
	s_cbranch_vccnz .LBB63_1753
; %bb.1752:
	global_load_dword v1, v[22:23], off
	s_mov_b32 s0, 0x2f800000
	s_mov_b32 s1, 0xcf800000
	s_waitcnt vmcnt(0)
	v_trunc_f32_e32 v1, v1
	v_mul_f32_e64 v3, |v1|, s0
	v_floor_f32_e32 v3, v3
	v_cvt_u32_f32_e32 v5, v3
	v_fma_f32 v3, v3, s1, |v1|
	v_cvt_u32_f32_e32 v3, v3
	v_ashrrev_i32_e32 v1, 31, v1
	v_xor_b32_e32 v5, v5, v1
	v_xor_b32_e32 v3, v3, v1
	v_sub_co_u32_e32 v20, vcc, v3, v1
	v_subb_co_u32_e32 v21, vcc, v5, v1, vcc
.LBB63_1753:
	s_mov_b64 s[0:1], 0
.LBB63_1754:
	s_andn2_b64 vcc, exec, s[0:1]
	s_cbranch_vccnz .LBB63_1756
; %bb.1755:
	global_load_dword v1, v[22:23], off
	s_waitcnt vmcnt(0)
	v_cvt_f32_f16_e32 v1, v1
	v_cvt_i32_f32_e32 v20, v1
	v_ashrrev_i32_e32 v21, 31, v20
.LBB63_1756:
	s_cbranch_execnz .LBB63_1767
.LBB63_1757:
	s_cmp_lt_i32 s6, 6
	s_cbranch_scc1 .LBB63_1760
; %bb.1758:
	s_cmp_gt_i32 s6, 6
	s_cbranch_scc0 .LBB63_1761
; %bb.1759:
	global_load_dwordx2 v[20:21], v[22:23], off
	s_movk_i32 s0, 0xffe0
	s_waitcnt vmcnt(0)
	v_trunc_f64_e32 v[20:21], v[20:21]
	v_ldexp_f64 v[24:25], v[20:21], s0
	s_mov_b32 s0, 0
	s_mov_b32 s1, 0xc1f00000
	v_floor_f64_e32 v[24:25], v[24:25]
	v_fma_f64 v[26:27], v[24:25], s[0:1], v[20:21]
	v_cvt_i32_f64_e32 v21, v[24:25]
	s_mov_b64 s[0:1], 0
	v_cvt_u32_f64_e32 v20, v[26:27]
	s_branch .LBB63_1762
.LBB63_1760:
	s_mov_b64 s[0:1], -1
                                        ; implicit-def: $vgpr20_vgpr21
	s_branch .LBB63_1765
.LBB63_1761:
	s_mov_b64 s[0:1], -1
                                        ; implicit-def: $vgpr20_vgpr21
.LBB63_1762:
	s_andn2_b64 vcc, exec, s[0:1]
	s_cbranch_vccnz .LBB63_1764
; %bb.1763:
	global_load_dword v1, v[22:23], off
	s_mov_b32 s0, 0x2f800000
	s_mov_b32 s1, 0xcf800000
	s_waitcnt vmcnt(0)
	v_trunc_f32_e32 v1, v1
	v_mul_f32_e64 v3, |v1|, s0
	v_floor_f32_e32 v3, v3
	v_cvt_u32_f32_e32 v5, v3
	v_fma_f32 v3, v3, s1, |v1|
	v_cvt_u32_f32_e32 v3, v3
	v_ashrrev_i32_e32 v1, 31, v1
	v_xor_b32_e32 v5, v5, v1
	v_xor_b32_e32 v3, v3, v1
	v_sub_co_u32_e32 v20, vcc, v3, v1
	v_subb_co_u32_e32 v21, vcc, v5, v1, vcc
.LBB63_1764:
	s_mov_b64 s[0:1], 0
.LBB63_1765:
	s_andn2_b64 vcc, exec, s[0:1]
	s_cbranch_vccnz .LBB63_1767
; %bb.1766:
	global_load_ushort v1, v[22:23], off
	s_waitcnt vmcnt(0)
	v_cvt_f32_f16_e32 v1, v1
	v_cvt_i32_f32_e32 v20, v1
	v_ashrrev_i32_e32 v21, 31, v20
.LBB63_1767:
	s_cbranch_execnz .LBB63_1786
.LBB63_1768:
	s_cmp_lt_i32 s6, 2
	s_cbranch_scc1 .LBB63_1772
; %bb.1769:
	s_cmp_lt_i32 s6, 3
	s_cbranch_scc1 .LBB63_1773
; %bb.1770:
	s_cmp_gt_i32 s6, 3
	s_cbranch_scc0 .LBB63_1774
; %bb.1771:
	global_load_dwordx2 v[20:21], v[22:23], off
	s_mov_b64 s[0:1], 0
	s_branch .LBB63_1775
.LBB63_1772:
                                        ; implicit-def: $vgpr20_vgpr21
	s_branch .LBB63_1781
.LBB63_1773:
	s_mov_b64 s[0:1], -1
                                        ; implicit-def: $vgpr20_vgpr21
	s_branch .LBB63_1778
.LBB63_1774:
	s_mov_b64 s[0:1], -1
                                        ; implicit-def: $vgpr20_vgpr21
.LBB63_1775:
	s_andn2_b64 vcc, exec, s[0:1]
	s_cbranch_vccnz .LBB63_1777
; %bb.1776:
	global_load_dword v20, v[22:23], off
	s_waitcnt vmcnt(0)
	v_ashrrev_i32_e32 v21, 31, v20
.LBB63_1777:
	s_mov_b64 s[0:1], 0
.LBB63_1778:
	s_andn2_b64 vcc, exec, s[0:1]
	s_cbranch_vccnz .LBB63_1780
; %bb.1779:
	global_load_ushort v1, v[22:23], off
	s_waitcnt vmcnt(0)
	v_bfe_i32 v20, v1, 0, 16
	v_ashrrev_i32_e32 v21, 31, v20
.LBB63_1780:
	s_cbranch_execnz .LBB63_1786
.LBB63_1781:
	s_cmp_gt_i32 s6, 0
	s_cbranch_scc0 .LBB63_1783
; %bb.1782:
	global_load_sbyte v1, v[22:23], off
	s_mov_b64 s[0:1], 0
	s_waitcnt vmcnt(0)
	v_bfe_i32 v20, v1, 0, 16
	v_ashrrev_i32_e32 v21, 31, v20
	s_branch .LBB63_1784
.LBB63_1783:
	s_mov_b64 s[0:1], -1
                                        ; implicit-def: $vgpr20_vgpr21
.LBB63_1784:
	s_andn2_b64 vcc, exec, s[0:1]
	s_cbranch_vccnz .LBB63_1786
; %bb.1785:
	global_load_ubyte v1, v[22:23], off
	s_mov_b32 s0, 0
	s_waitcnt vmcnt(1)
	v_mov_b32_e32 v21, s0
	s_waitcnt vmcnt(0)
	v_and_b32_e32 v20, 0xffff, v1
.LBB63_1786:
.LBB63_1787:
	s_load_dwordx2 s[0:1], s[2:3], 0x198
	s_bfe_u32 s23, s22, 0x80010
	s_cmp_lt_i32 s23, 11
	s_waitcnt lgkmcnt(0)
	v_mov_b32_e32 v1, s1
	v_add_co_u32_e32 v18, vcc, s0, v19
	v_addc_co_u32_e32 v19, vcc, 0, v1, vcc
	s_cbranch_scc1 .LBB63_1794
; %bb.1788:
	s_and_b32 s24, 0xffff, s23
	s_cmp_gt_i32 s24, 25
	s_mov_b64 s[16:17], 0
	s_cbranch_scc0 .LBB63_1796
; %bb.1789:
	s_cmp_gt_i32 s24, 28
	s_cbranch_scc0 .LBB63_1797
; %bb.1790:
	s_cmp_gt_i32 s24, 43
	s_cbranch_scc0 .LBB63_1798
; %bb.1791:
	s_cmp_gt_i32 s24, 45
	s_cbranch_scc0 .LBB63_1800
; %bb.1792:
	s_cmp_eq_u32 s24, 46
	s_mov_b64 s[20:21], 0
	s_cbranch_scc0 .LBB63_1803
; %bb.1793:
	global_load_dword v1, v[18:19], off
	s_mov_b32 s6, 0x2f800000
	s_mov_b32 s7, 0xcf800000
	s_mov_b64 s[18:19], -1
	s_waitcnt vmcnt(0)
	v_lshlrev_b32_e32 v1, 16, v1
	v_trunc_f32_e32 v1, v1
	v_mul_f32_e64 v3, |v1|, s6
	v_floor_f32_e32 v3, v3
	v_fma_f32 v5, v3, s7, |v1|
	v_cvt_u32_f32_e32 v5, v5
	v_cvt_u32_f32_e32 v3, v3
	v_ashrrev_i32_e32 v1, 31, v1
	s_mov_b64 s[6:7], 0
	v_xor_b32_e32 v5, v5, v1
	v_xor_b32_e32 v3, v3, v1
	v_sub_co_u32_e32 v22, vcc, v5, v1
	v_subb_co_u32_e32 v23, vcc, v3, v1, vcc
	s_branch .LBB63_1804
.LBB63_1794:
	s_mov_b64 s[18:19], 0
                                        ; implicit-def: $vgpr22_vgpr23
	s_cbranch_execnz .LBB63_1865
.LBB63_1795:
	s_andn2_b64 vcc, exec, s[18:19]
	s_cbranch_vccnz .LBB63_2723
	s_branch .LBB63_1912
.LBB63_1796:
	s_mov_b64 s[18:19], 0
	s_mov_b64 s[6:7], 0
                                        ; implicit-def: $vgpr22_vgpr23
	s_cbranch_execnz .LBB63_1833
	s_branch .LBB63_1861
.LBB63_1797:
	s_mov_b64 s[20:21], -1
	s_mov_b64 s[18:19], 0
	s_mov_b64 s[6:7], 0
                                        ; implicit-def: $vgpr22_vgpr23
	s_branch .LBB63_1814
.LBB63_1798:
	s_mov_b64 s[20:21], -1
	s_mov_b64 s[18:19], 0
	s_mov_b64 s[6:7], 0
                                        ; implicit-def: $vgpr22_vgpr23
	s_branch .LBB63_1809
.LBB63_1799:
	s_or_b64 s[4:5], s[12:13], exec
	s_trap 2
	s_cbranch_execz .LBB63_1740
	s_branch .LBB63_1741
.LBB63_1800:
	s_mov_b64 s[20:21], -1
	s_mov_b64 s[18:19], 0
	s_mov_b64 s[6:7], 0
                                        ; implicit-def: $vgpr22_vgpr23
	s_branch .LBB63_1804
.LBB63_1801:
	s_andn2_saveexec_b64 s[20:21], s[20:21]
	s_cbranch_execz .LBB63_1547
.LBB63_1802:
	v_add_f32_e32 v0, 0x42800000, v1
	v_and_b32_e32 v0, 0xff, v0
	v_cmp_ne_u32_e32 vcc, 0, v0
	s_andn2_b64 s[18:19], s[18:19], exec
	s_and_b64 s[30:31], vcc, exec
	s_or_b64 s[18:19], s[18:19], s[30:31]
	s_or_b64 exec, exec, s[20:21]
	v_mov_b32_e32 v2, 0
	s_and_saveexec_b64 s[20:21], s[18:19]
	s_cbranch_execnz .LBB63_1548
	s_branch .LBB63_1549
.LBB63_1803:
	s_mov_b64 s[6:7], -1
                                        ; implicit-def: $vgpr22_vgpr23
	s_mov_b64 s[18:19], 0
.LBB63_1804:
	s_and_b64 vcc, exec, s[20:21]
	s_cbranch_vccz .LBB63_1808
; %bb.1805:
	s_cmp_eq_u32 s24, 44
	s_cbranch_scc0 .LBB63_1807
; %bb.1806:
	global_load_ubyte v1, v[18:19], off
	s_mov_b32 s6, 0x2f800000
	s_mov_b32 s7, 0xcf800000
	s_mov_b64 s[18:19], -1
	s_waitcnt vmcnt(0)
	v_lshlrev_b32_e32 v3, 23, v1
	v_trunc_f32_e32 v3, v3
	v_mul_f32_e64 v5, |v3|, s6
	v_floor_f32_e32 v5, v5
	v_fma_f32 v8, v5, s7, |v3|
	v_cvt_u32_f32_e32 v8, v8
	v_cvt_u32_f32_e32 v5, v5
	v_ashrrev_i32_e32 v3, 31, v3
	s_mov_b64 s[6:7], 0
	v_xor_b32_e32 v8, v8, v3
	v_xor_b32_e32 v5, v5, v3
	v_sub_co_u32_e32 v8, vcc, v8, v3
	v_subb_co_u32_e32 v3, vcc, v5, v3, vcc
	v_cmp_ne_u32_e32 vcc, 0, v1
	v_cndmask_b32_e32 v23, 0, v3, vcc
	v_cndmask_b32_e32 v22, 0, v8, vcc
	s_branch .LBB63_1808
.LBB63_1807:
	s_mov_b64 s[6:7], -1
                                        ; implicit-def: $vgpr22_vgpr23
.LBB63_1808:
	s_mov_b64 s[20:21], 0
.LBB63_1809:
	s_and_b64 vcc, exec, s[20:21]
	s_cbranch_vccz .LBB63_1813
; %bb.1810:
	s_cmp_eq_u32 s24, 29
	s_cbranch_scc0 .LBB63_1812
; %bb.1811:
	global_load_dwordx2 v[22:23], v[18:19], off
	s_mov_b64 s[6:7], 0
	s_mov_b64 s[18:19], -1
	s_branch .LBB63_1813
.LBB63_1812:
	s_mov_b64 s[6:7], -1
                                        ; implicit-def: $vgpr22_vgpr23
.LBB63_1813:
	s_mov_b64 s[20:21], 0
.LBB63_1814:
	s_and_b64 vcc, exec, s[20:21]
	s_cbranch_vccz .LBB63_1832
; %bb.1815:
	s_cmp_lt_i32 s24, 27
	s_cbranch_scc1 .LBB63_1818
; %bb.1816:
	s_cmp_gt_i32 s24, 27
	s_cbranch_scc0 .LBB63_1819
; %bb.1817:
	global_load_dword v22, v[18:19], off
	s_waitcnt vmcnt(1)
	v_mov_b32_e32 v23, 0
	s_mov_b64 s[18:19], 0
	s_branch .LBB63_1820
.LBB63_1818:
	s_mov_b64 s[18:19], -1
                                        ; implicit-def: $vgpr22_vgpr23
	s_branch .LBB63_1823
.LBB63_1819:
	s_mov_b64 s[18:19], -1
                                        ; implicit-def: $vgpr22_vgpr23
.LBB63_1820:
	s_andn2_b64 vcc, exec, s[18:19]
	s_cbranch_vccnz .LBB63_1822
; %bb.1821:
	global_load_ushort v1, v[18:19], off
	s_mov_b32 s18, 0
	s_waitcnt vmcnt(1)
	v_mov_b32_e32 v23, s18
	s_waitcnt vmcnt(0)
	v_and_b32_e32 v22, 0xffff, v1
.LBB63_1822:
	s_mov_b64 s[18:19], 0
.LBB63_1823:
	s_andn2_b64 vcc, exec, s[18:19]
	s_cbranch_vccnz .LBB63_1831
; %bb.1824:
	global_load_ubyte v1, v[18:19], off
	s_movk_i32 s18, 0x7f
	s_mov_b64 s[20:21], 0
	s_waitcnt vmcnt(0)
	v_cmp_lt_i16_e32 vcc, s18, v1
	s_and_saveexec_b64 s[18:19], vcc
	s_xor_b64 s[18:19], exec, s[18:19]
; %bb.1825:
	s_movk_i32 s20, 0x80
	v_cmp_ne_u16_e32 vcc, s20, v1
	s_and_b64 s[20:21], vcc, exec
; %bb.1826:
	s_andn2_saveexec_b64 s[18:19], s[18:19]
; %bb.1827:
	v_cmp_ne_u16_e32 vcc, 0, v1
	s_andn2_b64 s[20:21], s[20:21], exec
	s_and_b64 s[26:27], vcc, exec
	s_or_b64 s[20:21], s[20:21], s[26:27]
; %bb.1828:
	s_or_b64 exec, exec, s[18:19]
	v_mov_b32_e32 v22, 0
	v_mov_b32_e32 v23, 0
	s_and_saveexec_b64 s[18:19], s[20:21]
	s_cbranch_execz .LBB63_1830
; %bb.1829:
	v_lshlrev_b32_e32 v3, 24, v1
	v_and_b32_e32 v1, 0xffff, v1
	v_and_b32_e32 v5, 7, v1
	v_ffbh_u32_e32 v10, v5
	v_min_u32_e32 v10, 32, v10
	v_subrev_u32_e32 v12, 28, v10
	v_bfe_u32 v8, v1, 3, 4
	v_lshlrev_b32_e32 v1, v12, v1
	v_sub_u32_e32 v10, 29, v10
	v_and_b32_e32 v1, 7, v1
	v_cmp_eq_u32_e32 vcc, 0, v8
	v_cndmask_b32_e32 v8, v8, v10, vcc
	v_cndmask_b32_e32 v1, v5, v1, vcc
	v_mov_b32_e32 v5, 0x3b800000
	v_lshlrev_b32_e32 v1, 20, v1
	v_and_b32_e32 v3, 0x80000000, v3
	v_lshl_add_u32 v5, v8, 23, v5
	v_or3_b32 v1, v3, v5, v1
	v_trunc_f32_e32 v1, v1
	s_mov_b32 s20, 0x2f800000
	v_mul_f32_e64 v3, |v1|, s20
	v_floor_f32_e32 v3, v3
	s_mov_b32 s20, 0xcf800000
	v_fma_f32 v5, v3, s20, |v1|
	v_cvt_u32_f32_e32 v5, v5
	v_cvt_u32_f32_e32 v3, v3
	v_ashrrev_i32_e32 v1, 31, v1
	v_xor_b32_e32 v5, v5, v1
	v_xor_b32_e32 v3, v3, v1
	v_sub_co_u32_e32 v22, vcc, v5, v1
	v_subb_co_u32_e32 v23, vcc, v3, v1, vcc
.LBB63_1830:
	s_or_b64 exec, exec, s[18:19]
.LBB63_1831:
	s_mov_b64 s[18:19], -1
.LBB63_1832:
	s_branch .LBB63_1861
.LBB63_1833:
	s_cmp_gt_i32 s24, 22
	s_cbranch_scc0 .LBB63_1843
; %bb.1834:
	s_cmp_lt_i32 s24, 24
	s_cbranch_scc1 .LBB63_1844
; %bb.1835:
	s_cmp_gt_i32 s24, 24
	s_cbranch_scc0 .LBB63_1845
; %bb.1836:
	global_load_ubyte v1, v[18:19], off
	s_movk_i32 s16, 0x7f
	s_mov_b64 s[18:19], 0
	s_waitcnt vmcnt(0)
	v_cmp_lt_i16_e32 vcc, s16, v1
	s_and_saveexec_b64 s[16:17], vcc
	s_xor_b64 s[16:17], exec, s[16:17]
; %bb.1837:
	s_movk_i32 s18, 0x80
	v_cmp_ne_u16_e32 vcc, s18, v1
	s_and_b64 s[18:19], vcc, exec
; %bb.1838:
	s_andn2_saveexec_b64 s[16:17], s[16:17]
; %bb.1839:
	v_cmp_ne_u16_e32 vcc, 0, v1
	s_andn2_b64 s[18:19], s[18:19], exec
	s_and_b64 s[20:21], vcc, exec
	s_or_b64 s[18:19], s[18:19], s[20:21]
; %bb.1840:
	s_or_b64 exec, exec, s[16:17]
	v_mov_b32_e32 v22, 0
	v_mov_b32_e32 v23, 0
	s_and_saveexec_b64 s[16:17], s[18:19]
	s_cbranch_execz .LBB63_1842
; %bb.1841:
	v_lshlrev_b32_e32 v3, 24, v1
	v_and_b32_e32 v1, 0xffff, v1
	v_and_b32_e32 v5, 3, v1
	v_ffbh_u32_e32 v10, v5
	v_min_u32_e32 v10, 32, v10
	v_subrev_u32_e32 v12, 29, v10
	v_bfe_u32 v8, v1, 2, 5
	v_lshlrev_b32_e32 v1, v12, v1
	v_sub_u32_e32 v10, 30, v10
	v_and_b32_e32 v1, 3, v1
	v_cmp_eq_u32_e32 vcc, 0, v8
	v_cndmask_b32_e32 v8, v8, v10, vcc
	v_cndmask_b32_e32 v1, v5, v1, vcc
	v_mov_b32_e32 v5, 0x37800000
	v_lshlrev_b32_e32 v1, 21, v1
	v_and_b32_e32 v3, 0x80000000, v3
	v_lshl_add_u32 v5, v8, 23, v5
	v_or3_b32 v1, v3, v5, v1
	v_trunc_f32_e32 v1, v1
	s_mov_b32 s18, 0x2f800000
	v_mul_f32_e64 v3, |v1|, s18
	v_floor_f32_e32 v3, v3
	s_mov_b32 s18, 0xcf800000
	v_fma_f32 v5, v3, s18, |v1|
	v_cvt_u32_f32_e32 v5, v5
	v_cvt_u32_f32_e32 v3, v3
	v_ashrrev_i32_e32 v1, 31, v1
	v_xor_b32_e32 v5, v5, v1
	v_xor_b32_e32 v3, v3, v1
	v_sub_co_u32_e32 v22, vcc, v5, v1
	v_subb_co_u32_e32 v23, vcc, v3, v1, vcc
.LBB63_1842:
	s_or_b64 exec, exec, s[16:17]
	s_mov_b64 s[16:17], 0
	s_branch .LBB63_1846
.LBB63_1843:
	s_mov_b64 s[16:17], -1
                                        ; implicit-def: $vgpr22_vgpr23
	s_branch .LBB63_1852
.LBB63_1844:
	s_mov_b64 s[16:17], -1
                                        ; implicit-def: $vgpr22_vgpr23
	s_branch .LBB63_1849
.LBB63_1845:
	s_mov_b64 s[16:17], -1
                                        ; implicit-def: $vgpr22_vgpr23
.LBB63_1846:
	s_and_b64 vcc, exec, s[16:17]
	s_cbranch_vccz .LBB63_1848
; %bb.1847:
	global_load_ubyte v1, v[18:19], off
	s_mov_b32 s16, 0x7f800000
	s_brev_b32 s17, 1
	s_mov_b32 s18, 0x2f800000
	s_mov_b32 s19, 0xcf800000
	s_waitcnt vmcnt(0)
	v_lshlrev_b32_e32 v1, 24, v1
	v_and_b32_e32 v3, 0x7f000000, v1
	v_ffbh_u32_e32 v5, v3
	v_min_u32_e32 v5, 32, v5
	v_sub_u32_e64 v5, v5, 4 clamp
	v_lshlrev_b32_e32 v10, v5, v3
	v_lshlrev_b32_e32 v5, 23, v5
	v_lshrrev_b32_e32 v10, 4, v10
	v_add_u32_e32 v8, 0x1000000, v3
	v_sub_u32_e32 v5, v10, v5
	v_ashrrev_i32_e32 v8, 8, v8
	v_add_u32_e32 v5, 0x3c000000, v5
	v_and_or_b32 v5, v8, s16, v5
	v_cmp_ne_u32_e32 vcc, 0, v3
	v_cndmask_b32_e32 v3, 0, v5, vcc
	v_and_or_b32 v1, v1, s17, v3
	v_trunc_f32_e32 v1, v1
	v_mul_f32_e64 v3, |v1|, s18
	v_floor_f32_e32 v3, v3
	v_fma_f32 v5, v3, s19, |v1|
	v_cvt_u32_f32_e32 v5, v5
	v_cvt_u32_f32_e32 v3, v3
	v_ashrrev_i32_e32 v1, 31, v1
	v_xor_b32_e32 v5, v5, v1
	v_xor_b32_e32 v3, v3, v1
	v_sub_co_u32_e32 v22, vcc, v5, v1
	v_subb_co_u32_e32 v23, vcc, v3, v1, vcc
.LBB63_1848:
	s_mov_b64 s[16:17], 0
.LBB63_1849:
	s_andn2_b64 vcc, exec, s[16:17]
	s_cbranch_vccnz .LBB63_1851
; %bb.1850:
	global_load_ubyte v1, v[18:19], off
	s_movk_i32 s16, 0x7f00
	s_brev_b32 s17, 16
	s_brev_b32 s18, 1
	s_mov_b32 s19, 0x2f800000
	s_mov_b32 s20, 0xcf800000
	s_waitcnt vmcnt(0)
	v_lshlrev_b16_e32 v3, 8, v1
	v_lshlrev_b32_e32 v1, 25, v1
	v_lshrrev_b32_e32 v5, 4, v1
	v_and_or_b32 v8, v3, s16, 0.5
	v_or_b32_e32 v5, 0x70000000, v5
	v_add_f32_e32 v8, -0.5, v8
	v_mul_f32_e32 v5, 0x7800000, v5
	v_cmp_gt_u32_e32 vcc, s17, v1
	v_bfe_i32 v3, v3, 0, 16
	v_cndmask_b32_e32 v1, v5, v8, vcc
	v_and_or_b32 v1, v3, s18, v1
	v_trunc_f32_e32 v1, v1
	v_mul_f32_e64 v3, |v1|, s19
	v_floor_f32_e32 v3, v3
	v_fma_f32 v5, v3, s20, |v1|
	v_cvt_u32_f32_e32 v5, v5
	v_cvt_u32_f32_e32 v3, v3
	v_ashrrev_i32_e32 v1, 31, v1
	v_xor_b32_e32 v5, v5, v1
	v_xor_b32_e32 v3, v3, v1
	v_sub_co_u32_e32 v22, vcc, v5, v1
	v_subb_co_u32_e32 v23, vcc, v3, v1, vcc
.LBB63_1851:
	s_mov_b64 s[16:17], 0
	s_mov_b64 s[18:19], -1
.LBB63_1852:
	s_andn2_b64 vcc, exec, s[16:17]
	s_mov_b64 s[16:17], 0
	s_cbranch_vccnz .LBB63_1861
; %bb.1853:
	s_cmp_gt_i32 s24, 14
	s_cbranch_scc0 .LBB63_1856
; %bb.1854:
	s_cmp_eq_u32 s24, 15
	s_cbranch_scc0 .LBB63_1857
; %bb.1855:
	global_load_ushort v1, v[18:19], off
	s_mov_b32 s6, 0x2f800000
	s_mov_b32 s7, 0xcf800000
	s_mov_b64 s[18:19], -1
	s_waitcnt vmcnt(0)
	v_lshlrev_b32_e32 v1, 16, v1
	v_trunc_f32_e32 v1, v1
	v_mul_f32_e64 v3, |v1|, s6
	v_floor_f32_e32 v3, v3
	v_fma_f32 v5, v3, s7, |v1|
	v_cvt_u32_f32_e32 v5, v5
	v_cvt_u32_f32_e32 v3, v3
	v_ashrrev_i32_e32 v1, 31, v1
	s_mov_b64 s[6:7], 0
	v_xor_b32_e32 v5, v5, v1
	v_xor_b32_e32 v3, v3, v1
	v_sub_co_u32_e32 v22, vcc, v5, v1
	v_subb_co_u32_e32 v23, vcc, v3, v1, vcc
	s_branch .LBB63_1858
.LBB63_1856:
	s_mov_b64 s[20:21], -1
                                        ; implicit-def: $vgpr22_vgpr23
	s_branch .LBB63_1859
.LBB63_1857:
	s_mov_b64 s[6:7], -1
                                        ; implicit-def: $vgpr22_vgpr23
.LBB63_1858:
	s_mov_b64 s[20:21], 0
.LBB63_1859:
	s_and_b64 vcc, exec, s[20:21]
	s_cbranch_vccz .LBB63_1861
; %bb.1860:
	s_cmp_lg_u32 s24, 11
	s_mov_b64 s[16:17], -1
	s_cselect_b64 s[6:7], -1, 0
.LBB63_1861:
	s_and_b64 vcc, exec, s[6:7]
	s_cbranch_vccnz .LBB63_1940
; %bb.1862:
	s_andn2_b64 vcc, exec, s[16:17]
	s_cbranch_vccnz .LBB63_1864
.LBB63_1863:
	global_load_ubyte v1, v[18:19], off
	s_mov_b32 s6, 0
	s_waitcnt vmcnt(1)
	v_mov_b32_e32 v23, s6
	s_mov_b64 s[18:19], -1
	s_waitcnt vmcnt(0)
	v_cmp_ne_u16_e32 vcc, 0, v1
	v_cndmask_b32_e64 v22, 0, 1, vcc
.LBB63_1864:
	s_branch .LBB63_1795
.LBB63_1865:
	s_and_b32 s16, 0xffff, s23
	s_cmp_lt_i32 s16, 5
	s_cbranch_scc1 .LBB63_1870
; %bb.1866:
	s_cmp_lt_i32 s16, 8
	s_cbranch_scc1 .LBB63_1871
; %bb.1867:
	;; [unrolled: 3-line block ×3, first 2 shown]
	s_cmp_gt_i32 s16, 9
	s_cbranch_scc0 .LBB63_1873
; %bb.1869:
	global_load_dwordx2 v[22:23], v[18:19], off
	s_movk_i32 s6, 0xffe0
	s_waitcnt vmcnt(0)
	v_trunc_f64_e32 v[22:23], v[22:23]
	v_ldexp_f64 v[24:25], v[22:23], s6
	s_mov_b32 s6, 0
	s_mov_b32 s7, 0xc1f00000
	v_floor_f64_e32 v[24:25], v[24:25]
	v_fma_f64 v[26:27], v[24:25], s[6:7], v[22:23]
	v_cvt_i32_f64_e32 v23, v[24:25]
	s_mov_b64 s[6:7], 0
	v_cvt_u32_f64_e32 v22, v[26:27]
	s_branch .LBB63_1874
.LBB63_1870:
                                        ; implicit-def: $vgpr22_vgpr23
	s_branch .LBB63_1892
.LBB63_1871:
	s_mov_b64 s[6:7], -1
                                        ; implicit-def: $vgpr22_vgpr23
	s_branch .LBB63_1880
.LBB63_1872:
	s_mov_b64 s[6:7], -1
                                        ; implicit-def: $vgpr22_vgpr23
	s_branch .LBB63_1877
.LBB63_1873:
	s_mov_b64 s[6:7], -1
                                        ; implicit-def: $vgpr22_vgpr23
.LBB63_1874:
	s_andn2_b64 vcc, exec, s[6:7]
	s_cbranch_vccnz .LBB63_1876
; %bb.1875:
	global_load_dword v1, v[18:19], off
	s_mov_b32 s6, 0x2f800000
	s_mov_b32 s7, 0xcf800000
	s_waitcnt vmcnt(0)
	v_trunc_f32_e32 v1, v1
	v_mul_f32_e64 v3, |v1|, s6
	v_floor_f32_e32 v3, v3
	v_cvt_u32_f32_e32 v5, v3
	v_fma_f32 v3, v3, s7, |v1|
	v_cvt_u32_f32_e32 v3, v3
	v_ashrrev_i32_e32 v1, 31, v1
	v_xor_b32_e32 v5, v5, v1
	v_xor_b32_e32 v3, v3, v1
	v_sub_co_u32_e32 v22, vcc, v3, v1
	v_subb_co_u32_e32 v23, vcc, v5, v1, vcc
.LBB63_1876:
	s_mov_b64 s[6:7], 0
.LBB63_1877:
	s_andn2_b64 vcc, exec, s[6:7]
	s_cbranch_vccnz .LBB63_1879
; %bb.1878:
	global_load_dword v1, v[18:19], off
	s_waitcnt vmcnt(0)
	v_cvt_f32_f16_e32 v1, v1
	v_cvt_i32_f32_e32 v22, v1
	v_ashrrev_i32_e32 v23, 31, v22
.LBB63_1879:
	s_mov_b64 s[6:7], 0
.LBB63_1880:
	s_andn2_b64 vcc, exec, s[6:7]
	s_cbranch_vccnz .LBB63_1891
; %bb.1881:
	s_cmp_lt_i32 s16, 6
	s_cbranch_scc1 .LBB63_1884
; %bb.1882:
	s_cmp_gt_i32 s16, 6
	s_cbranch_scc0 .LBB63_1885
; %bb.1883:
	global_load_dwordx2 v[22:23], v[18:19], off
	s_movk_i32 s6, 0xffe0
	s_waitcnt vmcnt(0)
	v_trunc_f64_e32 v[22:23], v[22:23]
	v_ldexp_f64 v[24:25], v[22:23], s6
	s_mov_b32 s6, 0
	s_mov_b32 s7, 0xc1f00000
	v_floor_f64_e32 v[24:25], v[24:25]
	v_fma_f64 v[26:27], v[24:25], s[6:7], v[22:23]
	v_cvt_i32_f64_e32 v23, v[24:25]
	s_mov_b64 s[6:7], 0
	v_cvt_u32_f64_e32 v22, v[26:27]
	s_branch .LBB63_1886
.LBB63_1884:
	s_mov_b64 s[6:7], -1
                                        ; implicit-def: $vgpr22_vgpr23
	s_branch .LBB63_1889
.LBB63_1885:
	s_mov_b64 s[6:7], -1
                                        ; implicit-def: $vgpr22_vgpr23
.LBB63_1886:
	s_andn2_b64 vcc, exec, s[6:7]
	s_cbranch_vccnz .LBB63_1888
; %bb.1887:
	global_load_dword v1, v[18:19], off
	s_mov_b32 s6, 0x2f800000
	s_mov_b32 s7, 0xcf800000
	s_waitcnt vmcnt(0)
	v_trunc_f32_e32 v1, v1
	v_mul_f32_e64 v3, |v1|, s6
	v_floor_f32_e32 v3, v3
	v_cvt_u32_f32_e32 v5, v3
	v_fma_f32 v3, v3, s7, |v1|
	v_cvt_u32_f32_e32 v3, v3
	v_ashrrev_i32_e32 v1, 31, v1
	v_xor_b32_e32 v5, v5, v1
	v_xor_b32_e32 v3, v3, v1
	v_sub_co_u32_e32 v22, vcc, v3, v1
	v_subb_co_u32_e32 v23, vcc, v5, v1, vcc
.LBB63_1888:
	s_mov_b64 s[6:7], 0
.LBB63_1889:
	s_andn2_b64 vcc, exec, s[6:7]
	s_cbranch_vccnz .LBB63_1891
; %bb.1890:
	global_load_ushort v1, v[18:19], off
	s_waitcnt vmcnt(0)
	v_cvt_f32_f16_e32 v1, v1
	v_cvt_i32_f32_e32 v22, v1
	v_ashrrev_i32_e32 v23, 31, v22
.LBB63_1891:
	s_cbranch_execnz .LBB63_1911
.LBB63_1892:
	s_cmp_lt_i32 s16, 2
	s_cbranch_scc1 .LBB63_1896
; %bb.1893:
	s_cmp_lt_i32 s16, 3
	s_cbranch_scc1 .LBB63_1897
; %bb.1894:
	s_cmp_gt_i32 s16, 3
	s_cbranch_scc0 .LBB63_1898
; %bb.1895:
	global_load_dwordx2 v[22:23], v[18:19], off
	s_mov_b64 s[6:7], 0
	s_branch .LBB63_1899
.LBB63_1896:
	s_mov_b64 s[6:7], -1
                                        ; implicit-def: $vgpr22_vgpr23
	s_branch .LBB63_1905
.LBB63_1897:
	s_mov_b64 s[6:7], -1
                                        ; implicit-def: $vgpr22_vgpr23
	s_branch .LBB63_1902
.LBB63_1898:
	s_mov_b64 s[6:7], -1
                                        ; implicit-def: $vgpr22_vgpr23
.LBB63_1899:
	s_andn2_b64 vcc, exec, s[6:7]
	s_cbranch_vccnz .LBB63_1901
; %bb.1900:
	global_load_dword v22, v[18:19], off
	s_waitcnt vmcnt(0)
	v_ashrrev_i32_e32 v23, 31, v22
.LBB63_1901:
	s_mov_b64 s[6:7], 0
.LBB63_1902:
	s_andn2_b64 vcc, exec, s[6:7]
	s_cbranch_vccnz .LBB63_1904
; %bb.1903:
	global_load_ushort v1, v[18:19], off
	s_waitcnt vmcnt(0)
	v_bfe_i32 v22, v1, 0, 16
	v_ashrrev_i32_e32 v23, 31, v22
.LBB63_1904:
	s_mov_b64 s[6:7], 0
.LBB63_1905:
	s_andn2_b64 vcc, exec, s[6:7]
	s_cbranch_vccnz .LBB63_1911
; %bb.1906:
	s_cmp_gt_i32 s16, 0
	s_cbranch_scc0 .LBB63_1908
; %bb.1907:
	global_load_sbyte v1, v[18:19], off
	s_mov_b64 s[6:7], 0
	s_waitcnt vmcnt(0)
	v_bfe_i32 v22, v1, 0, 16
	v_ashrrev_i32_e32 v23, 31, v22
	s_branch .LBB63_1909
.LBB63_1908:
	s_mov_b64 s[6:7], -1
                                        ; implicit-def: $vgpr22_vgpr23
.LBB63_1909:
	s_andn2_b64 vcc, exec, s[6:7]
	s_cbranch_vccnz .LBB63_1911
; %bb.1910:
	global_load_ubyte v1, v[18:19], off
	s_mov_b32 s6, 0
	s_waitcnt vmcnt(1)
	v_mov_b32_e32 v23, s6
	s_waitcnt vmcnt(0)
	v_and_b32_e32 v22, 0xffff, v1
.LBB63_1911:
.LBB63_1912:
	s_load_dword s26, s[2:3], 0x1a0
	s_mov_b64 s[16:17], 0
	s_waitcnt lgkmcnt(0)
	s_cmp_lt_i32 s26, 1
	s_cbranch_scc1 .LBB63_1916
; %bb.1913:
	s_cmp_gt_i32 s26, 1
	s_cbranch_scc0 .LBB63_1917
; %bb.1914:
	s_cmp_eq_u32 s26, 2
	s_cbranch_scc0 .LBB63_1918
; %bb.1915:
	s_waitcnt vmcnt(0)
	v_cmp_le_i64_e64 s[6:7], v[20:21], v[22:23]
	s_mov_b64 s[18:19], 0
	s_branch .LBB63_1919
.LBB63_1916:
                                        ; implicit-def: $sgpr6_sgpr7
	s_mov_b64 s[18:19], 0
	s_cbranch_execnz .LBB63_1923
	s_branch .LBB63_1924
.LBB63_1917:
	s_mov_b64 s[20:21], -1
	s_mov_b64 s[18:19], 0
                                        ; implicit-def: $sgpr6_sgpr7
	s_branch .LBB63_1920
.LBB63_1918:
	s_mov_b64 s[18:19], -1
                                        ; implicit-def: $sgpr6_sgpr7
.LBB63_1919:
	s_mov_b64 s[20:21], 0
.LBB63_1920:
	s_and_b64 vcc, exec, s[20:21]
	s_cbranch_vccz .LBB63_1922
; %bb.1921:
	s_waitcnt vmcnt(0)
	v_cmp_gt_i64_e32 vcc, v[20:21], v[22:23]
	s_andn2_b64 s[6:7], s[6:7], exec
	s_and_b64 s[20:21], vcc, exec
	s_or_b64 s[6:7], s[6:7], s[20:21]
.LBB63_1922:
	s_branch .LBB63_1924
.LBB63_1923:
	s_cmp_lg_u32 s26, 0
	s_mov_b64 s[16:17], -1
	s_cselect_b64 s[18:19], -1, 0
.LBB63_1924:
	s_andn2_b64 vcc, exec, s[18:19]
	s_cbranch_vccnz .LBB63_1926
; %bb.1925:
	s_waitcnt vmcnt(0)
	v_cmp_lt_i64_e32 vcc, v[20:21], v[22:23]
	s_andn2_b64 s[6:7], s[6:7], exec
	s_and_b64 s[18:19], vcc, exec
	s_or_b64 s[6:7], s[6:7], s[18:19]
	s_cbranch_execz .LBB63_1927
	s_branch .LBB63_1928
.LBB63_1926:
	s_andn2_b64 vcc, exec, s[16:17]
	s_cbranch_vccnz .LBB63_1928
.LBB63_1927:
	s_waitcnt vmcnt(0)
	v_cmp_ge_i64_e32 vcc, v[20:21], v[22:23]
	s_andn2_b64 s[6:7], s[6:7], exec
	s_and_b64 s[16:17], vcc, exec
	s_or_b64 s[6:7], s[6:7], s[16:17]
.LBB63_1928:
	s_lshr_b32 s16, s22, 8
	s_lshr_b32 s24, s22, 16
	v_mov_b32_e32 v1, s11
	s_and_b32 s27, s16, 0xff
	v_add_co_u32_e32 v18, vcc, s10, v17
	s_cmp_lt_i32 s27, 11
	v_addc_co_u32_e32 v19, vcc, 0, v1, vcc
	s_cbranch_scc1 .LBB63_1935
; %bb.1929:
	s_and_b32 s25, 0xffff, s27
	s_cmp_gt_i32 s25, 25
	s_mov_b64 s[18:19], 0
	s_cbranch_scc0 .LBB63_1937
; %bb.1930:
	s_cmp_gt_i32 s25, 28
	s_cbranch_scc0 .LBB63_1938
; %bb.1931:
	s_cmp_gt_i32 s25, 43
	;; [unrolled: 3-line block ×3, first 2 shown]
	s_cbranch_scc0 .LBB63_1941
; %bb.1933:
	s_cmp_eq_u32 s25, 46
	s_mov_b64 s[22:23], 0
	s_cbranch_scc0 .LBB63_1942
; %bb.1934:
	global_load_dword v1, v[18:19], off
	s_mov_b32 s16, 0x2f800000
	s_mov_b32 s17, 0xcf800000
	s_mov_b64 s[20:21], -1
	s_waitcnt vmcnt(0)
	v_lshlrev_b32_e32 v1, 16, v1
	v_trunc_f32_e32 v1, v1
	v_mul_f32_e64 v3, |v1|, s16
	v_floor_f32_e32 v3, v3
	v_fma_f32 v5, v3, s17, |v1|
	v_cvt_u32_f32_e32 v5, v5
	v_cvt_u32_f32_e32 v3, v3
	v_ashrrev_i32_e32 v1, 31, v1
	s_mov_b64 s[16:17], 0
	v_xor_b32_e32 v5, v5, v1
	v_xor_b32_e32 v3, v3, v1
	v_sub_co_u32_e32 v16, vcc, v5, v1
	v_subb_co_u32_e32 v17, vcc, v3, v1, vcc
	s_branch .LBB63_1943
.LBB63_1935:
	s_mov_b64 s[20:21], 0
                                        ; implicit-def: $vgpr16_vgpr17
	s_cbranch_execnz .LBB63_2005
.LBB63_1936:
	s_andn2_b64 vcc, exec, s[20:21]
	s_cbranch_vccnz .LBB63_2723
	s_branch .LBB63_2053
.LBB63_1937:
	s_mov_b64 s[22:23], -1
	s_mov_b64 s[20:21], 0
	s_mov_b64 s[16:17], 0
                                        ; implicit-def: $vgpr16_vgpr17
	s_branch .LBB63_1972
.LBB63_1938:
	s_mov_b64 s[22:23], -1
	s_mov_b64 s[20:21], 0
	s_mov_b64 s[16:17], 0
                                        ; implicit-def: $vgpr16_vgpr17
	s_branch .LBB63_1953
.LBB63_1939:
	s_mov_b64 s[22:23], -1
	s_mov_b64 s[20:21], 0
	s_mov_b64 s[16:17], 0
                                        ; implicit-def: $vgpr16_vgpr17
	s_branch .LBB63_1948
.LBB63_1940:
	s_trap 2
	s_or_b64 s[4:5], s[4:5], exec
	s_cbranch_execz .LBB63_1863
	s_branch .LBB63_1864
.LBB63_1941:
	s_mov_b64 s[22:23], -1
	s_mov_b64 s[20:21], 0
	s_mov_b64 s[16:17], 0
                                        ; implicit-def: $vgpr16_vgpr17
	s_branch .LBB63_1943
.LBB63_1942:
	s_mov_b64 s[16:17], -1
                                        ; implicit-def: $vgpr16_vgpr17
	s_mov_b64 s[20:21], 0
.LBB63_1943:
	s_and_b64 vcc, exec, s[22:23]
	s_cbranch_vccz .LBB63_1947
; %bb.1944:
	s_cmp_eq_u32 s25, 44
	s_cbranch_scc0 .LBB63_1946
; %bb.1945:
	global_load_ubyte v1, v[18:19], off
	s_mov_b32 s16, 0x2f800000
	s_mov_b32 s17, 0xcf800000
	s_mov_b64 s[20:21], -1
	s_waitcnt vmcnt(0)
	v_lshlrev_b32_e32 v3, 23, v1
	v_trunc_f32_e32 v3, v3
	v_mul_f32_e64 v5, |v3|, s16
	v_floor_f32_e32 v5, v5
	v_fma_f32 v8, v5, s17, |v3|
	v_cvt_u32_f32_e32 v8, v8
	v_cvt_u32_f32_e32 v5, v5
	v_ashrrev_i32_e32 v3, 31, v3
	s_mov_b64 s[16:17], 0
	v_xor_b32_e32 v8, v8, v3
	v_xor_b32_e32 v5, v5, v3
	v_sub_co_u32_e32 v8, vcc, v8, v3
	v_subb_co_u32_e32 v3, vcc, v5, v3, vcc
	v_cmp_ne_u32_e32 vcc, 0, v1
	v_cndmask_b32_e32 v17, 0, v3, vcc
	v_cndmask_b32_e32 v16, 0, v8, vcc
	s_branch .LBB63_1947
.LBB63_1946:
	s_mov_b64 s[16:17], -1
                                        ; implicit-def: $vgpr16_vgpr17
.LBB63_1947:
	s_mov_b64 s[22:23], 0
.LBB63_1948:
	s_and_b64 vcc, exec, s[22:23]
	s_cbranch_vccz .LBB63_1952
; %bb.1949:
	s_cmp_eq_u32 s25, 29
	s_cbranch_scc0 .LBB63_1951
; %bb.1950:
	global_load_dwordx2 v[16:17], v[18:19], off
	s_mov_b64 s[16:17], 0
	s_mov_b64 s[20:21], -1
	s_branch .LBB63_1952
.LBB63_1951:
	s_mov_b64 s[16:17], -1
                                        ; implicit-def: $vgpr16_vgpr17
.LBB63_1952:
	s_mov_b64 s[22:23], 0
.LBB63_1953:
	s_and_b64 vcc, exec, s[22:23]
	s_cbranch_vccz .LBB63_1971
; %bb.1954:
	s_cmp_lt_i32 s25, 27
	s_cbranch_scc1 .LBB63_1957
; %bb.1955:
	s_cmp_gt_i32 s25, 27
	s_cbranch_scc0 .LBB63_1958
; %bb.1956:
	global_load_dword v16, v[18:19], off
	s_waitcnt vmcnt(1)
	v_mov_b32_e32 v17, 0
	s_mov_b64 s[20:21], 0
	s_branch .LBB63_1959
.LBB63_1957:
	s_mov_b64 s[20:21], -1
                                        ; implicit-def: $vgpr16_vgpr17
	s_branch .LBB63_1962
.LBB63_1958:
	s_mov_b64 s[20:21], -1
                                        ; implicit-def: $vgpr16_vgpr17
.LBB63_1959:
	s_andn2_b64 vcc, exec, s[20:21]
	s_cbranch_vccnz .LBB63_1961
; %bb.1960:
	global_load_ushort v1, v[18:19], off
	s_mov_b32 s20, 0
	s_waitcnt vmcnt(1)
	v_mov_b32_e32 v17, s20
	s_waitcnt vmcnt(0)
	v_and_b32_e32 v16, 0xffff, v1
.LBB63_1961:
	s_mov_b64 s[20:21], 0
.LBB63_1962:
	s_andn2_b64 vcc, exec, s[20:21]
	s_cbranch_vccnz .LBB63_1970
; %bb.1963:
	global_load_ubyte v1, v[18:19], off
	s_movk_i32 s20, 0x7f
	s_mov_b64 s[22:23], 0
	s_waitcnt vmcnt(0)
	v_cmp_lt_i16_e32 vcc, s20, v1
	s_and_saveexec_b64 s[20:21], vcc
	s_xor_b64 s[20:21], exec, s[20:21]
; %bb.1964:
	s_movk_i32 s22, 0x80
	v_cmp_ne_u16_e32 vcc, s22, v1
	s_and_b64 s[22:23], vcc, exec
; %bb.1965:
	s_andn2_saveexec_b64 s[20:21], s[20:21]
; %bb.1966:
	v_cmp_ne_u16_e32 vcc, 0, v1
	s_andn2_b64 s[22:23], s[22:23], exec
	s_and_b64 s[28:29], vcc, exec
	s_or_b64 s[22:23], s[22:23], s[28:29]
; %bb.1967:
	s_or_b64 exec, exec, s[20:21]
	v_mov_b32_e32 v16, 0
	v_mov_b32_e32 v17, 0
	s_and_saveexec_b64 s[20:21], s[22:23]
	s_cbranch_execz .LBB63_1969
; %bb.1968:
	v_lshlrev_b32_e32 v3, 24, v1
	v_and_b32_e32 v1, 0xffff, v1
	v_and_b32_e32 v5, 7, v1
	v_ffbh_u32_e32 v10, v5
	v_min_u32_e32 v10, 32, v10
	v_subrev_u32_e32 v12, 28, v10
	v_bfe_u32 v8, v1, 3, 4
	v_lshlrev_b32_e32 v1, v12, v1
	v_sub_u32_e32 v10, 29, v10
	v_and_b32_e32 v1, 7, v1
	v_cmp_eq_u32_e32 vcc, 0, v8
	v_cndmask_b32_e32 v8, v8, v10, vcc
	v_cndmask_b32_e32 v1, v5, v1, vcc
	v_mov_b32_e32 v5, 0x3b800000
	v_lshlrev_b32_e32 v1, 20, v1
	v_and_b32_e32 v3, 0x80000000, v3
	v_lshl_add_u32 v5, v8, 23, v5
	v_or3_b32 v1, v3, v5, v1
	v_trunc_f32_e32 v1, v1
	s_mov_b32 s22, 0x2f800000
	v_mul_f32_e64 v3, |v1|, s22
	v_floor_f32_e32 v3, v3
	s_mov_b32 s22, 0xcf800000
	v_fma_f32 v5, v3, s22, |v1|
	v_cvt_u32_f32_e32 v5, v5
	v_cvt_u32_f32_e32 v3, v3
	v_ashrrev_i32_e32 v1, 31, v1
	v_xor_b32_e32 v5, v5, v1
	v_xor_b32_e32 v3, v3, v1
	v_sub_co_u32_e32 v16, vcc, v5, v1
	v_subb_co_u32_e32 v17, vcc, v3, v1, vcc
.LBB63_1969:
	s_or_b64 exec, exec, s[20:21]
.LBB63_1970:
	s_mov_b64 s[20:21], -1
.LBB63_1971:
	s_mov_b64 s[22:23], 0
.LBB63_1972:
	s_and_b64 vcc, exec, s[22:23]
	s_cbranch_vccz .LBB63_2001
; %bb.1973:
	s_cmp_gt_i32 s25, 22
	s_cbranch_scc0 .LBB63_1983
; %bb.1974:
	s_cmp_lt_i32 s25, 24
	s_cbranch_scc1 .LBB63_1984
; %bb.1975:
	s_cmp_gt_i32 s25, 24
	s_cbranch_scc0 .LBB63_1985
; %bb.1976:
	global_load_ubyte v1, v[18:19], off
	s_movk_i32 s18, 0x7f
	s_mov_b64 s[20:21], 0
	s_waitcnt vmcnt(0)
	v_cmp_lt_i16_e32 vcc, s18, v1
	s_and_saveexec_b64 s[18:19], vcc
	s_xor_b64 s[18:19], exec, s[18:19]
; %bb.1977:
	s_movk_i32 s20, 0x80
	v_cmp_ne_u16_e32 vcc, s20, v1
	s_and_b64 s[20:21], vcc, exec
; %bb.1978:
	s_andn2_saveexec_b64 s[18:19], s[18:19]
; %bb.1979:
	v_cmp_ne_u16_e32 vcc, 0, v1
	s_andn2_b64 s[20:21], s[20:21], exec
	s_and_b64 s[22:23], vcc, exec
	s_or_b64 s[20:21], s[20:21], s[22:23]
; %bb.1980:
	s_or_b64 exec, exec, s[18:19]
	v_mov_b32_e32 v16, 0
	v_mov_b32_e32 v17, 0
	s_and_saveexec_b64 s[18:19], s[20:21]
	s_cbranch_execz .LBB63_1982
; %bb.1981:
	v_lshlrev_b32_e32 v3, 24, v1
	v_and_b32_e32 v1, 0xffff, v1
	v_and_b32_e32 v5, 3, v1
	v_ffbh_u32_e32 v10, v5
	v_min_u32_e32 v10, 32, v10
	v_subrev_u32_e32 v12, 29, v10
	v_bfe_u32 v8, v1, 2, 5
	v_lshlrev_b32_e32 v1, v12, v1
	v_sub_u32_e32 v10, 30, v10
	v_and_b32_e32 v1, 3, v1
	v_cmp_eq_u32_e32 vcc, 0, v8
	v_cndmask_b32_e32 v8, v8, v10, vcc
	v_cndmask_b32_e32 v1, v5, v1, vcc
	v_mov_b32_e32 v5, 0x37800000
	v_lshlrev_b32_e32 v1, 21, v1
	v_and_b32_e32 v3, 0x80000000, v3
	v_lshl_add_u32 v5, v8, 23, v5
	v_or3_b32 v1, v3, v5, v1
	v_trunc_f32_e32 v1, v1
	s_mov_b32 s20, 0x2f800000
	v_mul_f32_e64 v3, |v1|, s20
	v_floor_f32_e32 v3, v3
	s_mov_b32 s20, 0xcf800000
	v_fma_f32 v5, v3, s20, |v1|
	v_cvt_u32_f32_e32 v5, v5
	v_cvt_u32_f32_e32 v3, v3
	v_ashrrev_i32_e32 v1, 31, v1
	v_xor_b32_e32 v5, v5, v1
	v_xor_b32_e32 v3, v3, v1
	v_sub_co_u32_e32 v16, vcc, v5, v1
	v_subb_co_u32_e32 v17, vcc, v3, v1, vcc
.LBB63_1982:
	s_or_b64 exec, exec, s[18:19]
	s_mov_b64 s[18:19], 0
	s_branch .LBB63_1986
.LBB63_1983:
	s_mov_b64 s[18:19], -1
                                        ; implicit-def: $vgpr16_vgpr17
	s_branch .LBB63_1992
.LBB63_1984:
	s_mov_b64 s[18:19], -1
                                        ; implicit-def: $vgpr16_vgpr17
	s_branch .LBB63_1989
.LBB63_1985:
	s_mov_b64 s[18:19], -1
                                        ; implicit-def: $vgpr16_vgpr17
.LBB63_1986:
	s_and_b64 vcc, exec, s[18:19]
	s_cbranch_vccz .LBB63_1988
; %bb.1987:
	global_load_ubyte v1, v[18:19], off
	s_mov_b32 s18, 0x7f800000
	s_brev_b32 s19, 1
	s_mov_b32 s20, 0x2f800000
	s_mov_b32 s21, 0xcf800000
	s_waitcnt vmcnt(0)
	v_lshlrev_b32_e32 v1, 24, v1
	v_and_b32_e32 v3, 0x7f000000, v1
	v_ffbh_u32_e32 v5, v3
	v_min_u32_e32 v5, 32, v5
	v_sub_u32_e64 v5, v5, 4 clamp
	v_lshlrev_b32_e32 v10, v5, v3
	v_lshlrev_b32_e32 v5, 23, v5
	v_lshrrev_b32_e32 v10, 4, v10
	v_add_u32_e32 v8, 0x1000000, v3
	v_sub_u32_e32 v5, v10, v5
	v_ashrrev_i32_e32 v8, 8, v8
	v_add_u32_e32 v5, 0x3c000000, v5
	v_and_or_b32 v5, v8, s18, v5
	v_cmp_ne_u32_e32 vcc, 0, v3
	v_cndmask_b32_e32 v3, 0, v5, vcc
	v_and_or_b32 v1, v1, s19, v3
	v_trunc_f32_e32 v1, v1
	v_mul_f32_e64 v3, |v1|, s20
	v_floor_f32_e32 v3, v3
	v_fma_f32 v5, v3, s21, |v1|
	v_cvt_u32_f32_e32 v5, v5
	v_cvt_u32_f32_e32 v3, v3
	v_ashrrev_i32_e32 v1, 31, v1
	v_xor_b32_e32 v5, v5, v1
	v_xor_b32_e32 v3, v3, v1
	v_sub_co_u32_e32 v16, vcc, v5, v1
	v_subb_co_u32_e32 v17, vcc, v3, v1, vcc
.LBB63_1988:
	s_mov_b64 s[18:19], 0
.LBB63_1989:
	s_andn2_b64 vcc, exec, s[18:19]
	s_cbranch_vccnz .LBB63_1991
; %bb.1990:
	global_load_ubyte v1, v[18:19], off
	s_movk_i32 s18, 0x7f00
	s_brev_b32 s19, 16
	s_brev_b32 s20, 1
	s_mov_b32 s21, 0x2f800000
	s_mov_b32 s22, 0xcf800000
	s_waitcnt vmcnt(0)
	v_lshlrev_b16_e32 v3, 8, v1
	v_lshlrev_b32_e32 v1, 25, v1
	v_lshrrev_b32_e32 v5, 4, v1
	v_and_or_b32 v8, v3, s18, 0.5
	v_or_b32_e32 v5, 0x70000000, v5
	v_add_f32_e32 v8, -0.5, v8
	v_mul_f32_e32 v5, 0x7800000, v5
	v_cmp_gt_u32_e32 vcc, s19, v1
	v_bfe_i32 v3, v3, 0, 16
	v_cndmask_b32_e32 v1, v5, v8, vcc
	v_and_or_b32 v1, v3, s20, v1
	v_trunc_f32_e32 v1, v1
	v_mul_f32_e64 v3, |v1|, s21
	v_floor_f32_e32 v3, v3
	v_fma_f32 v5, v3, s22, |v1|
	v_cvt_u32_f32_e32 v5, v5
	v_cvt_u32_f32_e32 v3, v3
	v_ashrrev_i32_e32 v1, 31, v1
	v_xor_b32_e32 v5, v5, v1
	v_xor_b32_e32 v3, v3, v1
	v_sub_co_u32_e32 v16, vcc, v5, v1
	v_subb_co_u32_e32 v17, vcc, v3, v1, vcc
.LBB63_1991:
	s_mov_b64 s[18:19], 0
	s_mov_b64 s[20:21], -1
.LBB63_1992:
	s_andn2_b64 vcc, exec, s[18:19]
	s_mov_b64 s[18:19], 0
	s_cbranch_vccnz .LBB63_2001
; %bb.1993:
	s_cmp_gt_i32 s25, 14
	s_cbranch_scc0 .LBB63_1996
; %bb.1994:
	s_cmp_eq_u32 s25, 15
	s_cbranch_scc0 .LBB63_1997
; %bb.1995:
	global_load_ushort v1, v[18:19], off
	s_mov_b32 s16, 0x2f800000
	s_mov_b32 s17, 0xcf800000
	s_mov_b64 s[20:21], -1
	s_waitcnt vmcnt(0)
	v_lshlrev_b32_e32 v1, 16, v1
	v_trunc_f32_e32 v1, v1
	v_mul_f32_e64 v3, |v1|, s16
	v_floor_f32_e32 v3, v3
	v_fma_f32 v5, v3, s17, |v1|
	v_cvt_u32_f32_e32 v5, v5
	v_cvt_u32_f32_e32 v3, v3
	v_ashrrev_i32_e32 v1, 31, v1
	s_mov_b64 s[16:17], 0
	v_xor_b32_e32 v5, v5, v1
	v_xor_b32_e32 v3, v3, v1
	v_sub_co_u32_e32 v16, vcc, v5, v1
	v_subb_co_u32_e32 v17, vcc, v3, v1, vcc
	s_branch .LBB63_1998
.LBB63_1996:
	s_mov_b64 s[22:23], -1
                                        ; implicit-def: $vgpr16_vgpr17
	s_branch .LBB63_1999
.LBB63_1997:
	s_mov_b64 s[16:17], -1
                                        ; implicit-def: $vgpr16_vgpr17
.LBB63_1998:
	s_mov_b64 s[22:23], 0
.LBB63_1999:
	s_and_b64 vcc, exec, s[22:23]
	s_cbranch_vccz .LBB63_2001
; %bb.2000:
	s_cmp_lg_u32 s25, 11
	s_mov_b64 s[18:19], -1
	s_cselect_b64 s[16:17], -1, 0
.LBB63_2001:
	s_and_b64 vcc, exec, s[16:17]
	s_cbranch_vccnz .LBB63_2064
; %bb.2002:
	s_andn2_b64 vcc, exec, s[18:19]
	s_cbranch_vccnz .LBB63_2004
.LBB63_2003:
	global_load_ubyte v1, v[18:19], off
	s_mov_b32 s16, 0
	s_waitcnt vmcnt(1)
	v_mov_b32_e32 v17, s16
	s_mov_b64 s[20:21], -1
	s_waitcnt vmcnt(0)
	v_cmp_ne_u16_e32 vcc, 0, v1
	v_cndmask_b32_e64 v16, 0, 1, vcc
.LBB63_2004:
	s_branch .LBB63_1936
.LBB63_2005:
	s_and_b32 s18, 0xffff, s27
	s_cmp_lt_i32 s18, 5
	s_cbranch_scc1 .LBB63_2010
; %bb.2006:
	s_cmp_lt_i32 s18, 8
	s_cbranch_scc1 .LBB63_2011
; %bb.2007:
	;; [unrolled: 3-line block ×3, first 2 shown]
	s_cmp_gt_i32 s18, 9
	s_cbranch_scc0 .LBB63_2013
; %bb.2009:
	global_load_dwordx2 v[16:17], v[18:19], off
	s_movk_i32 s16, 0xffe0
	s_waitcnt vmcnt(0)
	v_trunc_f64_e32 v[16:17], v[16:17]
	v_ldexp_f64 v[20:21], v[16:17], s16
	s_mov_b32 s16, 0
	s_mov_b32 s17, 0xc1f00000
	v_floor_f64_e32 v[20:21], v[20:21]
	v_fma_f64 v[22:23], v[20:21], s[16:17], v[16:17]
	v_cvt_i32_f64_e32 v17, v[20:21]
	s_mov_b64 s[16:17], 0
	v_cvt_u32_f64_e32 v16, v[22:23]
	s_branch .LBB63_2014
.LBB63_2010:
	s_mov_b64 s[16:17], -1
                                        ; implicit-def: $vgpr16_vgpr17
	s_branch .LBB63_2032
.LBB63_2011:
	s_mov_b64 s[16:17], -1
                                        ; implicit-def: $vgpr16_vgpr17
	s_branch .LBB63_2020
.LBB63_2012:
	s_mov_b64 s[16:17], -1
                                        ; implicit-def: $vgpr16_vgpr17
	s_branch .LBB63_2017
.LBB63_2013:
	s_mov_b64 s[16:17], -1
                                        ; implicit-def: $vgpr16_vgpr17
.LBB63_2014:
	s_andn2_b64 vcc, exec, s[16:17]
	s_cbranch_vccnz .LBB63_2016
; %bb.2015:
	global_load_dword v1, v[18:19], off
	s_mov_b32 s16, 0x2f800000
	s_mov_b32 s17, 0xcf800000
	s_waitcnt vmcnt(0)
	v_trunc_f32_e32 v1, v1
	v_mul_f32_e64 v3, |v1|, s16
	v_floor_f32_e32 v3, v3
	v_cvt_u32_f32_e32 v5, v3
	v_fma_f32 v3, v3, s17, |v1|
	v_cvt_u32_f32_e32 v3, v3
	v_ashrrev_i32_e32 v1, 31, v1
	v_xor_b32_e32 v5, v5, v1
	v_xor_b32_e32 v3, v3, v1
	v_sub_co_u32_e32 v16, vcc, v3, v1
	v_subb_co_u32_e32 v17, vcc, v5, v1, vcc
.LBB63_2016:
	s_mov_b64 s[16:17], 0
.LBB63_2017:
	s_andn2_b64 vcc, exec, s[16:17]
	s_cbranch_vccnz .LBB63_2019
; %bb.2018:
	global_load_dword v1, v[18:19], off
	s_waitcnt vmcnt(0)
	v_cvt_f32_f16_e32 v1, v1
	v_cvt_i32_f32_e32 v16, v1
	v_ashrrev_i32_e32 v17, 31, v16
.LBB63_2019:
	s_mov_b64 s[16:17], 0
.LBB63_2020:
	s_andn2_b64 vcc, exec, s[16:17]
	s_cbranch_vccnz .LBB63_2031
; %bb.2021:
	s_cmp_lt_i32 s18, 6
	s_cbranch_scc1 .LBB63_2024
; %bb.2022:
	s_cmp_gt_i32 s18, 6
	s_cbranch_scc0 .LBB63_2025
; %bb.2023:
	global_load_dwordx2 v[16:17], v[18:19], off
	s_movk_i32 s16, 0xffe0
	s_waitcnt vmcnt(0)
	v_trunc_f64_e32 v[16:17], v[16:17]
	v_ldexp_f64 v[20:21], v[16:17], s16
	s_mov_b32 s16, 0
	s_mov_b32 s17, 0xc1f00000
	v_floor_f64_e32 v[20:21], v[20:21]
	v_fma_f64 v[22:23], v[20:21], s[16:17], v[16:17]
	v_cvt_i32_f64_e32 v17, v[20:21]
	s_mov_b64 s[16:17], 0
	v_cvt_u32_f64_e32 v16, v[22:23]
	s_branch .LBB63_2026
.LBB63_2024:
	s_mov_b64 s[16:17], -1
                                        ; implicit-def: $vgpr16_vgpr17
	s_branch .LBB63_2029
.LBB63_2025:
	s_mov_b64 s[16:17], -1
                                        ; implicit-def: $vgpr16_vgpr17
.LBB63_2026:
	s_andn2_b64 vcc, exec, s[16:17]
	s_cbranch_vccnz .LBB63_2028
; %bb.2027:
	global_load_dword v1, v[18:19], off
	s_mov_b32 s16, 0x2f800000
	s_mov_b32 s17, 0xcf800000
	s_waitcnt vmcnt(0)
	v_trunc_f32_e32 v1, v1
	v_mul_f32_e64 v3, |v1|, s16
	v_floor_f32_e32 v3, v3
	v_cvt_u32_f32_e32 v5, v3
	v_fma_f32 v3, v3, s17, |v1|
	v_cvt_u32_f32_e32 v3, v3
	v_ashrrev_i32_e32 v1, 31, v1
	v_xor_b32_e32 v5, v5, v1
	v_xor_b32_e32 v3, v3, v1
	v_sub_co_u32_e32 v16, vcc, v3, v1
	v_subb_co_u32_e32 v17, vcc, v5, v1, vcc
.LBB63_2028:
	s_mov_b64 s[16:17], 0
.LBB63_2029:
	s_andn2_b64 vcc, exec, s[16:17]
	s_cbranch_vccnz .LBB63_2031
; %bb.2030:
	global_load_ushort v1, v[18:19], off
	s_waitcnt vmcnt(0)
	v_cvt_f32_f16_e32 v1, v1
	v_cvt_i32_f32_e32 v16, v1
	v_ashrrev_i32_e32 v17, 31, v16
.LBB63_2031:
	s_mov_b64 s[16:17], 0
.LBB63_2032:
	s_andn2_b64 vcc, exec, s[16:17]
	s_cbranch_vccnz .LBB63_2052
; %bb.2033:
	s_cmp_lt_i32 s18, 2
	s_cbranch_scc1 .LBB63_2037
; %bb.2034:
	s_cmp_lt_i32 s18, 3
	s_cbranch_scc1 .LBB63_2038
; %bb.2035:
	s_cmp_gt_i32 s18, 3
	s_cbranch_scc0 .LBB63_2039
; %bb.2036:
	global_load_dwordx2 v[16:17], v[18:19], off
	s_mov_b64 s[16:17], 0
	s_branch .LBB63_2040
.LBB63_2037:
	s_mov_b64 s[16:17], -1
                                        ; implicit-def: $vgpr16_vgpr17
	s_branch .LBB63_2046
.LBB63_2038:
	s_mov_b64 s[16:17], -1
                                        ; implicit-def: $vgpr16_vgpr17
	s_branch .LBB63_2043
.LBB63_2039:
	s_mov_b64 s[16:17], -1
                                        ; implicit-def: $vgpr16_vgpr17
.LBB63_2040:
	s_andn2_b64 vcc, exec, s[16:17]
	s_cbranch_vccnz .LBB63_2042
; %bb.2041:
	global_load_dword v16, v[18:19], off
	s_waitcnt vmcnt(0)
	v_ashrrev_i32_e32 v17, 31, v16
.LBB63_2042:
	s_mov_b64 s[16:17], 0
.LBB63_2043:
	s_andn2_b64 vcc, exec, s[16:17]
	s_cbranch_vccnz .LBB63_2045
; %bb.2044:
	global_load_ushort v1, v[18:19], off
	s_waitcnt vmcnt(0)
	v_bfe_i32 v16, v1, 0, 16
	v_ashrrev_i32_e32 v17, 31, v16
.LBB63_2045:
	s_mov_b64 s[16:17], 0
.LBB63_2046:
	s_andn2_b64 vcc, exec, s[16:17]
	s_cbranch_vccnz .LBB63_2052
; %bb.2047:
	s_cmp_gt_i32 s18, 0
	s_cbranch_scc0 .LBB63_2049
; %bb.2048:
	global_load_sbyte v1, v[18:19], off
	s_mov_b64 s[16:17], 0
	s_waitcnt vmcnt(0)
	v_bfe_i32 v16, v1, 0, 16
	v_ashrrev_i32_e32 v17, 31, v16
	s_branch .LBB63_2050
.LBB63_2049:
	s_mov_b64 s[16:17], -1
                                        ; implicit-def: $vgpr16_vgpr17
.LBB63_2050:
	s_andn2_b64 vcc, exec, s[16:17]
	s_cbranch_vccnz .LBB63_2052
; %bb.2051:
	global_load_ubyte v1, v[18:19], off
	s_mov_b32 s16, 0
	s_waitcnt vmcnt(1)
	v_mov_b32_e32 v17, s16
	s_waitcnt vmcnt(0)
	v_and_b32_e32 v16, 0xffff, v1
.LBB63_2052:
.LBB63_2053:
	v_mov_b32_e32 v1, s1
	s_and_b32 s28, s24, 0xff
	v_add_co_u32_e32 v14, vcc, s0, v15
	s_cmp_lt_i32 s28, 11
	v_addc_co_u32_e32 v15, vcc, 0, v1, vcc
	s_cbranch_scc1 .LBB63_2060
; %bb.2054:
	s_and_b32 s24, 0xffff, s28
	s_cmp_gt_i32 s24, 25
	s_mov_b64 s[18:19], 0
	s_cbranch_scc0 .LBB63_2061
; %bb.2055:
	s_cmp_gt_i32 s24, 28
	s_cbranch_scc0 .LBB63_2062
; %bb.2056:
	s_cmp_gt_i32 s24, 43
	;; [unrolled: 3-line block ×3, first 2 shown]
	s_cbranch_scc0 .LBB63_2065
; %bb.2058:
	s_cmp_eq_u32 s24, 46
	s_mov_b64 s[22:23], 0
	s_cbranch_scc0 .LBB63_2066
; %bb.2059:
	global_load_dword v1, v[14:15], off
	s_mov_b32 s16, 0x2f800000
	s_mov_b32 s17, 0xcf800000
	s_mov_b64 s[20:21], -1
	s_waitcnt vmcnt(0)
	v_lshlrev_b32_e32 v1, 16, v1
	v_trunc_f32_e32 v1, v1
	v_mul_f32_e64 v3, |v1|, s16
	v_floor_f32_e32 v3, v3
	v_fma_f32 v5, v3, s17, |v1|
	v_cvt_u32_f32_e32 v5, v5
	v_cvt_u32_f32_e32 v3, v3
	v_ashrrev_i32_e32 v1, 31, v1
	s_mov_b64 s[16:17], 0
	v_xor_b32_e32 v5, v5, v1
	v_xor_b32_e32 v3, v3, v1
	v_sub_co_u32_e32 v18, vcc, v5, v1
	v_subb_co_u32_e32 v19, vcc, v3, v1, vcc
	s_branch .LBB63_2067
.LBB63_2060:
	s_mov_b64 s[16:17], -1
	s_mov_b64 s[20:21], 0
                                        ; implicit-def: $vgpr18_vgpr19
	s_branch .LBB63_2129
.LBB63_2061:
	s_mov_b64 s[22:23], -1
	s_mov_b64 s[20:21], 0
	s_mov_b64 s[16:17], 0
                                        ; implicit-def: $vgpr18_vgpr19
	s_branch .LBB63_2096
.LBB63_2062:
	s_mov_b64 s[22:23], -1
	s_mov_b64 s[20:21], 0
	s_mov_b64 s[16:17], 0
                                        ; implicit-def: $vgpr18_vgpr19
	s_branch .LBB63_2077
.LBB63_2063:
	s_mov_b64 s[22:23], -1
	s_mov_b64 s[20:21], 0
	s_mov_b64 s[16:17], 0
                                        ; implicit-def: $vgpr18_vgpr19
	s_branch .LBB63_2072
.LBB63_2064:
	s_trap 2
	s_or_b64 s[4:5], s[4:5], exec
	s_cbranch_execz .LBB63_2003
	s_branch .LBB63_2004
.LBB63_2065:
	s_mov_b64 s[22:23], -1
	s_mov_b64 s[20:21], 0
	s_mov_b64 s[16:17], 0
                                        ; implicit-def: $vgpr18_vgpr19
	s_branch .LBB63_2067
.LBB63_2066:
	s_mov_b64 s[16:17], -1
                                        ; implicit-def: $vgpr18_vgpr19
	s_mov_b64 s[20:21], 0
.LBB63_2067:
	s_and_b64 vcc, exec, s[22:23]
	s_cbranch_vccz .LBB63_2071
; %bb.2068:
	s_cmp_eq_u32 s24, 44
	s_cbranch_scc0 .LBB63_2070
; %bb.2069:
	global_load_ubyte v1, v[14:15], off
	s_mov_b32 s16, 0x2f800000
	s_mov_b32 s17, 0xcf800000
	s_mov_b64 s[20:21], -1
	s_waitcnt vmcnt(0)
	v_lshlrev_b32_e32 v3, 23, v1
	v_trunc_f32_e32 v3, v3
	v_mul_f32_e64 v5, |v3|, s16
	v_floor_f32_e32 v5, v5
	v_fma_f32 v8, v5, s17, |v3|
	v_cvt_u32_f32_e32 v8, v8
	v_cvt_u32_f32_e32 v5, v5
	v_ashrrev_i32_e32 v3, 31, v3
	s_mov_b64 s[16:17], 0
	v_xor_b32_e32 v8, v8, v3
	v_xor_b32_e32 v5, v5, v3
	v_sub_co_u32_e32 v8, vcc, v8, v3
	v_subb_co_u32_e32 v3, vcc, v5, v3, vcc
	v_cmp_ne_u32_e32 vcc, 0, v1
	v_cndmask_b32_e32 v19, 0, v3, vcc
	v_cndmask_b32_e32 v18, 0, v8, vcc
	s_branch .LBB63_2071
.LBB63_2070:
	s_mov_b64 s[16:17], -1
                                        ; implicit-def: $vgpr18_vgpr19
.LBB63_2071:
	s_mov_b64 s[22:23], 0
.LBB63_2072:
	s_and_b64 vcc, exec, s[22:23]
	s_cbranch_vccz .LBB63_2076
; %bb.2073:
	s_cmp_eq_u32 s24, 29
	s_cbranch_scc0 .LBB63_2075
; %bb.2074:
	global_load_dwordx2 v[18:19], v[14:15], off
	s_mov_b64 s[16:17], 0
	s_mov_b64 s[20:21], -1
	s_branch .LBB63_2076
.LBB63_2075:
	s_mov_b64 s[16:17], -1
                                        ; implicit-def: $vgpr18_vgpr19
.LBB63_2076:
	s_mov_b64 s[22:23], 0
.LBB63_2077:
	s_and_b64 vcc, exec, s[22:23]
	s_cbranch_vccz .LBB63_2095
; %bb.2078:
	s_cmp_lt_i32 s24, 27
	s_cbranch_scc1 .LBB63_2081
; %bb.2079:
	s_cmp_gt_i32 s24, 27
	s_cbranch_scc0 .LBB63_2082
; %bb.2080:
	global_load_dword v18, v[14:15], off
	s_waitcnt vmcnt(1)
	v_mov_b32_e32 v19, 0
	s_mov_b64 s[20:21], 0
	s_branch .LBB63_2083
.LBB63_2081:
	s_mov_b64 s[20:21], -1
                                        ; implicit-def: $vgpr18_vgpr19
	s_branch .LBB63_2086
.LBB63_2082:
	s_mov_b64 s[20:21], -1
                                        ; implicit-def: $vgpr18_vgpr19
.LBB63_2083:
	s_andn2_b64 vcc, exec, s[20:21]
	s_cbranch_vccnz .LBB63_2085
; %bb.2084:
	global_load_ushort v1, v[14:15], off
	s_mov_b32 s20, 0
	s_waitcnt vmcnt(1)
	v_mov_b32_e32 v19, s20
	s_waitcnt vmcnt(0)
	v_and_b32_e32 v18, 0xffff, v1
.LBB63_2085:
	s_mov_b64 s[20:21], 0
.LBB63_2086:
	s_andn2_b64 vcc, exec, s[20:21]
	s_cbranch_vccnz .LBB63_2094
; %bb.2087:
	global_load_ubyte v1, v[14:15], off
	s_movk_i32 s20, 0x7f
	s_mov_b64 s[22:23], 0
	s_waitcnt vmcnt(0)
	v_cmp_lt_i16_e32 vcc, s20, v1
	s_and_saveexec_b64 s[20:21], vcc
	s_xor_b64 s[20:21], exec, s[20:21]
; %bb.2088:
	s_movk_i32 s22, 0x80
	v_cmp_ne_u16_e32 vcc, s22, v1
	s_and_b64 s[22:23], vcc, exec
; %bb.2089:
	s_andn2_saveexec_b64 s[20:21], s[20:21]
; %bb.2090:
	v_cmp_ne_u16_e32 vcc, 0, v1
	s_andn2_b64 s[22:23], s[22:23], exec
	s_and_b64 s[30:31], vcc, exec
	s_or_b64 s[22:23], s[22:23], s[30:31]
; %bb.2091:
	s_or_b64 exec, exec, s[20:21]
	v_mov_b32_e32 v18, 0
	v_mov_b32_e32 v19, 0
	s_and_saveexec_b64 s[20:21], s[22:23]
	s_cbranch_execz .LBB63_2093
; %bb.2092:
	v_lshlrev_b32_e32 v3, 24, v1
	v_and_b32_e32 v1, 0xffff, v1
	v_and_b32_e32 v5, 7, v1
	v_ffbh_u32_e32 v10, v5
	v_min_u32_e32 v10, 32, v10
	v_subrev_u32_e32 v12, 28, v10
	v_bfe_u32 v8, v1, 3, 4
	v_lshlrev_b32_e32 v1, v12, v1
	v_sub_u32_e32 v10, 29, v10
	v_and_b32_e32 v1, 7, v1
	v_cmp_eq_u32_e32 vcc, 0, v8
	v_cndmask_b32_e32 v8, v8, v10, vcc
	v_cndmask_b32_e32 v1, v5, v1, vcc
	v_mov_b32_e32 v5, 0x3b800000
	v_lshlrev_b32_e32 v1, 20, v1
	v_and_b32_e32 v3, 0x80000000, v3
	v_lshl_add_u32 v5, v8, 23, v5
	v_or3_b32 v1, v3, v5, v1
	v_trunc_f32_e32 v1, v1
	s_mov_b32 s22, 0x2f800000
	v_mul_f32_e64 v3, |v1|, s22
	v_floor_f32_e32 v3, v3
	s_mov_b32 s22, 0xcf800000
	v_fma_f32 v5, v3, s22, |v1|
	v_cvt_u32_f32_e32 v5, v5
	v_cvt_u32_f32_e32 v3, v3
	v_ashrrev_i32_e32 v1, 31, v1
	v_xor_b32_e32 v5, v5, v1
	v_xor_b32_e32 v3, v3, v1
	v_sub_co_u32_e32 v18, vcc, v5, v1
	v_subb_co_u32_e32 v19, vcc, v3, v1, vcc
.LBB63_2093:
	s_or_b64 exec, exec, s[20:21]
.LBB63_2094:
	s_mov_b64 s[20:21], -1
.LBB63_2095:
	s_mov_b64 s[22:23], 0
.LBB63_2096:
	s_and_b64 vcc, exec, s[22:23]
	s_cbranch_vccz .LBB63_2125
; %bb.2097:
	s_cmp_gt_i32 s24, 22
	s_cbranch_scc0 .LBB63_2107
; %bb.2098:
	s_cmp_lt_i32 s24, 24
	s_cbranch_scc1 .LBB63_2108
; %bb.2099:
	s_cmp_gt_i32 s24, 24
	s_cbranch_scc0 .LBB63_2109
; %bb.2100:
	global_load_ubyte v1, v[14:15], off
	s_movk_i32 s18, 0x7f
	s_mov_b64 s[20:21], 0
	s_waitcnt vmcnt(0)
	v_cmp_lt_i16_e32 vcc, s18, v1
	s_and_saveexec_b64 s[18:19], vcc
	s_xor_b64 s[18:19], exec, s[18:19]
; %bb.2101:
	s_movk_i32 s20, 0x80
	v_cmp_ne_u16_e32 vcc, s20, v1
	s_and_b64 s[20:21], vcc, exec
; %bb.2102:
	s_andn2_saveexec_b64 s[18:19], s[18:19]
; %bb.2103:
	v_cmp_ne_u16_e32 vcc, 0, v1
	s_andn2_b64 s[20:21], s[20:21], exec
	s_and_b64 s[22:23], vcc, exec
	s_or_b64 s[20:21], s[20:21], s[22:23]
; %bb.2104:
	s_or_b64 exec, exec, s[18:19]
	v_mov_b32_e32 v18, 0
	v_mov_b32_e32 v19, 0
	s_and_saveexec_b64 s[18:19], s[20:21]
	s_cbranch_execz .LBB63_2106
; %bb.2105:
	v_lshlrev_b32_e32 v3, 24, v1
	v_and_b32_e32 v1, 0xffff, v1
	v_and_b32_e32 v5, 3, v1
	v_ffbh_u32_e32 v10, v5
	v_min_u32_e32 v10, 32, v10
	v_subrev_u32_e32 v12, 29, v10
	v_bfe_u32 v8, v1, 2, 5
	v_lshlrev_b32_e32 v1, v12, v1
	v_sub_u32_e32 v10, 30, v10
	v_and_b32_e32 v1, 3, v1
	v_cmp_eq_u32_e32 vcc, 0, v8
	v_cndmask_b32_e32 v8, v8, v10, vcc
	v_cndmask_b32_e32 v1, v5, v1, vcc
	v_mov_b32_e32 v5, 0x37800000
	v_lshlrev_b32_e32 v1, 21, v1
	v_and_b32_e32 v3, 0x80000000, v3
	v_lshl_add_u32 v5, v8, 23, v5
	v_or3_b32 v1, v3, v5, v1
	v_trunc_f32_e32 v1, v1
	s_mov_b32 s20, 0x2f800000
	v_mul_f32_e64 v3, |v1|, s20
	v_floor_f32_e32 v3, v3
	s_mov_b32 s20, 0xcf800000
	v_fma_f32 v5, v3, s20, |v1|
	v_cvt_u32_f32_e32 v5, v5
	v_cvt_u32_f32_e32 v3, v3
	v_ashrrev_i32_e32 v1, 31, v1
	v_xor_b32_e32 v5, v5, v1
	v_xor_b32_e32 v3, v3, v1
	v_sub_co_u32_e32 v18, vcc, v5, v1
	v_subb_co_u32_e32 v19, vcc, v3, v1, vcc
.LBB63_2106:
	s_or_b64 exec, exec, s[18:19]
	s_mov_b64 s[18:19], 0
	s_branch .LBB63_2110
.LBB63_2107:
	s_mov_b64 s[18:19], -1
                                        ; implicit-def: $vgpr18_vgpr19
	s_branch .LBB63_2116
.LBB63_2108:
	s_mov_b64 s[18:19], -1
                                        ; implicit-def: $vgpr18_vgpr19
	s_branch .LBB63_2113
.LBB63_2109:
	s_mov_b64 s[18:19], -1
                                        ; implicit-def: $vgpr18_vgpr19
.LBB63_2110:
	s_and_b64 vcc, exec, s[18:19]
	s_cbranch_vccz .LBB63_2112
; %bb.2111:
	global_load_ubyte v1, v[14:15], off
	s_mov_b32 s18, 0x7f800000
	s_brev_b32 s19, 1
	s_mov_b32 s20, 0x2f800000
	s_mov_b32 s21, 0xcf800000
	s_waitcnt vmcnt(0)
	v_lshlrev_b32_e32 v1, 24, v1
	v_and_b32_e32 v3, 0x7f000000, v1
	v_ffbh_u32_e32 v5, v3
	v_min_u32_e32 v5, 32, v5
	v_sub_u32_e64 v5, v5, 4 clamp
	v_lshlrev_b32_e32 v10, v5, v3
	v_lshlrev_b32_e32 v5, 23, v5
	v_lshrrev_b32_e32 v10, 4, v10
	v_add_u32_e32 v8, 0x1000000, v3
	v_sub_u32_e32 v5, v10, v5
	v_ashrrev_i32_e32 v8, 8, v8
	v_add_u32_e32 v5, 0x3c000000, v5
	v_and_or_b32 v5, v8, s18, v5
	v_cmp_ne_u32_e32 vcc, 0, v3
	v_cndmask_b32_e32 v3, 0, v5, vcc
	v_and_or_b32 v1, v1, s19, v3
	v_trunc_f32_e32 v1, v1
	v_mul_f32_e64 v3, |v1|, s20
	v_floor_f32_e32 v3, v3
	v_fma_f32 v5, v3, s21, |v1|
	v_cvt_u32_f32_e32 v5, v5
	v_cvt_u32_f32_e32 v3, v3
	v_ashrrev_i32_e32 v1, 31, v1
	v_xor_b32_e32 v5, v5, v1
	v_xor_b32_e32 v3, v3, v1
	v_sub_co_u32_e32 v18, vcc, v5, v1
	v_subb_co_u32_e32 v19, vcc, v3, v1, vcc
.LBB63_2112:
	s_mov_b64 s[18:19], 0
.LBB63_2113:
	s_andn2_b64 vcc, exec, s[18:19]
	s_cbranch_vccnz .LBB63_2115
; %bb.2114:
	global_load_ubyte v1, v[14:15], off
	s_movk_i32 s18, 0x7f00
	s_brev_b32 s19, 16
	s_brev_b32 s20, 1
	s_mov_b32 s21, 0x2f800000
	s_mov_b32 s22, 0xcf800000
	s_waitcnt vmcnt(0)
	v_lshlrev_b16_e32 v3, 8, v1
	v_lshlrev_b32_e32 v1, 25, v1
	v_lshrrev_b32_e32 v5, 4, v1
	v_and_or_b32 v8, v3, s18, 0.5
	v_or_b32_e32 v5, 0x70000000, v5
	v_add_f32_e32 v8, -0.5, v8
	v_mul_f32_e32 v5, 0x7800000, v5
	v_cmp_gt_u32_e32 vcc, s19, v1
	v_bfe_i32 v3, v3, 0, 16
	v_cndmask_b32_e32 v1, v5, v8, vcc
	v_and_or_b32 v1, v3, s20, v1
	v_trunc_f32_e32 v1, v1
	v_mul_f32_e64 v3, |v1|, s21
	v_floor_f32_e32 v3, v3
	v_fma_f32 v5, v3, s22, |v1|
	v_cvt_u32_f32_e32 v5, v5
	v_cvt_u32_f32_e32 v3, v3
	v_ashrrev_i32_e32 v1, 31, v1
	v_xor_b32_e32 v5, v5, v1
	v_xor_b32_e32 v3, v3, v1
	v_sub_co_u32_e32 v18, vcc, v5, v1
	v_subb_co_u32_e32 v19, vcc, v3, v1, vcc
.LBB63_2115:
	s_mov_b64 s[18:19], 0
	s_mov_b64 s[20:21], -1
.LBB63_2116:
	s_andn2_b64 vcc, exec, s[18:19]
	s_mov_b64 s[18:19], 0
	s_cbranch_vccnz .LBB63_2125
; %bb.2117:
	s_cmp_gt_i32 s24, 14
	s_cbranch_scc0 .LBB63_2120
; %bb.2118:
	s_cmp_eq_u32 s24, 15
	s_cbranch_scc0 .LBB63_2121
; %bb.2119:
	global_load_ushort v1, v[14:15], off
	s_mov_b32 s16, 0x2f800000
	s_mov_b32 s17, 0xcf800000
	s_mov_b64 s[20:21], -1
	s_waitcnt vmcnt(0)
	v_lshlrev_b32_e32 v1, 16, v1
	v_trunc_f32_e32 v1, v1
	v_mul_f32_e64 v3, |v1|, s16
	v_floor_f32_e32 v3, v3
	v_fma_f32 v5, v3, s17, |v1|
	v_cvt_u32_f32_e32 v5, v5
	v_cvt_u32_f32_e32 v3, v3
	v_ashrrev_i32_e32 v1, 31, v1
	s_mov_b64 s[16:17], 0
	v_xor_b32_e32 v5, v5, v1
	v_xor_b32_e32 v3, v3, v1
	v_sub_co_u32_e32 v18, vcc, v5, v1
	v_subb_co_u32_e32 v19, vcc, v3, v1, vcc
	s_branch .LBB63_2122
.LBB63_2120:
	s_mov_b64 s[22:23], -1
                                        ; implicit-def: $vgpr18_vgpr19
	s_branch .LBB63_2123
.LBB63_2121:
	s_mov_b64 s[16:17], -1
                                        ; implicit-def: $vgpr18_vgpr19
.LBB63_2122:
	s_mov_b64 s[22:23], 0
.LBB63_2123:
	s_and_b64 vcc, exec, s[22:23]
	s_cbranch_vccz .LBB63_2125
; %bb.2124:
	s_cmp_lg_u32 s24, 11
	s_mov_b64 s[18:19], -1
	s_cselect_b64 s[16:17], -1, 0
.LBB63_2125:
	s_and_b64 vcc, exec, s[16:17]
	s_cbranch_vccnz .LBB63_2207
; %bb.2126:
	s_andn2_b64 vcc, exec, s[18:19]
	s_cbranch_vccnz .LBB63_2128
.LBB63_2127:
	global_load_ubyte v1, v[14:15], off
	s_mov_b32 s16, 0
	s_waitcnt vmcnt(1)
	v_mov_b32_e32 v19, s16
	s_mov_b64 s[20:21], -1
	s_waitcnt vmcnt(0)
	v_cmp_ne_u16_e32 vcc, 0, v1
	v_cndmask_b32_e64 v18, 0, 1, vcc
.LBB63_2128:
	s_mov_b64 s[16:17], 0
.LBB63_2129:
	s_and_b64 vcc, exec, s[16:17]
	s_cbranch_vccz .LBB63_2178
; %bb.2130:
	s_and_b32 s18, 0xffff, s28
	s_cmp_lt_i32 s18, 5
	s_cbranch_scc1 .LBB63_2135
; %bb.2131:
	s_cmp_lt_i32 s18, 8
	s_cbranch_scc1 .LBB63_2136
; %bb.2132:
	;; [unrolled: 3-line block ×3, first 2 shown]
	s_cmp_gt_i32 s18, 9
	s_cbranch_scc0 .LBB63_2138
; %bb.2134:
	global_load_dwordx2 v[18:19], v[14:15], off
	s_movk_i32 s16, 0xffe0
	s_waitcnt vmcnt(0)
	v_trunc_f64_e32 v[18:19], v[18:19]
	v_ldexp_f64 v[20:21], v[18:19], s16
	s_mov_b32 s16, 0
	s_mov_b32 s17, 0xc1f00000
	v_floor_f64_e32 v[20:21], v[20:21]
	v_fma_f64 v[22:23], v[20:21], s[16:17], v[18:19]
	v_cvt_i32_f64_e32 v19, v[20:21]
	s_mov_b64 s[16:17], 0
	v_cvt_u32_f64_e32 v18, v[22:23]
	s_branch .LBB63_2139
.LBB63_2135:
	s_mov_b64 s[16:17], -1
                                        ; implicit-def: $vgpr18_vgpr19
	s_branch .LBB63_2157
.LBB63_2136:
	s_mov_b64 s[16:17], -1
                                        ; implicit-def: $vgpr18_vgpr19
	s_branch .LBB63_2145
.LBB63_2137:
	s_mov_b64 s[16:17], -1
                                        ; implicit-def: $vgpr18_vgpr19
	s_branch .LBB63_2142
.LBB63_2138:
	s_mov_b64 s[16:17], -1
                                        ; implicit-def: $vgpr18_vgpr19
.LBB63_2139:
	s_andn2_b64 vcc, exec, s[16:17]
	s_cbranch_vccnz .LBB63_2141
; %bb.2140:
	global_load_dword v1, v[14:15], off
	s_mov_b32 s16, 0x2f800000
	s_mov_b32 s17, 0xcf800000
	s_waitcnt vmcnt(0)
	v_trunc_f32_e32 v1, v1
	v_mul_f32_e64 v3, |v1|, s16
	v_floor_f32_e32 v3, v3
	v_cvt_u32_f32_e32 v5, v3
	v_fma_f32 v3, v3, s17, |v1|
	v_cvt_u32_f32_e32 v3, v3
	v_ashrrev_i32_e32 v1, 31, v1
	v_xor_b32_e32 v5, v5, v1
	v_xor_b32_e32 v3, v3, v1
	v_sub_co_u32_e32 v18, vcc, v3, v1
	v_subb_co_u32_e32 v19, vcc, v5, v1, vcc
.LBB63_2141:
	s_mov_b64 s[16:17], 0
.LBB63_2142:
	s_andn2_b64 vcc, exec, s[16:17]
	s_cbranch_vccnz .LBB63_2144
; %bb.2143:
	global_load_dword v1, v[14:15], off
	s_waitcnt vmcnt(0)
	v_cvt_f32_f16_e32 v1, v1
	v_cvt_i32_f32_e32 v18, v1
	v_ashrrev_i32_e32 v19, 31, v18
.LBB63_2144:
	s_mov_b64 s[16:17], 0
.LBB63_2145:
	s_andn2_b64 vcc, exec, s[16:17]
	s_cbranch_vccnz .LBB63_2156
; %bb.2146:
	s_cmp_lt_i32 s18, 6
	s_cbranch_scc1 .LBB63_2149
; %bb.2147:
	s_cmp_gt_i32 s18, 6
	s_cbranch_scc0 .LBB63_2150
; %bb.2148:
	global_load_dwordx2 v[18:19], v[14:15], off
	s_movk_i32 s16, 0xffe0
	s_waitcnt vmcnt(0)
	v_trunc_f64_e32 v[18:19], v[18:19]
	v_ldexp_f64 v[20:21], v[18:19], s16
	s_mov_b32 s16, 0
	s_mov_b32 s17, 0xc1f00000
	v_floor_f64_e32 v[20:21], v[20:21]
	v_fma_f64 v[22:23], v[20:21], s[16:17], v[18:19]
	v_cvt_i32_f64_e32 v19, v[20:21]
	s_mov_b64 s[16:17], 0
	v_cvt_u32_f64_e32 v18, v[22:23]
	s_branch .LBB63_2151
.LBB63_2149:
	s_mov_b64 s[16:17], -1
                                        ; implicit-def: $vgpr18_vgpr19
	s_branch .LBB63_2154
.LBB63_2150:
	s_mov_b64 s[16:17], -1
                                        ; implicit-def: $vgpr18_vgpr19
.LBB63_2151:
	s_andn2_b64 vcc, exec, s[16:17]
	s_cbranch_vccnz .LBB63_2153
; %bb.2152:
	global_load_dword v1, v[14:15], off
	s_mov_b32 s16, 0x2f800000
	s_mov_b32 s17, 0xcf800000
	s_waitcnt vmcnt(0)
	v_trunc_f32_e32 v1, v1
	v_mul_f32_e64 v3, |v1|, s16
	v_floor_f32_e32 v3, v3
	v_cvt_u32_f32_e32 v5, v3
	v_fma_f32 v3, v3, s17, |v1|
	v_cvt_u32_f32_e32 v3, v3
	v_ashrrev_i32_e32 v1, 31, v1
	v_xor_b32_e32 v5, v5, v1
	v_xor_b32_e32 v3, v3, v1
	v_sub_co_u32_e32 v18, vcc, v3, v1
	v_subb_co_u32_e32 v19, vcc, v5, v1, vcc
.LBB63_2153:
	s_mov_b64 s[16:17], 0
.LBB63_2154:
	s_andn2_b64 vcc, exec, s[16:17]
	s_cbranch_vccnz .LBB63_2156
; %bb.2155:
	global_load_ushort v1, v[14:15], off
	s_waitcnt vmcnt(0)
	v_cvt_f32_f16_e32 v1, v1
	v_cvt_i32_f32_e32 v18, v1
	v_ashrrev_i32_e32 v19, 31, v18
.LBB63_2156:
	s_mov_b64 s[16:17], 0
.LBB63_2157:
	s_andn2_b64 vcc, exec, s[16:17]
	s_cbranch_vccnz .LBB63_2177
; %bb.2158:
	s_cmp_lt_i32 s18, 2
	s_cbranch_scc1 .LBB63_2162
; %bb.2159:
	s_cmp_lt_i32 s18, 3
	s_cbranch_scc1 .LBB63_2163
; %bb.2160:
	s_cmp_gt_i32 s18, 3
	s_cbranch_scc0 .LBB63_2164
; %bb.2161:
	global_load_dwordx2 v[18:19], v[14:15], off
	s_mov_b64 s[16:17], 0
	s_branch .LBB63_2165
.LBB63_2162:
	s_mov_b64 s[16:17], -1
                                        ; implicit-def: $vgpr18_vgpr19
	s_branch .LBB63_2171
.LBB63_2163:
	s_mov_b64 s[16:17], -1
                                        ; implicit-def: $vgpr18_vgpr19
	s_branch .LBB63_2168
.LBB63_2164:
	s_mov_b64 s[16:17], -1
                                        ; implicit-def: $vgpr18_vgpr19
.LBB63_2165:
	s_andn2_b64 vcc, exec, s[16:17]
	s_cbranch_vccnz .LBB63_2167
; %bb.2166:
	global_load_dword v18, v[14:15], off
	s_waitcnt vmcnt(0)
	v_ashrrev_i32_e32 v19, 31, v18
.LBB63_2167:
	s_mov_b64 s[16:17], 0
.LBB63_2168:
	s_andn2_b64 vcc, exec, s[16:17]
	s_cbranch_vccnz .LBB63_2170
; %bb.2169:
	global_load_ushort v1, v[14:15], off
	s_waitcnt vmcnt(0)
	v_bfe_i32 v18, v1, 0, 16
	v_ashrrev_i32_e32 v19, 31, v18
.LBB63_2170:
	s_mov_b64 s[16:17], 0
.LBB63_2171:
	s_andn2_b64 vcc, exec, s[16:17]
	s_cbranch_vccnz .LBB63_2177
; %bb.2172:
	s_cmp_gt_i32 s18, 0
	s_cbranch_scc0 .LBB63_2174
; %bb.2173:
	global_load_sbyte v1, v[14:15], off
	s_mov_b64 s[16:17], 0
	s_waitcnt vmcnt(0)
	v_bfe_i32 v18, v1, 0, 16
	v_ashrrev_i32_e32 v19, 31, v18
	s_branch .LBB63_2175
.LBB63_2174:
	s_mov_b64 s[16:17], -1
                                        ; implicit-def: $vgpr18_vgpr19
.LBB63_2175:
	s_andn2_b64 vcc, exec, s[16:17]
	s_cbranch_vccnz .LBB63_2177
; %bb.2176:
	global_load_ubyte v1, v[14:15], off
	s_mov_b32 s16, 0
	s_waitcnt vmcnt(1)
	v_mov_b32_e32 v19, s16
	s_waitcnt vmcnt(0)
	v_and_b32_e32 v18, 0xffff, v1
.LBB63_2177:
	s_mov_b64 s[20:21], -1
.LBB63_2178:
	s_andn2_b64 vcc, exec, s[20:21]
	s_cbranch_vccnz .LBB63_2723
; %bb.2179:
	s_cmp_lt_i32 s26, 1
	s_mov_b64 s[18:19], 0
	s_cbranch_scc1 .LBB63_2183
; %bb.2180:
	s_cmp_gt_i32 s26, 1
	s_cbranch_scc0 .LBB63_2184
; %bb.2181:
	s_cmp_eq_u32 s26, 2
	s_cbranch_scc0 .LBB63_2185
; %bb.2182:
	s_waitcnt vmcnt(0)
	v_cmp_le_i64_e64 s[16:17], v[16:17], v[18:19]
	s_mov_b64 s[20:21], 0
	s_branch .LBB63_2186
.LBB63_2183:
	s_mov_b64 s[22:23], -1
                                        ; implicit-def: $sgpr16_sgpr17
	s_mov_b64 s[20:21], 0
	s_branch .LBB63_2190
.LBB63_2184:
	s_mov_b64 s[22:23], -1
	s_mov_b64 s[20:21], 0
                                        ; implicit-def: $sgpr16_sgpr17
	s_branch .LBB63_2187
.LBB63_2185:
	s_mov_b64 s[20:21], -1
                                        ; implicit-def: $sgpr16_sgpr17
.LBB63_2186:
	s_mov_b64 s[22:23], 0
.LBB63_2187:
	s_and_b64 vcc, exec, s[22:23]
	s_cbranch_vccz .LBB63_2189
; %bb.2188:
	s_waitcnt vmcnt(0)
	v_cmp_gt_i64_e32 vcc, v[16:17], v[18:19]
	s_andn2_b64 s[16:17], s[16:17], exec
	s_and_b64 s[22:23], vcc, exec
	s_or_b64 s[16:17], s[16:17], s[22:23]
.LBB63_2189:
	s_mov_b64 s[22:23], 0
.LBB63_2190:
	s_and_b64 vcc, exec, s[22:23]
	s_cbranch_vccz .LBB63_2201
; %bb.2191:
	s_cmp_lg_u32 s26, 0
	s_mov_b64 s[18:19], -1
	s_cselect_b64 s[20:21], -1, 0
	s_andn2_b64 vcc, exec, s[20:21]
	s_cbranch_vccz .LBB63_2202
.LBB63_2192:
	s_andn2_b64 vcc, exec, s[18:19]
	s_cbranch_vccnz .LBB63_2194
.LBB63_2193:
	s_waitcnt vmcnt(0)
	v_cmp_ge_i64_e32 vcc, v[16:17], v[18:19]
	s_andn2_b64 s[16:17], s[16:17], exec
	s_and_b64 s[18:19], vcc, exec
	s_or_b64 s[16:17], s[16:17], s[18:19]
.LBB63_2194:
	v_mov_b32_e32 v1, s11
	v_add_co_u32_e32 v14, vcc, s10, v13
	s_cmp_lt_i32 s27, 11
	v_addc_co_u32_e32 v15, vcc, 0, v1, vcc
	s_cbranch_scc1 .LBB63_2203
; %bb.2195:
	s_and_b32 s29, 0xffff, s27
	s_cmp_gt_i32 s29, 25
	s_mov_b64 s[20:21], 0
	s_cbranch_scc0 .LBB63_2204
; %bb.2196:
	s_cmp_gt_i32 s29, 28
	s_cbranch_scc0 .LBB63_2205
; %bb.2197:
	s_cmp_gt_i32 s29, 43
	;; [unrolled: 3-line block ×3, first 2 shown]
	s_cbranch_scc0 .LBB63_2208
; %bb.2199:
	s_cmp_eq_u32 s29, 46
	s_mov_b64 s[24:25], 0
	s_cbranch_scc0 .LBB63_2209
; %bb.2200:
	global_load_dword v1, v[14:15], off
	s_mov_b32 s18, 0x2f800000
	s_mov_b32 s19, 0xcf800000
	s_mov_b64 s[22:23], -1
	s_waitcnt vmcnt(0)
	v_lshlrev_b32_e32 v1, 16, v1
	v_trunc_f32_e32 v1, v1
	v_mul_f32_e64 v3, |v1|, s18
	v_floor_f32_e32 v3, v3
	v_fma_f32 v5, v3, s19, |v1|
	v_cvt_u32_f32_e32 v5, v5
	v_cvt_u32_f32_e32 v3, v3
	v_ashrrev_i32_e32 v1, 31, v1
	s_mov_b64 s[18:19], 0
	v_xor_b32_e32 v5, v5, v1
	v_xor_b32_e32 v3, v3, v1
	v_sub_co_u32_e32 v12, vcc, v5, v1
	v_subb_co_u32_e32 v13, vcc, v3, v1, vcc
	s_branch .LBB63_2210
.LBB63_2201:
	s_andn2_b64 vcc, exec, s[20:21]
	s_cbranch_vccnz .LBB63_2192
.LBB63_2202:
	s_waitcnt vmcnt(0)
	v_cmp_lt_i64_e32 vcc, v[16:17], v[18:19]
	s_andn2_b64 s[16:17], s[16:17], exec
	s_and_b64 s[20:21], vcc, exec
	s_or_b64 s[16:17], s[16:17], s[20:21]
	s_cbranch_execz .LBB63_2193
	s_branch .LBB63_2194
.LBB63_2203:
	s_mov_b64 s[18:19], -1
	s_mov_b64 s[22:23], 0
                                        ; implicit-def: $vgpr12_vgpr13
	s_branch .LBB63_2272
.LBB63_2204:
	s_mov_b64 s[24:25], -1
	s_mov_b64 s[22:23], 0
	s_mov_b64 s[18:19], 0
                                        ; implicit-def: $vgpr12_vgpr13
	s_branch .LBB63_2239
.LBB63_2205:
	s_mov_b64 s[24:25], -1
	s_mov_b64 s[22:23], 0
	s_mov_b64 s[18:19], 0
                                        ; implicit-def: $vgpr12_vgpr13
	s_branch .LBB63_2220
.LBB63_2206:
	s_mov_b64 s[24:25], -1
	s_mov_b64 s[22:23], 0
	s_mov_b64 s[18:19], 0
                                        ; implicit-def: $vgpr12_vgpr13
	s_branch .LBB63_2215
.LBB63_2207:
	s_trap 2
	s_or_b64 s[4:5], s[4:5], exec
	s_cbranch_execz .LBB63_2127
	s_branch .LBB63_2128
.LBB63_2208:
	s_mov_b64 s[24:25], -1
	s_mov_b64 s[22:23], 0
	s_mov_b64 s[18:19], 0
                                        ; implicit-def: $vgpr12_vgpr13
	s_branch .LBB63_2210
.LBB63_2209:
	s_mov_b64 s[18:19], -1
                                        ; implicit-def: $vgpr12_vgpr13
	s_mov_b64 s[22:23], 0
.LBB63_2210:
	s_and_b64 vcc, exec, s[24:25]
	s_cbranch_vccz .LBB63_2214
; %bb.2211:
	s_cmp_eq_u32 s29, 44
	s_cbranch_scc0 .LBB63_2213
; %bb.2212:
	global_load_ubyte v1, v[14:15], off
	s_mov_b32 s18, 0x2f800000
	s_mov_b32 s19, 0xcf800000
	s_mov_b64 s[22:23], -1
	s_waitcnt vmcnt(0)
	v_lshlrev_b32_e32 v3, 23, v1
	v_trunc_f32_e32 v3, v3
	v_mul_f32_e64 v5, |v3|, s18
	v_floor_f32_e32 v5, v5
	v_fma_f32 v8, v5, s19, |v3|
	v_cvt_u32_f32_e32 v8, v8
	v_cvt_u32_f32_e32 v5, v5
	v_ashrrev_i32_e32 v3, 31, v3
	s_mov_b64 s[18:19], 0
	v_xor_b32_e32 v8, v8, v3
	v_xor_b32_e32 v5, v5, v3
	v_sub_co_u32_e32 v8, vcc, v8, v3
	v_subb_co_u32_e32 v3, vcc, v5, v3, vcc
	v_cmp_ne_u32_e32 vcc, 0, v1
	v_cndmask_b32_e32 v13, 0, v3, vcc
	v_cndmask_b32_e32 v12, 0, v8, vcc
	s_branch .LBB63_2214
.LBB63_2213:
	s_mov_b64 s[18:19], -1
                                        ; implicit-def: $vgpr12_vgpr13
.LBB63_2214:
	s_mov_b64 s[24:25], 0
.LBB63_2215:
	s_and_b64 vcc, exec, s[24:25]
	s_cbranch_vccz .LBB63_2219
; %bb.2216:
	s_cmp_eq_u32 s29, 29
	s_cbranch_scc0 .LBB63_2218
; %bb.2217:
	global_load_dwordx2 v[12:13], v[14:15], off
	s_mov_b64 s[18:19], 0
	s_mov_b64 s[22:23], -1
	s_branch .LBB63_2219
.LBB63_2218:
	s_mov_b64 s[18:19], -1
                                        ; implicit-def: $vgpr12_vgpr13
.LBB63_2219:
	s_mov_b64 s[24:25], 0
.LBB63_2220:
	s_and_b64 vcc, exec, s[24:25]
	s_cbranch_vccz .LBB63_2238
; %bb.2221:
	s_cmp_lt_i32 s29, 27
	s_cbranch_scc1 .LBB63_2224
; %bb.2222:
	s_cmp_gt_i32 s29, 27
	s_cbranch_scc0 .LBB63_2225
; %bb.2223:
	global_load_dword v12, v[14:15], off
	s_waitcnt vmcnt(1)
	v_mov_b32_e32 v13, 0
	s_mov_b64 s[22:23], 0
	s_branch .LBB63_2226
.LBB63_2224:
	s_mov_b64 s[22:23], -1
                                        ; implicit-def: $vgpr12_vgpr13
	s_branch .LBB63_2229
.LBB63_2225:
	s_mov_b64 s[22:23], -1
                                        ; implicit-def: $vgpr12_vgpr13
.LBB63_2226:
	s_andn2_b64 vcc, exec, s[22:23]
	s_cbranch_vccnz .LBB63_2228
; %bb.2227:
	global_load_ushort v1, v[14:15], off
	s_mov_b32 s22, 0
	s_waitcnt vmcnt(1)
	v_mov_b32_e32 v13, s22
	s_waitcnt vmcnt(0)
	v_and_b32_e32 v12, 0xffff, v1
.LBB63_2228:
	s_mov_b64 s[22:23], 0
.LBB63_2229:
	s_andn2_b64 vcc, exec, s[22:23]
	s_cbranch_vccnz .LBB63_2237
; %bb.2230:
	global_load_ubyte v1, v[14:15], off
	s_movk_i32 s22, 0x7f
	s_mov_b64 s[24:25], 0
	s_waitcnt vmcnt(0)
	v_cmp_lt_i16_e32 vcc, s22, v1
	s_and_saveexec_b64 s[22:23], vcc
	s_xor_b64 s[22:23], exec, s[22:23]
; %bb.2231:
	s_movk_i32 s24, 0x80
	v_cmp_ne_u16_e32 vcc, s24, v1
	s_and_b64 s[24:25], vcc, exec
; %bb.2232:
	s_andn2_saveexec_b64 s[22:23], s[22:23]
; %bb.2233:
	v_cmp_ne_u16_e32 vcc, 0, v1
	s_andn2_b64 s[24:25], s[24:25], exec
	s_and_b64 s[30:31], vcc, exec
	s_or_b64 s[24:25], s[24:25], s[30:31]
; %bb.2234:
	s_or_b64 exec, exec, s[22:23]
	v_mov_b32_e32 v12, 0
	v_mov_b32_e32 v13, 0
	s_and_saveexec_b64 s[22:23], s[24:25]
	s_cbranch_execz .LBB63_2236
; %bb.2235:
	v_lshlrev_b32_e32 v3, 24, v1
	v_and_b32_e32 v1, 0xffff, v1
	v_and_b32_e32 v5, 7, v1
	v_ffbh_u32_e32 v10, v5
	v_min_u32_e32 v10, 32, v10
	v_subrev_u32_e32 v12, 28, v10
	v_bfe_u32 v8, v1, 3, 4
	v_lshlrev_b32_e32 v1, v12, v1
	v_sub_u32_e32 v10, 29, v10
	v_and_b32_e32 v1, 7, v1
	v_cmp_eq_u32_e32 vcc, 0, v8
	v_cndmask_b32_e32 v8, v8, v10, vcc
	v_cndmask_b32_e32 v1, v5, v1, vcc
	v_mov_b32_e32 v5, 0x3b800000
	v_lshlrev_b32_e32 v1, 20, v1
	v_and_b32_e32 v3, 0x80000000, v3
	v_lshl_add_u32 v5, v8, 23, v5
	v_or3_b32 v1, v3, v5, v1
	v_trunc_f32_e32 v1, v1
	s_mov_b32 s24, 0x2f800000
	v_mul_f32_e64 v3, |v1|, s24
	v_floor_f32_e32 v3, v3
	s_mov_b32 s24, 0xcf800000
	v_fma_f32 v5, v3, s24, |v1|
	v_cvt_u32_f32_e32 v5, v5
	v_cvt_u32_f32_e32 v3, v3
	v_ashrrev_i32_e32 v1, 31, v1
	v_xor_b32_e32 v5, v5, v1
	v_xor_b32_e32 v3, v3, v1
	v_sub_co_u32_e32 v12, vcc, v5, v1
	v_subb_co_u32_e32 v13, vcc, v3, v1, vcc
.LBB63_2236:
	s_or_b64 exec, exec, s[22:23]
.LBB63_2237:
	s_mov_b64 s[22:23], -1
.LBB63_2238:
	s_mov_b64 s[24:25], 0
.LBB63_2239:
	s_and_b64 vcc, exec, s[24:25]
	s_cbranch_vccz .LBB63_2268
; %bb.2240:
	s_cmp_gt_i32 s29, 22
	s_cbranch_scc0 .LBB63_2250
; %bb.2241:
	s_cmp_lt_i32 s29, 24
	s_cbranch_scc1 .LBB63_2251
; %bb.2242:
	s_cmp_gt_i32 s29, 24
	s_cbranch_scc0 .LBB63_2252
; %bb.2243:
	global_load_ubyte v1, v[14:15], off
	s_movk_i32 s20, 0x7f
	s_mov_b64 s[22:23], 0
	s_waitcnt vmcnt(0)
	v_cmp_lt_i16_e32 vcc, s20, v1
	s_and_saveexec_b64 s[20:21], vcc
	s_xor_b64 s[20:21], exec, s[20:21]
; %bb.2244:
	s_movk_i32 s22, 0x80
	v_cmp_ne_u16_e32 vcc, s22, v1
	s_and_b64 s[22:23], vcc, exec
; %bb.2245:
	s_andn2_saveexec_b64 s[20:21], s[20:21]
; %bb.2246:
	v_cmp_ne_u16_e32 vcc, 0, v1
	s_andn2_b64 s[22:23], s[22:23], exec
	s_and_b64 s[24:25], vcc, exec
	s_or_b64 s[22:23], s[22:23], s[24:25]
; %bb.2247:
	s_or_b64 exec, exec, s[20:21]
	v_mov_b32_e32 v12, 0
	v_mov_b32_e32 v13, 0
	s_and_saveexec_b64 s[20:21], s[22:23]
	s_cbranch_execz .LBB63_2249
; %bb.2248:
	v_lshlrev_b32_e32 v3, 24, v1
	v_and_b32_e32 v1, 0xffff, v1
	v_and_b32_e32 v5, 3, v1
	v_ffbh_u32_e32 v10, v5
	v_min_u32_e32 v10, 32, v10
	v_subrev_u32_e32 v12, 29, v10
	v_bfe_u32 v8, v1, 2, 5
	v_lshlrev_b32_e32 v1, v12, v1
	v_sub_u32_e32 v10, 30, v10
	v_and_b32_e32 v1, 3, v1
	v_cmp_eq_u32_e32 vcc, 0, v8
	v_cndmask_b32_e32 v8, v8, v10, vcc
	v_cndmask_b32_e32 v1, v5, v1, vcc
	v_mov_b32_e32 v5, 0x37800000
	v_lshlrev_b32_e32 v1, 21, v1
	v_and_b32_e32 v3, 0x80000000, v3
	v_lshl_add_u32 v5, v8, 23, v5
	v_or3_b32 v1, v3, v5, v1
	v_trunc_f32_e32 v1, v1
	s_mov_b32 s22, 0x2f800000
	v_mul_f32_e64 v3, |v1|, s22
	v_floor_f32_e32 v3, v3
	s_mov_b32 s22, 0xcf800000
	v_fma_f32 v5, v3, s22, |v1|
	v_cvt_u32_f32_e32 v5, v5
	v_cvt_u32_f32_e32 v3, v3
	v_ashrrev_i32_e32 v1, 31, v1
	v_xor_b32_e32 v5, v5, v1
	v_xor_b32_e32 v3, v3, v1
	v_sub_co_u32_e32 v12, vcc, v5, v1
	v_subb_co_u32_e32 v13, vcc, v3, v1, vcc
.LBB63_2249:
	s_or_b64 exec, exec, s[20:21]
	s_mov_b64 s[20:21], 0
	s_branch .LBB63_2253
.LBB63_2250:
	s_mov_b64 s[20:21], -1
                                        ; implicit-def: $vgpr12_vgpr13
	s_branch .LBB63_2259
.LBB63_2251:
	s_mov_b64 s[20:21], -1
                                        ; implicit-def: $vgpr12_vgpr13
	s_branch .LBB63_2256
.LBB63_2252:
	s_mov_b64 s[20:21], -1
                                        ; implicit-def: $vgpr12_vgpr13
.LBB63_2253:
	s_and_b64 vcc, exec, s[20:21]
	s_cbranch_vccz .LBB63_2255
; %bb.2254:
	global_load_ubyte v1, v[14:15], off
	s_mov_b32 s20, 0x7f800000
	s_brev_b32 s21, 1
	s_mov_b32 s22, 0x2f800000
	s_mov_b32 s23, 0xcf800000
	s_waitcnt vmcnt(0)
	v_lshlrev_b32_e32 v1, 24, v1
	v_and_b32_e32 v3, 0x7f000000, v1
	v_ffbh_u32_e32 v5, v3
	v_min_u32_e32 v5, 32, v5
	v_sub_u32_e64 v5, v5, 4 clamp
	v_lshlrev_b32_e32 v10, v5, v3
	v_lshlrev_b32_e32 v5, 23, v5
	v_lshrrev_b32_e32 v10, 4, v10
	v_add_u32_e32 v8, 0x1000000, v3
	v_sub_u32_e32 v5, v10, v5
	v_ashrrev_i32_e32 v8, 8, v8
	v_add_u32_e32 v5, 0x3c000000, v5
	v_and_or_b32 v5, v8, s20, v5
	v_cmp_ne_u32_e32 vcc, 0, v3
	v_cndmask_b32_e32 v3, 0, v5, vcc
	v_and_or_b32 v1, v1, s21, v3
	v_trunc_f32_e32 v1, v1
	v_mul_f32_e64 v3, |v1|, s22
	v_floor_f32_e32 v3, v3
	v_fma_f32 v5, v3, s23, |v1|
	v_cvt_u32_f32_e32 v5, v5
	v_cvt_u32_f32_e32 v3, v3
	v_ashrrev_i32_e32 v1, 31, v1
	v_xor_b32_e32 v5, v5, v1
	v_xor_b32_e32 v3, v3, v1
	v_sub_co_u32_e32 v12, vcc, v5, v1
	v_subb_co_u32_e32 v13, vcc, v3, v1, vcc
.LBB63_2255:
	s_mov_b64 s[20:21], 0
.LBB63_2256:
	s_andn2_b64 vcc, exec, s[20:21]
	s_cbranch_vccnz .LBB63_2258
; %bb.2257:
	global_load_ubyte v1, v[14:15], off
	s_movk_i32 s20, 0x7f00
	s_brev_b32 s21, 16
	s_brev_b32 s22, 1
	s_mov_b32 s23, 0x2f800000
	s_mov_b32 s24, 0xcf800000
	s_waitcnt vmcnt(0)
	v_lshlrev_b16_e32 v3, 8, v1
	v_lshlrev_b32_e32 v1, 25, v1
	v_lshrrev_b32_e32 v5, 4, v1
	v_and_or_b32 v8, v3, s20, 0.5
	v_or_b32_e32 v5, 0x70000000, v5
	v_add_f32_e32 v8, -0.5, v8
	v_mul_f32_e32 v5, 0x7800000, v5
	v_cmp_gt_u32_e32 vcc, s21, v1
	v_bfe_i32 v3, v3, 0, 16
	v_cndmask_b32_e32 v1, v5, v8, vcc
	v_and_or_b32 v1, v3, s22, v1
	v_trunc_f32_e32 v1, v1
	v_mul_f32_e64 v3, |v1|, s23
	v_floor_f32_e32 v3, v3
	v_fma_f32 v5, v3, s24, |v1|
	v_cvt_u32_f32_e32 v5, v5
	v_cvt_u32_f32_e32 v3, v3
	v_ashrrev_i32_e32 v1, 31, v1
	v_xor_b32_e32 v5, v5, v1
	v_xor_b32_e32 v3, v3, v1
	v_sub_co_u32_e32 v12, vcc, v5, v1
	v_subb_co_u32_e32 v13, vcc, v3, v1, vcc
.LBB63_2258:
	s_mov_b64 s[20:21], 0
	s_mov_b64 s[22:23], -1
.LBB63_2259:
	s_andn2_b64 vcc, exec, s[20:21]
	s_mov_b64 s[20:21], 0
	s_cbranch_vccnz .LBB63_2268
; %bb.2260:
	s_cmp_gt_i32 s29, 14
	s_cbranch_scc0 .LBB63_2263
; %bb.2261:
	s_cmp_eq_u32 s29, 15
	s_cbranch_scc0 .LBB63_2264
; %bb.2262:
	global_load_ushort v1, v[14:15], off
	s_mov_b32 s18, 0x2f800000
	s_mov_b32 s19, 0xcf800000
	s_mov_b64 s[22:23], -1
	s_waitcnt vmcnt(0)
	v_lshlrev_b32_e32 v1, 16, v1
	v_trunc_f32_e32 v1, v1
	v_mul_f32_e64 v3, |v1|, s18
	v_floor_f32_e32 v3, v3
	v_fma_f32 v5, v3, s19, |v1|
	v_cvt_u32_f32_e32 v5, v5
	v_cvt_u32_f32_e32 v3, v3
	v_ashrrev_i32_e32 v1, 31, v1
	s_mov_b64 s[18:19], 0
	v_xor_b32_e32 v5, v5, v1
	v_xor_b32_e32 v3, v3, v1
	v_sub_co_u32_e32 v12, vcc, v5, v1
	v_subb_co_u32_e32 v13, vcc, v3, v1, vcc
	s_branch .LBB63_2265
.LBB63_2263:
	s_mov_b64 s[24:25], -1
                                        ; implicit-def: $vgpr12_vgpr13
	s_branch .LBB63_2266
.LBB63_2264:
	s_mov_b64 s[18:19], -1
                                        ; implicit-def: $vgpr12_vgpr13
.LBB63_2265:
	s_mov_b64 s[24:25], 0
.LBB63_2266:
	s_and_b64 vcc, exec, s[24:25]
	s_cbranch_vccz .LBB63_2268
; %bb.2267:
	s_cmp_lg_u32 s29, 11
	s_mov_b64 s[20:21], -1
	s_cselect_b64 s[18:19], -1, 0
.LBB63_2268:
	s_and_b64 vcc, exec, s[18:19]
	s_cbranch_vccnz .LBB63_2333
; %bb.2269:
	s_andn2_b64 vcc, exec, s[20:21]
	s_cbranch_vccnz .LBB63_2271
.LBB63_2270:
	global_load_ubyte v1, v[14:15], off
	s_mov_b32 s18, 0
	s_waitcnt vmcnt(1)
	v_mov_b32_e32 v13, s18
	s_mov_b64 s[22:23], -1
	s_waitcnt vmcnt(0)
	v_cmp_ne_u16_e32 vcc, 0, v1
	v_cndmask_b32_e64 v12, 0, 1, vcc
.LBB63_2271:
	s_mov_b64 s[18:19], 0
.LBB63_2272:
	s_and_b64 vcc, exec, s[18:19]
	s_cbranch_vccz .LBB63_2321
; %bb.2273:
	s_and_b32 s20, 0xffff, s27
	s_cmp_lt_i32 s20, 5
	s_cbranch_scc1 .LBB63_2278
; %bb.2274:
	s_cmp_lt_i32 s20, 8
	s_cbranch_scc1 .LBB63_2279
; %bb.2275:
	;; [unrolled: 3-line block ×3, first 2 shown]
	s_cmp_gt_i32 s20, 9
	s_cbranch_scc0 .LBB63_2281
; %bb.2277:
	global_load_dwordx2 v[12:13], v[14:15], off
	s_movk_i32 s18, 0xffe0
	s_waitcnt vmcnt(0)
	v_trunc_f64_e32 v[12:13], v[12:13]
	v_ldexp_f64 v[16:17], v[12:13], s18
	s_mov_b32 s18, 0
	s_mov_b32 s19, 0xc1f00000
	v_floor_f64_e32 v[16:17], v[16:17]
	v_fma_f64 v[18:19], v[16:17], s[18:19], v[12:13]
	v_cvt_i32_f64_e32 v13, v[16:17]
	s_mov_b64 s[18:19], 0
	v_cvt_u32_f64_e32 v12, v[18:19]
	s_branch .LBB63_2282
.LBB63_2278:
	s_mov_b64 s[18:19], -1
                                        ; implicit-def: $vgpr12_vgpr13
	s_branch .LBB63_2300
.LBB63_2279:
	s_mov_b64 s[18:19], -1
                                        ; implicit-def: $vgpr12_vgpr13
	s_branch .LBB63_2288
.LBB63_2280:
	s_mov_b64 s[18:19], -1
                                        ; implicit-def: $vgpr12_vgpr13
	s_branch .LBB63_2285
.LBB63_2281:
	s_mov_b64 s[18:19], -1
                                        ; implicit-def: $vgpr12_vgpr13
.LBB63_2282:
	s_andn2_b64 vcc, exec, s[18:19]
	s_cbranch_vccnz .LBB63_2284
; %bb.2283:
	global_load_dword v1, v[14:15], off
	s_mov_b32 s18, 0x2f800000
	s_mov_b32 s19, 0xcf800000
	s_waitcnt vmcnt(0)
	v_trunc_f32_e32 v1, v1
	v_mul_f32_e64 v3, |v1|, s18
	v_floor_f32_e32 v3, v3
	v_cvt_u32_f32_e32 v5, v3
	v_fma_f32 v3, v3, s19, |v1|
	v_cvt_u32_f32_e32 v3, v3
	v_ashrrev_i32_e32 v1, 31, v1
	v_xor_b32_e32 v5, v5, v1
	v_xor_b32_e32 v3, v3, v1
	v_sub_co_u32_e32 v12, vcc, v3, v1
	v_subb_co_u32_e32 v13, vcc, v5, v1, vcc
.LBB63_2284:
	s_mov_b64 s[18:19], 0
.LBB63_2285:
	s_andn2_b64 vcc, exec, s[18:19]
	s_cbranch_vccnz .LBB63_2287
; %bb.2286:
	global_load_dword v1, v[14:15], off
	s_waitcnt vmcnt(0)
	v_cvt_f32_f16_e32 v1, v1
	v_cvt_i32_f32_e32 v12, v1
	v_ashrrev_i32_e32 v13, 31, v12
.LBB63_2287:
	s_mov_b64 s[18:19], 0
.LBB63_2288:
	s_andn2_b64 vcc, exec, s[18:19]
	s_cbranch_vccnz .LBB63_2299
; %bb.2289:
	s_cmp_lt_i32 s20, 6
	s_cbranch_scc1 .LBB63_2292
; %bb.2290:
	s_cmp_gt_i32 s20, 6
	s_cbranch_scc0 .LBB63_2293
; %bb.2291:
	global_load_dwordx2 v[12:13], v[14:15], off
	s_movk_i32 s18, 0xffe0
	s_waitcnt vmcnt(0)
	v_trunc_f64_e32 v[12:13], v[12:13]
	v_ldexp_f64 v[16:17], v[12:13], s18
	s_mov_b32 s18, 0
	s_mov_b32 s19, 0xc1f00000
	v_floor_f64_e32 v[16:17], v[16:17]
	v_fma_f64 v[18:19], v[16:17], s[18:19], v[12:13]
	v_cvt_i32_f64_e32 v13, v[16:17]
	s_mov_b64 s[18:19], 0
	v_cvt_u32_f64_e32 v12, v[18:19]
	s_branch .LBB63_2294
.LBB63_2292:
	s_mov_b64 s[18:19], -1
                                        ; implicit-def: $vgpr12_vgpr13
	s_branch .LBB63_2297
.LBB63_2293:
	s_mov_b64 s[18:19], -1
                                        ; implicit-def: $vgpr12_vgpr13
.LBB63_2294:
	s_andn2_b64 vcc, exec, s[18:19]
	s_cbranch_vccnz .LBB63_2296
; %bb.2295:
	global_load_dword v1, v[14:15], off
	s_mov_b32 s18, 0x2f800000
	s_mov_b32 s19, 0xcf800000
	s_waitcnt vmcnt(0)
	v_trunc_f32_e32 v1, v1
	v_mul_f32_e64 v3, |v1|, s18
	v_floor_f32_e32 v3, v3
	v_cvt_u32_f32_e32 v5, v3
	v_fma_f32 v3, v3, s19, |v1|
	v_cvt_u32_f32_e32 v3, v3
	v_ashrrev_i32_e32 v1, 31, v1
	v_xor_b32_e32 v5, v5, v1
	v_xor_b32_e32 v3, v3, v1
	v_sub_co_u32_e32 v12, vcc, v3, v1
	v_subb_co_u32_e32 v13, vcc, v5, v1, vcc
.LBB63_2296:
	s_mov_b64 s[18:19], 0
.LBB63_2297:
	s_andn2_b64 vcc, exec, s[18:19]
	s_cbranch_vccnz .LBB63_2299
; %bb.2298:
	global_load_ushort v1, v[14:15], off
	s_waitcnt vmcnt(0)
	v_cvt_f32_f16_e32 v1, v1
	v_cvt_i32_f32_e32 v12, v1
	v_ashrrev_i32_e32 v13, 31, v12
.LBB63_2299:
	s_mov_b64 s[18:19], 0
.LBB63_2300:
	s_andn2_b64 vcc, exec, s[18:19]
	s_cbranch_vccnz .LBB63_2320
; %bb.2301:
	s_cmp_lt_i32 s20, 2
	s_cbranch_scc1 .LBB63_2305
; %bb.2302:
	s_cmp_lt_i32 s20, 3
	s_cbranch_scc1 .LBB63_2306
; %bb.2303:
	s_cmp_gt_i32 s20, 3
	s_cbranch_scc0 .LBB63_2307
; %bb.2304:
	global_load_dwordx2 v[12:13], v[14:15], off
	s_mov_b64 s[18:19], 0
	s_branch .LBB63_2308
.LBB63_2305:
	s_mov_b64 s[18:19], -1
                                        ; implicit-def: $vgpr12_vgpr13
	s_branch .LBB63_2314
.LBB63_2306:
	s_mov_b64 s[18:19], -1
                                        ; implicit-def: $vgpr12_vgpr13
	s_branch .LBB63_2311
.LBB63_2307:
	s_mov_b64 s[18:19], -1
                                        ; implicit-def: $vgpr12_vgpr13
.LBB63_2308:
	s_andn2_b64 vcc, exec, s[18:19]
	s_cbranch_vccnz .LBB63_2310
; %bb.2309:
	global_load_dword v12, v[14:15], off
	s_waitcnt vmcnt(0)
	v_ashrrev_i32_e32 v13, 31, v12
.LBB63_2310:
	s_mov_b64 s[18:19], 0
.LBB63_2311:
	s_andn2_b64 vcc, exec, s[18:19]
	s_cbranch_vccnz .LBB63_2313
; %bb.2312:
	global_load_ushort v1, v[14:15], off
	s_waitcnt vmcnt(0)
	v_bfe_i32 v12, v1, 0, 16
	v_ashrrev_i32_e32 v13, 31, v12
.LBB63_2313:
	s_mov_b64 s[18:19], 0
.LBB63_2314:
	s_andn2_b64 vcc, exec, s[18:19]
	s_cbranch_vccnz .LBB63_2320
; %bb.2315:
	s_cmp_gt_i32 s20, 0
	s_cbranch_scc0 .LBB63_2317
; %bb.2316:
	global_load_sbyte v1, v[14:15], off
	s_mov_b64 s[18:19], 0
	s_waitcnt vmcnt(0)
	v_bfe_i32 v12, v1, 0, 16
	v_ashrrev_i32_e32 v13, 31, v12
	s_branch .LBB63_2318
.LBB63_2317:
	s_mov_b64 s[18:19], -1
                                        ; implicit-def: $vgpr12_vgpr13
.LBB63_2318:
	s_andn2_b64 vcc, exec, s[18:19]
	s_cbranch_vccnz .LBB63_2320
; %bb.2319:
	global_load_ubyte v1, v[14:15], off
	s_mov_b32 s18, 0
	s_waitcnt vmcnt(1)
	v_mov_b32_e32 v13, s18
	s_waitcnt vmcnt(0)
	v_and_b32_e32 v12, 0xffff, v1
.LBB63_2320:
	s_mov_b64 s[22:23], -1
.LBB63_2321:
	s_andn2_b64 vcc, exec, s[22:23]
	s_cbranch_vccnz .LBB63_2723
; %bb.2322:
	v_mov_b32_e32 v1, s1
	v_add_co_u32_e32 v10, vcc, s0, v11
	s_cmp_lt_i32 s28, 11
	v_addc_co_u32_e32 v11, vcc, 0, v1, vcc
	s_cbranch_scc1 .LBB63_2329
; %bb.2323:
	s_and_b32 s29, 0xffff, s28
	s_cmp_gt_i32 s29, 25
	s_mov_b64 s[20:21], 0
	s_cbranch_scc0 .LBB63_2330
; %bb.2324:
	s_cmp_gt_i32 s29, 28
	s_cbranch_scc0 .LBB63_2331
; %bb.2325:
	s_cmp_gt_i32 s29, 43
	;; [unrolled: 3-line block ×3, first 2 shown]
	s_cbranch_scc0 .LBB63_2334
; %bb.2327:
	s_cmp_eq_u32 s29, 46
	s_mov_b64 s[24:25], 0
	s_cbranch_scc0 .LBB63_2337
; %bb.2328:
	global_load_dword v1, v[10:11], off
	s_mov_b32 s18, 0x2f800000
	s_mov_b32 s19, 0xcf800000
	s_mov_b64 s[22:23], -1
	s_waitcnt vmcnt(0)
	v_lshlrev_b32_e32 v1, 16, v1
	v_trunc_f32_e32 v1, v1
	v_mul_f32_e64 v3, |v1|, s18
	v_floor_f32_e32 v3, v3
	v_fma_f32 v5, v3, s19, |v1|
	v_cvt_u32_f32_e32 v5, v5
	v_cvt_u32_f32_e32 v3, v3
	v_ashrrev_i32_e32 v1, 31, v1
	s_mov_b64 s[18:19], 0
	v_xor_b32_e32 v5, v5, v1
	v_xor_b32_e32 v3, v3, v1
	v_sub_co_u32_e32 v14, vcc, v5, v1
	v_subb_co_u32_e32 v15, vcc, v3, v1, vcc
	s_branch .LBB63_2338
.LBB63_2329:
	s_mov_b64 s[18:19], -1
	s_mov_b64 s[22:23], 0
                                        ; implicit-def: $vgpr14_vgpr15
	s_branch .LBB63_2400
.LBB63_2330:
	s_mov_b64 s[24:25], -1
	s_mov_b64 s[22:23], 0
	s_mov_b64 s[18:19], 0
                                        ; implicit-def: $vgpr14_vgpr15
	s_branch .LBB63_2367
.LBB63_2331:
	s_mov_b64 s[24:25], -1
	s_mov_b64 s[22:23], 0
	s_mov_b64 s[18:19], 0
                                        ; implicit-def: $vgpr14_vgpr15
	s_branch .LBB63_2348
.LBB63_2332:
	s_mov_b64 s[24:25], -1
	s_mov_b64 s[22:23], 0
	s_mov_b64 s[18:19], 0
                                        ; implicit-def: $vgpr14_vgpr15
	s_branch .LBB63_2343
.LBB63_2333:
	s_trap 2
	s_or_b64 s[4:5], s[4:5], exec
	s_cbranch_execz .LBB63_2270
	s_branch .LBB63_2271
.LBB63_2334:
	s_mov_b64 s[24:25], -1
	s_mov_b64 s[22:23], 0
	s_mov_b64 s[18:19], 0
                                        ; implicit-def: $vgpr14_vgpr15
	s_branch .LBB63_2338
.LBB63_2335:
	s_andn2_saveexec_b64 s[66:67], s[66:67]
	s_cbranch_execz .LBB63_1145
.LBB63_2336:
	v_add_f32_e32 v2, 0x42800000, v3
	v_and_b32_e32 v2, 0xff, v2
	v_cmp_ne_u32_e32 vcc, 0, v2
	s_andn2_b64 s[64:65], s[64:65], exec
	s_and_b64 s[76:77], vcc, exec
	s_or_b64 s[64:65], s[64:65], s[76:77]
	s_or_b64 exec, exec, s[66:67]
	v_mov_b32_e32 v4, 0
	s_and_saveexec_b64 s[66:67], s[64:65]
	s_cbranch_execnz .LBB63_1146
	s_branch .LBB63_1147
.LBB63_2337:
	s_mov_b64 s[18:19], -1
                                        ; implicit-def: $vgpr14_vgpr15
	s_mov_b64 s[22:23], 0
.LBB63_2338:
	s_and_b64 vcc, exec, s[24:25]
	s_cbranch_vccz .LBB63_2342
; %bb.2339:
	s_cmp_eq_u32 s29, 44
	s_cbranch_scc0 .LBB63_2341
; %bb.2340:
	global_load_ubyte v1, v[10:11], off
	s_mov_b32 s18, 0x2f800000
	s_mov_b32 s19, 0xcf800000
	s_mov_b64 s[22:23], -1
	s_waitcnt vmcnt(0)
	v_lshlrev_b32_e32 v3, 23, v1
	v_trunc_f32_e32 v3, v3
	v_mul_f32_e64 v5, |v3|, s18
	v_floor_f32_e32 v5, v5
	v_fma_f32 v8, v5, s19, |v3|
	v_cvt_u32_f32_e32 v8, v8
	v_cvt_u32_f32_e32 v5, v5
	v_ashrrev_i32_e32 v3, 31, v3
	s_mov_b64 s[18:19], 0
	v_xor_b32_e32 v8, v8, v3
	v_xor_b32_e32 v5, v5, v3
	v_sub_co_u32_e32 v8, vcc, v8, v3
	v_subb_co_u32_e32 v3, vcc, v5, v3, vcc
	v_cmp_ne_u32_e32 vcc, 0, v1
	v_cndmask_b32_e32 v15, 0, v3, vcc
	v_cndmask_b32_e32 v14, 0, v8, vcc
	s_branch .LBB63_2342
.LBB63_2341:
	s_mov_b64 s[18:19], -1
                                        ; implicit-def: $vgpr14_vgpr15
.LBB63_2342:
	s_mov_b64 s[24:25], 0
.LBB63_2343:
	s_and_b64 vcc, exec, s[24:25]
	s_cbranch_vccz .LBB63_2347
; %bb.2344:
	s_cmp_eq_u32 s29, 29
	s_cbranch_scc0 .LBB63_2346
; %bb.2345:
	global_load_dwordx2 v[14:15], v[10:11], off
	s_mov_b64 s[18:19], 0
	s_mov_b64 s[22:23], -1
	s_branch .LBB63_2347
.LBB63_2346:
	s_mov_b64 s[18:19], -1
                                        ; implicit-def: $vgpr14_vgpr15
.LBB63_2347:
	s_mov_b64 s[24:25], 0
.LBB63_2348:
	s_and_b64 vcc, exec, s[24:25]
	s_cbranch_vccz .LBB63_2366
; %bb.2349:
	s_cmp_lt_i32 s29, 27
	s_cbranch_scc1 .LBB63_2352
; %bb.2350:
	s_cmp_gt_i32 s29, 27
	s_cbranch_scc0 .LBB63_2353
; %bb.2351:
	global_load_dword v14, v[10:11], off
	s_waitcnt vmcnt(1)
	v_mov_b32_e32 v15, 0
	s_mov_b64 s[22:23], 0
	s_branch .LBB63_2354
.LBB63_2352:
	s_mov_b64 s[22:23], -1
                                        ; implicit-def: $vgpr14_vgpr15
	s_branch .LBB63_2357
.LBB63_2353:
	s_mov_b64 s[22:23], -1
                                        ; implicit-def: $vgpr14_vgpr15
.LBB63_2354:
	s_andn2_b64 vcc, exec, s[22:23]
	s_cbranch_vccnz .LBB63_2356
; %bb.2355:
	global_load_ushort v1, v[10:11], off
	s_mov_b32 s22, 0
	s_waitcnt vmcnt(1)
	v_mov_b32_e32 v15, s22
	s_waitcnt vmcnt(0)
	v_and_b32_e32 v14, 0xffff, v1
.LBB63_2356:
	s_mov_b64 s[22:23], 0
.LBB63_2357:
	s_andn2_b64 vcc, exec, s[22:23]
	s_cbranch_vccnz .LBB63_2365
; %bb.2358:
	global_load_ubyte v1, v[10:11], off
	s_movk_i32 s22, 0x7f
	s_mov_b64 s[24:25], 0
	s_waitcnt vmcnt(0)
	v_cmp_lt_i16_e32 vcc, s22, v1
	s_and_saveexec_b64 s[22:23], vcc
	s_xor_b64 s[22:23], exec, s[22:23]
; %bb.2359:
	s_movk_i32 s24, 0x80
	v_cmp_ne_u16_e32 vcc, s24, v1
	s_and_b64 s[24:25], vcc, exec
; %bb.2360:
	s_andn2_saveexec_b64 s[22:23], s[22:23]
; %bb.2361:
	v_cmp_ne_u16_e32 vcc, 0, v1
	s_andn2_b64 s[24:25], s[24:25], exec
	s_and_b64 s[30:31], vcc, exec
	s_or_b64 s[24:25], s[24:25], s[30:31]
; %bb.2362:
	s_or_b64 exec, exec, s[22:23]
	v_mov_b32_e32 v14, 0
	v_mov_b32_e32 v15, 0
	s_and_saveexec_b64 s[22:23], s[24:25]
	s_cbranch_execz .LBB63_2364
; %bb.2363:
	v_lshlrev_b32_e32 v3, 24, v1
	v_and_b32_e32 v1, 0xffff, v1
	v_and_b32_e32 v5, 7, v1
	v_ffbh_u32_e32 v14, v5
	v_min_u32_e32 v14, 32, v14
	v_subrev_u32_e32 v15, 28, v14
	v_bfe_u32 v8, v1, 3, 4
	v_lshlrev_b32_e32 v1, v15, v1
	v_sub_u32_e32 v14, 29, v14
	v_and_b32_e32 v1, 7, v1
	v_cmp_eq_u32_e32 vcc, 0, v8
	v_cndmask_b32_e32 v8, v8, v14, vcc
	v_cndmask_b32_e32 v1, v5, v1, vcc
	v_mov_b32_e32 v5, 0x3b800000
	v_lshlrev_b32_e32 v1, 20, v1
	v_and_b32_e32 v3, 0x80000000, v3
	v_lshl_add_u32 v5, v8, 23, v5
	v_or3_b32 v1, v3, v5, v1
	v_trunc_f32_e32 v1, v1
	s_mov_b32 s24, 0x2f800000
	v_mul_f32_e64 v3, |v1|, s24
	v_floor_f32_e32 v3, v3
	s_mov_b32 s24, 0xcf800000
	v_fma_f32 v5, v3, s24, |v1|
	v_cvt_u32_f32_e32 v5, v5
	v_cvt_u32_f32_e32 v3, v3
	v_ashrrev_i32_e32 v1, 31, v1
	v_xor_b32_e32 v5, v5, v1
	v_xor_b32_e32 v3, v3, v1
	v_sub_co_u32_e32 v14, vcc, v5, v1
	v_subb_co_u32_e32 v15, vcc, v3, v1, vcc
.LBB63_2364:
	s_or_b64 exec, exec, s[22:23]
.LBB63_2365:
	s_mov_b64 s[22:23], -1
.LBB63_2366:
	s_mov_b64 s[24:25], 0
.LBB63_2367:
	s_and_b64 vcc, exec, s[24:25]
	s_cbranch_vccz .LBB63_2396
; %bb.2368:
	s_cmp_gt_i32 s29, 22
	s_cbranch_scc0 .LBB63_2378
; %bb.2369:
	s_cmp_lt_i32 s29, 24
	s_cbranch_scc1 .LBB63_2379
; %bb.2370:
	s_cmp_gt_i32 s29, 24
	s_cbranch_scc0 .LBB63_2380
; %bb.2371:
	global_load_ubyte v1, v[10:11], off
	s_movk_i32 s20, 0x7f
	s_mov_b64 s[22:23], 0
	s_waitcnt vmcnt(0)
	v_cmp_lt_i16_e32 vcc, s20, v1
	s_and_saveexec_b64 s[20:21], vcc
	s_xor_b64 s[20:21], exec, s[20:21]
; %bb.2372:
	s_movk_i32 s22, 0x80
	v_cmp_ne_u16_e32 vcc, s22, v1
	s_and_b64 s[22:23], vcc, exec
; %bb.2373:
	s_andn2_saveexec_b64 s[20:21], s[20:21]
; %bb.2374:
	v_cmp_ne_u16_e32 vcc, 0, v1
	s_andn2_b64 s[22:23], s[22:23], exec
	s_and_b64 s[24:25], vcc, exec
	s_or_b64 s[22:23], s[22:23], s[24:25]
; %bb.2375:
	s_or_b64 exec, exec, s[20:21]
	v_mov_b32_e32 v14, 0
	v_mov_b32_e32 v15, 0
	s_and_saveexec_b64 s[20:21], s[22:23]
	s_cbranch_execz .LBB63_2377
; %bb.2376:
	v_lshlrev_b32_e32 v3, 24, v1
	v_and_b32_e32 v1, 0xffff, v1
	v_and_b32_e32 v5, 3, v1
	v_ffbh_u32_e32 v14, v5
	v_min_u32_e32 v14, 32, v14
	v_subrev_u32_e32 v15, 29, v14
	v_bfe_u32 v8, v1, 2, 5
	v_lshlrev_b32_e32 v1, v15, v1
	v_sub_u32_e32 v14, 30, v14
	v_and_b32_e32 v1, 3, v1
	v_cmp_eq_u32_e32 vcc, 0, v8
	v_cndmask_b32_e32 v8, v8, v14, vcc
	v_cndmask_b32_e32 v1, v5, v1, vcc
	v_mov_b32_e32 v5, 0x37800000
	v_lshlrev_b32_e32 v1, 21, v1
	v_and_b32_e32 v3, 0x80000000, v3
	v_lshl_add_u32 v5, v8, 23, v5
	v_or3_b32 v1, v3, v5, v1
	v_trunc_f32_e32 v1, v1
	s_mov_b32 s22, 0x2f800000
	v_mul_f32_e64 v3, |v1|, s22
	v_floor_f32_e32 v3, v3
	s_mov_b32 s22, 0xcf800000
	v_fma_f32 v5, v3, s22, |v1|
	v_cvt_u32_f32_e32 v5, v5
	v_cvt_u32_f32_e32 v3, v3
	v_ashrrev_i32_e32 v1, 31, v1
	v_xor_b32_e32 v5, v5, v1
	v_xor_b32_e32 v3, v3, v1
	v_sub_co_u32_e32 v14, vcc, v5, v1
	v_subb_co_u32_e32 v15, vcc, v3, v1, vcc
.LBB63_2377:
	s_or_b64 exec, exec, s[20:21]
	s_mov_b64 s[20:21], 0
	s_branch .LBB63_2381
.LBB63_2378:
	s_mov_b64 s[20:21], -1
                                        ; implicit-def: $vgpr14_vgpr15
	s_branch .LBB63_2387
.LBB63_2379:
	s_mov_b64 s[20:21], -1
                                        ; implicit-def: $vgpr14_vgpr15
	s_branch .LBB63_2384
.LBB63_2380:
	s_mov_b64 s[20:21], -1
                                        ; implicit-def: $vgpr14_vgpr15
.LBB63_2381:
	s_and_b64 vcc, exec, s[20:21]
	s_cbranch_vccz .LBB63_2383
; %bb.2382:
	global_load_ubyte v1, v[10:11], off
	s_mov_b32 s20, 0x7f800000
	s_brev_b32 s21, 1
	s_mov_b32 s22, 0x2f800000
	s_mov_b32 s23, 0xcf800000
	s_waitcnt vmcnt(0)
	v_lshlrev_b32_e32 v1, 24, v1
	v_and_b32_e32 v3, 0x7f000000, v1
	v_ffbh_u32_e32 v5, v3
	v_min_u32_e32 v5, 32, v5
	v_sub_u32_e64 v5, v5, 4 clamp
	v_lshlrev_b32_e32 v14, v5, v3
	v_lshlrev_b32_e32 v5, 23, v5
	v_lshrrev_b32_e32 v14, 4, v14
	v_add_u32_e32 v8, 0x1000000, v3
	v_sub_u32_e32 v5, v14, v5
	v_ashrrev_i32_e32 v8, 8, v8
	v_add_u32_e32 v5, 0x3c000000, v5
	v_and_or_b32 v5, v8, s20, v5
	v_cmp_ne_u32_e32 vcc, 0, v3
	v_cndmask_b32_e32 v3, 0, v5, vcc
	v_and_or_b32 v1, v1, s21, v3
	v_trunc_f32_e32 v1, v1
	v_mul_f32_e64 v3, |v1|, s22
	v_floor_f32_e32 v3, v3
	v_fma_f32 v5, v3, s23, |v1|
	v_cvt_u32_f32_e32 v5, v5
	v_cvt_u32_f32_e32 v3, v3
	v_ashrrev_i32_e32 v1, 31, v1
	v_xor_b32_e32 v5, v5, v1
	v_xor_b32_e32 v3, v3, v1
	v_sub_co_u32_e32 v14, vcc, v5, v1
	v_subb_co_u32_e32 v15, vcc, v3, v1, vcc
.LBB63_2383:
	s_mov_b64 s[20:21], 0
.LBB63_2384:
	s_andn2_b64 vcc, exec, s[20:21]
	s_cbranch_vccnz .LBB63_2386
; %bb.2385:
	global_load_ubyte v1, v[10:11], off
	s_movk_i32 s20, 0x7f00
	s_brev_b32 s21, 16
	s_brev_b32 s22, 1
	s_mov_b32 s23, 0x2f800000
	s_mov_b32 s24, 0xcf800000
	s_waitcnt vmcnt(0)
	v_lshlrev_b16_e32 v3, 8, v1
	v_lshlrev_b32_e32 v1, 25, v1
	v_lshrrev_b32_e32 v5, 4, v1
	v_and_or_b32 v8, v3, s20, 0.5
	v_or_b32_e32 v5, 0x70000000, v5
	v_add_f32_e32 v8, -0.5, v8
	v_mul_f32_e32 v5, 0x7800000, v5
	v_cmp_gt_u32_e32 vcc, s21, v1
	v_bfe_i32 v3, v3, 0, 16
	v_cndmask_b32_e32 v1, v5, v8, vcc
	v_and_or_b32 v1, v3, s22, v1
	v_trunc_f32_e32 v1, v1
	v_mul_f32_e64 v3, |v1|, s23
	v_floor_f32_e32 v3, v3
	v_fma_f32 v5, v3, s24, |v1|
	v_cvt_u32_f32_e32 v5, v5
	v_cvt_u32_f32_e32 v3, v3
	v_ashrrev_i32_e32 v1, 31, v1
	v_xor_b32_e32 v5, v5, v1
	v_xor_b32_e32 v3, v3, v1
	v_sub_co_u32_e32 v14, vcc, v5, v1
	v_subb_co_u32_e32 v15, vcc, v3, v1, vcc
.LBB63_2386:
	s_mov_b64 s[20:21], 0
	s_mov_b64 s[22:23], -1
.LBB63_2387:
	s_andn2_b64 vcc, exec, s[20:21]
	s_mov_b64 s[20:21], 0
	s_cbranch_vccnz .LBB63_2396
; %bb.2388:
	s_cmp_gt_i32 s29, 14
	s_cbranch_scc0 .LBB63_2391
; %bb.2389:
	s_cmp_eq_u32 s29, 15
	s_cbranch_scc0 .LBB63_2392
; %bb.2390:
	global_load_ushort v1, v[10:11], off
	s_mov_b32 s18, 0x2f800000
	s_mov_b32 s19, 0xcf800000
	s_mov_b64 s[22:23], -1
	s_waitcnt vmcnt(0)
	v_lshlrev_b32_e32 v1, 16, v1
	v_trunc_f32_e32 v1, v1
	v_mul_f32_e64 v3, |v1|, s18
	v_floor_f32_e32 v3, v3
	v_fma_f32 v5, v3, s19, |v1|
	v_cvt_u32_f32_e32 v5, v5
	v_cvt_u32_f32_e32 v3, v3
	v_ashrrev_i32_e32 v1, 31, v1
	s_mov_b64 s[18:19], 0
	v_xor_b32_e32 v5, v5, v1
	v_xor_b32_e32 v3, v3, v1
	v_sub_co_u32_e32 v14, vcc, v5, v1
	v_subb_co_u32_e32 v15, vcc, v3, v1, vcc
	s_branch .LBB63_2393
.LBB63_2391:
	s_mov_b64 s[24:25], -1
                                        ; implicit-def: $vgpr14_vgpr15
	s_branch .LBB63_2394
.LBB63_2392:
	s_mov_b64 s[18:19], -1
                                        ; implicit-def: $vgpr14_vgpr15
.LBB63_2393:
	s_mov_b64 s[24:25], 0
.LBB63_2394:
	s_and_b64 vcc, exec, s[24:25]
	s_cbranch_vccz .LBB63_2396
; %bb.2395:
	s_cmp_lg_u32 s29, 11
	s_mov_b64 s[20:21], -1
	s_cselect_b64 s[18:19], -1, 0
.LBB63_2396:
	s_and_b64 vcc, exec, s[18:19]
	s_cbranch_vccnz .LBB63_2478
; %bb.2397:
	s_andn2_b64 vcc, exec, s[20:21]
	s_cbranch_vccnz .LBB63_2399
.LBB63_2398:
	global_load_ubyte v1, v[10:11], off
	s_mov_b32 s18, 0
	s_waitcnt vmcnt(1)
	v_mov_b32_e32 v15, s18
	s_mov_b64 s[22:23], -1
	s_waitcnt vmcnt(0)
	v_cmp_ne_u16_e32 vcc, 0, v1
	v_cndmask_b32_e64 v14, 0, 1, vcc
.LBB63_2399:
	s_mov_b64 s[18:19], 0
.LBB63_2400:
	s_and_b64 vcc, exec, s[18:19]
	s_cbranch_vccz .LBB63_2449
; %bb.2401:
	s_and_b32 s20, 0xffff, s28
	s_cmp_lt_i32 s20, 5
	s_cbranch_scc1 .LBB63_2406
; %bb.2402:
	s_cmp_lt_i32 s20, 8
	s_cbranch_scc1 .LBB63_2407
; %bb.2403:
	;; [unrolled: 3-line block ×3, first 2 shown]
	s_cmp_gt_i32 s20, 9
	s_cbranch_scc0 .LBB63_2409
; %bb.2405:
	global_load_dwordx2 v[14:15], v[10:11], off
	s_movk_i32 s18, 0xffe0
	s_waitcnt vmcnt(0)
	v_trunc_f64_e32 v[14:15], v[14:15]
	v_ldexp_f64 v[16:17], v[14:15], s18
	s_mov_b32 s18, 0
	s_mov_b32 s19, 0xc1f00000
	v_floor_f64_e32 v[16:17], v[16:17]
	v_fma_f64 v[18:19], v[16:17], s[18:19], v[14:15]
	v_cvt_i32_f64_e32 v15, v[16:17]
	s_mov_b64 s[18:19], 0
	v_cvt_u32_f64_e32 v14, v[18:19]
	s_branch .LBB63_2410
.LBB63_2406:
	s_mov_b64 s[18:19], -1
                                        ; implicit-def: $vgpr14_vgpr15
	s_branch .LBB63_2428
.LBB63_2407:
	s_mov_b64 s[18:19], -1
                                        ; implicit-def: $vgpr14_vgpr15
	s_branch .LBB63_2416
.LBB63_2408:
	s_mov_b64 s[18:19], -1
                                        ; implicit-def: $vgpr14_vgpr15
	s_branch .LBB63_2413
.LBB63_2409:
	s_mov_b64 s[18:19], -1
                                        ; implicit-def: $vgpr14_vgpr15
.LBB63_2410:
	s_andn2_b64 vcc, exec, s[18:19]
	s_cbranch_vccnz .LBB63_2412
; %bb.2411:
	global_load_dword v1, v[10:11], off
	s_mov_b32 s18, 0x2f800000
	s_mov_b32 s19, 0xcf800000
	s_waitcnt vmcnt(0)
	v_trunc_f32_e32 v1, v1
	v_mul_f32_e64 v3, |v1|, s18
	v_floor_f32_e32 v3, v3
	v_cvt_u32_f32_e32 v5, v3
	v_fma_f32 v3, v3, s19, |v1|
	v_cvt_u32_f32_e32 v3, v3
	v_ashrrev_i32_e32 v1, 31, v1
	v_xor_b32_e32 v5, v5, v1
	v_xor_b32_e32 v3, v3, v1
	v_sub_co_u32_e32 v14, vcc, v3, v1
	v_subb_co_u32_e32 v15, vcc, v5, v1, vcc
.LBB63_2412:
	s_mov_b64 s[18:19], 0
.LBB63_2413:
	s_andn2_b64 vcc, exec, s[18:19]
	s_cbranch_vccnz .LBB63_2415
; %bb.2414:
	global_load_dword v1, v[10:11], off
	s_waitcnt vmcnt(0)
	v_cvt_f32_f16_e32 v1, v1
	v_cvt_i32_f32_e32 v14, v1
	v_ashrrev_i32_e32 v15, 31, v14
.LBB63_2415:
	s_mov_b64 s[18:19], 0
.LBB63_2416:
	s_andn2_b64 vcc, exec, s[18:19]
	s_cbranch_vccnz .LBB63_2427
; %bb.2417:
	s_cmp_lt_i32 s20, 6
	s_cbranch_scc1 .LBB63_2420
; %bb.2418:
	s_cmp_gt_i32 s20, 6
	s_cbranch_scc0 .LBB63_2421
; %bb.2419:
	global_load_dwordx2 v[14:15], v[10:11], off
	s_movk_i32 s18, 0xffe0
	s_waitcnt vmcnt(0)
	v_trunc_f64_e32 v[14:15], v[14:15]
	v_ldexp_f64 v[16:17], v[14:15], s18
	s_mov_b32 s18, 0
	s_mov_b32 s19, 0xc1f00000
	v_floor_f64_e32 v[16:17], v[16:17]
	v_fma_f64 v[18:19], v[16:17], s[18:19], v[14:15]
	v_cvt_i32_f64_e32 v15, v[16:17]
	s_mov_b64 s[18:19], 0
	v_cvt_u32_f64_e32 v14, v[18:19]
	s_branch .LBB63_2422
.LBB63_2420:
	s_mov_b64 s[18:19], -1
                                        ; implicit-def: $vgpr14_vgpr15
	s_branch .LBB63_2425
.LBB63_2421:
	s_mov_b64 s[18:19], -1
                                        ; implicit-def: $vgpr14_vgpr15
.LBB63_2422:
	s_andn2_b64 vcc, exec, s[18:19]
	s_cbranch_vccnz .LBB63_2424
; %bb.2423:
	global_load_dword v1, v[10:11], off
	s_mov_b32 s18, 0x2f800000
	s_mov_b32 s19, 0xcf800000
	s_waitcnt vmcnt(0)
	v_trunc_f32_e32 v1, v1
	v_mul_f32_e64 v3, |v1|, s18
	v_floor_f32_e32 v3, v3
	v_cvt_u32_f32_e32 v5, v3
	v_fma_f32 v3, v3, s19, |v1|
	v_cvt_u32_f32_e32 v3, v3
	v_ashrrev_i32_e32 v1, 31, v1
	v_xor_b32_e32 v5, v5, v1
	v_xor_b32_e32 v3, v3, v1
	v_sub_co_u32_e32 v14, vcc, v3, v1
	v_subb_co_u32_e32 v15, vcc, v5, v1, vcc
.LBB63_2424:
	s_mov_b64 s[18:19], 0
.LBB63_2425:
	s_andn2_b64 vcc, exec, s[18:19]
	s_cbranch_vccnz .LBB63_2427
; %bb.2426:
	global_load_ushort v1, v[10:11], off
	s_waitcnt vmcnt(0)
	v_cvt_f32_f16_e32 v1, v1
	v_cvt_i32_f32_e32 v14, v1
	v_ashrrev_i32_e32 v15, 31, v14
.LBB63_2427:
	s_mov_b64 s[18:19], 0
.LBB63_2428:
	s_andn2_b64 vcc, exec, s[18:19]
	s_cbranch_vccnz .LBB63_2448
; %bb.2429:
	s_cmp_lt_i32 s20, 2
	s_cbranch_scc1 .LBB63_2433
; %bb.2430:
	s_cmp_lt_i32 s20, 3
	s_cbranch_scc1 .LBB63_2434
; %bb.2431:
	s_cmp_gt_i32 s20, 3
	s_cbranch_scc0 .LBB63_2435
; %bb.2432:
	global_load_dwordx2 v[14:15], v[10:11], off
	s_mov_b64 s[18:19], 0
	s_branch .LBB63_2436
.LBB63_2433:
	s_mov_b64 s[18:19], -1
                                        ; implicit-def: $vgpr14_vgpr15
	s_branch .LBB63_2442
.LBB63_2434:
	s_mov_b64 s[18:19], -1
                                        ; implicit-def: $vgpr14_vgpr15
	s_branch .LBB63_2439
.LBB63_2435:
	s_mov_b64 s[18:19], -1
                                        ; implicit-def: $vgpr14_vgpr15
.LBB63_2436:
	s_andn2_b64 vcc, exec, s[18:19]
	s_cbranch_vccnz .LBB63_2438
; %bb.2437:
	global_load_dword v14, v[10:11], off
	s_waitcnt vmcnt(0)
	v_ashrrev_i32_e32 v15, 31, v14
.LBB63_2438:
	s_mov_b64 s[18:19], 0
.LBB63_2439:
	s_andn2_b64 vcc, exec, s[18:19]
	s_cbranch_vccnz .LBB63_2441
; %bb.2440:
	global_load_ushort v1, v[10:11], off
	s_waitcnt vmcnt(0)
	v_bfe_i32 v14, v1, 0, 16
	v_ashrrev_i32_e32 v15, 31, v14
.LBB63_2441:
	s_mov_b64 s[18:19], 0
.LBB63_2442:
	s_andn2_b64 vcc, exec, s[18:19]
	s_cbranch_vccnz .LBB63_2448
; %bb.2443:
	s_cmp_gt_i32 s20, 0
	s_cbranch_scc0 .LBB63_2445
; %bb.2444:
	global_load_sbyte v1, v[10:11], off
	s_mov_b64 s[18:19], 0
	s_waitcnt vmcnt(0)
	v_bfe_i32 v14, v1, 0, 16
	v_ashrrev_i32_e32 v15, 31, v14
	s_branch .LBB63_2446
.LBB63_2445:
	s_mov_b64 s[18:19], -1
                                        ; implicit-def: $vgpr14_vgpr15
.LBB63_2446:
	s_andn2_b64 vcc, exec, s[18:19]
	s_cbranch_vccnz .LBB63_2448
; %bb.2447:
	global_load_ubyte v1, v[10:11], off
	s_mov_b32 s18, 0
	s_waitcnt vmcnt(1)
	v_mov_b32_e32 v15, s18
	s_waitcnt vmcnt(0)
	v_and_b32_e32 v14, 0xffff, v1
.LBB63_2448:
	s_mov_b64 s[22:23], -1
.LBB63_2449:
	s_andn2_b64 vcc, exec, s[22:23]
	s_cbranch_vccnz .LBB63_2723
; %bb.2450:
	s_cmp_lt_i32 s26, 1
	s_mov_b64 s[20:21], 0
	s_cbranch_scc1 .LBB63_2454
; %bb.2451:
	s_cmp_gt_i32 s26, 1
	s_cbranch_scc0 .LBB63_2455
; %bb.2452:
	s_cmp_eq_u32 s26, 2
	s_cbranch_scc0 .LBB63_2456
; %bb.2453:
	s_waitcnt vmcnt(0)
	v_cmp_le_i64_e64 s[18:19], v[12:13], v[14:15]
	s_mov_b64 s[22:23], 0
	s_branch .LBB63_2457
.LBB63_2454:
	s_mov_b64 s[24:25], -1
                                        ; implicit-def: $sgpr18_sgpr19
	s_mov_b64 s[22:23], 0
	s_branch .LBB63_2461
.LBB63_2455:
	s_mov_b64 s[24:25], -1
	s_mov_b64 s[22:23], 0
                                        ; implicit-def: $sgpr18_sgpr19
	s_branch .LBB63_2458
.LBB63_2456:
	s_mov_b64 s[22:23], -1
                                        ; implicit-def: $sgpr18_sgpr19
.LBB63_2457:
	s_mov_b64 s[24:25], 0
.LBB63_2458:
	s_and_b64 vcc, exec, s[24:25]
	s_cbranch_vccz .LBB63_2460
; %bb.2459:
	s_waitcnt vmcnt(0)
	v_cmp_gt_i64_e32 vcc, v[12:13], v[14:15]
	s_andn2_b64 s[18:19], s[18:19], exec
	s_and_b64 s[24:25], vcc, exec
	s_or_b64 s[18:19], s[18:19], s[24:25]
.LBB63_2460:
	s_mov_b64 s[24:25], 0
.LBB63_2461:
	s_and_b64 vcc, exec, s[24:25]
	s_cbranch_vccz .LBB63_2472
; %bb.2462:
	s_cmp_lg_u32 s26, 0
	s_mov_b64 s[20:21], -1
	s_cselect_b64 s[22:23], -1, 0
	s_andn2_b64 vcc, exec, s[22:23]
	s_cbranch_vccz .LBB63_2473
.LBB63_2463:
	s_andn2_b64 vcc, exec, s[20:21]
	s_cbranch_vccnz .LBB63_2465
.LBB63_2464:
	s_waitcnt vmcnt(0)
	v_cmp_ge_i64_e32 vcc, v[12:13], v[14:15]
	s_andn2_b64 s[18:19], s[18:19], exec
	s_and_b64 s[20:21], vcc, exec
	s_or_b64 s[18:19], s[18:19], s[20:21]
.LBB63_2465:
	v_mov_b32_e32 v1, s11
	v_add_co_u32_e32 v10, vcc, s10, v9
	s_cmp_lt_i32 s27, 11
	v_addc_co_u32_e32 v11, vcc, 0, v1, vcc
	s_cbranch_scc1 .LBB63_2474
; %bb.2466:
	s_and_b32 s29, 0xffff, s27
	s_cmp_gt_i32 s29, 25
	s_mov_b64 s[20:21], 0
	s_cbranch_scc0 .LBB63_2475
; %bb.2467:
	s_cmp_gt_i32 s29, 28
	s_cbranch_scc0 .LBB63_2476
; %bb.2468:
	s_cmp_gt_i32 s29, 43
	;; [unrolled: 3-line block ×3, first 2 shown]
	s_cbranch_scc0 .LBB63_2479
; %bb.2470:
	s_cmp_eq_u32 s29, 46
	s_mov_b64 s[24:25], 0
	s_cbranch_scc0 .LBB63_2480
; %bb.2471:
	global_load_dword v1, v[10:11], off
	s_mov_b32 s10, 0x2f800000
	s_mov_b32 s11, 0xcf800000
	s_mov_b64 s[22:23], -1
	s_waitcnt vmcnt(0)
	v_lshlrev_b32_e32 v1, 16, v1
	v_trunc_f32_e32 v1, v1
	v_mul_f32_e64 v3, |v1|, s10
	v_floor_f32_e32 v3, v3
	v_fma_f32 v5, v3, s11, |v1|
	v_cvt_u32_f32_e32 v5, v5
	v_cvt_u32_f32_e32 v3, v3
	v_ashrrev_i32_e32 v1, 31, v1
	s_mov_b64 s[10:11], 0
	v_xor_b32_e32 v5, v5, v1
	v_xor_b32_e32 v3, v3, v1
	v_sub_co_u32_e32 v8, vcc, v5, v1
	v_subb_co_u32_e32 v9, vcc, v3, v1, vcc
	s_branch .LBB63_2481
.LBB63_2472:
	s_andn2_b64 vcc, exec, s[22:23]
	s_cbranch_vccnz .LBB63_2463
.LBB63_2473:
	s_waitcnt vmcnt(0)
	v_cmp_lt_i64_e32 vcc, v[12:13], v[14:15]
	s_andn2_b64 s[18:19], s[18:19], exec
	s_and_b64 s[22:23], vcc, exec
	s_or_b64 s[18:19], s[18:19], s[22:23]
	s_cbranch_execz .LBB63_2464
	s_branch .LBB63_2465
.LBB63_2474:
	s_mov_b64 s[10:11], -1
	s_mov_b64 s[22:23], 0
                                        ; implicit-def: $vgpr8_vgpr9
	s_branch .LBB63_2543
.LBB63_2475:
	s_mov_b64 s[24:25], -1
	s_mov_b64 s[22:23], 0
	s_mov_b64 s[10:11], 0
                                        ; implicit-def: $vgpr8_vgpr9
	s_branch .LBB63_2510
.LBB63_2476:
	s_mov_b64 s[24:25], -1
	s_mov_b64 s[22:23], 0
	s_mov_b64 s[10:11], 0
                                        ; implicit-def: $vgpr8_vgpr9
	s_branch .LBB63_2491
.LBB63_2477:
	s_mov_b64 s[24:25], -1
	s_mov_b64 s[22:23], 0
	s_mov_b64 s[10:11], 0
                                        ; implicit-def: $vgpr8_vgpr9
	s_branch .LBB63_2486
.LBB63_2478:
	s_trap 2
	s_or_b64 s[4:5], s[4:5], exec
	s_cbranch_execz .LBB63_2398
	s_branch .LBB63_2399
.LBB63_2479:
	s_mov_b64 s[24:25], -1
	s_mov_b64 s[22:23], 0
	s_mov_b64 s[10:11], 0
                                        ; implicit-def: $vgpr8_vgpr9
	s_branch .LBB63_2481
.LBB63_2480:
	s_mov_b64 s[10:11], -1
                                        ; implicit-def: $vgpr8_vgpr9
	s_mov_b64 s[22:23], 0
.LBB63_2481:
	s_and_b64 vcc, exec, s[24:25]
	s_cbranch_vccz .LBB63_2485
; %bb.2482:
	s_cmp_eq_u32 s29, 44
	s_cbranch_scc0 .LBB63_2484
; %bb.2483:
	global_load_ubyte v1, v[10:11], off
	s_mov_b32 s10, 0x2f800000
	s_mov_b32 s11, 0xcf800000
	s_mov_b64 s[22:23], -1
	s_waitcnt vmcnt(0)
	v_lshlrev_b32_e32 v3, 23, v1
	v_trunc_f32_e32 v3, v3
	v_mul_f32_e64 v5, |v3|, s10
	v_floor_f32_e32 v5, v5
	v_fma_f32 v8, v5, s11, |v3|
	v_cvt_u32_f32_e32 v8, v8
	v_cvt_u32_f32_e32 v5, v5
	v_ashrrev_i32_e32 v3, 31, v3
	s_mov_b64 s[10:11], 0
	v_xor_b32_e32 v8, v8, v3
	v_xor_b32_e32 v5, v5, v3
	v_sub_co_u32_e32 v8, vcc, v8, v3
	v_subb_co_u32_e32 v3, vcc, v5, v3, vcc
	v_cmp_ne_u32_e32 vcc, 0, v1
	v_cndmask_b32_e32 v9, 0, v3, vcc
	v_cndmask_b32_e32 v8, 0, v8, vcc
	s_branch .LBB63_2485
.LBB63_2484:
	s_mov_b64 s[10:11], -1
                                        ; implicit-def: $vgpr8_vgpr9
.LBB63_2485:
	s_mov_b64 s[24:25], 0
.LBB63_2486:
	s_and_b64 vcc, exec, s[24:25]
	s_cbranch_vccz .LBB63_2490
; %bb.2487:
	s_cmp_eq_u32 s29, 29
	s_cbranch_scc0 .LBB63_2489
; %bb.2488:
	global_load_dwordx2 v[8:9], v[10:11], off
	s_mov_b64 s[10:11], 0
	s_mov_b64 s[22:23], -1
	s_branch .LBB63_2490
.LBB63_2489:
	s_mov_b64 s[10:11], -1
                                        ; implicit-def: $vgpr8_vgpr9
.LBB63_2490:
	s_mov_b64 s[24:25], 0
.LBB63_2491:
	s_and_b64 vcc, exec, s[24:25]
	s_cbranch_vccz .LBB63_2509
; %bb.2492:
	s_cmp_lt_i32 s29, 27
	s_cbranch_scc1 .LBB63_2495
; %bb.2493:
	s_cmp_gt_i32 s29, 27
	s_cbranch_scc0 .LBB63_2496
; %bb.2494:
	global_load_dword v8, v[10:11], off
	s_waitcnt vmcnt(1)
	v_mov_b32_e32 v9, 0
	s_mov_b64 s[22:23], 0
	s_branch .LBB63_2497
.LBB63_2495:
	s_mov_b64 s[22:23], -1
                                        ; implicit-def: $vgpr8_vgpr9
	s_branch .LBB63_2500
.LBB63_2496:
	s_mov_b64 s[22:23], -1
                                        ; implicit-def: $vgpr8_vgpr9
.LBB63_2497:
	s_andn2_b64 vcc, exec, s[22:23]
	s_cbranch_vccnz .LBB63_2499
; %bb.2498:
	global_load_ushort v1, v[10:11], off
	s_mov_b32 s22, 0
	s_waitcnt vmcnt(1)
	v_mov_b32_e32 v9, s22
	s_waitcnt vmcnt(0)
	v_and_b32_e32 v8, 0xffff, v1
.LBB63_2499:
	s_mov_b64 s[22:23], 0
.LBB63_2500:
	s_andn2_b64 vcc, exec, s[22:23]
	s_cbranch_vccnz .LBB63_2508
; %bb.2501:
	global_load_ubyte v1, v[10:11], off
	s_movk_i32 s22, 0x7f
	s_mov_b64 s[24:25], 0
	s_waitcnt vmcnt(0)
	v_cmp_lt_i16_e32 vcc, s22, v1
	s_and_saveexec_b64 s[22:23], vcc
	s_xor_b64 s[22:23], exec, s[22:23]
; %bb.2502:
	s_movk_i32 s24, 0x80
	v_cmp_ne_u16_e32 vcc, s24, v1
	s_and_b64 s[24:25], vcc, exec
; %bb.2503:
	s_andn2_saveexec_b64 s[22:23], s[22:23]
; %bb.2504:
	v_cmp_ne_u16_e32 vcc, 0, v1
	s_andn2_b64 s[24:25], s[24:25], exec
	s_and_b64 s[30:31], vcc, exec
	s_or_b64 s[24:25], s[24:25], s[30:31]
; %bb.2505:
	s_or_b64 exec, exec, s[22:23]
	v_mov_b32_e32 v8, 0
	v_mov_b32_e32 v9, 0
	s_and_saveexec_b64 s[22:23], s[24:25]
	s_cbranch_execz .LBB63_2507
; %bb.2506:
	v_lshlrev_b32_e32 v3, 24, v1
	v_and_b32_e32 v1, 0xffff, v1
	v_and_b32_e32 v5, 7, v1
	v_ffbh_u32_e32 v9, v5
	v_min_u32_e32 v9, 32, v9
	v_subrev_u32_e32 v12, 28, v9
	v_bfe_u32 v8, v1, 3, 4
	v_lshlrev_b32_e32 v1, v12, v1
	v_sub_u32_e32 v9, 29, v9
	v_and_b32_e32 v1, 7, v1
	v_cmp_eq_u32_e32 vcc, 0, v8
	v_cndmask_b32_e32 v8, v8, v9, vcc
	v_cndmask_b32_e32 v1, v5, v1, vcc
	v_mov_b32_e32 v5, 0x3b800000
	v_lshlrev_b32_e32 v1, 20, v1
	v_and_b32_e32 v3, 0x80000000, v3
	v_lshl_add_u32 v5, v8, 23, v5
	v_or3_b32 v1, v3, v5, v1
	v_trunc_f32_e32 v1, v1
	s_mov_b32 s24, 0x2f800000
	v_mul_f32_e64 v3, |v1|, s24
	v_floor_f32_e32 v3, v3
	s_mov_b32 s24, 0xcf800000
	v_fma_f32 v5, v3, s24, |v1|
	v_cvt_u32_f32_e32 v5, v5
	v_cvt_u32_f32_e32 v3, v3
	v_ashrrev_i32_e32 v1, 31, v1
	v_xor_b32_e32 v5, v5, v1
	v_xor_b32_e32 v3, v3, v1
	v_sub_co_u32_e32 v8, vcc, v5, v1
	v_subb_co_u32_e32 v9, vcc, v3, v1, vcc
.LBB63_2507:
	s_or_b64 exec, exec, s[22:23]
.LBB63_2508:
	s_mov_b64 s[22:23], -1
.LBB63_2509:
	s_mov_b64 s[24:25], 0
.LBB63_2510:
	s_and_b64 vcc, exec, s[24:25]
	s_cbranch_vccz .LBB63_2539
; %bb.2511:
	s_cmp_gt_i32 s29, 22
	s_cbranch_scc0 .LBB63_2521
; %bb.2512:
	s_cmp_lt_i32 s29, 24
	s_cbranch_scc1 .LBB63_2522
; %bb.2513:
	s_cmp_gt_i32 s29, 24
	s_cbranch_scc0 .LBB63_2523
; %bb.2514:
	global_load_ubyte v1, v[10:11], off
	s_movk_i32 s20, 0x7f
	s_mov_b64 s[22:23], 0
	s_waitcnt vmcnt(0)
	v_cmp_lt_i16_e32 vcc, s20, v1
	s_and_saveexec_b64 s[20:21], vcc
	s_xor_b64 s[20:21], exec, s[20:21]
; %bb.2515:
	s_movk_i32 s22, 0x80
	v_cmp_ne_u16_e32 vcc, s22, v1
	s_and_b64 s[22:23], vcc, exec
; %bb.2516:
	s_andn2_saveexec_b64 s[20:21], s[20:21]
; %bb.2517:
	v_cmp_ne_u16_e32 vcc, 0, v1
	s_andn2_b64 s[22:23], s[22:23], exec
	s_and_b64 s[24:25], vcc, exec
	s_or_b64 s[22:23], s[22:23], s[24:25]
; %bb.2518:
	s_or_b64 exec, exec, s[20:21]
	v_mov_b32_e32 v8, 0
	v_mov_b32_e32 v9, 0
	s_and_saveexec_b64 s[20:21], s[22:23]
	s_cbranch_execz .LBB63_2520
; %bb.2519:
	v_lshlrev_b32_e32 v3, 24, v1
	v_and_b32_e32 v1, 0xffff, v1
	v_and_b32_e32 v5, 3, v1
	v_ffbh_u32_e32 v9, v5
	v_min_u32_e32 v9, 32, v9
	v_subrev_u32_e32 v12, 29, v9
	v_bfe_u32 v8, v1, 2, 5
	v_lshlrev_b32_e32 v1, v12, v1
	v_sub_u32_e32 v9, 30, v9
	v_and_b32_e32 v1, 3, v1
	v_cmp_eq_u32_e32 vcc, 0, v8
	v_cndmask_b32_e32 v8, v8, v9, vcc
	v_cndmask_b32_e32 v1, v5, v1, vcc
	v_mov_b32_e32 v5, 0x37800000
	v_lshlrev_b32_e32 v1, 21, v1
	v_and_b32_e32 v3, 0x80000000, v3
	v_lshl_add_u32 v5, v8, 23, v5
	v_or3_b32 v1, v3, v5, v1
	v_trunc_f32_e32 v1, v1
	s_mov_b32 s22, 0x2f800000
	v_mul_f32_e64 v3, |v1|, s22
	v_floor_f32_e32 v3, v3
	s_mov_b32 s22, 0xcf800000
	v_fma_f32 v5, v3, s22, |v1|
	v_cvt_u32_f32_e32 v5, v5
	v_cvt_u32_f32_e32 v3, v3
	v_ashrrev_i32_e32 v1, 31, v1
	v_xor_b32_e32 v5, v5, v1
	v_xor_b32_e32 v3, v3, v1
	v_sub_co_u32_e32 v8, vcc, v5, v1
	v_subb_co_u32_e32 v9, vcc, v3, v1, vcc
.LBB63_2520:
	s_or_b64 exec, exec, s[20:21]
	s_mov_b64 s[20:21], 0
	s_branch .LBB63_2524
.LBB63_2521:
	s_mov_b64 s[20:21], -1
                                        ; implicit-def: $vgpr8_vgpr9
	s_branch .LBB63_2530
.LBB63_2522:
	s_mov_b64 s[20:21], -1
                                        ; implicit-def: $vgpr8_vgpr9
	s_branch .LBB63_2527
.LBB63_2523:
	s_mov_b64 s[20:21], -1
                                        ; implicit-def: $vgpr8_vgpr9
.LBB63_2524:
	s_and_b64 vcc, exec, s[20:21]
	s_cbranch_vccz .LBB63_2526
; %bb.2525:
	global_load_ubyte v1, v[10:11], off
	s_mov_b32 s20, 0x7f800000
	s_brev_b32 s21, 1
	s_mov_b32 s22, 0x2f800000
	s_mov_b32 s23, 0xcf800000
	s_waitcnt vmcnt(0)
	v_lshlrev_b32_e32 v1, 24, v1
	v_and_b32_e32 v3, 0x7f000000, v1
	v_ffbh_u32_e32 v5, v3
	v_min_u32_e32 v5, 32, v5
	v_sub_u32_e64 v5, v5, 4 clamp
	v_lshlrev_b32_e32 v9, v5, v3
	v_lshlrev_b32_e32 v5, 23, v5
	v_lshrrev_b32_e32 v9, 4, v9
	v_add_u32_e32 v8, 0x1000000, v3
	v_sub_u32_e32 v5, v9, v5
	v_ashrrev_i32_e32 v8, 8, v8
	v_add_u32_e32 v5, 0x3c000000, v5
	v_and_or_b32 v5, v8, s20, v5
	v_cmp_ne_u32_e32 vcc, 0, v3
	v_cndmask_b32_e32 v3, 0, v5, vcc
	v_and_or_b32 v1, v1, s21, v3
	v_trunc_f32_e32 v1, v1
	v_mul_f32_e64 v3, |v1|, s22
	v_floor_f32_e32 v3, v3
	v_fma_f32 v5, v3, s23, |v1|
	v_cvt_u32_f32_e32 v5, v5
	v_cvt_u32_f32_e32 v3, v3
	v_ashrrev_i32_e32 v1, 31, v1
	v_xor_b32_e32 v5, v5, v1
	v_xor_b32_e32 v3, v3, v1
	v_sub_co_u32_e32 v8, vcc, v5, v1
	v_subb_co_u32_e32 v9, vcc, v3, v1, vcc
.LBB63_2526:
	s_mov_b64 s[20:21], 0
.LBB63_2527:
	s_andn2_b64 vcc, exec, s[20:21]
	s_cbranch_vccnz .LBB63_2529
; %bb.2528:
	global_load_ubyte v1, v[10:11], off
	s_movk_i32 s20, 0x7f00
	s_brev_b32 s21, 16
	s_brev_b32 s22, 1
	s_mov_b32 s23, 0x2f800000
	s_mov_b32 s24, 0xcf800000
	s_waitcnt vmcnt(0)
	v_lshlrev_b16_e32 v3, 8, v1
	v_lshlrev_b32_e32 v1, 25, v1
	v_lshrrev_b32_e32 v5, 4, v1
	v_and_or_b32 v8, v3, s20, 0.5
	v_or_b32_e32 v5, 0x70000000, v5
	v_add_f32_e32 v8, -0.5, v8
	v_mul_f32_e32 v5, 0x7800000, v5
	v_cmp_gt_u32_e32 vcc, s21, v1
	v_bfe_i32 v3, v3, 0, 16
	v_cndmask_b32_e32 v1, v5, v8, vcc
	v_and_or_b32 v1, v3, s22, v1
	v_trunc_f32_e32 v1, v1
	v_mul_f32_e64 v3, |v1|, s23
	v_floor_f32_e32 v3, v3
	v_fma_f32 v5, v3, s24, |v1|
	v_cvt_u32_f32_e32 v5, v5
	v_cvt_u32_f32_e32 v3, v3
	v_ashrrev_i32_e32 v1, 31, v1
	v_xor_b32_e32 v5, v5, v1
	v_xor_b32_e32 v3, v3, v1
	v_sub_co_u32_e32 v8, vcc, v5, v1
	v_subb_co_u32_e32 v9, vcc, v3, v1, vcc
.LBB63_2529:
	s_mov_b64 s[20:21], 0
	s_mov_b64 s[22:23], -1
.LBB63_2530:
	s_andn2_b64 vcc, exec, s[20:21]
	s_mov_b64 s[20:21], 0
	s_cbranch_vccnz .LBB63_2539
; %bb.2531:
	s_cmp_gt_i32 s29, 14
	s_cbranch_scc0 .LBB63_2534
; %bb.2532:
	s_cmp_eq_u32 s29, 15
	s_cbranch_scc0 .LBB63_2535
; %bb.2533:
	global_load_ushort v1, v[10:11], off
	s_mov_b32 s10, 0x2f800000
	s_mov_b32 s11, 0xcf800000
	s_mov_b64 s[22:23], -1
	s_waitcnt vmcnt(0)
	v_lshlrev_b32_e32 v1, 16, v1
	v_trunc_f32_e32 v1, v1
	v_mul_f32_e64 v3, |v1|, s10
	v_floor_f32_e32 v3, v3
	v_fma_f32 v5, v3, s11, |v1|
	v_cvt_u32_f32_e32 v5, v5
	v_cvt_u32_f32_e32 v3, v3
	v_ashrrev_i32_e32 v1, 31, v1
	s_mov_b64 s[10:11], 0
	v_xor_b32_e32 v5, v5, v1
	v_xor_b32_e32 v3, v3, v1
	v_sub_co_u32_e32 v8, vcc, v5, v1
	v_subb_co_u32_e32 v9, vcc, v3, v1, vcc
	s_branch .LBB63_2536
.LBB63_2534:
	s_mov_b64 s[24:25], -1
                                        ; implicit-def: $vgpr8_vgpr9
	s_branch .LBB63_2537
.LBB63_2535:
	s_mov_b64 s[10:11], -1
                                        ; implicit-def: $vgpr8_vgpr9
.LBB63_2536:
	s_mov_b64 s[24:25], 0
.LBB63_2537:
	s_and_b64 vcc, exec, s[24:25]
	s_cbranch_vccz .LBB63_2539
; %bb.2538:
	s_cmp_lg_u32 s29, 11
	s_mov_b64 s[20:21], -1
	s_cselect_b64 s[10:11], -1, 0
.LBB63_2539:
	s_and_b64 vcc, exec, s[10:11]
	s_cbranch_vccnz .LBB63_2604
; %bb.2540:
	s_andn2_b64 vcc, exec, s[20:21]
	s_cbranch_vccnz .LBB63_2542
.LBB63_2541:
	global_load_ubyte v1, v[10:11], off
	s_mov_b32 s10, 0
	s_waitcnt vmcnt(1)
	v_mov_b32_e32 v9, s10
	s_mov_b64 s[22:23], -1
	s_waitcnt vmcnt(0)
	v_cmp_ne_u16_e32 vcc, 0, v1
	v_cndmask_b32_e64 v8, 0, 1, vcc
.LBB63_2542:
	s_mov_b64 s[10:11], 0
.LBB63_2543:
	s_and_b64 vcc, exec, s[10:11]
	s_cbranch_vccz .LBB63_2592
; %bb.2544:
	s_and_b32 s20, 0xffff, s27
	s_cmp_lt_i32 s20, 5
	s_cbranch_scc1 .LBB63_2549
; %bb.2545:
	s_cmp_lt_i32 s20, 8
	s_cbranch_scc1 .LBB63_2550
; %bb.2546:
	;; [unrolled: 3-line block ×3, first 2 shown]
	s_cmp_gt_i32 s20, 9
	s_cbranch_scc0 .LBB63_2552
; %bb.2548:
	global_load_dwordx2 v[8:9], v[10:11], off
	s_movk_i32 s10, 0xffe0
	s_waitcnt vmcnt(0)
	v_trunc_f64_e32 v[8:9], v[8:9]
	v_ldexp_f64 v[12:13], v[8:9], s10
	s_mov_b32 s10, 0
	s_mov_b32 s11, 0xc1f00000
	v_floor_f64_e32 v[12:13], v[12:13]
	v_fma_f64 v[14:15], v[12:13], s[10:11], v[8:9]
	v_cvt_i32_f64_e32 v9, v[12:13]
	s_mov_b64 s[10:11], 0
	v_cvt_u32_f64_e32 v8, v[14:15]
	s_branch .LBB63_2553
.LBB63_2549:
	s_mov_b64 s[10:11], -1
                                        ; implicit-def: $vgpr8_vgpr9
	s_branch .LBB63_2571
.LBB63_2550:
	s_mov_b64 s[10:11], -1
                                        ; implicit-def: $vgpr8_vgpr9
	s_branch .LBB63_2559
.LBB63_2551:
	s_mov_b64 s[10:11], -1
                                        ; implicit-def: $vgpr8_vgpr9
	s_branch .LBB63_2556
.LBB63_2552:
	s_mov_b64 s[10:11], -1
                                        ; implicit-def: $vgpr8_vgpr9
.LBB63_2553:
	s_andn2_b64 vcc, exec, s[10:11]
	s_cbranch_vccnz .LBB63_2555
; %bb.2554:
	global_load_dword v1, v[10:11], off
	s_mov_b32 s10, 0x2f800000
	s_mov_b32 s11, 0xcf800000
	s_waitcnt vmcnt(0)
	v_trunc_f32_e32 v1, v1
	v_mul_f32_e64 v3, |v1|, s10
	v_floor_f32_e32 v3, v3
	v_cvt_u32_f32_e32 v5, v3
	v_fma_f32 v3, v3, s11, |v1|
	v_cvt_u32_f32_e32 v3, v3
	v_ashrrev_i32_e32 v1, 31, v1
	v_xor_b32_e32 v5, v5, v1
	v_xor_b32_e32 v3, v3, v1
	v_sub_co_u32_e32 v8, vcc, v3, v1
	v_subb_co_u32_e32 v9, vcc, v5, v1, vcc
.LBB63_2555:
	s_mov_b64 s[10:11], 0
.LBB63_2556:
	s_andn2_b64 vcc, exec, s[10:11]
	s_cbranch_vccnz .LBB63_2558
; %bb.2557:
	global_load_dword v1, v[10:11], off
	s_waitcnt vmcnt(0)
	v_cvt_f32_f16_e32 v1, v1
	v_cvt_i32_f32_e32 v8, v1
	v_ashrrev_i32_e32 v9, 31, v8
.LBB63_2558:
	s_mov_b64 s[10:11], 0
.LBB63_2559:
	s_andn2_b64 vcc, exec, s[10:11]
	s_cbranch_vccnz .LBB63_2570
; %bb.2560:
	s_cmp_lt_i32 s20, 6
	s_cbranch_scc1 .LBB63_2563
; %bb.2561:
	s_cmp_gt_i32 s20, 6
	s_cbranch_scc0 .LBB63_2564
; %bb.2562:
	global_load_dwordx2 v[8:9], v[10:11], off
	s_movk_i32 s10, 0xffe0
	s_waitcnt vmcnt(0)
	v_trunc_f64_e32 v[8:9], v[8:9]
	v_ldexp_f64 v[12:13], v[8:9], s10
	s_mov_b32 s10, 0
	s_mov_b32 s11, 0xc1f00000
	v_floor_f64_e32 v[12:13], v[12:13]
	v_fma_f64 v[14:15], v[12:13], s[10:11], v[8:9]
	v_cvt_i32_f64_e32 v9, v[12:13]
	s_mov_b64 s[10:11], 0
	v_cvt_u32_f64_e32 v8, v[14:15]
	s_branch .LBB63_2565
.LBB63_2563:
	s_mov_b64 s[10:11], -1
                                        ; implicit-def: $vgpr8_vgpr9
	s_branch .LBB63_2568
.LBB63_2564:
	s_mov_b64 s[10:11], -1
                                        ; implicit-def: $vgpr8_vgpr9
.LBB63_2565:
	s_andn2_b64 vcc, exec, s[10:11]
	s_cbranch_vccnz .LBB63_2567
; %bb.2566:
	global_load_dword v1, v[10:11], off
	s_mov_b32 s10, 0x2f800000
	s_mov_b32 s11, 0xcf800000
	s_waitcnt vmcnt(0)
	v_trunc_f32_e32 v1, v1
	v_mul_f32_e64 v3, |v1|, s10
	v_floor_f32_e32 v3, v3
	v_cvt_u32_f32_e32 v5, v3
	v_fma_f32 v3, v3, s11, |v1|
	v_cvt_u32_f32_e32 v3, v3
	v_ashrrev_i32_e32 v1, 31, v1
	v_xor_b32_e32 v5, v5, v1
	v_xor_b32_e32 v3, v3, v1
	v_sub_co_u32_e32 v8, vcc, v3, v1
	v_subb_co_u32_e32 v9, vcc, v5, v1, vcc
.LBB63_2567:
	s_mov_b64 s[10:11], 0
.LBB63_2568:
	s_andn2_b64 vcc, exec, s[10:11]
	s_cbranch_vccnz .LBB63_2570
; %bb.2569:
	global_load_ushort v1, v[10:11], off
	s_waitcnt vmcnt(0)
	v_cvt_f32_f16_e32 v1, v1
	v_cvt_i32_f32_e32 v8, v1
	v_ashrrev_i32_e32 v9, 31, v8
.LBB63_2570:
	s_mov_b64 s[10:11], 0
.LBB63_2571:
	s_andn2_b64 vcc, exec, s[10:11]
	s_cbranch_vccnz .LBB63_2591
; %bb.2572:
	s_cmp_lt_i32 s20, 2
	s_cbranch_scc1 .LBB63_2576
; %bb.2573:
	s_cmp_lt_i32 s20, 3
	s_cbranch_scc1 .LBB63_2577
; %bb.2574:
	s_cmp_gt_i32 s20, 3
	s_cbranch_scc0 .LBB63_2578
; %bb.2575:
	global_load_dwordx2 v[8:9], v[10:11], off
	s_mov_b64 s[10:11], 0
	s_branch .LBB63_2579
.LBB63_2576:
	s_mov_b64 s[10:11], -1
                                        ; implicit-def: $vgpr8_vgpr9
	s_branch .LBB63_2585
.LBB63_2577:
	s_mov_b64 s[10:11], -1
                                        ; implicit-def: $vgpr8_vgpr9
	s_branch .LBB63_2582
.LBB63_2578:
	s_mov_b64 s[10:11], -1
                                        ; implicit-def: $vgpr8_vgpr9
.LBB63_2579:
	s_andn2_b64 vcc, exec, s[10:11]
	s_cbranch_vccnz .LBB63_2581
; %bb.2580:
	global_load_dword v8, v[10:11], off
	s_waitcnt vmcnt(0)
	v_ashrrev_i32_e32 v9, 31, v8
.LBB63_2581:
	s_mov_b64 s[10:11], 0
.LBB63_2582:
	s_andn2_b64 vcc, exec, s[10:11]
	s_cbranch_vccnz .LBB63_2584
; %bb.2583:
	global_load_ushort v1, v[10:11], off
	s_waitcnt vmcnt(0)
	v_bfe_i32 v8, v1, 0, 16
	v_ashrrev_i32_e32 v9, 31, v8
.LBB63_2584:
	s_mov_b64 s[10:11], 0
.LBB63_2585:
	s_andn2_b64 vcc, exec, s[10:11]
	s_cbranch_vccnz .LBB63_2591
; %bb.2586:
	s_cmp_gt_i32 s20, 0
	s_cbranch_scc0 .LBB63_2588
; %bb.2587:
	global_load_sbyte v1, v[10:11], off
	s_mov_b64 s[10:11], 0
	s_waitcnt vmcnt(0)
	v_bfe_i32 v8, v1, 0, 16
	v_ashrrev_i32_e32 v9, 31, v8
	s_branch .LBB63_2589
.LBB63_2588:
	s_mov_b64 s[10:11], -1
                                        ; implicit-def: $vgpr8_vgpr9
.LBB63_2589:
	s_andn2_b64 vcc, exec, s[10:11]
	s_cbranch_vccnz .LBB63_2591
; %bb.2590:
	global_load_ubyte v1, v[10:11], off
	s_mov_b32 s10, 0
	s_waitcnt vmcnt(1)
	v_mov_b32_e32 v9, s10
	s_waitcnt vmcnt(0)
	v_and_b32_e32 v8, 0xffff, v1
.LBB63_2591:
	s_mov_b64 s[22:23], -1
.LBB63_2592:
	s_andn2_b64 vcc, exec, s[22:23]
	s_cbranch_vccnz .LBB63_2723
; %bb.2593:
	v_mov_b32_e32 v1, s1
	v_add_co_u32_e32 v10, vcc, s0, v7
	s_cmp_lt_i32 s28, 11
	v_addc_co_u32_e32 v11, vcc, 0, v1, vcc
	s_cbranch_scc1 .LBB63_2600
; %bb.2594:
	s_and_b32 s24, 0xffff, s28
	s_cmp_gt_i32 s24, 25
	s_mov_b64 s[10:11], 0
	s_cbranch_scc0 .LBB63_2601
; %bb.2595:
	s_cmp_gt_i32 s24, 28
	s_cbranch_scc0 .LBB63_2602
; %bb.2596:
	s_cmp_gt_i32 s24, 43
	s_cbranch_scc0 .LBB63_2603
; %bb.2597:
	s_cmp_gt_i32 s24, 45
	s_cbranch_scc0 .LBB63_2605
; %bb.2598:
	s_cmp_eq_u32 s24, 46
	s_mov_b64 s[22:23], 0
	s_cbranch_scc0 .LBB63_2606
; %bb.2599:
	global_load_dword v1, v[10:11], off
	s_mov_b32 s0, 0x2f800000
	s_mov_b32 s1, 0xcf800000
	s_mov_b64 s[20:21], -1
	s_waitcnt vmcnt(0)
	v_lshlrev_b32_e32 v1, 16, v1
	v_trunc_f32_e32 v1, v1
	v_mul_f32_e64 v3, |v1|, s0
	v_floor_f32_e32 v3, v3
	v_fma_f32 v5, v3, s1, |v1|
	v_cvt_u32_f32_e32 v5, v5
	v_cvt_u32_f32_e32 v3, v3
	v_ashrrev_i32_e32 v1, 31, v1
	s_mov_b64 s[0:1], 0
	v_xor_b32_e32 v5, v5, v1
	v_xor_b32_e32 v3, v3, v1
	v_sub_co_u32_e32 v12, vcc, v5, v1
	v_subb_co_u32_e32 v13, vcc, v3, v1, vcc
	s_branch .LBB63_2607
.LBB63_2600:
	s_mov_b64 s[0:1], -1
	s_mov_b64 s[20:21], 0
                                        ; implicit-def: $vgpr12_vgpr13
	s_branch .LBB63_2669
.LBB63_2601:
	s_mov_b64 s[22:23], -1
	s_mov_b64 s[20:21], 0
	s_mov_b64 s[0:1], 0
                                        ; implicit-def: $vgpr12_vgpr13
	s_branch .LBB63_2636
.LBB63_2602:
	s_mov_b64 s[22:23], -1
	s_mov_b64 s[20:21], 0
	s_mov_b64 s[0:1], 0
                                        ; implicit-def: $vgpr12_vgpr13
	s_branch .LBB63_2617
.LBB63_2603:
	s_mov_b64 s[22:23], -1
	s_mov_b64 s[20:21], 0
	s_mov_b64 s[0:1], 0
                                        ; implicit-def: $vgpr12_vgpr13
	s_branch .LBB63_2612
.LBB63_2604:
	s_trap 2
	s_or_b64 s[4:5], s[4:5], exec
	s_cbranch_execz .LBB63_2541
	s_branch .LBB63_2542
.LBB63_2605:
	s_mov_b64 s[22:23], -1
	s_mov_b64 s[20:21], 0
	s_mov_b64 s[0:1], 0
                                        ; implicit-def: $vgpr12_vgpr13
	s_branch .LBB63_2607
.LBB63_2606:
	s_mov_b64 s[0:1], -1
                                        ; implicit-def: $vgpr12_vgpr13
	s_mov_b64 s[20:21], 0
.LBB63_2607:
	s_and_b64 vcc, exec, s[22:23]
	s_cbranch_vccz .LBB63_2611
; %bb.2608:
	s_cmp_eq_u32 s24, 44
	s_cbranch_scc0 .LBB63_2610
; %bb.2609:
	global_load_ubyte v1, v[10:11], off
	s_mov_b32 s0, 0x2f800000
	s_mov_b32 s1, 0xcf800000
	s_mov_b64 s[20:21], -1
	s_waitcnt vmcnt(0)
	v_lshlrev_b32_e32 v3, 23, v1
	v_trunc_f32_e32 v3, v3
	v_mul_f32_e64 v5, |v3|, s0
	v_floor_f32_e32 v5, v5
	v_fma_f32 v7, v5, s1, |v3|
	v_cvt_u32_f32_e32 v7, v7
	v_cvt_u32_f32_e32 v5, v5
	v_ashrrev_i32_e32 v3, 31, v3
	s_mov_b64 s[0:1], 0
	v_xor_b32_e32 v7, v7, v3
	v_xor_b32_e32 v5, v5, v3
	v_sub_co_u32_e32 v7, vcc, v7, v3
	v_subb_co_u32_e32 v3, vcc, v5, v3, vcc
	v_cmp_ne_u32_e32 vcc, 0, v1
	v_cndmask_b32_e32 v13, 0, v3, vcc
	v_cndmask_b32_e32 v12, 0, v7, vcc
	s_branch .LBB63_2611
.LBB63_2610:
	s_mov_b64 s[0:1], -1
                                        ; implicit-def: $vgpr12_vgpr13
.LBB63_2611:
	s_mov_b64 s[22:23], 0
.LBB63_2612:
	s_and_b64 vcc, exec, s[22:23]
	s_cbranch_vccz .LBB63_2616
; %bb.2613:
	s_cmp_eq_u32 s24, 29
	s_cbranch_scc0 .LBB63_2615
; %bb.2614:
	global_load_dwordx2 v[12:13], v[10:11], off
	s_mov_b64 s[0:1], 0
	s_mov_b64 s[20:21], -1
	s_branch .LBB63_2616
.LBB63_2615:
	s_mov_b64 s[0:1], -1
                                        ; implicit-def: $vgpr12_vgpr13
.LBB63_2616:
	s_mov_b64 s[22:23], 0
.LBB63_2617:
	s_and_b64 vcc, exec, s[22:23]
	s_cbranch_vccz .LBB63_2635
; %bb.2618:
	s_cmp_lt_i32 s24, 27
	s_cbranch_scc1 .LBB63_2621
; %bb.2619:
	s_cmp_gt_i32 s24, 27
	s_cbranch_scc0 .LBB63_2622
; %bb.2620:
	global_load_dword v12, v[10:11], off
	s_waitcnt vmcnt(1)
	v_mov_b32_e32 v13, 0
	s_mov_b64 s[20:21], 0
	s_branch .LBB63_2623
.LBB63_2621:
	s_mov_b64 s[20:21], -1
                                        ; implicit-def: $vgpr12_vgpr13
	s_branch .LBB63_2626
.LBB63_2622:
	s_mov_b64 s[20:21], -1
                                        ; implicit-def: $vgpr12_vgpr13
.LBB63_2623:
	s_andn2_b64 vcc, exec, s[20:21]
	s_cbranch_vccnz .LBB63_2625
; %bb.2624:
	global_load_ushort v1, v[10:11], off
	s_mov_b32 s20, 0
	s_waitcnt vmcnt(1)
	v_mov_b32_e32 v13, s20
	s_waitcnt vmcnt(0)
	v_and_b32_e32 v12, 0xffff, v1
.LBB63_2625:
	s_mov_b64 s[20:21], 0
.LBB63_2626:
	s_andn2_b64 vcc, exec, s[20:21]
	s_cbranch_vccnz .LBB63_2634
; %bb.2627:
	global_load_ubyte v1, v[10:11], off
	s_movk_i32 s20, 0x7f
	s_mov_b64 s[22:23], 0
	s_waitcnt vmcnt(0)
	v_cmp_lt_i16_e32 vcc, s20, v1
	s_and_saveexec_b64 s[20:21], vcc
	s_xor_b64 s[20:21], exec, s[20:21]
; %bb.2628:
	s_movk_i32 s22, 0x80
	v_cmp_ne_u16_e32 vcc, s22, v1
	s_and_b64 s[22:23], vcc, exec
; %bb.2629:
	s_andn2_saveexec_b64 s[20:21], s[20:21]
; %bb.2630:
	v_cmp_ne_u16_e32 vcc, 0, v1
	s_andn2_b64 s[22:23], s[22:23], exec
	s_and_b64 s[30:31], vcc, exec
	s_or_b64 s[22:23], s[22:23], s[30:31]
; %bb.2631:
	s_or_b64 exec, exec, s[20:21]
	v_mov_b32_e32 v12, 0
	v_mov_b32_e32 v13, 0
	s_and_saveexec_b64 s[20:21], s[22:23]
	s_cbranch_execz .LBB63_2633
; %bb.2632:
	v_lshlrev_b32_e32 v3, 24, v1
	v_and_b32_e32 v1, 0xffff, v1
	v_and_b32_e32 v5, 7, v1
	v_ffbh_u32_e32 v12, v5
	v_min_u32_e32 v12, 32, v12
	v_subrev_u32_e32 v13, 28, v12
	v_bfe_u32 v7, v1, 3, 4
	v_lshlrev_b32_e32 v1, v13, v1
	v_sub_u32_e32 v12, 29, v12
	v_and_b32_e32 v1, 7, v1
	v_cmp_eq_u32_e32 vcc, 0, v7
	v_cndmask_b32_e32 v7, v7, v12, vcc
	v_cndmask_b32_e32 v1, v5, v1, vcc
	v_mov_b32_e32 v5, 0x3b800000
	v_lshlrev_b32_e32 v1, 20, v1
	v_and_b32_e32 v3, 0x80000000, v3
	v_lshl_add_u32 v5, v7, 23, v5
	v_or3_b32 v1, v3, v5, v1
	v_trunc_f32_e32 v1, v1
	s_mov_b32 s22, 0x2f800000
	v_mul_f32_e64 v3, |v1|, s22
	v_floor_f32_e32 v3, v3
	s_mov_b32 s22, 0xcf800000
	v_fma_f32 v5, v3, s22, |v1|
	v_cvt_u32_f32_e32 v5, v5
	v_cvt_u32_f32_e32 v3, v3
	v_ashrrev_i32_e32 v1, 31, v1
	v_xor_b32_e32 v5, v5, v1
	v_xor_b32_e32 v3, v3, v1
	v_sub_co_u32_e32 v12, vcc, v5, v1
	v_subb_co_u32_e32 v13, vcc, v3, v1, vcc
.LBB63_2633:
	s_or_b64 exec, exec, s[20:21]
.LBB63_2634:
	s_mov_b64 s[20:21], -1
.LBB63_2635:
	s_mov_b64 s[22:23], 0
.LBB63_2636:
	s_and_b64 vcc, exec, s[22:23]
	s_cbranch_vccz .LBB63_2665
; %bb.2637:
	s_cmp_gt_i32 s24, 22
	s_cbranch_scc0 .LBB63_2647
; %bb.2638:
	s_cmp_lt_i32 s24, 24
	s_cbranch_scc1 .LBB63_2648
; %bb.2639:
	s_cmp_gt_i32 s24, 24
	s_cbranch_scc0 .LBB63_2649
; %bb.2640:
	global_load_ubyte v1, v[10:11], off
	s_movk_i32 s10, 0x7f
	s_mov_b64 s[20:21], 0
	s_waitcnt vmcnt(0)
	v_cmp_lt_i16_e32 vcc, s10, v1
	s_and_saveexec_b64 s[10:11], vcc
	s_xor_b64 s[10:11], exec, s[10:11]
; %bb.2641:
	s_movk_i32 s20, 0x80
	v_cmp_ne_u16_e32 vcc, s20, v1
	s_and_b64 s[20:21], vcc, exec
; %bb.2642:
	s_andn2_saveexec_b64 s[10:11], s[10:11]
; %bb.2643:
	v_cmp_ne_u16_e32 vcc, 0, v1
	s_andn2_b64 s[20:21], s[20:21], exec
	s_and_b64 s[22:23], vcc, exec
	s_or_b64 s[20:21], s[20:21], s[22:23]
; %bb.2644:
	s_or_b64 exec, exec, s[10:11]
	v_mov_b32_e32 v12, 0
	v_mov_b32_e32 v13, 0
	s_and_saveexec_b64 s[10:11], s[20:21]
	s_cbranch_execz .LBB63_2646
; %bb.2645:
	v_lshlrev_b32_e32 v3, 24, v1
	v_and_b32_e32 v1, 0xffff, v1
	v_and_b32_e32 v5, 3, v1
	v_ffbh_u32_e32 v12, v5
	v_min_u32_e32 v12, 32, v12
	v_subrev_u32_e32 v13, 29, v12
	v_bfe_u32 v7, v1, 2, 5
	v_lshlrev_b32_e32 v1, v13, v1
	v_sub_u32_e32 v12, 30, v12
	v_and_b32_e32 v1, 3, v1
	v_cmp_eq_u32_e32 vcc, 0, v7
	v_cndmask_b32_e32 v7, v7, v12, vcc
	v_cndmask_b32_e32 v1, v5, v1, vcc
	v_mov_b32_e32 v5, 0x37800000
	v_lshlrev_b32_e32 v1, 21, v1
	v_and_b32_e32 v3, 0x80000000, v3
	v_lshl_add_u32 v5, v7, 23, v5
	v_or3_b32 v1, v3, v5, v1
	v_trunc_f32_e32 v1, v1
	s_mov_b32 s20, 0x2f800000
	v_mul_f32_e64 v3, |v1|, s20
	v_floor_f32_e32 v3, v3
	s_mov_b32 s20, 0xcf800000
	v_fma_f32 v5, v3, s20, |v1|
	v_cvt_u32_f32_e32 v5, v5
	v_cvt_u32_f32_e32 v3, v3
	v_ashrrev_i32_e32 v1, 31, v1
	v_xor_b32_e32 v5, v5, v1
	v_xor_b32_e32 v3, v3, v1
	v_sub_co_u32_e32 v12, vcc, v5, v1
	v_subb_co_u32_e32 v13, vcc, v3, v1, vcc
.LBB63_2646:
	s_or_b64 exec, exec, s[10:11]
	s_mov_b64 s[10:11], 0
	s_branch .LBB63_2650
.LBB63_2647:
	s_mov_b64 s[10:11], -1
                                        ; implicit-def: $vgpr12_vgpr13
	s_branch .LBB63_2656
.LBB63_2648:
	s_mov_b64 s[10:11], -1
                                        ; implicit-def: $vgpr12_vgpr13
	s_branch .LBB63_2653
.LBB63_2649:
	s_mov_b64 s[10:11], -1
                                        ; implicit-def: $vgpr12_vgpr13
.LBB63_2650:
	s_and_b64 vcc, exec, s[10:11]
	s_cbranch_vccz .LBB63_2652
; %bb.2651:
	global_load_ubyte v1, v[10:11], off
	s_mov_b32 s10, 0x7f800000
	s_brev_b32 s11, 1
	s_mov_b32 s20, 0x2f800000
	s_mov_b32 s21, 0xcf800000
	s_waitcnt vmcnt(0)
	v_lshlrev_b32_e32 v1, 24, v1
	v_and_b32_e32 v3, 0x7f000000, v1
	v_ffbh_u32_e32 v5, v3
	v_min_u32_e32 v5, 32, v5
	v_sub_u32_e64 v5, v5, 4 clamp
	v_lshlrev_b32_e32 v12, v5, v3
	v_lshlrev_b32_e32 v5, 23, v5
	v_lshrrev_b32_e32 v12, 4, v12
	v_add_u32_e32 v7, 0x1000000, v3
	v_sub_u32_e32 v5, v12, v5
	v_ashrrev_i32_e32 v7, 8, v7
	v_add_u32_e32 v5, 0x3c000000, v5
	v_and_or_b32 v5, v7, s10, v5
	v_cmp_ne_u32_e32 vcc, 0, v3
	v_cndmask_b32_e32 v3, 0, v5, vcc
	v_and_or_b32 v1, v1, s11, v3
	v_trunc_f32_e32 v1, v1
	v_mul_f32_e64 v3, |v1|, s20
	v_floor_f32_e32 v3, v3
	v_fma_f32 v5, v3, s21, |v1|
	v_cvt_u32_f32_e32 v5, v5
	v_cvt_u32_f32_e32 v3, v3
	v_ashrrev_i32_e32 v1, 31, v1
	v_xor_b32_e32 v5, v5, v1
	v_xor_b32_e32 v3, v3, v1
	v_sub_co_u32_e32 v12, vcc, v5, v1
	v_subb_co_u32_e32 v13, vcc, v3, v1, vcc
.LBB63_2652:
	s_mov_b64 s[10:11], 0
.LBB63_2653:
	s_andn2_b64 vcc, exec, s[10:11]
	s_cbranch_vccnz .LBB63_2655
; %bb.2654:
	global_load_ubyte v1, v[10:11], off
	s_movk_i32 s10, 0x7f00
	s_brev_b32 s11, 16
	s_brev_b32 s20, 1
	s_mov_b32 s21, 0x2f800000
	s_mov_b32 s22, 0xcf800000
	s_waitcnt vmcnt(0)
	v_lshlrev_b16_e32 v3, 8, v1
	v_lshlrev_b32_e32 v1, 25, v1
	v_lshrrev_b32_e32 v5, 4, v1
	v_and_or_b32 v7, v3, s10, 0.5
	v_or_b32_e32 v5, 0x70000000, v5
	v_add_f32_e32 v7, -0.5, v7
	v_mul_f32_e32 v5, 0x7800000, v5
	v_cmp_gt_u32_e32 vcc, s11, v1
	v_bfe_i32 v3, v3, 0, 16
	v_cndmask_b32_e32 v1, v5, v7, vcc
	v_and_or_b32 v1, v3, s20, v1
	v_trunc_f32_e32 v1, v1
	v_mul_f32_e64 v3, |v1|, s21
	v_floor_f32_e32 v3, v3
	v_fma_f32 v5, v3, s22, |v1|
	v_cvt_u32_f32_e32 v5, v5
	v_cvt_u32_f32_e32 v3, v3
	v_ashrrev_i32_e32 v1, 31, v1
	v_xor_b32_e32 v5, v5, v1
	v_xor_b32_e32 v3, v3, v1
	v_sub_co_u32_e32 v12, vcc, v5, v1
	v_subb_co_u32_e32 v13, vcc, v3, v1, vcc
.LBB63_2655:
	s_mov_b64 s[10:11], 0
	s_mov_b64 s[20:21], -1
.LBB63_2656:
	s_andn2_b64 vcc, exec, s[10:11]
	s_mov_b64 s[10:11], 0
	s_cbranch_vccnz .LBB63_2665
; %bb.2657:
	s_cmp_gt_i32 s24, 14
	s_cbranch_scc0 .LBB63_2660
; %bb.2658:
	s_cmp_eq_u32 s24, 15
	s_cbranch_scc0 .LBB63_2661
; %bb.2659:
	global_load_ushort v1, v[10:11], off
	s_mov_b32 s0, 0x2f800000
	s_mov_b32 s1, 0xcf800000
	s_mov_b64 s[20:21], -1
	s_waitcnt vmcnt(0)
	v_lshlrev_b32_e32 v1, 16, v1
	v_trunc_f32_e32 v1, v1
	v_mul_f32_e64 v3, |v1|, s0
	v_floor_f32_e32 v3, v3
	v_fma_f32 v5, v3, s1, |v1|
	v_cvt_u32_f32_e32 v5, v5
	v_cvt_u32_f32_e32 v3, v3
	v_ashrrev_i32_e32 v1, 31, v1
	s_mov_b64 s[0:1], 0
	v_xor_b32_e32 v5, v5, v1
	v_xor_b32_e32 v3, v3, v1
	v_sub_co_u32_e32 v12, vcc, v5, v1
	v_subb_co_u32_e32 v13, vcc, v3, v1, vcc
	s_branch .LBB63_2662
.LBB63_2660:
	s_mov_b64 s[22:23], -1
                                        ; implicit-def: $vgpr12_vgpr13
	s_branch .LBB63_2663
.LBB63_2661:
	s_mov_b64 s[0:1], -1
                                        ; implicit-def: $vgpr12_vgpr13
.LBB63_2662:
	s_mov_b64 s[22:23], 0
.LBB63_2663:
	s_and_b64 vcc, exec, s[22:23]
	s_cbranch_vccz .LBB63_2665
; %bb.2664:
	s_cmp_lg_u32 s24, 11
	s_mov_b64 s[10:11], -1
	s_cselect_b64 s[0:1], -1, 0
.LBB63_2665:
	s_and_b64 vcc, exec, s[0:1]
	s_cbranch_vccnz .LBB63_3217
; %bb.2666:
	s_andn2_b64 vcc, exec, s[10:11]
	s_cbranch_vccnz .LBB63_2668
.LBB63_2667:
	global_load_ubyte v1, v[10:11], off
	s_mov_b32 s0, 0
	s_waitcnt vmcnt(1)
	v_mov_b32_e32 v13, s0
	s_mov_b64 s[20:21], -1
	s_waitcnt vmcnt(0)
	v_cmp_ne_u16_e32 vcc, 0, v1
	v_cndmask_b32_e64 v12, 0, 1, vcc
.LBB63_2668:
	s_mov_b64 s[0:1], 0
.LBB63_2669:
	s_and_b64 vcc, exec, s[0:1]
	s_cbranch_vccz .LBB63_2718
; %bb.2670:
	s_and_b32 s10, 0xffff, s28
	s_cmp_lt_i32 s10, 5
	s_cbranch_scc1 .LBB63_2675
; %bb.2671:
	s_cmp_lt_i32 s10, 8
	s_cbranch_scc1 .LBB63_2676
; %bb.2672:
	;; [unrolled: 3-line block ×3, first 2 shown]
	s_cmp_gt_i32 s10, 9
	s_cbranch_scc0 .LBB63_2678
; %bb.2674:
	global_load_dwordx2 v[12:13], v[10:11], off
	s_movk_i32 s0, 0xffe0
	s_waitcnt vmcnt(0)
	v_trunc_f64_e32 v[12:13], v[12:13]
	v_ldexp_f64 v[14:15], v[12:13], s0
	s_mov_b32 s0, 0
	s_mov_b32 s1, 0xc1f00000
	v_floor_f64_e32 v[14:15], v[14:15]
	v_fma_f64 v[16:17], v[14:15], s[0:1], v[12:13]
	v_cvt_i32_f64_e32 v13, v[14:15]
	s_mov_b64 s[0:1], 0
	v_cvt_u32_f64_e32 v12, v[16:17]
	s_branch .LBB63_2679
.LBB63_2675:
	s_mov_b64 s[0:1], -1
                                        ; implicit-def: $vgpr12_vgpr13
	s_branch .LBB63_2697
.LBB63_2676:
	s_mov_b64 s[0:1], -1
                                        ; implicit-def: $vgpr12_vgpr13
	s_branch .LBB63_2685
.LBB63_2677:
	s_mov_b64 s[0:1], -1
                                        ; implicit-def: $vgpr12_vgpr13
	s_branch .LBB63_2682
.LBB63_2678:
	s_mov_b64 s[0:1], -1
                                        ; implicit-def: $vgpr12_vgpr13
.LBB63_2679:
	s_andn2_b64 vcc, exec, s[0:1]
	s_cbranch_vccnz .LBB63_2681
; %bb.2680:
	global_load_dword v1, v[10:11], off
	s_mov_b32 s0, 0x2f800000
	s_mov_b32 s1, 0xcf800000
	s_waitcnt vmcnt(0)
	v_trunc_f32_e32 v1, v1
	v_mul_f32_e64 v3, |v1|, s0
	v_floor_f32_e32 v3, v3
	v_cvt_u32_f32_e32 v5, v3
	v_fma_f32 v3, v3, s1, |v1|
	v_cvt_u32_f32_e32 v3, v3
	v_ashrrev_i32_e32 v1, 31, v1
	v_xor_b32_e32 v5, v5, v1
	v_xor_b32_e32 v3, v3, v1
	v_sub_co_u32_e32 v12, vcc, v3, v1
	v_subb_co_u32_e32 v13, vcc, v5, v1, vcc
.LBB63_2681:
	s_mov_b64 s[0:1], 0
.LBB63_2682:
	s_andn2_b64 vcc, exec, s[0:1]
	s_cbranch_vccnz .LBB63_2684
; %bb.2683:
	global_load_dword v1, v[10:11], off
	s_waitcnt vmcnt(0)
	v_cvt_f32_f16_e32 v1, v1
	v_cvt_i32_f32_e32 v12, v1
	v_ashrrev_i32_e32 v13, 31, v12
.LBB63_2684:
	s_mov_b64 s[0:1], 0
.LBB63_2685:
	s_andn2_b64 vcc, exec, s[0:1]
	s_cbranch_vccnz .LBB63_2696
; %bb.2686:
	s_cmp_lt_i32 s10, 6
	s_cbranch_scc1 .LBB63_2689
; %bb.2687:
	s_cmp_gt_i32 s10, 6
	s_cbranch_scc0 .LBB63_2690
; %bb.2688:
	global_load_dwordx2 v[12:13], v[10:11], off
	s_movk_i32 s0, 0xffe0
	s_waitcnt vmcnt(0)
	v_trunc_f64_e32 v[12:13], v[12:13]
	v_ldexp_f64 v[14:15], v[12:13], s0
	s_mov_b32 s0, 0
	s_mov_b32 s1, 0xc1f00000
	v_floor_f64_e32 v[14:15], v[14:15]
	v_fma_f64 v[16:17], v[14:15], s[0:1], v[12:13]
	v_cvt_i32_f64_e32 v13, v[14:15]
	s_mov_b64 s[0:1], 0
	v_cvt_u32_f64_e32 v12, v[16:17]
	s_branch .LBB63_2691
.LBB63_2689:
	s_mov_b64 s[0:1], -1
                                        ; implicit-def: $vgpr12_vgpr13
	s_branch .LBB63_2694
.LBB63_2690:
	s_mov_b64 s[0:1], -1
                                        ; implicit-def: $vgpr12_vgpr13
.LBB63_2691:
	s_andn2_b64 vcc, exec, s[0:1]
	s_cbranch_vccnz .LBB63_2693
; %bb.2692:
	global_load_dword v1, v[10:11], off
	s_mov_b32 s0, 0x2f800000
	s_mov_b32 s1, 0xcf800000
	s_waitcnt vmcnt(0)
	v_trunc_f32_e32 v1, v1
	v_mul_f32_e64 v3, |v1|, s0
	v_floor_f32_e32 v3, v3
	v_cvt_u32_f32_e32 v5, v3
	v_fma_f32 v3, v3, s1, |v1|
	v_cvt_u32_f32_e32 v3, v3
	v_ashrrev_i32_e32 v1, 31, v1
	v_xor_b32_e32 v5, v5, v1
	v_xor_b32_e32 v3, v3, v1
	v_sub_co_u32_e32 v12, vcc, v3, v1
	v_subb_co_u32_e32 v13, vcc, v5, v1, vcc
.LBB63_2693:
	s_mov_b64 s[0:1], 0
.LBB63_2694:
	s_andn2_b64 vcc, exec, s[0:1]
	s_cbranch_vccnz .LBB63_2696
; %bb.2695:
	global_load_ushort v1, v[10:11], off
	s_waitcnt vmcnt(0)
	v_cvt_f32_f16_e32 v1, v1
	v_cvt_i32_f32_e32 v12, v1
	v_ashrrev_i32_e32 v13, 31, v12
.LBB63_2696:
	s_mov_b64 s[0:1], 0
.LBB63_2697:
	s_andn2_b64 vcc, exec, s[0:1]
	s_cbranch_vccnz .LBB63_2717
; %bb.2698:
	s_cmp_lt_i32 s10, 2
	s_cbranch_scc1 .LBB63_2702
; %bb.2699:
	s_cmp_lt_i32 s10, 3
	s_cbranch_scc1 .LBB63_2703
; %bb.2700:
	s_cmp_gt_i32 s10, 3
	s_cbranch_scc0 .LBB63_2704
; %bb.2701:
	global_load_dwordx2 v[12:13], v[10:11], off
	s_mov_b64 s[0:1], 0
	s_branch .LBB63_2705
.LBB63_2702:
	s_mov_b64 s[0:1], -1
                                        ; implicit-def: $vgpr12_vgpr13
	s_branch .LBB63_2711
.LBB63_2703:
	s_mov_b64 s[0:1], -1
                                        ; implicit-def: $vgpr12_vgpr13
	s_branch .LBB63_2708
.LBB63_2704:
	s_mov_b64 s[0:1], -1
                                        ; implicit-def: $vgpr12_vgpr13
.LBB63_2705:
	s_andn2_b64 vcc, exec, s[0:1]
	s_cbranch_vccnz .LBB63_2707
; %bb.2706:
	global_load_dword v12, v[10:11], off
	s_waitcnt vmcnt(0)
	v_ashrrev_i32_e32 v13, 31, v12
.LBB63_2707:
	s_mov_b64 s[0:1], 0
.LBB63_2708:
	s_andn2_b64 vcc, exec, s[0:1]
	s_cbranch_vccnz .LBB63_2710
; %bb.2709:
	global_load_ushort v1, v[10:11], off
	s_waitcnt vmcnt(0)
	v_bfe_i32 v12, v1, 0, 16
	v_ashrrev_i32_e32 v13, 31, v12
.LBB63_2710:
	s_mov_b64 s[0:1], 0
.LBB63_2711:
	s_andn2_b64 vcc, exec, s[0:1]
	s_cbranch_vccnz .LBB63_2717
; %bb.2712:
	s_cmp_gt_i32 s10, 0
	s_cbranch_scc0 .LBB63_2714
; %bb.2713:
	global_load_sbyte v1, v[10:11], off
	s_mov_b64 s[0:1], 0
	s_waitcnt vmcnt(0)
	v_bfe_i32 v12, v1, 0, 16
	v_ashrrev_i32_e32 v13, 31, v12
	s_branch .LBB63_2715
.LBB63_2714:
	s_mov_b64 s[0:1], -1
                                        ; implicit-def: $vgpr12_vgpr13
.LBB63_2715:
	s_andn2_b64 vcc, exec, s[0:1]
	s_cbranch_vccnz .LBB63_2717
; %bb.2716:
	global_load_ubyte v1, v[10:11], off
	s_mov_b32 s0, 0
	s_waitcnt vmcnt(1)
	v_mov_b32_e32 v13, s0
	s_waitcnt vmcnt(0)
	v_and_b32_e32 v12, 0xffff, v1
.LBB63_2717:
	s_mov_b64 s[20:21], -1
.LBB63_2718:
	s_andn2_b64 vcc, exec, s[20:21]
	s_cbranch_vccnz .LBB63_2723
; %bb.2719:
	s_cmp_lt_i32 s26, 1
	s_mov_b64 s[0:1], 0
	s_cbranch_scc1 .LBB63_2769
; %bb.2720:
	s_cmp_gt_i32 s26, 1
	s_cbranch_scc0 .LBB63_2770
; %bb.2721:
	s_cmp_eq_u32 s26, 2
	s_cbranch_scc0 .LBB63_2771
; %bb.2722:
	s_waitcnt vmcnt(0)
	v_cmp_le_i64_e64 s[10:11], v[8:9], v[12:13]
	s_mov_b64 s[20:21], 0
	s_branch .LBB63_2772
.LBB63_2723:
	s_mov_b64 s[0:1], 0
                                        ; implicit-def: $sgpr10_sgpr11
.LBB63_2724:
	s_mov_b64 s[2:3], 0
                                        ; implicit-def: $vgpr0_vgpr1
                                        ; implicit-def: $sgpr26
.LBB63_2725:
	s_and_b64 s[6:7], s[2:3], exec
	s_andn2_b64 s[2:3], s[12:13], exec
	s_and_b64 s[4:5], s[4:5], exec
	s_and_b64 s[0:1], s[0:1], exec
	s_or_b64 s[12:13], s[2:3], s[4:5]
.LBB63_2726:
	s_or_b64 exec, exec, s[14:15]
	s_and_saveexec_b64 s[2:3], s[12:13]
	s_cbranch_execz .LBB63_2729
; %bb.2727:
	; divergent unreachable
	s_or_b64 exec, exec, s[2:3]
	s_and_saveexec_b64 s[2:3], s[6:7]
	s_xor_b64 s[2:3], exec, s[2:3]
	s_cbranch_execnz .LBB63_2730
.LBB63_2728:
	s_or_b64 exec, exec, s[2:3]
	s_and_saveexec_b64 s[2:3], s[0:1]
	s_cbranch_execnz .LBB63_2731
	s_branch .LBB63_2768
.LBB63_2729:
	s_or_b64 exec, exec, s[2:3]
	s_and_saveexec_b64 s[2:3], s[6:7]
	s_xor_b64 s[2:3], exec, s[2:3]
	s_cbranch_execz .LBB63_2728
.LBB63_2730:
	s_waitcnt vmcnt(0)
	v_cndmask_b32_e64 v2, 0, 1, s[10:11]
	global_store_byte v[0:1], v2, off
	s_or_b64 exec, exec, s[2:3]
	s_and_saveexec_b64 s[2:3], s[0:1]
	s_cbranch_execz .LBB63_2768
.LBB63_2731:
	s_sext_i32_i16 s2, s26
	s_cmp_lt_i32 s2, 5
	s_mov_b64 s[0:1], -1
	s_cbranch_scc1 .LBB63_2752
; %bb.2732:
	s_cmp_lt_i32 s2, 8
	s_cbranch_scc1 .LBB63_2742
; %bb.2733:
	s_cmp_lt_i32 s2, 9
	s_cbranch_scc1 .LBB63_2739
; %bb.2734:
	s_cmp_gt_i32 s2, 9
	s_cbranch_scc0 .LBB63_2736
; %bb.2735:
	s_waitcnt vmcnt(0)
	v_cndmask_b32_e64 v2, 0, 1, s[10:11]
	v_cvt_f64_u32_e32 v[2:3], v2
	v_mov_b32_e32 v4, 0
	v_mov_b32_e32 v5, v4
	s_mov_b64 s[0:1], 0
	global_store_dwordx4 v[0:1], v[2:5], off
.LBB63_2736:
	s_andn2_b64 vcc, exec, s[0:1]
	s_cbranch_vccnz .LBB63_2738
; %bb.2737:
	s_waitcnt vmcnt(0)
	v_cndmask_b32_e64 v2, 0, 1.0, s[10:11]
	v_mov_b32_e32 v3, 0
	global_store_dwordx2 v[0:1], v[2:3], off
.LBB63_2738:
	s_mov_b64 s[0:1], 0
.LBB63_2739:
	s_andn2_b64 vcc, exec, s[0:1]
	s_cbranch_vccnz .LBB63_2741
; %bb.2740:
	s_waitcnt vmcnt(0)
	v_cndmask_b32_e64 v2, 0, 1.0, s[10:11]
	v_cvt_f16_f32_e32 v2, v2
	global_store_dword v[0:1], v2, off
.LBB63_2741:
	s_mov_b64 s[0:1], 0
.LBB63_2742:
	s_andn2_b64 vcc, exec, s[0:1]
	s_cbranch_vccnz .LBB63_2751
; %bb.2743:
	s_sext_i32_i16 s2, s26
	s_cmp_lt_i32 s2, 6
	s_mov_b64 s[0:1], -1
	s_cbranch_scc1 .LBB63_2749
; %bb.2744:
	s_cmp_gt_i32 s2, 6
	s_cbranch_scc0 .LBB63_2746
; %bb.2745:
	s_waitcnt vmcnt(0)
	v_cndmask_b32_e64 v2, 0, 1, s[10:11]
	v_cvt_f64_u32_e32 v[2:3], v2
	s_mov_b64 s[0:1], 0
	global_store_dwordx2 v[0:1], v[2:3], off
.LBB63_2746:
	s_andn2_b64 vcc, exec, s[0:1]
	s_cbranch_vccnz .LBB63_2748
; %bb.2747:
	s_waitcnt vmcnt(0)
	v_cndmask_b32_e64 v2, 0, 1.0, s[10:11]
	global_store_dword v[0:1], v2, off
.LBB63_2748:
	s_mov_b64 s[0:1], 0
.LBB63_2749:
	s_andn2_b64 vcc, exec, s[0:1]
	s_cbranch_vccnz .LBB63_2751
; %bb.2750:
	s_waitcnt vmcnt(0)
	v_cndmask_b32_e64 v2, 0, 1.0, s[10:11]
	v_cvt_f16_f32_e32 v2, v2
	global_store_short v[0:1], v2, off
.LBB63_2751:
	s_mov_b64 s[0:1], 0
.LBB63_2752:
	s_andn2_b64 vcc, exec, s[0:1]
	s_cbranch_vccnz .LBB63_2768
; %bb.2753:
	s_sext_i32_i16 s2, s26
	s_cmp_lt_i32 s2, 2
	s_mov_b64 s[0:1], -1
	s_cbranch_scc1 .LBB63_2763
; %bb.2754:
	s_cmp_lt_i32 s2, 3
	s_cbranch_scc1 .LBB63_2760
; %bb.2755:
	s_cmp_gt_i32 s2, 3
	s_cbranch_scc0 .LBB63_2757
; %bb.2756:
	s_mov_b32 s0, 0
	s_waitcnt vmcnt(0)
	v_cndmask_b32_e64 v2, 0, 1, s[10:11]
	v_mov_b32_e32 v3, s0
	global_store_dwordx2 v[0:1], v[2:3], off
	s_mov_b64 s[0:1], 0
.LBB63_2757:
	s_andn2_b64 vcc, exec, s[0:1]
	s_cbranch_vccnz .LBB63_2759
; %bb.2758:
	s_waitcnt vmcnt(0)
	v_cndmask_b32_e64 v2, 0, 1, s[10:11]
	global_store_dword v[0:1], v2, off
.LBB63_2759:
	s_mov_b64 s[0:1], 0
.LBB63_2760:
	s_andn2_b64 vcc, exec, s[0:1]
	s_cbranch_vccnz .LBB63_2762
; %bb.2761:
	s_waitcnt vmcnt(0)
	v_cndmask_b32_e64 v2, 0, 1, s[10:11]
	global_store_short v[0:1], v2, off
.LBB63_2762:
	s_mov_b64 s[0:1], 0
.LBB63_2763:
	s_andn2_b64 vcc, exec, s[0:1]
	s_cbranch_vccnz .LBB63_2768
; %bb.2764:
	s_sext_i32_i16 s0, s26
	s_cmp_gt_i32 s0, 0
	s_mov_b64 s[0:1], -1
	s_cbranch_scc0 .LBB63_2766
; %bb.2765:
	s_waitcnt vmcnt(0)
	v_cndmask_b32_e64 v2, 0, 1, s[10:11]
	global_store_byte v[0:1], v2, off
	s_mov_b64 s[0:1], 0
.LBB63_2766:
	s_andn2_b64 vcc, exec, s[0:1]
	s_cbranch_vccnz .LBB63_2768
; %bb.2767:
	s_waitcnt vmcnt(0)
	v_cndmask_b32_e64 v2, 0, 1, s[10:11]
	global_store_byte v[0:1], v2, off
	s_endpgm
.LBB63_2768:
	s_endpgm
.LBB63_2769:
	s_mov_b64 s[22:23], -1
                                        ; implicit-def: $sgpr10_sgpr11
	s_mov_b64 s[20:21], 0
	s_branch .LBB63_2776
.LBB63_2770:
	s_mov_b64 s[22:23], -1
	s_mov_b64 s[20:21], 0
                                        ; implicit-def: $sgpr10_sgpr11
	s_branch .LBB63_2773
.LBB63_2771:
	s_mov_b64 s[20:21], -1
                                        ; implicit-def: $sgpr10_sgpr11
.LBB63_2772:
	s_mov_b64 s[22:23], 0
.LBB63_2773:
	s_and_b64 vcc, exec, s[22:23]
	s_cbranch_vccz .LBB63_2775
; %bb.2774:
	s_waitcnt vmcnt(0)
	v_cmp_gt_i64_e32 vcc, v[8:9], v[12:13]
	s_andn2_b64 s[10:11], s[10:11], exec
	s_and_b64 s[22:23], vcc, exec
	s_or_b64 s[10:11], s[10:11], s[22:23]
.LBB63_2775:
	s_mov_b64 s[22:23], 0
.LBB63_2776:
	s_and_b64 vcc, exec, s[22:23]
	s_cbranch_vccz .LBB63_2858
; %bb.2777:
	s_cmp_lg_u32 s26, 0
	s_mov_b64 s[0:1], -1
	s_cselect_b64 s[20:21], -1, 0
	s_andn2_b64 vcc, exec, s[20:21]
	s_cbranch_vccz .LBB63_2859
.LBB63_2778:
	s_andn2_b64 vcc, exec, s[0:1]
	s_cbranch_vccnz .LBB63_2780
.LBB63_2779:
	s_waitcnt vmcnt(0)
	v_cmp_ge_i64_e32 vcc, v[8:9], v[12:13]
	s_andn2_b64 s[0:1], s[10:11], exec
	s_and_b64 s[10:11], vcc, exec
	s_or_b64 s[10:11], s[0:1], s[10:11]
.LBB63_2780:
	s_load_dword s0, s[2:3], 0x1a4
	v_mov_b32_e32 v1, s9
	v_add_co_u32_e32 v5, vcc, s8, v6
	v_addc_co_u32_e32 v6, vcc, 0, v1, vcc
	s_waitcnt lgkmcnt(0)
	s_and_b32 s26, s0, 0xff
	s_cmp_lt_i32 s26, 11
	s_cbranch_scc1 .LBB63_2860
; %bb.2781:
	s_and_b32 s27, 0xffff, s26
	s_mov_b64 s[22:23], -1
	s_mov_b64 s[2:3], 0
	s_cmp_gt_i32 s27, 25
	s_mov_b64 s[20:21], 0
	s_mov_b64 s[0:1], 0
	s_cbranch_scc0 .LBB63_2814
; %bb.2782:
	s_cmp_gt_i32 s27, 28
	s_cbranch_scc0 .LBB63_2797
; %bb.2783:
	s_cmp_gt_i32 s27, 43
	;; [unrolled: 3-line block ×3, first 2 shown]
	s_cbranch_scc0 .LBB63_2787
; %bb.2785:
	s_mov_b64 s[0:1], -1
	s_mov_b64 s[22:23], 0
	s_cmp_eq_u32 s27, 46
	s_cbranch_scc0 .LBB63_2787
; %bb.2786:
	v_cndmask_b32_e64 v1, 0, 1.0, s[6:7]
	v_bfe_u32 v3, v1, 16, 1
	s_movk_i32 s0, 0x7fff
	v_add3_u32 v1, v1, v3, s0
	v_lshrrev_b32_e32 v1, 16, v1
	global_store_dword v[5:6], v1, off
	s_mov_b64 s[0:1], 0
	s_mov_b64 s[20:21], -1
.LBB63_2787:
	s_and_b64 vcc, exec, s[22:23]
	s_cbranch_vccz .LBB63_2792
; %bb.2788:
	s_cmp_eq_u32 s27, 44
	s_mov_b64 s[0:1], -1
	s_cbranch_scc0 .LBB63_2792
; %bb.2789:
	v_cndmask_b32_e64 v3, 0, 1.0, s[6:7]
	v_lshrrev_b32_e32 v1, 23, v3
	s_movk_i32 s0, 0xff
	v_cmp_ne_u32_e32 vcc, s0, v1
	v_mov_b32_e32 v7, 0xff
	s_and_saveexec_b64 s[20:21], vcc
; %bb.2790:
	s_mov_b32 s0, 0x3fffff
	v_and_b32_e32 v7, 0x400000, v3
	v_and_or_b32 v3, v3, s0, v1
	v_cmp_ne_u32_e32 vcc, 0, v7
	v_cmp_ne_u32_e64 s[0:1], 0, v3
	s_and_b64 s[0:1], vcc, s[0:1]
	v_cndmask_b32_e64 v3, 0, 1, s[0:1]
	v_add_u32_e32 v7, v1, v3
; %bb.2791:
	s_or_b64 exec, exec, s[20:21]
	s_mov_b64 s[0:1], 0
	s_mov_b64 s[20:21], -1
	global_store_byte v[5:6], v7, off
.LBB63_2792:
	s_mov_b64 s[22:23], 0
.LBB63_2793:
	s_and_b64 vcc, exec, s[22:23]
	s_cbranch_vccz .LBB63_2796
; %bb.2794:
	s_cmp_eq_u32 s27, 29
	s_mov_b64 s[0:1], -1
	s_cbranch_scc0 .LBB63_2796
; %bb.2795:
	s_mov_b32 s0, 0
	v_cndmask_b32_e64 v7, 0, 1, s[6:7]
	s_waitcnt vmcnt(0)
	v_mov_b32_e32 v8, s0
	global_store_dwordx2 v[5:6], v[7:8], off
	s_mov_b64 s[0:1], 0
	s_mov_b64 s[20:21], -1
.LBB63_2796:
	s_mov_b64 s[22:23], 0
.LBB63_2797:
	s_and_b64 vcc, exec, s[22:23]
	s_cbranch_vccz .LBB63_2813
; %bb.2798:
	s_cmp_lt_i32 s27, 27
	s_mov_b64 s[20:21], -1
	s_cbranch_scc1 .LBB63_2804
; %bb.2799:
	s_cmp_gt_i32 s27, 27
	s_cbranch_scc0 .LBB63_2801
; %bb.2800:
	v_cndmask_b32_e64 v1, 0, 1, s[6:7]
	s_mov_b64 s[20:21], 0
	global_store_dword v[5:6], v1, off
.LBB63_2801:
	s_andn2_b64 vcc, exec, s[20:21]
	s_cbranch_vccnz .LBB63_2803
; %bb.2802:
	v_cndmask_b32_e64 v1, 0, 1, s[6:7]
	global_store_short v[5:6], v1, off
.LBB63_2803:
	s_mov_b64 s[20:21], 0
.LBB63_2804:
	s_andn2_b64 vcc, exec, s[20:21]
	s_cbranch_vccnz .LBB63_2812
; %bb.2805:
	v_cndmask_b32_e64 v3, 0, 1.0, s[6:7]
	s_mov_b32 s20, 0x43800000
	v_cmp_gt_u32_e32 vcc, s20, v3
	v_mov_b32_e32 v7, 0x80
	s_and_saveexec_b64 s[20:21], vcc
	s_cbranch_execz .LBB63_2811
; %bb.2806:
	s_mov_b32 s22, 0x3bffffff
	v_cmp_lt_u32_e32 vcc, s22, v3
	s_mov_b64 s[22:23], 0
                                        ; implicit-def: $vgpr1
	s_and_saveexec_b64 s[24:25], vcc
	s_xor_b64 s[24:25], exec, s[24:25]
	s_cbranch_execz .LBB63_3218
; %bb.2807:
	v_bfe_u32 v1, v3, 20, 1
	s_mov_b32 s28, 0x487ffff
	v_add3_u32 v1, v3, v1, s28
	s_mov_b64 s[22:23], exec
	v_lshrrev_b32_e32 v1, 20, v1
                                        ; implicit-def: $vgpr3
	s_andn2_saveexec_b64 s[24:25], s[24:25]
	s_cbranch_execnz .LBB63_3219
.LBB63_2808:
	s_or_b64 exec, exec, s[24:25]
	v_mov_b32_e32 v7, 0
	s_and_saveexec_b64 s[24:25], s[22:23]
.LBB63_2809:
	v_mov_b32_e32 v7, v1
.LBB63_2810:
	s_or_b64 exec, exec, s[24:25]
.LBB63_2811:
	s_or_b64 exec, exec, s[20:21]
	global_store_byte v[5:6], v7, off
.LBB63_2812:
	s_mov_b64 s[20:21], -1
.LBB63_2813:
	s_mov_b64 s[22:23], 0
.LBB63_2814:
	s_and_b64 vcc, exec, s[22:23]
	s_cbranch_vccz .LBB63_2854
; %bb.2815:
	s_cmp_gt_i32 s27, 22
	s_mov_b64 s[2:3], -1
	s_cbranch_scc0 .LBB63_2847
; %bb.2816:
	s_cmp_lt_i32 s27, 24
	s_cbranch_scc1 .LBB63_2836
; %bb.2817:
	s_cmp_gt_i32 s27, 24
	s_cbranch_scc0 .LBB63_2825
; %bb.2818:
	v_cndmask_b32_e64 v3, 0, 1.0, s[6:7]
	s_mov_b32 s2, 0x47800000
	v_cmp_gt_u32_e32 vcc, s2, v3
	v_mov_b32_e32 v7, 0x80
	s_and_saveexec_b64 s[2:3], vcc
	s_cbranch_execz .LBB63_2824
; %bb.2819:
	s_mov_b32 s20, 0x37ffffff
	v_cmp_lt_u32_e32 vcc, s20, v3
	s_mov_b64 s[20:21], 0
                                        ; implicit-def: $vgpr1
	s_and_saveexec_b64 s[22:23], vcc
	s_xor_b64 s[22:23], exec, s[22:23]
	s_cbranch_execz .LBB63_3221
; %bb.2820:
	v_bfe_u32 v1, v3, 21, 1
	s_mov_b32 s24, 0x88fffff
	v_add3_u32 v1, v3, v1, s24
	s_mov_b64 s[20:21], exec
	v_lshrrev_b32_e32 v1, 21, v1
                                        ; implicit-def: $vgpr3
	s_andn2_saveexec_b64 s[22:23], s[22:23]
	s_cbranch_execnz .LBB63_3222
.LBB63_2821:
	s_or_b64 exec, exec, s[22:23]
	v_mov_b32_e32 v7, 0
	s_and_saveexec_b64 s[22:23], s[20:21]
.LBB63_2822:
	v_mov_b32_e32 v7, v1
.LBB63_2823:
	s_or_b64 exec, exec, s[22:23]
.LBB63_2824:
	s_or_b64 exec, exec, s[2:3]
	s_mov_b64 s[2:3], 0
	global_store_byte v[5:6], v7, off
.LBB63_2825:
	s_and_b64 vcc, exec, s[2:3]
	s_cbranch_vccz .LBB63_2835
; %bb.2826:
	v_cndmask_b32_e64 v1, 0, 1.0, s[6:7]
	s_mov_b32 s2, 0x43f00000
	v_cmp_gt_u32_e32 vcc, s2, v1
                                        ; implicit-def: $vgpr3
	s_and_saveexec_b64 s[2:3], vcc
	s_xor_b64 s[2:3], exec, s[2:3]
	s_cbranch_execz .LBB63_2832
; %bb.2827:
	s_mov_b32 s20, 0x3c7fffff
	v_cmp_lt_u32_e32 vcc, s20, v1
                                        ; implicit-def: $vgpr3
	s_and_saveexec_b64 s[20:21], vcc
	s_xor_b64 s[20:21], exec, s[20:21]
; %bb.2828:
	v_bfe_u32 v3, v1, 20, 1
	s_mov_b32 s22, 0x407ffff
	v_add3_u32 v1, v1, v3, s22
	v_lshrrev_b32_e32 v3, 20, v1
	v_and_b32_e32 v1, 0xff00000, v1
	s_mov_b32 s22, 0x7f00000
	v_mov_b32_e32 v7, 0x7e
	v_cmp_ne_u32_e32 vcc, s22, v1
	v_cndmask_b32_e32 v3, v7, v3, vcc
                                        ; implicit-def: $vgpr1
; %bb.2829:
	s_andn2_saveexec_b64 s[20:21], s[20:21]
; %bb.2830:
	v_add_f32_e32 v3, 0x46800000, v1
; %bb.2831:
	s_or_b64 exec, exec, s[20:21]
                                        ; implicit-def: $vgpr1
.LBB63_2832:
	s_andn2_saveexec_b64 s[2:3], s[2:3]
; %bb.2833:
	s_mov_b32 s20, 0x7f800000
	v_mov_b32_e32 v3, 0x7e
	v_mov_b32_e32 v7, 0x7f
	v_cmp_lt_u32_e32 vcc, s20, v1
	v_cndmask_b32_e32 v3, v3, v7, vcc
; %bb.2834:
	s_or_b64 exec, exec, s[2:3]
	global_store_byte v[5:6], v3, off
.LBB63_2835:
	s_mov_b64 s[2:3], 0
.LBB63_2836:
	s_andn2_b64 vcc, exec, s[2:3]
	s_cbranch_vccnz .LBB63_2846
; %bb.2837:
	v_cndmask_b32_e64 v1, 0, 1.0, s[6:7]
	s_mov_b32 s2, 0x47800000
	v_cmp_gt_u32_e32 vcc, s2, v1
                                        ; implicit-def: $vgpr3
	s_and_saveexec_b64 s[2:3], vcc
	s_xor_b64 s[2:3], exec, s[2:3]
	s_cbranch_execz .LBB63_2843
; %bb.2838:
	s_mov_b32 s20, 0x387fffff
	v_cmp_lt_u32_e32 vcc, s20, v1
                                        ; implicit-def: $vgpr3
	s_and_saveexec_b64 s[20:21], vcc
	s_xor_b64 s[20:21], exec, s[20:21]
; %bb.2839:
	v_bfe_u32 v3, v1, 21, 1
	s_mov_b32 s22, 0x80fffff
	v_add3_u32 v1, v1, v3, s22
	v_lshrrev_b32_e32 v3, 21, v1
                                        ; implicit-def: $vgpr1
; %bb.2840:
	s_andn2_saveexec_b64 s[20:21], s[20:21]
; %bb.2841:
	v_add_f32_e32 v3, 0x43000000, v1
; %bb.2842:
	s_or_b64 exec, exec, s[20:21]
                                        ; implicit-def: $vgpr1
.LBB63_2843:
	s_andn2_saveexec_b64 s[2:3], s[2:3]
; %bb.2844:
	s_mov_b32 s20, 0x7f800000
	v_mov_b32_e32 v3, 0x7c
	v_mov_b32_e32 v7, 0x7f
	v_cmp_lt_u32_e32 vcc, s20, v1
	v_cndmask_b32_e32 v3, v3, v7, vcc
; %bb.2845:
	s_or_b64 exec, exec, s[2:3]
	global_store_byte v[5:6], v3, off
.LBB63_2846:
	s_mov_b64 s[2:3], 0
	s_mov_b64 s[20:21], -1
.LBB63_2847:
	s_andn2_b64 vcc, exec, s[2:3]
	s_mov_b64 s[2:3], 0
	s_cbranch_vccnz .LBB63_2854
; %bb.2848:
	s_cmp_gt_i32 s27, 14
	s_mov_b64 s[22:23], -1
	s_cbranch_scc0 .LBB63_2852
; %bb.2849:
	s_cmp_eq_u32 s27, 15
	s_mov_b64 s[0:1], -1
	s_cbranch_scc0 .LBB63_2851
; %bb.2850:
	v_cndmask_b32_e64 v1, 0, 1.0, s[6:7]
	v_bfe_u32 v3, v1, 16, 1
	s_movk_i32 s0, 0x7fff
	v_add3_u32 v1, v1, v3, s0
	global_store_short_d16_hi v[5:6], v1, off
	s_mov_b64 s[0:1], 0
	s_mov_b64 s[20:21], -1
.LBB63_2851:
	s_mov_b64 s[22:23], 0
.LBB63_2852:
	s_and_b64 vcc, exec, s[22:23]
	s_cbranch_vccz .LBB63_2854
; %bb.2853:
	s_cmp_lg_u32 s27, 11
	s_mov_b64 s[2:3], -1
	s_cselect_b64 s[0:1], -1, 0
.LBB63_2854:
	s_and_b64 vcc, exec, s[0:1]
	s_cbranch_vccnz .LBB63_3220
; %bb.2855:
	s_andn2_b64 vcc, exec, s[2:3]
	s_cbranch_vccnz .LBB63_2857
.LBB63_2856:
	v_cndmask_b32_e64 v1, 0, 1, s[6:7]
	s_mov_b64 s[20:21], -1
	global_store_byte v[5:6], v1, off
.LBB63_2857:
	s_mov_b64 s[0:1], 0
	s_branch .LBB63_2861
.LBB63_2858:
	s_andn2_b64 vcc, exec, s[20:21]
	s_cbranch_vccnz .LBB63_2778
.LBB63_2859:
	s_waitcnt vmcnt(0)
	v_cmp_lt_i64_e32 vcc, v[8:9], v[12:13]
	s_andn2_b64 s[10:11], s[10:11], exec
	s_and_b64 s[20:21], vcc, exec
	s_or_b64 s[10:11], s[10:11], s[20:21]
	s_cbranch_execz .LBB63_2779
	s_branch .LBB63_2780
.LBB63_2860:
	s_mov_b64 s[0:1], -1
	s_mov_b64 s[20:21], 0
.LBB63_2861:
	s_and_b64 vcc, exec, s[0:1]
	s_cbranch_vccz .LBB63_2900
; %bb.2862:
	s_and_b32 s2, 0xffff, s26
	s_cmp_lt_i32 s2, 5
	s_mov_b64 s[0:1], -1
	s_cbranch_scc1 .LBB63_2883
; %bb.2863:
	s_cmp_lt_i32 s2, 8
	s_cbranch_scc1 .LBB63_2873
; %bb.2864:
	s_cmp_lt_i32 s2, 9
	s_cbranch_scc1 .LBB63_2870
; %bb.2865:
	s_cmp_gt_i32 s2, 9
	s_cbranch_scc0 .LBB63_2867
; %bb.2866:
	v_cndmask_b32_e64 v1, 0, 1, s[6:7]
	s_waitcnt vmcnt(0)
	v_cvt_f64_u32_e32 v[7:8], v1
	v_mov_b32_e32 v9, 0
	v_mov_b32_e32 v10, v9
	s_mov_b64 s[0:1], 0
	global_store_dwordx4 v[5:6], v[7:10], off
.LBB63_2867:
	s_andn2_b64 vcc, exec, s[0:1]
	s_cbranch_vccnz .LBB63_2869
; %bb.2868:
	v_cndmask_b32_e64 v7, 0, 1.0, s[6:7]
	s_waitcnt vmcnt(0)
	v_mov_b32_e32 v8, 0
	global_store_dwordx2 v[5:6], v[7:8], off
.LBB63_2869:
	s_mov_b64 s[0:1], 0
.LBB63_2870:
	s_andn2_b64 vcc, exec, s[0:1]
	s_cbranch_vccnz .LBB63_2872
; %bb.2871:
	v_cndmask_b32_e64 v1, 0, 1.0, s[6:7]
	v_cvt_f16_f32_e32 v1, v1
	global_store_dword v[5:6], v1, off
.LBB63_2872:
	s_mov_b64 s[0:1], 0
.LBB63_2873:
	s_andn2_b64 vcc, exec, s[0:1]
	s_cbranch_vccnz .LBB63_2882
; %bb.2874:
	s_cmp_lt_i32 s2, 6
	s_mov_b64 s[0:1], -1
	s_cbranch_scc1 .LBB63_2880
; %bb.2875:
	s_cmp_gt_i32 s2, 6
	s_cbranch_scc0 .LBB63_2877
; %bb.2876:
	v_cndmask_b32_e64 v1, 0, 1, s[6:7]
	s_waitcnt vmcnt(0)
	v_cvt_f64_u32_e32 v[7:8], v1
	s_mov_b64 s[0:1], 0
	global_store_dwordx2 v[5:6], v[7:8], off
.LBB63_2877:
	s_andn2_b64 vcc, exec, s[0:1]
	s_cbranch_vccnz .LBB63_2879
; %bb.2878:
	v_cndmask_b32_e64 v1, 0, 1.0, s[6:7]
	global_store_dword v[5:6], v1, off
.LBB63_2879:
	s_mov_b64 s[0:1], 0
.LBB63_2880:
	s_andn2_b64 vcc, exec, s[0:1]
	s_cbranch_vccnz .LBB63_2882
; %bb.2881:
	v_cndmask_b32_e64 v1, 0, 1.0, s[6:7]
	v_cvt_f16_f32_e32 v1, v1
	global_store_short v[5:6], v1, off
.LBB63_2882:
	s_mov_b64 s[0:1], 0
.LBB63_2883:
	s_andn2_b64 vcc, exec, s[0:1]
	s_cbranch_vccnz .LBB63_2899
; %bb.2884:
	s_cmp_lt_i32 s2, 2
	s_mov_b64 s[0:1], -1
	s_cbranch_scc1 .LBB63_2894
; %bb.2885:
	s_cmp_lt_i32 s2, 3
	s_cbranch_scc1 .LBB63_2891
; %bb.2886:
	s_cmp_gt_i32 s2, 3
	s_cbranch_scc0 .LBB63_2888
; %bb.2887:
	s_mov_b32 s0, 0
	v_cndmask_b32_e64 v7, 0, 1, s[6:7]
	s_waitcnt vmcnt(0)
	v_mov_b32_e32 v8, s0
	global_store_dwordx2 v[5:6], v[7:8], off
	s_mov_b64 s[0:1], 0
.LBB63_2888:
	s_andn2_b64 vcc, exec, s[0:1]
	s_cbranch_vccnz .LBB63_2890
; %bb.2889:
	v_cndmask_b32_e64 v1, 0, 1, s[6:7]
	global_store_dword v[5:6], v1, off
.LBB63_2890:
	s_mov_b64 s[0:1], 0
.LBB63_2891:
	s_andn2_b64 vcc, exec, s[0:1]
	s_cbranch_vccnz .LBB63_2893
; %bb.2892:
	v_cndmask_b32_e64 v1, 0, 1, s[6:7]
	global_store_short v[5:6], v1, off
.LBB63_2893:
	s_mov_b64 s[0:1], 0
.LBB63_2894:
	s_andn2_b64 vcc, exec, s[0:1]
	s_cbranch_vccnz .LBB63_2899
; %bb.2895:
	s_mov_b64 s[0:1], -1
	s_cmp_gt_i32 s2, 0
	v_cndmask_b32_e64 v1, 0, 1, s[6:7]
	s_cbranch_scc0 .LBB63_2897
; %bb.2896:
	global_store_byte v[5:6], v1, off
	s_mov_b64 s[0:1], 0
.LBB63_2897:
	s_andn2_b64 vcc, exec, s[0:1]
	s_cbranch_vccnz .LBB63_2899
; %bb.2898:
	global_store_byte v[5:6], v1, off
.LBB63_2899:
	s_mov_b64 s[20:21], -1
.LBB63_2900:
	s_andn2_b64 vcc, exec, s[20:21]
	s_cbranch_vccnz .LBB63_3215
; %bb.2901:
	v_mov_b32_e32 v1, s9
	s_and_b32 s24, 0xffff, s26
	v_add_co_u32_e32 v3, vcc, s8, v4
	s_cmp_lt_i32 s24, 11
	v_addc_co_u32_e32 v4, vcc, 0, v1, vcc
	s_cbranch_scc1 .LBB63_2979
; %bb.2902:
	s_mov_b64 s[20:21], -1
	s_mov_b64 s[2:3], 0
	s_cmp_gt_i32 s24, 25
	s_mov_b64 s[6:7], 0
	s_mov_b64 s[0:1], 0
	s_cbranch_scc0 .LBB63_2935
; %bb.2903:
	s_cmp_gt_i32 s24, 28
	s_cbranch_scc0 .LBB63_2918
; %bb.2904:
	s_cmp_gt_i32 s24, 43
	;; [unrolled: 3-line block ×3, first 2 shown]
	s_cbranch_scc0 .LBB63_2908
; %bb.2906:
	s_mov_b64 s[0:1], -1
	s_mov_b64 s[20:21], 0
	s_cmp_eq_u32 s24, 46
	s_cbranch_scc0 .LBB63_2908
; %bb.2907:
	v_cndmask_b32_e64 v1, 0, 1.0, s[16:17]
	v_bfe_u32 v5, v1, 16, 1
	s_movk_i32 s0, 0x7fff
	v_add3_u32 v1, v1, v5, s0
	v_lshrrev_b32_e32 v1, 16, v1
	global_store_dword v[3:4], v1, off
	s_mov_b64 s[0:1], 0
	s_mov_b64 s[6:7], -1
.LBB63_2908:
	s_and_b64 vcc, exec, s[20:21]
	s_cbranch_vccz .LBB63_2913
; %bb.2909:
	s_cmp_eq_u32 s24, 44
	s_mov_b64 s[0:1], -1
	s_cbranch_scc0 .LBB63_2913
; %bb.2910:
	v_cndmask_b32_e64 v5, 0, 1.0, s[16:17]
	v_lshrrev_b32_e32 v1, 23, v5
	s_movk_i32 s0, 0xff
	v_cmp_ne_u32_e32 vcc, s0, v1
	v_mov_b32_e32 v6, 0xff
	s_and_saveexec_b64 s[6:7], vcc
; %bb.2911:
	s_mov_b32 s0, 0x3fffff
	v_and_b32_e32 v6, 0x400000, v5
	v_and_or_b32 v5, v5, s0, v1
	v_cmp_ne_u32_e32 vcc, 0, v6
	v_cmp_ne_u32_e64 s[0:1], 0, v5
	s_and_b64 s[0:1], vcc, s[0:1]
	v_cndmask_b32_e64 v5, 0, 1, s[0:1]
	v_add_u32_e32 v6, v1, v5
; %bb.2912:
	s_or_b64 exec, exec, s[6:7]
	s_mov_b64 s[0:1], 0
	s_mov_b64 s[6:7], -1
	global_store_byte v[3:4], v6, off
.LBB63_2913:
	s_mov_b64 s[20:21], 0
.LBB63_2914:
	s_and_b64 vcc, exec, s[20:21]
	s_cbranch_vccz .LBB63_2917
; %bb.2915:
	s_cmp_eq_u32 s24, 29
	s_mov_b64 s[0:1], -1
	s_cbranch_scc0 .LBB63_2917
; %bb.2916:
	s_mov_b32 s0, 0
	v_cndmask_b32_e64 v5, 0, 1, s[16:17]
	v_mov_b32_e32 v6, s0
	global_store_dwordx2 v[3:4], v[5:6], off
	s_mov_b64 s[0:1], 0
	s_mov_b64 s[6:7], -1
.LBB63_2917:
	s_mov_b64 s[20:21], 0
.LBB63_2918:
	s_and_b64 vcc, exec, s[20:21]
	s_cbranch_vccz .LBB63_2934
; %bb.2919:
	s_cmp_lt_i32 s24, 27
	s_mov_b64 s[6:7], -1
	s_cbranch_scc1 .LBB63_2925
; %bb.2920:
	s_cmp_gt_i32 s24, 27
	s_cbranch_scc0 .LBB63_2922
; %bb.2921:
	v_cndmask_b32_e64 v1, 0, 1, s[16:17]
	s_mov_b64 s[6:7], 0
	global_store_dword v[3:4], v1, off
.LBB63_2922:
	s_andn2_b64 vcc, exec, s[6:7]
	s_cbranch_vccnz .LBB63_2924
; %bb.2923:
	v_cndmask_b32_e64 v1, 0, 1, s[16:17]
	global_store_short v[3:4], v1, off
.LBB63_2924:
	s_mov_b64 s[6:7], 0
.LBB63_2925:
	s_andn2_b64 vcc, exec, s[6:7]
	s_cbranch_vccnz .LBB63_2933
; %bb.2926:
	v_cndmask_b32_e64 v5, 0, 1.0, s[16:17]
	s_mov_b32 s6, 0x43800000
	v_cmp_gt_u32_e32 vcc, s6, v5
	v_mov_b32_e32 v6, 0x80
	s_and_saveexec_b64 s[6:7], vcc
	s_cbranch_execz .LBB63_2932
; %bb.2927:
	s_mov_b32 s20, 0x3bffffff
	v_cmp_lt_u32_e32 vcc, s20, v5
	s_mov_b64 s[20:21], 0
                                        ; implicit-def: $vgpr1
	s_and_saveexec_b64 s[22:23], vcc
	s_xor_b64 s[22:23], exec, s[22:23]
	s_cbranch_execz .LBB63_3223
; %bb.2928:
	v_bfe_u32 v1, v5, 20, 1
	s_mov_b32 s25, 0x487ffff
	v_add3_u32 v1, v5, v1, s25
	s_mov_b64 s[20:21], exec
	v_lshrrev_b32_e32 v1, 20, v1
                                        ; implicit-def: $vgpr5
	s_andn2_saveexec_b64 s[22:23], s[22:23]
	s_cbranch_execnz .LBB63_3224
.LBB63_2929:
	s_or_b64 exec, exec, s[22:23]
	v_mov_b32_e32 v6, 0
	s_and_saveexec_b64 s[22:23], s[20:21]
.LBB63_2930:
	v_mov_b32_e32 v6, v1
.LBB63_2931:
	s_or_b64 exec, exec, s[22:23]
.LBB63_2932:
	s_or_b64 exec, exec, s[6:7]
	global_store_byte v[3:4], v6, off
.LBB63_2933:
	s_mov_b64 s[6:7], -1
.LBB63_2934:
	s_mov_b64 s[20:21], 0
.LBB63_2935:
	s_and_b64 vcc, exec, s[20:21]
	s_cbranch_vccz .LBB63_2975
; %bb.2936:
	s_cmp_gt_i32 s24, 22
	s_mov_b64 s[2:3], -1
	s_cbranch_scc0 .LBB63_2968
; %bb.2937:
	s_cmp_lt_i32 s24, 24
	s_cbranch_scc1 .LBB63_2957
; %bb.2938:
	s_cmp_gt_i32 s24, 24
	s_cbranch_scc0 .LBB63_2946
; %bb.2939:
	v_cndmask_b32_e64 v5, 0, 1.0, s[16:17]
	s_mov_b32 s2, 0x47800000
	v_cmp_gt_u32_e32 vcc, s2, v5
	v_mov_b32_e32 v6, 0x80
	s_and_saveexec_b64 s[2:3], vcc
	s_cbranch_execz .LBB63_2945
; %bb.2940:
	s_mov_b32 s6, 0x37ffffff
	v_cmp_lt_u32_e32 vcc, s6, v5
	s_mov_b64 s[6:7], 0
                                        ; implicit-def: $vgpr1
	s_and_saveexec_b64 s[20:21], vcc
	s_xor_b64 s[20:21], exec, s[20:21]
	s_cbranch_execz .LBB63_3226
; %bb.2941:
	v_bfe_u32 v1, v5, 21, 1
	s_mov_b32 s22, 0x88fffff
	v_add3_u32 v1, v5, v1, s22
	s_mov_b64 s[6:7], exec
	v_lshrrev_b32_e32 v1, 21, v1
                                        ; implicit-def: $vgpr5
	s_andn2_saveexec_b64 s[20:21], s[20:21]
	s_cbranch_execnz .LBB63_3227
.LBB63_2942:
	s_or_b64 exec, exec, s[20:21]
	v_mov_b32_e32 v6, 0
	s_and_saveexec_b64 s[20:21], s[6:7]
.LBB63_2943:
	v_mov_b32_e32 v6, v1
.LBB63_2944:
	s_or_b64 exec, exec, s[20:21]
.LBB63_2945:
	s_or_b64 exec, exec, s[2:3]
	s_mov_b64 s[2:3], 0
	global_store_byte v[3:4], v6, off
.LBB63_2946:
	s_and_b64 vcc, exec, s[2:3]
	s_cbranch_vccz .LBB63_2956
; %bb.2947:
	v_cndmask_b32_e64 v1, 0, 1.0, s[16:17]
	s_mov_b32 s2, 0x43f00000
	v_cmp_gt_u32_e32 vcc, s2, v1
                                        ; implicit-def: $vgpr5
	s_and_saveexec_b64 s[2:3], vcc
	s_xor_b64 s[2:3], exec, s[2:3]
	s_cbranch_execz .LBB63_2953
; %bb.2948:
	s_mov_b32 s6, 0x3c7fffff
	v_cmp_lt_u32_e32 vcc, s6, v1
                                        ; implicit-def: $vgpr5
	s_and_saveexec_b64 s[6:7], vcc
	s_xor_b64 s[6:7], exec, s[6:7]
; %bb.2949:
	v_bfe_u32 v5, v1, 20, 1
	s_mov_b32 s20, 0x407ffff
	v_add3_u32 v1, v1, v5, s20
	v_lshrrev_b32_e32 v5, 20, v1
	v_and_b32_e32 v1, 0xff00000, v1
	s_mov_b32 s20, 0x7f00000
	v_mov_b32_e32 v6, 0x7e
	v_cmp_ne_u32_e32 vcc, s20, v1
	v_cndmask_b32_e32 v5, v6, v5, vcc
                                        ; implicit-def: $vgpr1
; %bb.2950:
	s_andn2_saveexec_b64 s[6:7], s[6:7]
; %bb.2951:
	v_add_f32_e32 v5, 0x46800000, v1
; %bb.2952:
	s_or_b64 exec, exec, s[6:7]
                                        ; implicit-def: $vgpr1
.LBB63_2953:
	s_andn2_saveexec_b64 s[2:3], s[2:3]
; %bb.2954:
	s_mov_b32 s6, 0x7f800000
	v_mov_b32_e32 v5, 0x7e
	v_mov_b32_e32 v6, 0x7f
	v_cmp_lt_u32_e32 vcc, s6, v1
	v_cndmask_b32_e32 v5, v5, v6, vcc
; %bb.2955:
	s_or_b64 exec, exec, s[2:3]
	global_store_byte v[3:4], v5, off
.LBB63_2956:
	s_mov_b64 s[2:3], 0
.LBB63_2957:
	s_andn2_b64 vcc, exec, s[2:3]
	s_cbranch_vccnz .LBB63_2967
; %bb.2958:
	v_cndmask_b32_e64 v1, 0, 1.0, s[16:17]
	s_mov_b32 s2, 0x47800000
	v_cmp_gt_u32_e32 vcc, s2, v1
                                        ; implicit-def: $vgpr5
	s_and_saveexec_b64 s[2:3], vcc
	s_xor_b64 s[2:3], exec, s[2:3]
	s_cbranch_execz .LBB63_2964
; %bb.2959:
	s_mov_b32 s6, 0x387fffff
	v_cmp_lt_u32_e32 vcc, s6, v1
                                        ; implicit-def: $vgpr5
	s_and_saveexec_b64 s[6:7], vcc
	s_xor_b64 s[6:7], exec, s[6:7]
; %bb.2960:
	v_bfe_u32 v5, v1, 21, 1
	s_mov_b32 s20, 0x80fffff
	v_add3_u32 v1, v1, v5, s20
	v_lshrrev_b32_e32 v5, 21, v1
                                        ; implicit-def: $vgpr1
; %bb.2961:
	s_andn2_saveexec_b64 s[6:7], s[6:7]
; %bb.2962:
	v_add_f32_e32 v5, 0x43000000, v1
; %bb.2963:
	s_or_b64 exec, exec, s[6:7]
                                        ; implicit-def: $vgpr1
.LBB63_2964:
	s_andn2_saveexec_b64 s[2:3], s[2:3]
; %bb.2965:
	s_mov_b32 s6, 0x7f800000
	v_mov_b32_e32 v5, 0x7c
	v_mov_b32_e32 v6, 0x7f
	v_cmp_lt_u32_e32 vcc, s6, v1
	v_cndmask_b32_e32 v5, v5, v6, vcc
; %bb.2966:
	s_or_b64 exec, exec, s[2:3]
	global_store_byte v[3:4], v5, off
.LBB63_2967:
	s_mov_b64 s[2:3], 0
	s_mov_b64 s[6:7], -1
.LBB63_2968:
	s_andn2_b64 vcc, exec, s[2:3]
	s_mov_b64 s[2:3], 0
	s_cbranch_vccnz .LBB63_2975
; %bb.2969:
	s_cmp_gt_i32 s24, 14
	s_mov_b64 s[20:21], -1
	s_cbranch_scc0 .LBB63_2973
; %bb.2970:
	s_cmp_eq_u32 s24, 15
	s_mov_b64 s[0:1], -1
	s_cbranch_scc0 .LBB63_2972
; %bb.2971:
	v_cndmask_b32_e64 v1, 0, 1.0, s[16:17]
	v_bfe_u32 v5, v1, 16, 1
	s_movk_i32 s0, 0x7fff
	v_add3_u32 v1, v1, v5, s0
	global_store_short_d16_hi v[3:4], v1, off
	s_mov_b64 s[0:1], 0
	s_mov_b64 s[6:7], -1
.LBB63_2972:
	s_mov_b64 s[20:21], 0
.LBB63_2973:
	s_and_b64 vcc, exec, s[20:21]
	s_cbranch_vccz .LBB63_2975
; %bb.2974:
	s_cmp_lg_u32 s24, 11
	s_mov_b64 s[2:3], -1
	s_cselect_b64 s[0:1], -1, 0
.LBB63_2975:
	s_and_b64 vcc, exec, s[0:1]
	s_cbranch_vccnz .LBB63_3225
; %bb.2976:
	s_andn2_b64 vcc, exec, s[2:3]
	s_cbranch_vccnz .LBB63_2978
.LBB63_2977:
	v_cndmask_b32_e64 v1, 0, 1, s[16:17]
	s_mov_b64 s[6:7], -1
	global_store_byte v[3:4], v1, off
.LBB63_2978:
	s_mov_b64 s[0:1], 0
	s_branch .LBB63_2980
.LBB63_2979:
	s_mov_b64 s[0:1], -1
	s_mov_b64 s[6:7], 0
.LBB63_2980:
	s_and_b64 vcc, exec, s[0:1]
	s_cbranch_vccz .LBB63_3019
; %bb.2981:
	s_cmp_lt_i32 s24, 5
	s_mov_b64 s[0:1], -1
	s_cbranch_scc1 .LBB63_3002
; %bb.2982:
	s_cmp_lt_i32 s24, 8
	s_cbranch_scc1 .LBB63_2992
; %bb.2983:
	s_cmp_lt_i32 s24, 9
	s_cbranch_scc1 .LBB63_2989
; %bb.2984:
	s_cmp_gt_i32 s24, 9
	s_cbranch_scc0 .LBB63_2986
; %bb.2985:
	v_cndmask_b32_e64 v1, 0, 1, s[16:17]
	v_cvt_f64_u32_e32 v[5:6], v1
	v_mov_b32_e32 v7, 0
	s_waitcnt vmcnt(0)
	v_mov_b32_e32 v8, v7
	s_mov_b64 s[0:1], 0
	global_store_dwordx4 v[3:4], v[5:8], off
.LBB63_2986:
	s_andn2_b64 vcc, exec, s[0:1]
	s_cbranch_vccnz .LBB63_2988
; %bb.2987:
	v_cndmask_b32_e64 v5, 0, 1.0, s[16:17]
	v_mov_b32_e32 v6, 0
	global_store_dwordx2 v[3:4], v[5:6], off
.LBB63_2988:
	s_mov_b64 s[0:1], 0
.LBB63_2989:
	s_andn2_b64 vcc, exec, s[0:1]
	s_cbranch_vccnz .LBB63_2991
; %bb.2990:
	v_cndmask_b32_e64 v1, 0, 1.0, s[16:17]
	v_cvt_f16_f32_e32 v1, v1
	global_store_dword v[3:4], v1, off
.LBB63_2991:
	s_mov_b64 s[0:1], 0
.LBB63_2992:
	s_andn2_b64 vcc, exec, s[0:1]
	s_cbranch_vccnz .LBB63_3001
; %bb.2993:
	s_cmp_lt_i32 s24, 6
	s_mov_b64 s[0:1], -1
	s_cbranch_scc1 .LBB63_2999
; %bb.2994:
	s_cmp_gt_i32 s24, 6
	s_cbranch_scc0 .LBB63_2996
; %bb.2995:
	v_cndmask_b32_e64 v1, 0, 1, s[16:17]
	v_cvt_f64_u32_e32 v[5:6], v1
	s_mov_b64 s[0:1], 0
	global_store_dwordx2 v[3:4], v[5:6], off
.LBB63_2996:
	s_andn2_b64 vcc, exec, s[0:1]
	s_cbranch_vccnz .LBB63_2998
; %bb.2997:
	v_cndmask_b32_e64 v1, 0, 1.0, s[16:17]
	global_store_dword v[3:4], v1, off
.LBB63_2998:
	s_mov_b64 s[0:1], 0
.LBB63_2999:
	s_andn2_b64 vcc, exec, s[0:1]
	s_cbranch_vccnz .LBB63_3001
; %bb.3000:
	v_cndmask_b32_e64 v1, 0, 1.0, s[16:17]
	v_cvt_f16_f32_e32 v1, v1
	global_store_short v[3:4], v1, off
.LBB63_3001:
	s_mov_b64 s[0:1], 0
.LBB63_3002:
	s_andn2_b64 vcc, exec, s[0:1]
	s_cbranch_vccnz .LBB63_3018
; %bb.3003:
	s_cmp_lt_i32 s24, 2
	s_mov_b64 s[0:1], -1
	s_cbranch_scc1 .LBB63_3013
; %bb.3004:
	s_cmp_lt_i32 s24, 3
	s_cbranch_scc1 .LBB63_3010
; %bb.3005:
	s_cmp_gt_i32 s24, 3
	s_cbranch_scc0 .LBB63_3007
; %bb.3006:
	s_mov_b32 s0, 0
	v_cndmask_b32_e64 v5, 0, 1, s[16:17]
	v_mov_b32_e32 v6, s0
	global_store_dwordx2 v[3:4], v[5:6], off
	s_mov_b64 s[0:1], 0
.LBB63_3007:
	s_andn2_b64 vcc, exec, s[0:1]
	s_cbranch_vccnz .LBB63_3009
; %bb.3008:
	v_cndmask_b32_e64 v1, 0, 1, s[16:17]
	global_store_dword v[3:4], v1, off
.LBB63_3009:
	s_mov_b64 s[0:1], 0
.LBB63_3010:
	s_andn2_b64 vcc, exec, s[0:1]
	s_cbranch_vccnz .LBB63_3012
; %bb.3011:
	v_cndmask_b32_e64 v1, 0, 1, s[16:17]
	global_store_short v[3:4], v1, off
.LBB63_3012:
	s_mov_b64 s[0:1], 0
.LBB63_3013:
	s_andn2_b64 vcc, exec, s[0:1]
	s_cbranch_vccnz .LBB63_3018
; %bb.3014:
	s_mov_b64 s[0:1], -1
	s_cmp_gt_i32 s24, 0
	v_cndmask_b32_e64 v1, 0, 1, s[16:17]
	s_cbranch_scc0 .LBB63_3016
; %bb.3015:
	global_store_byte v[3:4], v1, off
	s_mov_b64 s[0:1], 0
.LBB63_3016:
	s_andn2_b64 vcc, exec, s[0:1]
	s_cbranch_vccnz .LBB63_3018
; %bb.3017:
	global_store_byte v[3:4], v1, off
.LBB63_3018:
	s_mov_b64 s[6:7], -1
.LBB63_3019:
	s_andn2_b64 vcc, exec, s[6:7]
	s_cbranch_vccnz .LBB63_3215
; %bb.3020:
	v_mov_b32_e32 v3, s9
	v_add_co_u32_e32 v1, vcc, s8, v2
	s_cmp_lt_i32 s24, 11
	v_addc_co_u32_e32 v2, vcc, 0, v3, vcc
	s_cbranch_scc1 .LBB63_3098
; %bb.3021:
	s_mov_b64 s[16:17], -1
	s_mov_b64 s[2:3], 0
	s_cmp_gt_i32 s24, 25
	s_mov_b64 s[6:7], 0
	s_mov_b64 s[0:1], 0
	s_cbranch_scc0 .LBB63_3054
; %bb.3022:
	s_cmp_gt_i32 s24, 28
	s_cbranch_scc0 .LBB63_3037
; %bb.3023:
	s_cmp_gt_i32 s24, 43
	;; [unrolled: 3-line block ×3, first 2 shown]
	s_cbranch_scc0 .LBB63_3027
; %bb.3025:
	s_mov_b64 s[0:1], -1
	s_mov_b64 s[16:17], 0
	s_cmp_eq_u32 s24, 46
	s_cbranch_scc0 .LBB63_3027
; %bb.3026:
	v_cndmask_b32_e64 v3, 0, 1.0, s[18:19]
	v_bfe_u32 v4, v3, 16, 1
	s_movk_i32 s0, 0x7fff
	v_add3_u32 v3, v3, v4, s0
	v_lshrrev_b32_e32 v3, 16, v3
	global_store_dword v[1:2], v3, off
	s_mov_b64 s[0:1], 0
	s_mov_b64 s[6:7], -1
.LBB63_3027:
	s_and_b64 vcc, exec, s[16:17]
	s_cbranch_vccz .LBB63_3032
; %bb.3028:
	s_cmp_eq_u32 s24, 44
	s_mov_b64 s[0:1], -1
	s_cbranch_scc0 .LBB63_3032
; %bb.3029:
	v_cndmask_b32_e64 v4, 0, 1.0, s[18:19]
	v_lshrrev_b32_e32 v3, 23, v4
	s_movk_i32 s0, 0xff
	v_cmp_ne_u32_e32 vcc, s0, v3
	v_mov_b32_e32 v5, 0xff
	s_and_saveexec_b64 s[6:7], vcc
; %bb.3030:
	s_mov_b32 s0, 0x3fffff
	v_and_b32_e32 v5, 0x400000, v4
	v_and_or_b32 v4, v4, s0, v3
	v_cmp_ne_u32_e32 vcc, 0, v5
	v_cmp_ne_u32_e64 s[0:1], 0, v4
	s_and_b64 s[0:1], vcc, s[0:1]
	v_cndmask_b32_e64 v4, 0, 1, s[0:1]
	v_add_u32_e32 v5, v3, v4
; %bb.3031:
	s_or_b64 exec, exec, s[6:7]
	s_mov_b64 s[0:1], 0
	s_mov_b64 s[6:7], -1
	global_store_byte v[1:2], v5, off
.LBB63_3032:
	s_mov_b64 s[16:17], 0
.LBB63_3033:
	s_and_b64 vcc, exec, s[16:17]
	s_cbranch_vccz .LBB63_3036
; %bb.3034:
	s_cmp_eq_u32 s24, 29
	s_mov_b64 s[0:1], -1
	s_cbranch_scc0 .LBB63_3036
; %bb.3035:
	s_mov_b32 s0, 0
	v_cndmask_b32_e64 v3, 0, 1, s[18:19]
	v_mov_b32_e32 v4, s0
	global_store_dwordx2 v[1:2], v[3:4], off
	s_mov_b64 s[0:1], 0
	s_mov_b64 s[6:7], -1
.LBB63_3036:
	s_mov_b64 s[16:17], 0
.LBB63_3037:
	s_and_b64 vcc, exec, s[16:17]
	s_cbranch_vccz .LBB63_3053
; %bb.3038:
	s_cmp_lt_i32 s24, 27
	s_mov_b64 s[6:7], -1
	s_cbranch_scc1 .LBB63_3044
; %bb.3039:
	s_cmp_gt_i32 s24, 27
	s_cbranch_scc0 .LBB63_3041
; %bb.3040:
	v_cndmask_b32_e64 v3, 0, 1, s[18:19]
	s_mov_b64 s[6:7], 0
	global_store_dword v[1:2], v3, off
.LBB63_3041:
	s_andn2_b64 vcc, exec, s[6:7]
	s_cbranch_vccnz .LBB63_3043
; %bb.3042:
	v_cndmask_b32_e64 v3, 0, 1, s[18:19]
	global_store_short v[1:2], v3, off
.LBB63_3043:
	s_mov_b64 s[6:7], 0
.LBB63_3044:
	s_andn2_b64 vcc, exec, s[6:7]
	s_cbranch_vccnz .LBB63_3052
; %bb.3045:
	v_cndmask_b32_e64 v4, 0, 1.0, s[18:19]
	s_mov_b32 s6, 0x43800000
	v_cmp_gt_u32_e32 vcc, s6, v4
	v_mov_b32_e32 v5, 0x80
	s_and_saveexec_b64 s[6:7], vcc
	s_cbranch_execz .LBB63_3051
; %bb.3046:
	s_mov_b32 s16, 0x3bffffff
	v_cmp_lt_u32_e32 vcc, s16, v4
	s_mov_b64 s[16:17], 0
                                        ; implicit-def: $vgpr3
	s_and_saveexec_b64 s[20:21], vcc
	s_xor_b64 s[20:21], exec, s[20:21]
	s_cbranch_execz .LBB63_3228
; %bb.3047:
	v_bfe_u32 v3, v4, 20, 1
	s_mov_b32 s22, 0x487ffff
	v_add3_u32 v3, v4, v3, s22
	s_mov_b64 s[16:17], exec
	v_lshrrev_b32_e32 v3, 20, v3
                                        ; implicit-def: $vgpr4
	s_andn2_saveexec_b64 s[20:21], s[20:21]
	s_cbranch_execnz .LBB63_3229
.LBB63_3048:
	s_or_b64 exec, exec, s[20:21]
	v_mov_b32_e32 v5, 0
	s_and_saveexec_b64 s[20:21], s[16:17]
.LBB63_3049:
	v_mov_b32_e32 v5, v3
.LBB63_3050:
	s_or_b64 exec, exec, s[20:21]
.LBB63_3051:
	s_or_b64 exec, exec, s[6:7]
	global_store_byte v[1:2], v5, off
.LBB63_3052:
	s_mov_b64 s[6:7], -1
.LBB63_3053:
	s_mov_b64 s[16:17], 0
.LBB63_3054:
	s_and_b64 vcc, exec, s[16:17]
	s_cbranch_vccz .LBB63_3094
; %bb.3055:
	s_cmp_gt_i32 s24, 22
	s_mov_b64 s[2:3], -1
	s_cbranch_scc0 .LBB63_3087
; %bb.3056:
	s_cmp_lt_i32 s24, 24
	s_cbranch_scc1 .LBB63_3076
; %bb.3057:
	s_cmp_gt_i32 s24, 24
	s_cbranch_scc0 .LBB63_3065
; %bb.3058:
	v_cndmask_b32_e64 v4, 0, 1.0, s[18:19]
	s_mov_b32 s2, 0x47800000
	v_cmp_gt_u32_e32 vcc, s2, v4
	v_mov_b32_e32 v5, 0x80
	s_and_saveexec_b64 s[2:3], vcc
	s_cbranch_execz .LBB63_3064
; %bb.3059:
	s_mov_b32 s6, 0x37ffffff
	v_cmp_lt_u32_e32 vcc, s6, v4
	s_mov_b64 s[6:7], 0
                                        ; implicit-def: $vgpr3
	s_and_saveexec_b64 s[16:17], vcc
	s_xor_b64 s[16:17], exec, s[16:17]
	s_cbranch_execz .LBB63_3231
; %bb.3060:
	v_bfe_u32 v3, v4, 21, 1
	s_mov_b32 s20, 0x88fffff
	v_add3_u32 v3, v4, v3, s20
	s_mov_b64 s[6:7], exec
	v_lshrrev_b32_e32 v3, 21, v3
                                        ; implicit-def: $vgpr4
	s_andn2_saveexec_b64 s[16:17], s[16:17]
	s_cbranch_execnz .LBB63_3232
.LBB63_3061:
	s_or_b64 exec, exec, s[16:17]
	v_mov_b32_e32 v5, 0
	s_and_saveexec_b64 s[16:17], s[6:7]
.LBB63_3062:
	v_mov_b32_e32 v5, v3
.LBB63_3063:
	s_or_b64 exec, exec, s[16:17]
.LBB63_3064:
	s_or_b64 exec, exec, s[2:3]
	s_mov_b64 s[2:3], 0
	global_store_byte v[1:2], v5, off
.LBB63_3065:
	s_and_b64 vcc, exec, s[2:3]
	s_cbranch_vccz .LBB63_3075
; %bb.3066:
	v_cndmask_b32_e64 v3, 0, 1.0, s[18:19]
	s_mov_b32 s2, 0x43f00000
	v_cmp_gt_u32_e32 vcc, s2, v3
                                        ; implicit-def: $vgpr4
	s_and_saveexec_b64 s[2:3], vcc
	s_xor_b64 s[2:3], exec, s[2:3]
	s_cbranch_execz .LBB63_3072
; %bb.3067:
	s_mov_b32 s6, 0x3c7fffff
	v_cmp_lt_u32_e32 vcc, s6, v3
                                        ; implicit-def: $vgpr4
	s_and_saveexec_b64 s[6:7], vcc
	s_xor_b64 s[6:7], exec, s[6:7]
; %bb.3068:
	v_bfe_u32 v4, v3, 20, 1
	s_mov_b32 s16, 0x407ffff
	v_add3_u32 v3, v3, v4, s16
	v_lshrrev_b32_e32 v4, 20, v3
	v_and_b32_e32 v3, 0xff00000, v3
	s_mov_b32 s16, 0x7f00000
	v_mov_b32_e32 v5, 0x7e
	v_cmp_ne_u32_e32 vcc, s16, v3
	v_cndmask_b32_e32 v4, v5, v4, vcc
                                        ; implicit-def: $vgpr3
; %bb.3069:
	s_andn2_saveexec_b64 s[6:7], s[6:7]
; %bb.3070:
	v_add_f32_e32 v4, 0x46800000, v3
; %bb.3071:
	s_or_b64 exec, exec, s[6:7]
                                        ; implicit-def: $vgpr3
.LBB63_3072:
	s_andn2_saveexec_b64 s[2:3], s[2:3]
; %bb.3073:
	s_mov_b32 s6, 0x7f800000
	v_mov_b32_e32 v4, 0x7e
	v_mov_b32_e32 v5, 0x7f
	v_cmp_lt_u32_e32 vcc, s6, v3
	v_cndmask_b32_e32 v4, v4, v5, vcc
; %bb.3074:
	s_or_b64 exec, exec, s[2:3]
	global_store_byte v[1:2], v4, off
.LBB63_3075:
	s_mov_b64 s[2:3], 0
.LBB63_3076:
	s_andn2_b64 vcc, exec, s[2:3]
	s_cbranch_vccnz .LBB63_3086
; %bb.3077:
	v_cndmask_b32_e64 v3, 0, 1.0, s[18:19]
	s_mov_b32 s2, 0x47800000
	v_cmp_gt_u32_e32 vcc, s2, v3
                                        ; implicit-def: $vgpr4
	s_and_saveexec_b64 s[2:3], vcc
	s_xor_b64 s[2:3], exec, s[2:3]
	s_cbranch_execz .LBB63_3083
; %bb.3078:
	s_mov_b32 s6, 0x387fffff
	v_cmp_lt_u32_e32 vcc, s6, v3
                                        ; implicit-def: $vgpr4
	s_and_saveexec_b64 s[6:7], vcc
	s_xor_b64 s[6:7], exec, s[6:7]
; %bb.3079:
	v_bfe_u32 v4, v3, 21, 1
	s_mov_b32 s16, 0x80fffff
	v_add3_u32 v3, v3, v4, s16
	v_lshrrev_b32_e32 v4, 21, v3
                                        ; implicit-def: $vgpr3
; %bb.3080:
	s_andn2_saveexec_b64 s[6:7], s[6:7]
; %bb.3081:
	v_add_f32_e32 v4, 0x43000000, v3
; %bb.3082:
	s_or_b64 exec, exec, s[6:7]
                                        ; implicit-def: $vgpr3
.LBB63_3083:
	s_andn2_saveexec_b64 s[2:3], s[2:3]
; %bb.3084:
	s_mov_b32 s6, 0x7f800000
	v_mov_b32_e32 v4, 0x7c
	v_mov_b32_e32 v5, 0x7f
	v_cmp_lt_u32_e32 vcc, s6, v3
	v_cndmask_b32_e32 v4, v4, v5, vcc
; %bb.3085:
	s_or_b64 exec, exec, s[2:3]
	global_store_byte v[1:2], v4, off
.LBB63_3086:
	s_mov_b64 s[2:3], 0
	s_mov_b64 s[6:7], -1
.LBB63_3087:
	s_andn2_b64 vcc, exec, s[2:3]
	s_mov_b64 s[2:3], 0
	s_cbranch_vccnz .LBB63_3094
; %bb.3088:
	s_cmp_gt_i32 s24, 14
	s_mov_b64 s[16:17], -1
	s_cbranch_scc0 .LBB63_3092
; %bb.3089:
	s_cmp_eq_u32 s24, 15
	s_mov_b64 s[0:1], -1
	s_cbranch_scc0 .LBB63_3091
; %bb.3090:
	v_cndmask_b32_e64 v3, 0, 1.0, s[18:19]
	v_bfe_u32 v4, v3, 16, 1
	s_movk_i32 s0, 0x7fff
	v_add3_u32 v3, v3, v4, s0
	global_store_short_d16_hi v[1:2], v3, off
	s_mov_b64 s[0:1], 0
	s_mov_b64 s[6:7], -1
.LBB63_3091:
	s_mov_b64 s[16:17], 0
.LBB63_3092:
	s_and_b64 vcc, exec, s[16:17]
	s_cbranch_vccz .LBB63_3094
; %bb.3093:
	s_cmp_lg_u32 s24, 11
	s_mov_b64 s[2:3], -1
	s_cselect_b64 s[0:1], -1, 0
.LBB63_3094:
	s_and_b64 vcc, exec, s[0:1]
	s_cbranch_vccnz .LBB63_3230
; %bb.3095:
	s_andn2_b64 vcc, exec, s[2:3]
	s_cbranch_vccnz .LBB63_3097
.LBB63_3096:
	v_cndmask_b32_e64 v3, 0, 1, s[18:19]
	s_mov_b64 s[6:7], -1
	global_store_byte v[1:2], v3, off
.LBB63_3097:
	s_mov_b64 s[0:1], 0
	s_branch .LBB63_3099
.LBB63_3098:
	s_mov_b64 s[0:1], -1
	s_mov_b64 s[6:7], 0
.LBB63_3099:
	s_and_b64 vcc, exec, s[0:1]
	s_cbranch_vccz .LBB63_3138
; %bb.3100:
	s_cmp_lt_i32 s24, 5
	s_mov_b64 s[0:1], -1
	s_cbranch_scc1 .LBB63_3121
; %bb.3101:
	s_cmp_lt_i32 s24, 8
	s_cbranch_scc1 .LBB63_3111
; %bb.3102:
	s_cmp_lt_i32 s24, 9
	s_cbranch_scc1 .LBB63_3108
; %bb.3103:
	s_cmp_gt_i32 s24, 9
	s_cbranch_scc0 .LBB63_3105
; %bb.3104:
	v_cndmask_b32_e64 v3, 0, 1, s[18:19]
	v_cvt_f64_u32_e32 v[3:4], v3
	v_mov_b32_e32 v5, 0
	v_mov_b32_e32 v6, v5
	s_mov_b64 s[0:1], 0
	global_store_dwordx4 v[1:2], v[3:6], off
.LBB63_3105:
	s_andn2_b64 vcc, exec, s[0:1]
	s_cbranch_vccnz .LBB63_3107
; %bb.3106:
	v_cndmask_b32_e64 v3, 0, 1.0, s[18:19]
	v_mov_b32_e32 v4, 0
	global_store_dwordx2 v[1:2], v[3:4], off
.LBB63_3107:
	s_mov_b64 s[0:1], 0
.LBB63_3108:
	s_andn2_b64 vcc, exec, s[0:1]
	s_cbranch_vccnz .LBB63_3110
; %bb.3109:
	v_cndmask_b32_e64 v3, 0, 1.0, s[18:19]
	v_cvt_f16_f32_e32 v3, v3
	global_store_dword v[1:2], v3, off
.LBB63_3110:
	s_mov_b64 s[0:1], 0
.LBB63_3111:
	s_andn2_b64 vcc, exec, s[0:1]
	s_cbranch_vccnz .LBB63_3120
; %bb.3112:
	s_cmp_lt_i32 s24, 6
	s_mov_b64 s[0:1], -1
	s_cbranch_scc1 .LBB63_3118
; %bb.3113:
	s_cmp_gt_i32 s24, 6
	s_cbranch_scc0 .LBB63_3115
; %bb.3114:
	v_cndmask_b32_e64 v3, 0, 1, s[18:19]
	v_cvt_f64_u32_e32 v[3:4], v3
	s_mov_b64 s[0:1], 0
	global_store_dwordx2 v[1:2], v[3:4], off
.LBB63_3115:
	s_andn2_b64 vcc, exec, s[0:1]
	s_cbranch_vccnz .LBB63_3117
; %bb.3116:
	v_cndmask_b32_e64 v3, 0, 1.0, s[18:19]
	global_store_dword v[1:2], v3, off
.LBB63_3117:
	s_mov_b64 s[0:1], 0
.LBB63_3118:
	s_andn2_b64 vcc, exec, s[0:1]
	s_cbranch_vccnz .LBB63_3120
; %bb.3119:
	v_cndmask_b32_e64 v3, 0, 1.0, s[18:19]
	v_cvt_f16_f32_e32 v3, v3
	global_store_short v[1:2], v3, off
.LBB63_3120:
	s_mov_b64 s[0:1], 0
.LBB63_3121:
	s_andn2_b64 vcc, exec, s[0:1]
	s_cbranch_vccnz .LBB63_3137
; %bb.3122:
	s_cmp_lt_i32 s24, 2
	s_mov_b64 s[0:1], -1
	s_cbranch_scc1 .LBB63_3132
; %bb.3123:
	s_cmp_lt_i32 s24, 3
	s_cbranch_scc1 .LBB63_3129
; %bb.3124:
	s_cmp_gt_i32 s24, 3
	s_cbranch_scc0 .LBB63_3126
; %bb.3125:
	s_mov_b32 s0, 0
	v_cndmask_b32_e64 v3, 0, 1, s[18:19]
	v_mov_b32_e32 v4, s0
	global_store_dwordx2 v[1:2], v[3:4], off
	s_mov_b64 s[0:1], 0
.LBB63_3126:
	s_andn2_b64 vcc, exec, s[0:1]
	s_cbranch_vccnz .LBB63_3128
; %bb.3127:
	v_cndmask_b32_e64 v3, 0, 1, s[18:19]
	global_store_dword v[1:2], v3, off
.LBB63_3128:
	s_mov_b64 s[0:1], 0
.LBB63_3129:
	s_andn2_b64 vcc, exec, s[0:1]
	s_cbranch_vccnz .LBB63_3131
; %bb.3130:
	v_cndmask_b32_e64 v3, 0, 1, s[18:19]
	global_store_short v[1:2], v3, off
.LBB63_3131:
	s_mov_b64 s[0:1], 0
.LBB63_3132:
	s_andn2_b64 vcc, exec, s[0:1]
	s_cbranch_vccnz .LBB63_3137
; %bb.3133:
	s_cmp_gt_i32 s24, 0
	s_mov_b64 s[0:1], -1
	s_cbranch_scc0 .LBB63_3135
; %bb.3134:
	v_cndmask_b32_e64 v3, 0, 1, s[18:19]
	global_store_byte v[1:2], v3, off
	s_mov_b64 s[0:1], 0
.LBB63_3135:
	s_andn2_b64 vcc, exec, s[0:1]
	s_cbranch_vccnz .LBB63_3137
; %bb.3136:
	v_cndmask_b32_e64 v3, 0, 1, s[18:19]
	global_store_byte v[1:2], v3, off
.LBB63_3137:
	s_mov_b64 s[6:7], -1
.LBB63_3138:
	s_andn2_b64 vcc, exec, s[6:7]
	s_cbranch_vccnz .LBB63_3215
; %bb.3139:
	v_mov_b32_e32 v1, s9
	v_add_co_u32_e32 v0, vcc, s8, v0
	s_cmp_lt_i32 s24, 11
	v_addc_co_u32_e32 v1, vcc, 0, v1, vcc
	s_cbranch_scc1 .LBB63_3216
; %bb.3140:
	s_mov_b64 s[6:7], -1
	s_mov_b64 s[2:3], 0
	s_cmp_gt_i32 s24, 25
	s_mov_b64 s[0:1], 0
	s_cbranch_scc0 .LBB63_3173
; %bb.3141:
	s_cmp_gt_i32 s24, 28
	s_cbranch_scc0 .LBB63_3157
; %bb.3142:
	s_cmp_gt_i32 s24, 43
	;; [unrolled: 3-line block ×3, first 2 shown]
	s_cbranch_scc0 .LBB63_3147
; %bb.3144:
	s_cmp_eq_u32 s24, 46
	s_mov_b64 s[0:1], -1
	s_cbranch_scc0 .LBB63_3146
; %bb.3145:
	v_cndmask_b32_e64 v2, 0, 1.0, s[10:11]
	v_bfe_u32 v3, v2, 16, 1
	s_movk_i32 s0, 0x7fff
	v_add3_u32 v2, v2, v3, s0
	v_lshrrev_b32_e32 v2, 16, v2
	global_store_dword v[0:1], v2, off
	s_mov_b64 s[0:1], 0
.LBB63_3146:
	s_mov_b64 s[6:7], 0
.LBB63_3147:
	s_and_b64 vcc, exec, s[6:7]
	s_cbranch_vccz .LBB63_3152
; %bb.3148:
	s_cmp_eq_u32 s24, 44
	s_mov_b64 s[0:1], -1
	s_cbranch_scc0 .LBB63_3152
; %bb.3149:
	v_cndmask_b32_e64 v3, 0, 1.0, s[10:11]
	v_lshrrev_b32_e32 v2, 23, v3
	s_movk_i32 s0, 0xff
	v_cmp_ne_u32_e32 vcc, s0, v2
	v_mov_b32_e32 v4, 0xff
	s_and_saveexec_b64 s[6:7], vcc
; %bb.3150:
	s_mov_b32 s0, 0x3fffff
	v_and_b32_e32 v4, 0x400000, v3
	v_and_or_b32 v3, v3, s0, v2
	v_cmp_ne_u32_e32 vcc, 0, v4
	v_cmp_ne_u32_e64 s[0:1], 0, v3
	s_and_b64 s[0:1], vcc, s[0:1]
	v_cndmask_b32_e64 v3, 0, 1, s[0:1]
	v_add_u32_e32 v4, v2, v3
; %bb.3151:
	s_or_b64 exec, exec, s[6:7]
	s_mov_b64 s[0:1], 0
	global_store_byte v[0:1], v4, off
.LBB63_3152:
	s_mov_b64 s[6:7], 0
.LBB63_3153:
	s_and_b64 vcc, exec, s[6:7]
	s_cbranch_vccz .LBB63_3156
; %bb.3154:
	s_cmp_eq_u32 s24, 29
	s_mov_b64 s[0:1], -1
	s_cbranch_scc0 .LBB63_3156
; %bb.3155:
	s_mov_b32 s0, 0
	v_cndmask_b32_e64 v2, 0, 1, s[10:11]
	v_mov_b32_e32 v3, s0
	global_store_dwordx2 v[0:1], v[2:3], off
	s_mov_b64 s[0:1], 0
.LBB63_3156:
	s_mov_b64 s[6:7], 0
.LBB63_3157:
	s_and_b64 vcc, exec, s[6:7]
	s_cbranch_vccz .LBB63_3172
; %bb.3158:
	s_cmp_lt_i32 s24, 27
	s_mov_b64 s[6:7], -1
	s_cbranch_scc1 .LBB63_3164
; %bb.3159:
	s_cmp_gt_i32 s24, 27
	v_cndmask_b32_e64 v2, 0, 1, s[10:11]
	s_cbranch_scc0 .LBB63_3161
; %bb.3160:
	global_store_dword v[0:1], v2, off
	s_mov_b64 s[6:7], 0
.LBB63_3161:
	s_andn2_b64 vcc, exec, s[6:7]
	s_cbranch_vccnz .LBB63_3163
; %bb.3162:
	global_store_short v[0:1], v2, off
.LBB63_3163:
	s_mov_b64 s[6:7], 0
.LBB63_3164:
	s_andn2_b64 vcc, exec, s[6:7]
	s_cbranch_vccnz .LBB63_3172
; %bb.3165:
	v_cndmask_b32_e64 v3, 0, 1.0, s[10:11]
	s_mov_b32 s6, 0x43800000
	v_cmp_gt_u32_e32 vcc, s6, v3
	v_mov_b32_e32 v4, 0x80
	s_and_saveexec_b64 s[6:7], vcc
	s_cbranch_execz .LBB63_3171
; %bb.3166:
	s_mov_b32 s8, 0x3bffffff
	v_cmp_lt_u32_e32 vcc, s8, v3
	s_mov_b64 s[8:9], 0
                                        ; implicit-def: $vgpr2
	s_and_saveexec_b64 s[16:17], vcc
	s_xor_b64 s[16:17], exec, s[16:17]
	s_cbranch_execz .LBB63_3233
; %bb.3167:
	v_bfe_u32 v2, v3, 20, 1
	s_mov_b32 s18, 0x487ffff
	v_add3_u32 v2, v3, v2, s18
	s_mov_b64 s[8:9], exec
	v_lshrrev_b32_e32 v2, 20, v2
                                        ; implicit-def: $vgpr3
	s_andn2_saveexec_b64 s[16:17], s[16:17]
	s_cbranch_execnz .LBB63_3234
.LBB63_3168:
	s_or_b64 exec, exec, s[16:17]
	v_mov_b32_e32 v4, 0
	s_and_saveexec_b64 s[16:17], s[8:9]
.LBB63_3169:
	v_mov_b32_e32 v4, v2
.LBB63_3170:
	s_or_b64 exec, exec, s[16:17]
.LBB63_3171:
	s_or_b64 exec, exec, s[6:7]
	global_store_byte v[0:1], v4, off
.LBB63_3172:
	s_mov_b64 s[6:7], 0
.LBB63_3173:
	s_and_b64 vcc, exec, s[6:7]
	s_cbranch_vccz .LBB63_3213
; %bb.3174:
	s_cmp_gt_i32 s24, 22
	s_mov_b64 s[2:3], -1
	s_cbranch_scc0 .LBB63_3206
; %bb.3175:
	s_cmp_lt_i32 s24, 24
	s_cbranch_scc1 .LBB63_3195
; %bb.3176:
	s_cmp_gt_i32 s24, 24
	s_cbranch_scc0 .LBB63_3184
; %bb.3177:
	v_cndmask_b32_e64 v3, 0, 1.0, s[10:11]
	s_mov_b32 s2, 0x47800000
	v_cmp_gt_u32_e32 vcc, s2, v3
	v_mov_b32_e32 v4, 0x80
	s_and_saveexec_b64 s[2:3], vcc
	s_cbranch_execz .LBB63_3183
; %bb.3178:
	s_mov_b32 s6, 0x37ffffff
	v_cmp_lt_u32_e32 vcc, s6, v3
	s_mov_b64 s[6:7], 0
                                        ; implicit-def: $vgpr2
	s_and_saveexec_b64 s[8:9], vcc
	s_xor_b64 s[8:9], exec, s[8:9]
	s_cbranch_execz .LBB63_3236
; %bb.3179:
	v_bfe_u32 v2, v3, 21, 1
	s_mov_b32 s16, 0x88fffff
	v_add3_u32 v2, v3, v2, s16
	s_mov_b64 s[6:7], exec
	v_lshrrev_b32_e32 v2, 21, v2
                                        ; implicit-def: $vgpr3
	s_andn2_saveexec_b64 s[8:9], s[8:9]
	s_cbranch_execnz .LBB63_3237
.LBB63_3180:
	s_or_b64 exec, exec, s[8:9]
	v_mov_b32_e32 v4, 0
	s_and_saveexec_b64 s[8:9], s[6:7]
.LBB63_3181:
	v_mov_b32_e32 v4, v2
.LBB63_3182:
	s_or_b64 exec, exec, s[8:9]
.LBB63_3183:
	s_or_b64 exec, exec, s[2:3]
	s_mov_b64 s[2:3], 0
	global_store_byte v[0:1], v4, off
.LBB63_3184:
	s_and_b64 vcc, exec, s[2:3]
	s_cbranch_vccz .LBB63_3194
; %bb.3185:
	v_cndmask_b32_e64 v2, 0, 1.0, s[10:11]
	s_mov_b32 s2, 0x43f00000
	v_cmp_gt_u32_e32 vcc, s2, v2
                                        ; implicit-def: $vgpr3
	s_and_saveexec_b64 s[2:3], vcc
	s_xor_b64 s[2:3], exec, s[2:3]
	s_cbranch_execz .LBB63_3191
; %bb.3186:
	s_mov_b32 s6, 0x3c7fffff
	v_cmp_lt_u32_e32 vcc, s6, v2
                                        ; implicit-def: $vgpr3
	s_and_saveexec_b64 s[6:7], vcc
	s_xor_b64 s[6:7], exec, s[6:7]
; %bb.3187:
	v_bfe_u32 v3, v2, 20, 1
	s_mov_b32 s8, 0x407ffff
	v_add3_u32 v2, v2, v3, s8
	v_lshrrev_b32_e32 v3, 20, v2
	v_and_b32_e32 v2, 0xff00000, v2
	s_mov_b32 s8, 0x7f00000
	v_mov_b32_e32 v4, 0x7e
	v_cmp_ne_u32_e32 vcc, s8, v2
	v_cndmask_b32_e32 v3, v4, v3, vcc
                                        ; implicit-def: $vgpr2
; %bb.3188:
	s_andn2_saveexec_b64 s[6:7], s[6:7]
; %bb.3189:
	v_add_f32_e32 v3, 0x46800000, v2
; %bb.3190:
	s_or_b64 exec, exec, s[6:7]
                                        ; implicit-def: $vgpr2
.LBB63_3191:
	s_andn2_saveexec_b64 s[2:3], s[2:3]
; %bb.3192:
	s_mov_b32 s6, 0x7f800000
	v_mov_b32_e32 v3, 0x7e
	v_mov_b32_e32 v4, 0x7f
	v_cmp_lt_u32_e32 vcc, s6, v2
	v_cndmask_b32_e32 v3, v3, v4, vcc
; %bb.3193:
	s_or_b64 exec, exec, s[2:3]
	global_store_byte v[0:1], v3, off
.LBB63_3194:
	s_mov_b64 s[2:3], 0
.LBB63_3195:
	s_andn2_b64 vcc, exec, s[2:3]
	s_cbranch_vccnz .LBB63_3205
; %bb.3196:
	v_cndmask_b32_e64 v2, 0, 1.0, s[10:11]
	s_mov_b32 s2, 0x47800000
	v_cmp_gt_u32_e32 vcc, s2, v2
                                        ; implicit-def: $vgpr3
	s_and_saveexec_b64 s[2:3], vcc
	s_xor_b64 s[2:3], exec, s[2:3]
	s_cbranch_execz .LBB63_3202
; %bb.3197:
	s_mov_b32 s6, 0x387fffff
	v_cmp_lt_u32_e32 vcc, s6, v2
                                        ; implicit-def: $vgpr3
	s_and_saveexec_b64 s[6:7], vcc
	s_xor_b64 s[6:7], exec, s[6:7]
; %bb.3198:
	v_bfe_u32 v3, v2, 21, 1
	s_mov_b32 s8, 0x80fffff
	v_add3_u32 v2, v2, v3, s8
	v_lshrrev_b32_e32 v3, 21, v2
                                        ; implicit-def: $vgpr2
; %bb.3199:
	s_andn2_saveexec_b64 s[6:7], s[6:7]
; %bb.3200:
	v_add_f32_e32 v3, 0x43000000, v2
; %bb.3201:
	s_or_b64 exec, exec, s[6:7]
                                        ; implicit-def: $vgpr2
.LBB63_3202:
	s_andn2_saveexec_b64 s[2:3], s[2:3]
; %bb.3203:
	s_mov_b32 s6, 0x7f800000
	v_mov_b32_e32 v3, 0x7c
	v_mov_b32_e32 v4, 0x7f
	v_cmp_lt_u32_e32 vcc, s6, v2
	v_cndmask_b32_e32 v3, v3, v4, vcc
; %bb.3204:
	s_or_b64 exec, exec, s[2:3]
	global_store_byte v[0:1], v3, off
.LBB63_3205:
	s_mov_b64 s[2:3], 0
.LBB63_3206:
	s_andn2_b64 vcc, exec, s[2:3]
	s_mov_b64 s[2:3], 0
	s_cbranch_vccnz .LBB63_3213
; %bb.3207:
	s_cmp_gt_i32 s24, 14
	s_mov_b64 s[6:7], -1
	s_cbranch_scc0 .LBB63_3211
; %bb.3208:
	s_cmp_eq_u32 s24, 15
	s_mov_b64 s[0:1], -1
	s_cbranch_scc0 .LBB63_3210
; %bb.3209:
	v_cndmask_b32_e64 v2, 0, 1.0, s[10:11]
	v_bfe_u32 v3, v2, 16, 1
	s_movk_i32 s0, 0x7fff
	v_add3_u32 v2, v2, v3, s0
	global_store_short_d16_hi v[0:1], v2, off
	s_mov_b64 s[0:1], 0
.LBB63_3210:
	s_mov_b64 s[6:7], 0
.LBB63_3211:
	s_and_b64 vcc, exec, s[6:7]
	s_cbranch_vccz .LBB63_3213
; %bb.3212:
	s_cmp_lg_u32 s24, 11
	s_mov_b64 s[2:3], -1
	s_cselect_b64 s[0:1], -1, 0
.LBB63_3213:
	s_and_b64 vcc, exec, s[0:1]
	s_cbranch_vccnz .LBB63_3235
.LBB63_3214:
	s_mov_b64 s[0:1], 0
	s_branch .LBB63_2725
.LBB63_3215:
	s_mov_b64 s[0:1], 0
	s_branch .LBB63_2724
.LBB63_3216:
	s_mov_b64 s[2:3], 0
	s_mov_b64 s[0:1], -1
	s_branch .LBB63_2725
.LBB63_3217:
	s_trap 2
	s_or_b64 s[4:5], s[4:5], exec
	s_cbranch_execz .LBB63_2667
	s_branch .LBB63_2668
.LBB63_3218:
	s_andn2_saveexec_b64 s[24:25], s[24:25]
	s_cbranch_execz .LBB63_2808
.LBB63_3219:
	v_add_f32_e32 v1, 0x46000000, v3
	v_and_b32_e32 v1, 0xff, v1
	v_cmp_ne_u32_e32 vcc, 0, v1
	s_andn2_b64 s[22:23], s[22:23], exec
	s_and_b64 s[28:29], vcc, exec
	s_or_b64 s[22:23], s[22:23], s[28:29]
	s_or_b64 exec, exec, s[24:25]
	v_mov_b32_e32 v7, 0
	s_and_saveexec_b64 s[24:25], s[22:23]
	s_cbranch_execnz .LBB63_2809
	s_branch .LBB63_2810
.LBB63_3220:
	s_trap 2
	s_or_b64 s[4:5], s[4:5], exec
	s_cbranch_execz .LBB63_2856
	s_branch .LBB63_2857
.LBB63_3221:
	s_andn2_saveexec_b64 s[22:23], s[22:23]
	s_cbranch_execz .LBB63_2821
.LBB63_3222:
	v_add_f32_e32 v1, 0x42800000, v3
	v_and_b32_e32 v1, 0xff, v1
	v_cmp_ne_u32_e32 vcc, 0, v1
	s_andn2_b64 s[20:21], s[20:21], exec
	s_and_b64 s[24:25], vcc, exec
	s_or_b64 s[20:21], s[20:21], s[24:25]
	s_or_b64 exec, exec, s[22:23]
	v_mov_b32_e32 v7, 0
	s_and_saveexec_b64 s[22:23], s[20:21]
	s_cbranch_execnz .LBB63_2822
	s_branch .LBB63_2823
.LBB63_3223:
	s_andn2_saveexec_b64 s[22:23], s[22:23]
	s_cbranch_execz .LBB63_2929
.LBB63_3224:
	v_add_f32_e32 v1, 0x46000000, v5
	v_and_b32_e32 v1, 0xff, v1
	v_cmp_ne_u32_e32 vcc, 0, v1
	s_andn2_b64 s[20:21], s[20:21], exec
	s_and_b64 s[28:29], vcc, exec
	s_or_b64 s[20:21], s[20:21], s[28:29]
	s_or_b64 exec, exec, s[22:23]
	v_mov_b32_e32 v6, 0
	s_and_saveexec_b64 s[22:23], s[20:21]
	s_cbranch_execnz .LBB63_2930
	s_branch .LBB63_2931
.LBB63_3225:
	s_trap 2
	s_or_b64 s[4:5], s[4:5], exec
	s_cbranch_execz .LBB63_2977
	s_branch .LBB63_2978
.LBB63_3226:
	s_andn2_saveexec_b64 s[20:21], s[20:21]
	s_cbranch_execz .LBB63_2942
.LBB63_3227:
	v_add_f32_e32 v1, 0x42800000, v5
	v_and_b32_e32 v1, 0xff, v1
	v_cmp_ne_u32_e32 vcc, 0, v1
	s_andn2_b64 s[6:7], s[6:7], exec
	s_and_b64 s[22:23], vcc, exec
	s_or_b64 s[6:7], s[6:7], s[22:23]
	s_or_b64 exec, exec, s[20:21]
	v_mov_b32_e32 v6, 0
	s_and_saveexec_b64 s[20:21], s[6:7]
	s_cbranch_execnz .LBB63_2943
	s_branch .LBB63_2944
.LBB63_3228:
	s_andn2_saveexec_b64 s[20:21], s[20:21]
	s_cbranch_execz .LBB63_3048
.LBB63_3229:
	v_add_f32_e32 v3, 0x46000000, v4
	v_and_b32_e32 v3, 0xff, v3
	v_cmp_ne_u32_e32 vcc, 0, v3
	s_andn2_b64 s[16:17], s[16:17], exec
	s_and_b64 s[22:23], vcc, exec
	s_or_b64 s[16:17], s[16:17], s[22:23]
	s_or_b64 exec, exec, s[20:21]
	v_mov_b32_e32 v5, 0
	s_and_saveexec_b64 s[20:21], s[16:17]
	s_cbranch_execnz .LBB63_3049
	s_branch .LBB63_3050
.LBB63_3230:
	s_trap 2
	s_or_b64 s[4:5], s[4:5], exec
	s_cbranch_execz .LBB63_3096
	s_branch .LBB63_3097
.LBB63_3231:
	s_andn2_saveexec_b64 s[16:17], s[16:17]
	s_cbranch_execz .LBB63_3061
.LBB63_3232:
	v_add_f32_e32 v3, 0x42800000, v4
	v_and_b32_e32 v3, 0xff, v3
	v_cmp_ne_u32_e32 vcc, 0, v3
	s_andn2_b64 s[6:7], s[6:7], exec
	s_and_b64 s[20:21], vcc, exec
	s_or_b64 s[6:7], s[6:7], s[20:21]
	s_or_b64 exec, exec, s[16:17]
	v_mov_b32_e32 v5, 0
	s_and_saveexec_b64 s[16:17], s[6:7]
	s_cbranch_execnz .LBB63_3062
	s_branch .LBB63_3063
.LBB63_3233:
	s_andn2_saveexec_b64 s[16:17], s[16:17]
	s_cbranch_execz .LBB63_3168
.LBB63_3234:
	v_add_f32_e32 v2, 0x46000000, v3
	v_and_b32_e32 v2, 0xff, v2
	v_cmp_ne_u32_e32 vcc, 0, v2
	s_andn2_b64 s[8:9], s[8:9], exec
	s_and_b64 s[18:19], vcc, exec
	s_or_b64 s[8:9], s[8:9], s[18:19]
	s_or_b64 exec, exec, s[16:17]
	v_mov_b32_e32 v4, 0
	s_and_saveexec_b64 s[16:17], s[8:9]
	s_cbranch_execnz .LBB63_3169
	s_branch .LBB63_3170
.LBB63_3235:
	s_mov_b64 s[2:3], 0
	s_or_b64 s[4:5], s[4:5], exec
	s_trap 2
	s_branch .LBB63_3214
.LBB63_3236:
	s_andn2_saveexec_b64 s[8:9], s[8:9]
	s_cbranch_execz .LBB63_3180
.LBB63_3237:
	v_add_f32_e32 v2, 0x42800000, v3
	v_and_b32_e32 v2, 0xff, v2
	v_cmp_ne_u32_e32 vcc, 0, v2
	s_andn2_b64 s[6:7], s[6:7], exec
	s_and_b64 s[16:17], vcc, exec
	s_or_b64 s[6:7], s[6:7], s[16:17]
	s_or_b64 exec, exec, s[8:9]
	v_mov_b32_e32 v4, 0
	s_and_saveexec_b64 s[8:9], s[6:7]
	s_cbranch_execnz .LBB63_3181
	s_branch .LBB63_3182
	.section	.rodata,"a",@progbits
	.p2align	6, 0x0
	.amdhsa_kernel _ZN2at6native32elementwise_kernel_manual_unrollILi128ELi4EZNS0_15gpu_kernel_implINS0_12_GLOBAL__N_114CompareFunctorIlEEEEvRNS_18TensorIteratorBaseERKT_EUlibE0_EEviT1_
		.amdhsa_group_segment_fixed_size 0
		.amdhsa_private_segment_fixed_size 0
		.amdhsa_kernarg_size 432
		.amdhsa_user_sgpr_count 6
		.amdhsa_user_sgpr_private_segment_buffer 1
		.amdhsa_user_sgpr_dispatch_ptr 0
		.amdhsa_user_sgpr_queue_ptr 0
		.amdhsa_user_sgpr_kernarg_segment_ptr 1
		.amdhsa_user_sgpr_dispatch_id 0
		.amdhsa_user_sgpr_flat_scratch_init 0
		.amdhsa_user_sgpr_private_segment_size 0
		.amdhsa_uses_dynamic_stack 0
		.amdhsa_system_sgpr_private_segment_wavefront_offset 0
		.amdhsa_system_sgpr_workgroup_id_x 1
		.amdhsa_system_sgpr_workgroup_id_y 0
		.amdhsa_system_sgpr_workgroup_id_z 0
		.amdhsa_system_sgpr_workgroup_info 0
		.amdhsa_system_vgpr_workitem_id 0
		.amdhsa_next_free_vgpr 28
		.amdhsa_next_free_sgpr 80
		.amdhsa_reserve_vcc 1
		.amdhsa_reserve_flat_scratch 0
		.amdhsa_float_round_mode_32 0
		.amdhsa_float_round_mode_16_64 0
		.amdhsa_float_denorm_mode_32 3
		.amdhsa_float_denorm_mode_16_64 3
		.amdhsa_dx10_clamp 1
		.amdhsa_ieee_mode 1
		.amdhsa_fp16_overflow 0
		.amdhsa_exception_fp_ieee_invalid_op 0
		.amdhsa_exception_fp_denorm_src 0
		.amdhsa_exception_fp_ieee_div_zero 0
		.amdhsa_exception_fp_ieee_overflow 0
		.amdhsa_exception_fp_ieee_underflow 0
		.amdhsa_exception_fp_ieee_inexact 0
		.amdhsa_exception_int_div_zero 0
	.end_amdhsa_kernel
	.section	.text._ZN2at6native32elementwise_kernel_manual_unrollILi128ELi4EZNS0_15gpu_kernel_implINS0_12_GLOBAL__N_114CompareFunctorIlEEEEvRNS_18TensorIteratorBaseERKT_EUlibE0_EEviT1_,"axG",@progbits,_ZN2at6native32elementwise_kernel_manual_unrollILi128ELi4EZNS0_15gpu_kernel_implINS0_12_GLOBAL__N_114CompareFunctorIlEEEEvRNS_18TensorIteratorBaseERKT_EUlibE0_EEviT1_,comdat
.Lfunc_end63:
	.size	_ZN2at6native32elementwise_kernel_manual_unrollILi128ELi4EZNS0_15gpu_kernel_implINS0_12_GLOBAL__N_114CompareFunctorIlEEEEvRNS_18TensorIteratorBaseERKT_EUlibE0_EEviT1_, .Lfunc_end63-_ZN2at6native32elementwise_kernel_manual_unrollILi128ELi4EZNS0_15gpu_kernel_implINS0_12_GLOBAL__N_114CompareFunctorIlEEEEvRNS_18TensorIteratorBaseERKT_EUlibE0_EEviT1_
                                        ; -- End function
	.set _ZN2at6native32elementwise_kernel_manual_unrollILi128ELi4EZNS0_15gpu_kernel_implINS0_12_GLOBAL__N_114CompareFunctorIlEEEEvRNS_18TensorIteratorBaseERKT_EUlibE0_EEviT1_.num_vgpr, 28
	.set _ZN2at6native32elementwise_kernel_manual_unrollILi128ELi4EZNS0_15gpu_kernel_implINS0_12_GLOBAL__N_114CompareFunctorIlEEEEvRNS_18TensorIteratorBaseERKT_EUlibE0_EEviT1_.num_agpr, 0
	.set _ZN2at6native32elementwise_kernel_manual_unrollILi128ELi4EZNS0_15gpu_kernel_implINS0_12_GLOBAL__N_114CompareFunctorIlEEEEvRNS_18TensorIteratorBaseERKT_EUlibE0_EEviT1_.numbered_sgpr, 80
	.set _ZN2at6native32elementwise_kernel_manual_unrollILi128ELi4EZNS0_15gpu_kernel_implINS0_12_GLOBAL__N_114CompareFunctorIlEEEEvRNS_18TensorIteratorBaseERKT_EUlibE0_EEviT1_.num_named_barrier, 0
	.set _ZN2at6native32elementwise_kernel_manual_unrollILi128ELi4EZNS0_15gpu_kernel_implINS0_12_GLOBAL__N_114CompareFunctorIlEEEEvRNS_18TensorIteratorBaseERKT_EUlibE0_EEviT1_.private_seg_size, 0
	.set _ZN2at6native32elementwise_kernel_manual_unrollILi128ELi4EZNS0_15gpu_kernel_implINS0_12_GLOBAL__N_114CompareFunctorIlEEEEvRNS_18TensorIteratorBaseERKT_EUlibE0_EEviT1_.uses_vcc, 1
	.set _ZN2at6native32elementwise_kernel_manual_unrollILi128ELi4EZNS0_15gpu_kernel_implINS0_12_GLOBAL__N_114CompareFunctorIlEEEEvRNS_18TensorIteratorBaseERKT_EUlibE0_EEviT1_.uses_flat_scratch, 0
	.set _ZN2at6native32elementwise_kernel_manual_unrollILi128ELi4EZNS0_15gpu_kernel_implINS0_12_GLOBAL__N_114CompareFunctorIlEEEEvRNS_18TensorIteratorBaseERKT_EUlibE0_EEviT1_.has_dyn_sized_stack, 0
	.set _ZN2at6native32elementwise_kernel_manual_unrollILi128ELi4EZNS0_15gpu_kernel_implINS0_12_GLOBAL__N_114CompareFunctorIlEEEEvRNS_18TensorIteratorBaseERKT_EUlibE0_EEviT1_.has_recursion, 0
	.set _ZN2at6native32elementwise_kernel_manual_unrollILi128ELi4EZNS0_15gpu_kernel_implINS0_12_GLOBAL__N_114CompareFunctorIlEEEEvRNS_18TensorIteratorBaseERKT_EUlibE0_EEviT1_.has_indirect_call, 0
	.section	.AMDGPU.csdata,"",@progbits
; Kernel info:
; codeLenInByte = 60712
; TotalNumSgprs: 84
; NumVgprs: 28
; ScratchSize: 0
; MemoryBound: 1
; FloatMode: 240
; IeeeMode: 1
; LDSByteSize: 0 bytes/workgroup (compile time only)
; SGPRBlocks: 10
; VGPRBlocks: 6
; NumSGPRsForWavesPerEU: 84
; NumVGPRsForWavesPerEU: 28
; Occupancy: 9
; WaveLimiterHint : 1
; COMPUTE_PGM_RSRC2:SCRATCH_EN: 0
; COMPUTE_PGM_RSRC2:USER_SGPR: 6
; COMPUTE_PGM_RSRC2:TRAP_HANDLER: 0
; COMPUTE_PGM_RSRC2:TGID_X_EN: 1
; COMPUTE_PGM_RSRC2:TGID_Y_EN: 0
; COMPUTE_PGM_RSRC2:TGID_Z_EN: 0
; COMPUTE_PGM_RSRC2:TIDIG_COMP_CNT: 0
	.section	.text._ZN2at6native29vectorized_elementwise_kernelILi16EZNS0_21compare_scalar_kernelIsEEvRNS_18TensorIteratorBaseENS0_12_GLOBAL__N_16OpTypeET_EUlsE_St5arrayIPcLm2EEEEviT0_T1_,"axG",@progbits,_ZN2at6native29vectorized_elementwise_kernelILi16EZNS0_21compare_scalar_kernelIsEEvRNS_18TensorIteratorBaseENS0_12_GLOBAL__N_16OpTypeET_EUlsE_St5arrayIPcLm2EEEEviT0_T1_,comdat
	.globl	_ZN2at6native29vectorized_elementwise_kernelILi16EZNS0_21compare_scalar_kernelIsEEvRNS_18TensorIteratorBaseENS0_12_GLOBAL__N_16OpTypeET_EUlsE_St5arrayIPcLm2EEEEviT0_T1_ ; -- Begin function _ZN2at6native29vectorized_elementwise_kernelILi16EZNS0_21compare_scalar_kernelIsEEvRNS_18TensorIteratorBaseENS0_12_GLOBAL__N_16OpTypeET_EUlsE_St5arrayIPcLm2EEEEviT0_T1_
	.p2align	8
	.type	_ZN2at6native29vectorized_elementwise_kernelILi16EZNS0_21compare_scalar_kernelIsEEvRNS_18TensorIteratorBaseENS0_12_GLOBAL__N_16OpTypeET_EUlsE_St5arrayIPcLm2EEEEviT0_T1_,@function
_ZN2at6native29vectorized_elementwise_kernelILi16EZNS0_21compare_scalar_kernelIsEEvRNS_18TensorIteratorBaseENS0_12_GLOBAL__N_16OpTypeET_EUlsE_St5arrayIPcLm2EEEEviT0_T1_: ; @_ZN2at6native29vectorized_elementwise_kernelILi16EZNS0_21compare_scalar_kernelIsEEvRNS_18TensorIteratorBaseENS0_12_GLOBAL__N_16OpTypeET_EUlsE_St5arrayIPcLm2EEEEviT0_T1_
; %bb.0:
	s_load_dwordx8 s[8:15], s[4:5], 0x0
	s_lshl_b32 s2, s6, 12
	s_mov_b64 s[0:1], -1
	s_waitcnt lgkmcnt(0)
	s_sub_i32 s8, s8, s2
	s_cmpk_gt_i32 s8, 0xfff
	s_cbranch_scc0 .LBB64_211
; %bb.1:
	s_ashr_i32 s3, s2, 31
	s_lshl_b64 s[0:1], s[2:3], 1
	s_add_u32 s0, s14, s0
	s_addc_u32 s1, s15, s1
	v_lshlrev_b32_e32 v9, 5, v0
	global_load_dwordx4 v[5:8], v9, s[0:1]
	global_load_dwordx4 v[1:4], v9, s[0:1] offset:16
	s_cmp_lt_i32 s9, 1
	s_mov_b64 s[4:5], 0
	s_cbranch_scc1 .LBB64_5
; %bb.2:
	s_cmp_gt_i32 s9, 1
	s_cbranch_scc0 .LBB64_6
; %bb.3:
	s_cmp_eq_u32 s9, 2
	s_cbranch_scc0 .LBB64_7
; %bb.4:
	s_waitcnt vmcnt(1)
	v_cmp_ge_i16_e64 s[0:1], s10, v5
	s_mov_b64 s[6:7], 0
	s_branch .LBB64_8
.LBB64_5:
                                        ; implicit-def: $sgpr0_sgpr1
	s_mov_b64 s[6:7], 0
	s_cbranch_execnz .LBB64_11
	s_branch .LBB64_12
.LBB64_6:
	s_mov_b64 s[6:7], 0
                                        ; implicit-def: $sgpr0_sgpr1
	s_cbranch_execnz .LBB64_9
	s_branch .LBB64_10
.LBB64_7:
	s_mov_b64 s[6:7], -1
                                        ; implicit-def: $sgpr0_sgpr1
.LBB64_8:
	s_branch .LBB64_10
.LBB64_9:
	s_waitcnt vmcnt(1)
	v_cmp_lt_i16_e32 vcc, s10, v5
	s_andn2_b64 s[0:1], s[0:1], exec
	s_and_b64 s[16:17], vcc, exec
	s_or_b64 s[0:1], s[0:1], s[16:17]
.LBB64_10:
	s_branch .LBB64_12
.LBB64_11:
	s_cmp_lg_u32 s9, 0
	s_mov_b64 s[4:5], -1
	s_cselect_b64 s[6:7], -1, 0
.LBB64_12:
	s_andn2_b64 vcc, exec, s[6:7]
	s_cbranch_vccz .LBB64_18
; %bb.13:
	s_andn2_b64 vcc, exec, s[4:5]
	s_cbranch_vccz .LBB64_19
.LBB64_14:
	s_cmp_lt_i32 s9, 1
	s_mov_b64 s[6:7], 0
	s_cbranch_scc1 .LBB64_20
.LBB64_15:
	s_cmp_gt_i32 s9, 1
	s_cbranch_scc0 .LBB64_21
; %bb.16:
	s_cmp_eq_u32 s9, 2
	s_cbranch_scc0 .LBB64_251
; %bb.17:
	s_waitcnt vmcnt(1)
	v_cmp_le_i16_sdwa s[4:5], v5, s10 src0_sel:WORD_1 src1_sel:DWORD
	s_mov_b64 s[16:17], 0
	s_branch .LBB64_23
.LBB64_18:
	s_waitcnt vmcnt(1)
	v_cmp_gt_i16_e32 vcc, s10, v5
	s_andn2_b64 s[0:1], s[0:1], exec
	s_and_b64 s[6:7], vcc, exec
	s_or_b64 s[0:1], s[0:1], s[6:7]
	s_cbranch_execnz .LBB64_14
.LBB64_19:
	s_waitcnt vmcnt(1)
	v_cmp_le_i16_e32 vcc, s10, v5
	s_andn2_b64 s[0:1], s[0:1], exec
	s_and_b64 s[4:5], vcc, exec
	s_or_b64 s[0:1], s[0:1], s[4:5]
	s_cmp_lt_i32 s9, 1
	s_mov_b64 s[6:7], 0
	s_cbranch_scc0 .LBB64_15
.LBB64_20:
                                        ; implicit-def: $sgpr4_sgpr5
	s_mov_b64 s[16:17], 0
	s_cbranch_execnz .LBB64_24
	s_branch .LBB64_25
.LBB64_21:
	s_mov_b64 s[16:17], 0
                                        ; implicit-def: $sgpr4_sgpr5
	s_cbranch_execz .LBB64_23
; %bb.22:
	s_waitcnt vmcnt(1)
	v_cmp_gt_i16_sdwa s[18:19], v5, s10 src0_sel:WORD_1 src1_sel:DWORD
	s_andn2_b64 s[4:5], s[4:5], exec
	s_and_b64 s[18:19], s[18:19], exec
	s_or_b64 s[4:5], s[4:5], s[18:19]
.LBB64_23:
	s_branch .LBB64_25
.LBB64_24:
	s_cmp_lg_u32 s9, 0
	s_mov_b64 s[6:7], -1
	s_cselect_b64 s[16:17], -1, 0
.LBB64_25:
	s_andn2_b64 vcc, exec, s[16:17]
	s_cbranch_vccz .LBB64_31
; %bb.26:
	s_andn2_b64 vcc, exec, s[6:7]
	s_cbranch_vccz .LBB64_32
.LBB64_27:
	s_cmp_lt_i32 s9, 1
	s_mov_b64 s[16:17], 0
	s_cbranch_scc1 .LBB64_33
.LBB64_28:
	s_cmp_gt_i32 s9, 1
	s_cbranch_scc0 .LBB64_34
; %bb.29:
	s_cmp_eq_u32 s9, 2
	s_cbranch_scc0 .LBB64_252
; %bb.30:
	s_waitcnt vmcnt(1)
	v_cmp_ge_i16_e64 s[6:7], s10, v6
	s_mov_b64 s[18:19], 0
	s_branch .LBB64_36
.LBB64_31:
	s_waitcnt vmcnt(1)
	v_cmp_lt_i16_sdwa s[16:17], v5, s10 src0_sel:WORD_1 src1_sel:DWORD
	s_andn2_b64 s[4:5], s[4:5], exec
	s_and_b64 s[16:17], s[16:17], exec
	s_or_b64 s[4:5], s[4:5], s[16:17]
	s_cbranch_execnz .LBB64_27
.LBB64_32:
	s_waitcnt vmcnt(1)
	v_cmp_ge_i16_sdwa s[6:7], v5, s10 src0_sel:WORD_1 src1_sel:DWORD
	s_andn2_b64 s[4:5], s[4:5], exec
	s_and_b64 s[6:7], s[6:7], exec
	s_or_b64 s[4:5], s[4:5], s[6:7]
	s_cmp_lt_i32 s9, 1
	s_mov_b64 s[16:17], 0
	s_cbranch_scc0 .LBB64_28
.LBB64_33:
                                        ; implicit-def: $sgpr6_sgpr7
	s_mov_b64 s[18:19], 0
	s_cbranch_execnz .LBB64_37
	s_branch .LBB64_38
.LBB64_34:
	s_mov_b64 s[18:19], 0
                                        ; implicit-def: $sgpr6_sgpr7
	s_cbranch_execz .LBB64_36
; %bb.35:
	s_waitcnt vmcnt(1)
	v_cmp_lt_i16_e32 vcc, s10, v6
	s_andn2_b64 s[6:7], s[6:7], exec
	s_and_b64 s[20:21], vcc, exec
	s_or_b64 s[6:7], s[6:7], s[20:21]
.LBB64_36:
	s_branch .LBB64_38
.LBB64_37:
	s_cmp_lg_u32 s9, 0
	s_mov_b64 s[16:17], -1
	s_cselect_b64 s[18:19], -1, 0
.LBB64_38:
	s_andn2_b64 vcc, exec, s[18:19]
	s_cbranch_vccz .LBB64_44
; %bb.39:
	s_andn2_b64 vcc, exec, s[16:17]
	s_cbranch_vccz .LBB64_45
.LBB64_40:
	s_cmp_lt_i32 s9, 1
	s_mov_b64 s[18:19], 0
	s_cbranch_scc1 .LBB64_46
.LBB64_41:
	s_cmp_gt_i32 s9, 1
	s_cbranch_scc0 .LBB64_47
; %bb.42:
	s_cmp_eq_u32 s9, 2
	s_cbranch_scc0 .LBB64_253
; %bb.43:
	s_waitcnt vmcnt(1)
	v_cmp_le_i16_sdwa s[16:17], v6, s10 src0_sel:WORD_1 src1_sel:DWORD
	s_mov_b64 s[20:21], 0
	s_branch .LBB64_49
.LBB64_44:
	s_waitcnt vmcnt(1)
	v_cmp_gt_i16_e32 vcc, s10, v6
	s_andn2_b64 s[6:7], s[6:7], exec
	s_and_b64 s[18:19], vcc, exec
	s_or_b64 s[6:7], s[6:7], s[18:19]
	s_cbranch_execnz .LBB64_40
.LBB64_45:
	s_waitcnt vmcnt(1)
	v_cmp_le_i16_e32 vcc, s10, v6
	s_andn2_b64 s[6:7], s[6:7], exec
	s_and_b64 s[16:17], vcc, exec
	s_or_b64 s[6:7], s[6:7], s[16:17]
	s_cmp_lt_i32 s9, 1
	s_mov_b64 s[18:19], 0
	s_cbranch_scc0 .LBB64_41
.LBB64_46:
                                        ; implicit-def: $sgpr16_sgpr17
	s_mov_b64 s[20:21], 0
	s_cbranch_execnz .LBB64_50
	s_branch .LBB64_51
.LBB64_47:
	s_mov_b64 s[20:21], 0
                                        ; implicit-def: $sgpr16_sgpr17
	s_cbranch_execz .LBB64_49
; %bb.48:
	s_waitcnt vmcnt(1)
	v_cmp_gt_i16_sdwa s[22:23], v6, s10 src0_sel:WORD_1 src1_sel:DWORD
	s_andn2_b64 s[16:17], s[16:17], exec
	s_and_b64 s[22:23], s[22:23], exec
	s_or_b64 s[16:17], s[16:17], s[22:23]
.LBB64_49:
	s_branch .LBB64_51
.LBB64_50:
	s_cmp_lg_u32 s9, 0
	s_mov_b64 s[18:19], -1
	s_cselect_b64 s[20:21], -1, 0
.LBB64_51:
	s_andn2_b64 vcc, exec, s[20:21]
	s_cbranch_vccz .LBB64_57
; %bb.52:
	s_andn2_b64 vcc, exec, s[18:19]
	s_cbranch_vccz .LBB64_58
.LBB64_53:
	s_cmp_lt_i32 s9, 1
	s_mov_b64 s[20:21], 0
	s_cbranch_scc1 .LBB64_59
.LBB64_54:
	s_cmp_gt_i32 s9, 1
	s_cbranch_scc0 .LBB64_60
; %bb.55:
	s_cmp_eq_u32 s9, 2
	s_cbranch_scc0 .LBB64_254
; %bb.56:
	s_waitcnt vmcnt(1)
	v_cmp_ge_i16_e64 s[18:19], s10, v7
	s_mov_b64 s[22:23], 0
	s_branch .LBB64_62
.LBB64_57:
	s_waitcnt vmcnt(1)
	v_cmp_lt_i16_sdwa s[20:21], v6, s10 src0_sel:WORD_1 src1_sel:DWORD
	s_andn2_b64 s[16:17], s[16:17], exec
	s_and_b64 s[20:21], s[20:21], exec
	s_or_b64 s[16:17], s[16:17], s[20:21]
	s_cbranch_execnz .LBB64_53
.LBB64_58:
	s_waitcnt vmcnt(1)
	v_cmp_ge_i16_sdwa s[18:19], v6, s10 src0_sel:WORD_1 src1_sel:DWORD
	s_andn2_b64 s[16:17], s[16:17], exec
	s_and_b64 s[18:19], s[18:19], exec
	s_or_b64 s[16:17], s[16:17], s[18:19]
	s_cmp_lt_i32 s9, 1
	s_mov_b64 s[20:21], 0
	s_cbranch_scc0 .LBB64_54
.LBB64_59:
                                        ; implicit-def: $sgpr18_sgpr19
	s_mov_b64 s[22:23], 0
	s_cbranch_execnz .LBB64_63
	s_branch .LBB64_64
.LBB64_60:
	s_mov_b64 s[22:23], 0
                                        ; implicit-def: $sgpr18_sgpr19
	s_cbranch_execz .LBB64_62
; %bb.61:
	s_waitcnt vmcnt(1)
	v_cmp_lt_i16_e32 vcc, s10, v7
	s_andn2_b64 s[18:19], s[18:19], exec
	s_and_b64 s[24:25], vcc, exec
	s_or_b64 s[18:19], s[18:19], s[24:25]
.LBB64_62:
	s_branch .LBB64_64
.LBB64_63:
	s_cmp_lg_u32 s9, 0
	s_mov_b64 s[20:21], -1
	s_cselect_b64 s[22:23], -1, 0
.LBB64_64:
	s_andn2_b64 vcc, exec, s[22:23]
	s_cbranch_vccz .LBB64_70
; %bb.65:
	s_andn2_b64 vcc, exec, s[20:21]
	s_cbranch_vccz .LBB64_71
.LBB64_66:
	s_cmp_lt_i32 s9, 1
	s_mov_b64 s[22:23], 0
	s_cbranch_scc1 .LBB64_72
.LBB64_67:
	s_cmp_gt_i32 s9, 1
	s_cbranch_scc0 .LBB64_73
; %bb.68:
	s_cmp_eq_u32 s9, 2
	s_cbranch_scc0 .LBB64_255
; %bb.69:
	s_waitcnt vmcnt(1)
	v_cmp_le_i16_sdwa s[20:21], v7, s10 src0_sel:WORD_1 src1_sel:DWORD
	s_mov_b64 s[24:25], 0
	s_branch .LBB64_75
.LBB64_70:
	s_waitcnt vmcnt(1)
	v_cmp_gt_i16_e32 vcc, s10, v7
	s_andn2_b64 s[18:19], s[18:19], exec
	s_and_b64 s[22:23], vcc, exec
	s_or_b64 s[18:19], s[18:19], s[22:23]
	s_cbranch_execnz .LBB64_66
.LBB64_71:
	s_waitcnt vmcnt(1)
	v_cmp_le_i16_e32 vcc, s10, v7
	s_andn2_b64 s[18:19], s[18:19], exec
	s_and_b64 s[20:21], vcc, exec
	s_or_b64 s[18:19], s[18:19], s[20:21]
	s_cmp_lt_i32 s9, 1
	s_mov_b64 s[22:23], 0
	s_cbranch_scc0 .LBB64_67
.LBB64_72:
                                        ; implicit-def: $sgpr20_sgpr21
	s_mov_b64 s[24:25], 0
	s_cbranch_execnz .LBB64_76
	s_branch .LBB64_77
.LBB64_73:
	s_mov_b64 s[24:25], 0
                                        ; implicit-def: $sgpr20_sgpr21
	s_cbranch_execz .LBB64_75
; %bb.74:
	s_waitcnt vmcnt(1)
	v_cmp_gt_i16_sdwa s[26:27], v7, s10 src0_sel:WORD_1 src1_sel:DWORD
	s_andn2_b64 s[20:21], s[20:21], exec
	s_and_b64 s[26:27], s[26:27], exec
	s_or_b64 s[20:21], s[20:21], s[26:27]
.LBB64_75:
	s_branch .LBB64_77
.LBB64_76:
	s_cmp_lg_u32 s9, 0
	s_mov_b64 s[22:23], -1
	s_cselect_b64 s[24:25], -1, 0
.LBB64_77:
	s_andn2_b64 vcc, exec, s[24:25]
	s_cbranch_vccz .LBB64_83
; %bb.78:
	s_andn2_b64 vcc, exec, s[22:23]
	s_cbranch_vccz .LBB64_84
.LBB64_79:
	s_cmp_lt_i32 s9, 1
	s_mov_b64 s[24:25], 0
	s_cbranch_scc1 .LBB64_85
.LBB64_80:
	s_cmp_gt_i32 s9, 1
	s_cbranch_scc0 .LBB64_86
; %bb.81:
	s_cmp_eq_u32 s9, 2
	s_cbranch_scc0 .LBB64_256
; %bb.82:
	s_waitcnt vmcnt(1)
	v_cmp_ge_i16_e64 s[22:23], s10, v8
	s_mov_b64 s[26:27], 0
	s_branch .LBB64_88
.LBB64_83:
	s_waitcnt vmcnt(1)
	v_cmp_lt_i16_sdwa s[24:25], v7, s10 src0_sel:WORD_1 src1_sel:DWORD
	s_andn2_b64 s[20:21], s[20:21], exec
	s_and_b64 s[24:25], s[24:25], exec
	s_or_b64 s[20:21], s[20:21], s[24:25]
	s_cbranch_execnz .LBB64_79
.LBB64_84:
	s_waitcnt vmcnt(1)
	v_cmp_ge_i16_sdwa s[22:23], v7, s10 src0_sel:WORD_1 src1_sel:DWORD
	s_andn2_b64 s[20:21], s[20:21], exec
	s_and_b64 s[22:23], s[22:23], exec
	s_or_b64 s[20:21], s[20:21], s[22:23]
	s_cmp_lt_i32 s9, 1
	s_mov_b64 s[24:25], 0
	s_cbranch_scc0 .LBB64_80
.LBB64_85:
                                        ; implicit-def: $sgpr22_sgpr23
	s_mov_b64 s[26:27], 0
	s_cbranch_execnz .LBB64_89
	s_branch .LBB64_90
.LBB64_86:
	s_mov_b64 s[26:27], 0
                                        ; implicit-def: $sgpr22_sgpr23
	s_cbranch_execz .LBB64_88
; %bb.87:
	s_waitcnt vmcnt(1)
	v_cmp_lt_i16_e32 vcc, s10, v8
	s_andn2_b64 s[22:23], s[22:23], exec
	s_and_b64 s[28:29], vcc, exec
	s_or_b64 s[22:23], s[22:23], s[28:29]
.LBB64_88:
	s_branch .LBB64_90
.LBB64_89:
	s_cmp_lg_u32 s9, 0
	s_mov_b64 s[24:25], -1
	s_cselect_b64 s[26:27], -1, 0
.LBB64_90:
	s_andn2_b64 vcc, exec, s[26:27]
	s_cbranch_vccz .LBB64_96
; %bb.91:
	s_andn2_b64 vcc, exec, s[24:25]
	s_cbranch_vccz .LBB64_97
.LBB64_92:
	s_cmp_lt_i32 s9, 1
	s_mov_b64 s[26:27], 0
	s_cbranch_scc1 .LBB64_98
.LBB64_93:
	s_cmp_gt_i32 s9, 1
	s_cbranch_scc0 .LBB64_99
; %bb.94:
	s_cmp_eq_u32 s9, 2
	s_cbranch_scc0 .LBB64_257
; %bb.95:
	s_waitcnt vmcnt(1)
	v_cmp_le_i16_sdwa s[24:25], v8, s10 src0_sel:WORD_1 src1_sel:DWORD
	s_mov_b64 s[28:29], 0
	s_branch .LBB64_101
.LBB64_96:
	s_waitcnt vmcnt(1)
	v_cmp_gt_i16_e32 vcc, s10, v8
	s_andn2_b64 s[22:23], s[22:23], exec
	s_and_b64 s[26:27], vcc, exec
	s_or_b64 s[22:23], s[22:23], s[26:27]
	s_cbranch_execnz .LBB64_92
.LBB64_97:
	s_waitcnt vmcnt(1)
	v_cmp_le_i16_e32 vcc, s10, v8
	s_andn2_b64 s[22:23], s[22:23], exec
	s_and_b64 s[24:25], vcc, exec
	s_or_b64 s[22:23], s[22:23], s[24:25]
	s_cmp_lt_i32 s9, 1
	s_mov_b64 s[26:27], 0
	s_cbranch_scc0 .LBB64_93
.LBB64_98:
                                        ; implicit-def: $sgpr24_sgpr25
	s_mov_b64 s[28:29], 0
	s_cbranch_execnz .LBB64_102
	s_branch .LBB64_103
.LBB64_99:
	s_mov_b64 s[28:29], 0
                                        ; implicit-def: $sgpr24_sgpr25
	s_cbranch_execz .LBB64_101
; %bb.100:
	s_waitcnt vmcnt(1)
	v_cmp_gt_i16_sdwa s[30:31], v8, s10 src0_sel:WORD_1 src1_sel:DWORD
	s_andn2_b64 s[24:25], s[24:25], exec
	s_and_b64 s[30:31], s[30:31], exec
	s_or_b64 s[24:25], s[24:25], s[30:31]
.LBB64_101:
	s_branch .LBB64_103
.LBB64_102:
	s_cmp_lg_u32 s9, 0
	s_mov_b64 s[26:27], -1
	s_cselect_b64 s[28:29], -1, 0
.LBB64_103:
	s_andn2_b64 vcc, exec, s[28:29]
	s_cbranch_vccz .LBB64_109
; %bb.104:
	s_andn2_b64 vcc, exec, s[26:27]
	s_cbranch_vccz .LBB64_110
.LBB64_105:
	s_cmp_lt_i32 s9, 1
	s_mov_b64 s[28:29], 0
	s_cbranch_scc1 .LBB64_111
.LBB64_106:
	s_cmp_gt_i32 s9, 1
	s_cbranch_scc0 .LBB64_112
; %bb.107:
	s_cmp_eq_u32 s9, 2
	s_cbranch_scc0 .LBB64_258
; %bb.108:
	s_waitcnt vmcnt(0)
	v_cmp_ge_i16_e64 s[26:27], s10, v1
	s_mov_b64 s[30:31], 0
	s_branch .LBB64_114
.LBB64_109:
	s_waitcnt vmcnt(1)
	v_cmp_lt_i16_sdwa s[28:29], v8, s10 src0_sel:WORD_1 src1_sel:DWORD
	s_andn2_b64 s[24:25], s[24:25], exec
	s_and_b64 s[28:29], s[28:29], exec
	s_or_b64 s[24:25], s[24:25], s[28:29]
	s_cbranch_execnz .LBB64_105
.LBB64_110:
	s_waitcnt vmcnt(1)
	v_cmp_ge_i16_sdwa s[26:27], v8, s10 src0_sel:WORD_1 src1_sel:DWORD
	s_andn2_b64 s[24:25], s[24:25], exec
	s_and_b64 s[26:27], s[26:27], exec
	s_or_b64 s[24:25], s[24:25], s[26:27]
	s_cmp_lt_i32 s9, 1
	s_mov_b64 s[28:29], 0
	s_cbranch_scc0 .LBB64_106
.LBB64_111:
                                        ; implicit-def: $sgpr26_sgpr27
	s_mov_b64 s[30:31], 0
	s_cbranch_execnz .LBB64_115
	s_branch .LBB64_116
.LBB64_112:
	s_mov_b64 s[30:31], 0
                                        ; implicit-def: $sgpr26_sgpr27
	s_cbranch_execz .LBB64_114
; %bb.113:
	s_waitcnt vmcnt(0)
	v_cmp_lt_i16_e32 vcc, s10, v1
	s_andn2_b64 s[26:27], s[26:27], exec
	s_and_b64 s[34:35], vcc, exec
	s_or_b64 s[26:27], s[26:27], s[34:35]
.LBB64_114:
	s_branch .LBB64_116
.LBB64_115:
	s_cmp_lg_u32 s9, 0
	s_mov_b64 s[28:29], -1
	s_cselect_b64 s[30:31], -1, 0
.LBB64_116:
	s_andn2_b64 vcc, exec, s[30:31]
	s_cbranch_vccz .LBB64_122
; %bb.117:
	s_andn2_b64 vcc, exec, s[28:29]
	s_cbranch_vccz .LBB64_123
.LBB64_118:
	s_cmp_lt_i32 s9, 1
	s_mov_b64 s[30:31], 0
	s_cbranch_scc1 .LBB64_124
.LBB64_119:
	s_cmp_gt_i32 s9, 1
	s_cbranch_scc0 .LBB64_125
; %bb.120:
	s_cmp_eq_u32 s9, 2
	s_cbranch_scc0 .LBB64_259
; %bb.121:
	s_waitcnt vmcnt(0)
	v_cmp_le_i16_sdwa s[28:29], v1, s10 src0_sel:WORD_1 src1_sel:DWORD
	s_mov_b64 s[34:35], 0
	s_branch .LBB64_127
.LBB64_122:
	s_waitcnt vmcnt(0)
	v_cmp_gt_i16_e32 vcc, s10, v1
	s_andn2_b64 s[26:27], s[26:27], exec
	s_and_b64 s[30:31], vcc, exec
	s_or_b64 s[26:27], s[26:27], s[30:31]
	s_cbranch_execnz .LBB64_118
.LBB64_123:
	s_waitcnt vmcnt(0)
	v_cmp_le_i16_e32 vcc, s10, v1
	s_andn2_b64 s[26:27], s[26:27], exec
	s_and_b64 s[28:29], vcc, exec
	s_or_b64 s[26:27], s[26:27], s[28:29]
	s_cmp_lt_i32 s9, 1
	s_mov_b64 s[30:31], 0
	s_cbranch_scc0 .LBB64_119
.LBB64_124:
                                        ; implicit-def: $sgpr28_sgpr29
	s_mov_b64 s[34:35], 0
	s_cbranch_execnz .LBB64_128
	s_branch .LBB64_129
.LBB64_125:
	s_mov_b64 s[34:35], 0
                                        ; implicit-def: $sgpr28_sgpr29
	s_cbranch_execz .LBB64_127
; %bb.126:
	s_waitcnt vmcnt(0)
	v_cmp_gt_i16_sdwa s[36:37], v1, s10 src0_sel:WORD_1 src1_sel:DWORD
	s_andn2_b64 s[28:29], s[28:29], exec
	s_and_b64 s[36:37], s[36:37], exec
	s_or_b64 s[28:29], s[28:29], s[36:37]
.LBB64_127:
	s_branch .LBB64_129
.LBB64_128:
	s_cmp_lg_u32 s9, 0
	s_mov_b64 s[30:31], -1
	s_cselect_b64 s[34:35], -1, 0
.LBB64_129:
	s_andn2_b64 vcc, exec, s[34:35]
	s_cbranch_vccz .LBB64_135
; %bb.130:
	s_andn2_b64 vcc, exec, s[30:31]
	s_cbranch_vccz .LBB64_136
.LBB64_131:
	s_cmp_lt_i32 s9, 1
	s_mov_b64 s[34:35], 0
	s_cbranch_scc1 .LBB64_137
.LBB64_132:
	s_cmp_gt_i32 s9, 1
	s_cbranch_scc0 .LBB64_138
; %bb.133:
	s_cmp_eq_u32 s9, 2
	s_cbranch_scc0 .LBB64_260
; %bb.134:
	s_waitcnt vmcnt(0)
	v_cmp_ge_i16_e64 s[30:31], s10, v2
	s_mov_b64 s[36:37], 0
	s_branch .LBB64_140
.LBB64_135:
	s_waitcnt vmcnt(0)
	v_cmp_lt_i16_sdwa s[34:35], v1, s10 src0_sel:WORD_1 src1_sel:DWORD
	s_andn2_b64 s[28:29], s[28:29], exec
	s_and_b64 s[34:35], s[34:35], exec
	s_or_b64 s[28:29], s[28:29], s[34:35]
	s_cbranch_execnz .LBB64_131
.LBB64_136:
	s_waitcnt vmcnt(0)
	v_cmp_ge_i16_sdwa s[30:31], v1, s10 src0_sel:WORD_1 src1_sel:DWORD
	s_andn2_b64 s[28:29], s[28:29], exec
	s_and_b64 s[30:31], s[30:31], exec
	s_or_b64 s[28:29], s[28:29], s[30:31]
	s_cmp_lt_i32 s9, 1
	s_mov_b64 s[34:35], 0
	s_cbranch_scc0 .LBB64_132
.LBB64_137:
                                        ; implicit-def: $sgpr30_sgpr31
	s_mov_b64 s[36:37], 0
	s_cbranch_execnz .LBB64_141
	s_branch .LBB64_142
.LBB64_138:
	s_mov_b64 s[36:37], 0
                                        ; implicit-def: $sgpr30_sgpr31
	s_cbranch_execz .LBB64_140
; %bb.139:
	s_waitcnt vmcnt(0)
	v_cmp_lt_i16_e32 vcc, s10, v2
	s_andn2_b64 s[30:31], s[30:31], exec
	s_and_b64 s[38:39], vcc, exec
	s_or_b64 s[30:31], s[30:31], s[38:39]
.LBB64_140:
	s_branch .LBB64_142
.LBB64_141:
	s_cmp_lg_u32 s9, 0
	s_mov_b64 s[34:35], -1
	s_cselect_b64 s[36:37], -1, 0
.LBB64_142:
	s_andn2_b64 vcc, exec, s[36:37]
	s_cbranch_vccz .LBB64_148
; %bb.143:
	s_andn2_b64 vcc, exec, s[34:35]
	s_cbranch_vccz .LBB64_149
.LBB64_144:
	s_cmp_lt_i32 s9, 1
	s_mov_b64 s[36:37], 0
	s_cbranch_scc1 .LBB64_150
.LBB64_145:
	s_cmp_gt_i32 s9, 1
	s_cbranch_scc0 .LBB64_151
; %bb.146:
	s_cmp_eq_u32 s9, 2
	s_cbranch_scc0 .LBB64_261
; %bb.147:
	s_waitcnt vmcnt(0)
	v_cmp_le_i16_sdwa s[34:35], v2, s10 src0_sel:WORD_1 src1_sel:DWORD
	s_mov_b64 s[38:39], 0
	s_branch .LBB64_153
.LBB64_148:
	s_waitcnt vmcnt(0)
	v_cmp_gt_i16_e32 vcc, s10, v2
	s_andn2_b64 s[30:31], s[30:31], exec
	s_and_b64 s[36:37], vcc, exec
	s_or_b64 s[30:31], s[30:31], s[36:37]
	s_cbranch_execnz .LBB64_144
.LBB64_149:
	s_waitcnt vmcnt(0)
	v_cmp_le_i16_e32 vcc, s10, v2
	s_andn2_b64 s[30:31], s[30:31], exec
	s_and_b64 s[34:35], vcc, exec
	s_or_b64 s[30:31], s[30:31], s[34:35]
	s_cmp_lt_i32 s9, 1
	s_mov_b64 s[36:37], 0
	s_cbranch_scc0 .LBB64_145
.LBB64_150:
                                        ; implicit-def: $sgpr34_sgpr35
	s_mov_b64 s[38:39], 0
	s_cbranch_execnz .LBB64_154
	s_branch .LBB64_155
.LBB64_151:
	s_mov_b64 s[38:39], 0
                                        ; implicit-def: $sgpr34_sgpr35
	s_cbranch_execz .LBB64_153
; %bb.152:
	s_waitcnt vmcnt(0)
	v_cmp_gt_i16_sdwa s[40:41], v2, s10 src0_sel:WORD_1 src1_sel:DWORD
	s_andn2_b64 s[34:35], s[34:35], exec
	s_and_b64 s[40:41], s[40:41], exec
	s_or_b64 s[34:35], s[34:35], s[40:41]
.LBB64_153:
	s_branch .LBB64_155
.LBB64_154:
	s_cmp_lg_u32 s9, 0
	s_mov_b64 s[36:37], -1
	s_cselect_b64 s[38:39], -1, 0
.LBB64_155:
	s_andn2_b64 vcc, exec, s[38:39]
	s_cbranch_vccz .LBB64_161
; %bb.156:
	s_andn2_b64 vcc, exec, s[36:37]
	s_cbranch_vccz .LBB64_162
.LBB64_157:
	s_cmp_lt_i32 s9, 1
	s_mov_b64 s[38:39], 0
	s_cbranch_scc1 .LBB64_163
.LBB64_158:
	s_cmp_gt_i32 s9, 1
	s_cbranch_scc0 .LBB64_164
; %bb.159:
	s_cmp_eq_u32 s9, 2
	s_cbranch_scc0 .LBB64_262
; %bb.160:
	s_waitcnt vmcnt(0)
	v_cmp_ge_i16_e64 s[36:37], s10, v3
	s_mov_b64 s[40:41], 0
	s_branch .LBB64_166
.LBB64_161:
	s_waitcnt vmcnt(0)
	v_cmp_lt_i16_sdwa s[38:39], v2, s10 src0_sel:WORD_1 src1_sel:DWORD
	s_andn2_b64 s[34:35], s[34:35], exec
	s_and_b64 s[38:39], s[38:39], exec
	s_or_b64 s[34:35], s[34:35], s[38:39]
	s_cbranch_execnz .LBB64_157
.LBB64_162:
	s_waitcnt vmcnt(0)
	v_cmp_ge_i16_sdwa s[36:37], v2, s10 src0_sel:WORD_1 src1_sel:DWORD
	s_andn2_b64 s[34:35], s[34:35], exec
	s_and_b64 s[36:37], s[36:37], exec
	s_or_b64 s[34:35], s[34:35], s[36:37]
	s_cmp_lt_i32 s9, 1
	s_mov_b64 s[38:39], 0
	s_cbranch_scc0 .LBB64_158
.LBB64_163:
                                        ; implicit-def: $sgpr36_sgpr37
	s_mov_b64 s[40:41], 0
	s_cbranch_execnz .LBB64_167
	s_branch .LBB64_168
.LBB64_164:
	s_mov_b64 s[40:41], 0
                                        ; implicit-def: $sgpr36_sgpr37
	s_cbranch_execz .LBB64_166
; %bb.165:
	s_waitcnt vmcnt(0)
	v_cmp_lt_i16_e32 vcc, s10, v3
	s_andn2_b64 s[36:37], s[36:37], exec
	s_and_b64 s[42:43], vcc, exec
	s_or_b64 s[36:37], s[36:37], s[42:43]
.LBB64_166:
	s_branch .LBB64_168
.LBB64_167:
	s_cmp_lg_u32 s9, 0
	s_mov_b64 s[38:39], -1
	s_cselect_b64 s[40:41], -1, 0
.LBB64_168:
	s_andn2_b64 vcc, exec, s[40:41]
	s_cbranch_vccz .LBB64_174
; %bb.169:
	s_andn2_b64 vcc, exec, s[38:39]
	s_cbranch_vccz .LBB64_175
.LBB64_170:
	s_cmp_lt_i32 s9, 1
	s_mov_b64 s[40:41], 0
	s_cbranch_scc1 .LBB64_176
.LBB64_171:
	s_cmp_gt_i32 s9, 1
	s_cbranch_scc0 .LBB64_177
; %bb.172:
	s_cmp_eq_u32 s9, 2
	s_cbranch_scc0 .LBB64_263
; %bb.173:
	s_waitcnt vmcnt(0)
	v_cmp_le_i16_sdwa s[38:39], v3, s10 src0_sel:WORD_1 src1_sel:DWORD
	s_mov_b64 s[42:43], 0
	s_branch .LBB64_179
.LBB64_174:
	s_waitcnt vmcnt(0)
	v_cmp_gt_i16_e32 vcc, s10, v3
	s_andn2_b64 s[36:37], s[36:37], exec
	s_and_b64 s[40:41], vcc, exec
	s_or_b64 s[36:37], s[36:37], s[40:41]
	s_cbranch_execnz .LBB64_170
.LBB64_175:
	s_waitcnt vmcnt(0)
	v_cmp_le_i16_e32 vcc, s10, v3
	s_andn2_b64 s[36:37], s[36:37], exec
	s_and_b64 s[38:39], vcc, exec
	s_or_b64 s[36:37], s[36:37], s[38:39]
	s_cmp_lt_i32 s9, 1
	s_mov_b64 s[40:41], 0
	s_cbranch_scc0 .LBB64_171
.LBB64_176:
                                        ; implicit-def: $sgpr38_sgpr39
	s_mov_b64 s[42:43], 0
	s_cbranch_execnz .LBB64_180
	s_branch .LBB64_181
.LBB64_177:
	s_mov_b64 s[42:43], 0
                                        ; implicit-def: $sgpr38_sgpr39
	s_cbranch_execz .LBB64_179
; %bb.178:
	s_waitcnt vmcnt(0)
	v_cmp_gt_i16_sdwa s[44:45], v3, s10 src0_sel:WORD_1 src1_sel:DWORD
	s_andn2_b64 s[38:39], s[38:39], exec
	s_and_b64 s[44:45], s[44:45], exec
	s_or_b64 s[38:39], s[38:39], s[44:45]
.LBB64_179:
	s_branch .LBB64_181
.LBB64_180:
	s_cmp_lg_u32 s9, 0
	s_mov_b64 s[40:41], -1
	s_cselect_b64 s[42:43], -1, 0
.LBB64_181:
	s_andn2_b64 vcc, exec, s[42:43]
	s_cbranch_vccz .LBB64_187
; %bb.182:
	s_andn2_b64 vcc, exec, s[40:41]
	s_cbranch_vccz .LBB64_188
.LBB64_183:
	s_cmp_lt_i32 s9, 1
	s_mov_b64 s[42:43], 0
	s_cbranch_scc1 .LBB64_189
.LBB64_184:
	s_cmp_gt_i32 s9, 1
	s_cbranch_scc0 .LBB64_190
; %bb.185:
	s_cmp_eq_u32 s9, 2
	s_cbranch_scc0 .LBB64_264
; %bb.186:
	s_waitcnt vmcnt(0)
	v_cmp_ge_i16_e64 s[40:41], s10, v4
	s_mov_b64 s[44:45], 0
	s_branch .LBB64_192
.LBB64_187:
	s_waitcnt vmcnt(0)
	v_cmp_lt_i16_sdwa s[42:43], v3, s10 src0_sel:WORD_1 src1_sel:DWORD
	s_andn2_b64 s[38:39], s[38:39], exec
	s_and_b64 s[42:43], s[42:43], exec
	s_or_b64 s[38:39], s[38:39], s[42:43]
	s_cbranch_execnz .LBB64_183
.LBB64_188:
	s_waitcnt vmcnt(0)
	v_cmp_ge_i16_sdwa s[40:41], v3, s10 src0_sel:WORD_1 src1_sel:DWORD
	s_andn2_b64 s[38:39], s[38:39], exec
	s_and_b64 s[40:41], s[40:41], exec
	s_or_b64 s[38:39], s[38:39], s[40:41]
	s_cmp_lt_i32 s9, 1
	s_mov_b64 s[42:43], 0
	s_cbranch_scc0 .LBB64_184
.LBB64_189:
                                        ; implicit-def: $sgpr40_sgpr41
	s_mov_b64 s[44:45], 0
	s_cbranch_execnz .LBB64_193
	s_branch .LBB64_194
.LBB64_190:
	s_mov_b64 s[44:45], 0
                                        ; implicit-def: $sgpr40_sgpr41
	s_cbranch_execz .LBB64_192
; %bb.191:
	s_waitcnt vmcnt(0)
	v_cmp_lt_i16_e32 vcc, s10, v4
	s_andn2_b64 s[40:41], s[40:41], exec
	s_and_b64 s[46:47], vcc, exec
	s_or_b64 s[40:41], s[40:41], s[46:47]
.LBB64_192:
	s_branch .LBB64_194
.LBB64_193:
	s_cmp_lg_u32 s9, 0
	s_mov_b64 s[42:43], -1
	s_cselect_b64 s[44:45], -1, 0
.LBB64_194:
	s_andn2_b64 vcc, exec, s[44:45]
	s_cbranch_vccz .LBB64_200
; %bb.195:
	s_andn2_b64 vcc, exec, s[42:43]
	s_cbranch_vccz .LBB64_201
.LBB64_196:
	s_cmp_lt_i32 s9, 1
	s_mov_b64 s[44:45], 0
	s_cbranch_scc1 .LBB64_202
.LBB64_197:
	s_cmp_gt_i32 s9, 1
	s_cbranch_scc0 .LBB64_203
; %bb.198:
	s_cmp_eq_u32 s9, 2
	s_cbranch_scc0 .LBB64_265
; %bb.199:
	s_waitcnt vmcnt(0)
	v_cmp_le_i16_sdwa s[42:43], v4, s10 src0_sel:WORD_1 src1_sel:DWORD
	s_mov_b64 s[46:47], 0
	s_branch .LBB64_205
.LBB64_200:
	s_waitcnt vmcnt(0)
	v_cmp_gt_i16_e32 vcc, s10, v4
	s_andn2_b64 s[40:41], s[40:41], exec
	s_and_b64 s[44:45], vcc, exec
	s_or_b64 s[40:41], s[40:41], s[44:45]
	s_cbranch_execnz .LBB64_196
.LBB64_201:
	s_waitcnt vmcnt(0)
	v_cmp_le_i16_e32 vcc, s10, v4
	s_andn2_b64 s[40:41], s[40:41], exec
	s_and_b64 s[42:43], vcc, exec
	s_or_b64 s[40:41], s[40:41], s[42:43]
	s_cmp_lt_i32 s9, 1
	s_mov_b64 s[44:45], 0
	s_cbranch_scc0 .LBB64_197
.LBB64_202:
                                        ; implicit-def: $sgpr42_sgpr43
	s_mov_b64 s[46:47], 0
	s_cbranch_execnz .LBB64_206
	s_branch .LBB64_207
.LBB64_203:
	s_mov_b64 s[46:47], 0
                                        ; implicit-def: $sgpr42_sgpr43
	s_cbranch_execz .LBB64_205
; %bb.204:
	s_waitcnt vmcnt(0)
	v_cmp_gt_i16_sdwa s[48:49], v4, s10 src0_sel:WORD_1 src1_sel:DWORD
	s_andn2_b64 s[42:43], s[42:43], exec
	s_and_b64 s[48:49], s[48:49], exec
	s_or_b64 s[42:43], s[42:43], s[48:49]
.LBB64_205:
	s_branch .LBB64_207
.LBB64_206:
	s_cmp_lg_u32 s9, 0
	s_mov_b64 s[44:45], -1
	s_cselect_b64 s[46:47], -1, 0
.LBB64_207:
	s_andn2_b64 vcc, exec, s[46:47]
	s_cbranch_vccz .LBB64_249
; %bb.208:
	s_andn2_b64 vcc, exec, s[44:45]
	s_cbranch_vccnz .LBB64_210
.LBB64_209:
	s_waitcnt vmcnt(0)
	v_cmp_ge_i16_sdwa s[44:45], v4, s10 src0_sel:WORD_1 src1_sel:DWORD
	s_andn2_b64 s[42:43], s[42:43], exec
	s_and_b64 s[44:45], s[44:45], exec
	s_or_b64 s[42:43], s[42:43], s[44:45]
.LBB64_210:
	s_waitcnt vmcnt(0)
	v_cndmask_b32_e64 v1, 0, 1, s[4:5]
	v_lshlrev_b16_e32 v1, 8, v1
	v_cndmask_b32_e64 v2, 0, 1, s[0:1]
	v_or_b32_e32 v1, v2, v1
	v_cndmask_b32_e64 v2, 0, 1, s[16:17]
	v_lshlrev_b16_e32 v2, 8, v2
	v_cndmask_b32_e64 v3, 0, 1, s[6:7]
	v_or_b32_sdwa v2, v3, v2 dst_sel:WORD_1 dst_unused:UNUSED_PAD src0_sel:DWORD src1_sel:DWORD
	v_or_b32_sdwa v1, v1, v2 dst_sel:DWORD dst_unused:UNUSED_PAD src0_sel:WORD_0 src1_sel:DWORD
	v_cndmask_b32_e64 v2, 0, 1, s[20:21]
	v_lshlrev_b16_e32 v2, 8, v2
	v_cndmask_b32_e64 v3, 0, 1, s[18:19]
	v_or_b32_e32 v2, v3, v2
	v_cndmask_b32_e64 v3, 0, 1, s[24:25]
	v_lshlrev_b16_e32 v3, 8, v3
	v_cndmask_b32_e64 v4, 0, 1, s[22:23]
	v_or_b32_sdwa v3, v4, v3 dst_sel:WORD_1 dst_unused:UNUSED_PAD src0_sel:DWORD src1_sel:DWORD
	v_or_b32_sdwa v2, v2, v3 dst_sel:DWORD dst_unused:UNUSED_PAD src0_sel:WORD_0 src1_sel:DWORD
	v_cndmask_b32_e64 v3, 0, 1, s[28:29]
	v_lshlrev_b16_e32 v3, 8, v3
	v_cndmask_b32_e64 v4, 0, 1, s[26:27]
	v_or_b32_e32 v3, v4, v3
	v_cndmask_b32_e64 v4, 0, 1, s[34:35]
	v_lshlrev_b16_e32 v4, 8, v4
	v_cndmask_b32_e64 v6, 0, 1, s[30:31]
	v_or_b32_sdwa v4, v6, v4 dst_sel:WORD_1 dst_unused:UNUSED_PAD src0_sel:DWORD src1_sel:DWORD
	v_or_b32_sdwa v3, v3, v4 dst_sel:DWORD dst_unused:UNUSED_PAD src0_sel:WORD_0 src1_sel:DWORD
	v_cndmask_b32_e64 v4, 0, 1, s[38:39]
	v_lshlrev_b16_e32 v4, 8, v4
	v_cndmask_b32_e64 v6, 0, 1, s[36:37]
	v_or_b32_e32 v4, v6, v4
	v_cndmask_b32_e64 v6, 0, 1, s[42:43]
	v_lshlrev_b16_e32 v6, 8, v6
	v_cndmask_b32_e64 v7, 0, 1, s[40:41]
	s_add_u32 s44, s12, s2
	v_or_b32_sdwa v6, v7, v6 dst_sel:WORD_1 dst_unused:UNUSED_PAD src0_sel:DWORD src1_sel:DWORD
	s_addc_u32 s45, s13, s3
	v_lshlrev_b32_e32 v5, 4, v0
	v_or_b32_sdwa v4, v4, v6 dst_sel:DWORD dst_unused:UNUSED_PAD src0_sel:WORD_0 src1_sel:DWORD
	global_store_dwordx4 v5, v[1:4], s[44:45]
	s_mov_b64 s[0:1], 0
.LBB64_211:
	s_and_b64 vcc, exec, s[0:1]
	s_cbranch_vccz .LBB64_519
; %bb.212:
	v_cmp_gt_i32_e64 s[0:1], s8, v0
	v_mov_b32_e32 v21, 0
	v_or_b32_e32 v1, s2, v0
	v_mov_b32_e32 v7, 0
	v_mov_b32_e32 v2, v0
	s_and_saveexec_b64 s[4:5], s[0:1]
	s_cbranch_execz .LBB64_214
; %bb.213:
	v_mov_b32_e32 v2, 0
	v_lshlrev_b64 v[2:3], 1, v[1:2]
	v_mov_b32_e32 v4, s15
	v_add_co_u32_e32 v2, vcc, s14, v2
	v_addc_co_u32_e32 v3, vcc, v4, v3, vcc
	global_load_ushort v7, v[2:3], off
	v_or_b32_e32 v2, 0x100, v0
.LBB64_214:
	s_or_b64 exec, exec, s[4:5]
	v_cmp_gt_i32_e32 vcc, s8, v2
	s_and_saveexec_b64 s[4:5], vcc
	s_cbranch_execz .LBB64_216
; %bb.215:
	v_add_u32_e32 v3, s2, v2
	v_mov_b32_e32 v4, 0
	v_lshlrev_b64 v[3:4], 1, v[3:4]
	v_mov_b32_e32 v5, s15
	v_add_co_u32_e32 v3, vcc, s14, v3
	v_addc_co_u32_e32 v4, vcc, v5, v4, vcc
	global_load_ushort v21, v[3:4], off
	v_add_u32_e32 v2, 0x100, v2
.LBB64_216:
	s_or_b64 exec, exec, s[4:5]
	v_cmp_gt_i32_e32 vcc, s8, v2
	v_mov_b32_e32 v19, 0
	v_mov_b32_e32 v20, 0
	s_and_saveexec_b64 s[4:5], vcc
	s_cbranch_execz .LBB64_218
; %bb.217:
	v_add_u32_e32 v3, s2, v2
	v_mov_b32_e32 v4, 0
	v_lshlrev_b64 v[3:4], 1, v[3:4]
	v_mov_b32_e32 v5, s15
	v_add_co_u32_e32 v3, vcc, s14, v3
	v_addc_co_u32_e32 v4, vcc, v5, v4, vcc
	global_load_ushort v20, v[3:4], off
	v_add_u32_e32 v2, 0x100, v2
.LBB64_218:
	s_or_b64 exec, exec, s[4:5]
	v_cmp_gt_i32_e32 vcc, s8, v2
	s_and_saveexec_b64 s[4:5], vcc
	s_cbranch_execz .LBB64_220
; %bb.219:
	v_add_u32_e32 v3, s2, v2
	v_mov_b32_e32 v4, 0
	v_lshlrev_b64 v[3:4], 1, v[3:4]
	v_mov_b32_e32 v5, s15
	v_add_co_u32_e32 v3, vcc, s14, v3
	v_addc_co_u32_e32 v4, vcc, v5, v4, vcc
	global_load_ushort v19, v[3:4], off
	v_add_u32_e32 v2, 0x100, v2
.LBB64_220:
	s_or_b64 exec, exec, s[4:5]
	v_cmp_gt_i32_e32 vcc, s8, v2
	v_mov_b32_e32 v17, 0
	v_mov_b32_e32 v18, 0
	s_and_saveexec_b64 s[4:5], vcc
	s_cbranch_execz .LBB64_222
; %bb.221:
	v_add_u32_e32 v3, s2, v2
	v_mov_b32_e32 v4, 0
	v_lshlrev_b64 v[3:4], 1, v[3:4]
	v_mov_b32_e32 v5, s15
	v_add_co_u32_e32 v3, vcc, s14, v3
	v_addc_co_u32_e32 v4, vcc, v5, v4, vcc
	global_load_ushort v18, v[3:4], off
	v_add_u32_e32 v2, 0x100, v2
.LBB64_222:
	;; [unrolled: 30-line block ×7, first 2 shown]
	s_or_b64 exec, exec, s[4:5]
	v_cmp_gt_i32_e32 vcc, s8, v2
	s_and_saveexec_b64 s[4:5], vcc
	s_cbranch_execz .LBB64_244
; %bb.243:
	v_add_u32_e32 v2, s2, v2
	v_mov_b32_e32 v3, 0
	v_lshlrev_b64 v[2:3], 1, v[2:3]
	v_mov_b32_e32 v4, s15
	v_add_co_u32_e32 v2, vcc, s14, v2
	v_addc_co_u32_e32 v3, vcc, v4, v3, vcc
	global_load_ushort v4, v[2:3], off
.LBB64_244:
	s_or_b64 exec, exec, s[4:5]
	v_mov_b32_e32 v6, 0
	v_mov_b32_e32 v5, v6
	;; [unrolled: 1-line block ×4, first 2 shown]
	s_and_saveexec_b64 s[4:5], s[0:1]
	s_cbranch_execz .LBB64_276
; %bb.245:
	s_cmp_lt_i32 s9, 1
	s_mov_b64 s[6:7], 0
	s_cbranch_scc1 .LBB64_250
; %bb.246:
	s_cmp_gt_i32 s9, 1
	s_cbranch_scc0 .LBB64_266
; %bb.247:
	s_cmp_eq_u32 s9, 2
	s_cbranch_scc0 .LBB64_267
; %bb.248:
	s_waitcnt vmcnt(0)
	v_cmp_ge_i16_e64 s[14:15], s10, v7
	s_mov_b64 s[16:17], 0
	s_branch .LBB64_268
.LBB64_249:
	s_waitcnt vmcnt(0)
	v_cmp_lt_i16_sdwa s[46:47], v4, s10 src0_sel:WORD_1 src1_sel:DWORD
	s_andn2_b64 s[42:43], s[42:43], exec
	s_and_b64 s[46:47], s[46:47], exec
	s_or_b64 s[42:43], s[42:43], s[46:47]
	s_cbranch_execz .LBB64_209
	s_branch .LBB64_210
.LBB64_250:
                                        ; implicit-def: $sgpr14_sgpr15
	s_mov_b64 s[16:17], 0
	s_cbranch_execnz .LBB64_271
	s_branch .LBB64_272
.LBB64_251:
	s_mov_b64 s[16:17], -1
                                        ; implicit-def: $sgpr4_sgpr5
	s_branch .LBB64_23
.LBB64_252:
	s_mov_b64 s[18:19], -1
                                        ; implicit-def: $sgpr6_sgpr7
	s_branch .LBB64_36
.LBB64_253:
	s_mov_b64 s[20:21], -1
                                        ; implicit-def: $sgpr16_sgpr17
	s_branch .LBB64_49
.LBB64_254:
	s_mov_b64 s[22:23], -1
                                        ; implicit-def: $sgpr18_sgpr19
	s_branch .LBB64_62
.LBB64_255:
	s_mov_b64 s[24:25], -1
                                        ; implicit-def: $sgpr20_sgpr21
	s_branch .LBB64_75
.LBB64_256:
	s_mov_b64 s[26:27], -1
                                        ; implicit-def: $sgpr22_sgpr23
	s_branch .LBB64_88
.LBB64_257:
	s_mov_b64 s[28:29], -1
                                        ; implicit-def: $sgpr24_sgpr25
	s_branch .LBB64_101
.LBB64_258:
	s_mov_b64 s[30:31], -1
                                        ; implicit-def: $sgpr26_sgpr27
	s_branch .LBB64_114
.LBB64_259:
	s_mov_b64 s[34:35], -1
                                        ; implicit-def: $sgpr28_sgpr29
	s_branch .LBB64_127
.LBB64_260:
	s_mov_b64 s[36:37], -1
                                        ; implicit-def: $sgpr30_sgpr31
	s_branch .LBB64_140
.LBB64_261:
	s_mov_b64 s[38:39], -1
                                        ; implicit-def: $sgpr34_sgpr35
	s_branch .LBB64_153
.LBB64_262:
	s_mov_b64 s[40:41], -1
                                        ; implicit-def: $sgpr36_sgpr37
	s_branch .LBB64_166
.LBB64_263:
	s_mov_b64 s[42:43], -1
                                        ; implicit-def: $sgpr38_sgpr39
	s_branch .LBB64_179
.LBB64_264:
	s_mov_b64 s[44:45], -1
                                        ; implicit-def: $sgpr40_sgpr41
	s_branch .LBB64_192
.LBB64_265:
	s_mov_b64 s[46:47], -1
                                        ; implicit-def: $sgpr42_sgpr43
	s_branch .LBB64_205
.LBB64_266:
	s_mov_b64 s[16:17], 0
                                        ; implicit-def: $sgpr14_sgpr15
	s_cbranch_execnz .LBB64_269
	s_branch .LBB64_270
.LBB64_267:
	s_mov_b64 s[16:17], -1
                                        ; implicit-def: $sgpr14_sgpr15
.LBB64_268:
	s_branch .LBB64_270
.LBB64_269:
	s_waitcnt vmcnt(0)
	v_cmp_lt_i16_e32 vcc, s10, v7
	s_andn2_b64 s[14:15], s[14:15], exec
	s_and_b64 s[18:19], vcc, exec
	s_or_b64 s[14:15], s[14:15], s[18:19]
.LBB64_270:
	s_branch .LBB64_272
.LBB64_271:
	s_cmp_lg_u32 s9, 0
	s_mov_b64 s[6:7], -1
	s_cselect_b64 s[16:17], -1, 0
.LBB64_272:
	s_andn2_b64 vcc, exec, s[16:17]
	s_cbranch_vccz .LBB64_281
; %bb.273:
	s_andn2_b64 vcc, exec, s[6:7]
	s_cbranch_vccnz .LBB64_275
.LBB64_274:
	s_waitcnt vmcnt(0)
	v_cmp_le_i16_e32 vcc, s10, v7
	s_andn2_b64 s[6:7], s[14:15], exec
	s_and_b64 s[14:15], vcc, exec
	s_or_b64 s[14:15], s[6:7], s[14:15]
.LBB64_275:
	v_cndmask_b32_e64 v2, 0, 1, s[14:15]
	v_mov_b32_e32 v5, 0
	v_and_b32_e32 v6, 0xffff, v2
	v_mov_b32_e32 v3, v5
	v_mov_b32_e32 v2, v5
.LBB64_276:
	s_or_b64 exec, exec, s[4:5]
	s_waitcnt vmcnt(0)
	v_or_b32_e32 v7, 0x100, v0
	v_cmp_gt_i32_e32 vcc, s8, v7
	s_and_saveexec_b64 s[4:5], vcc
	s_cbranch_execz .LBB64_291
; %bb.277:
	s_cmp_lt_i32 s9, 1
	s_mov_b64 s[6:7], 0
	s_cbranch_scc1 .LBB64_282
; %bb.278:
	s_cmp_gt_i32 s9, 1
	s_cbranch_scc0 .LBB64_283
; %bb.279:
	s_cmp_eq_u32 s9, 2
	s_cbranch_scc0 .LBB64_535
; %bb.280:
	v_cmp_ge_i16_e64 s[14:15], s10, v21
	s_mov_b64 s[16:17], 0
	s_branch .LBB64_285
.LBB64_281:
	s_waitcnt vmcnt(0)
	v_cmp_gt_i16_e32 vcc, s10, v7
	s_andn2_b64 s[14:15], s[14:15], exec
	s_and_b64 s[16:17], vcc, exec
	s_or_b64 s[14:15], s[14:15], s[16:17]
	s_cbranch_execz .LBB64_274
	s_branch .LBB64_275
.LBB64_282:
                                        ; implicit-def: $sgpr14_sgpr15
	s_mov_b64 s[16:17], 0
	s_cbranch_execnz .LBB64_286
	s_branch .LBB64_287
.LBB64_283:
	s_mov_b64 s[16:17], 0
                                        ; implicit-def: $sgpr14_sgpr15
	s_cbranch_execz .LBB64_285
; %bb.284:
	v_cmp_lt_i16_e32 vcc, s10, v21
	s_andn2_b64 s[14:15], s[14:15], exec
	s_and_b64 s[18:19], vcc, exec
	s_or_b64 s[14:15], s[14:15], s[18:19]
.LBB64_285:
	s_branch .LBB64_287
.LBB64_286:
	s_cmp_lg_u32 s9, 0
	s_mov_b64 s[6:7], -1
	s_cselect_b64 s[16:17], -1, 0
.LBB64_287:
	s_andn2_b64 vcc, exec, s[16:17]
	s_cbranch_vccz .LBB64_296
; %bb.288:
	s_andn2_b64 vcc, exec, s[6:7]
	s_cbranch_vccnz .LBB64_290
.LBB64_289:
	v_cmp_le_i16_e32 vcc, s10, v21
	s_andn2_b64 s[6:7], s[14:15], exec
	s_and_b64 s[14:15], vcc, exec
	s_or_b64 s[14:15], s[6:7], s[14:15]
.LBB64_290:
	v_cndmask_b32_e64 v21, 0, 1, s[14:15]
	v_lshlrev_b16_e32 v21, 8, v21
	v_or_b32_sdwa v21, v6, v21 dst_sel:DWORD dst_unused:UNUSED_PAD src0_sel:BYTE_0 src1_sel:DWORD
	v_and_b32_e32 v21, 0xffff, v21
	s_mov_b32 s3, 0xffff0000
	v_and_or_b32 v6, v6, s3, v21
.LBB64_291:
	s_or_b64 exec, exec, s[4:5]
	v_or_b32_e32 v21, 0x200, v0
	v_cmp_gt_i32_e32 vcc, s8, v21
	s_and_saveexec_b64 s[4:5], vcc
	s_cbranch_execz .LBB64_306
; %bb.292:
	s_cmp_lt_i32 s9, 1
	s_mov_b64 s[6:7], 0
	s_cbranch_scc1 .LBB64_297
; %bb.293:
	s_cmp_gt_i32 s9, 1
	s_cbranch_scc0 .LBB64_298
; %bb.294:
	s_cmp_eq_u32 s9, 2
	s_cbranch_scc0 .LBB64_536
; %bb.295:
	v_cmp_ge_i16_e64 s[14:15], s10, v20
	s_mov_b64 s[16:17], 0
	s_branch .LBB64_300
.LBB64_296:
	v_cmp_gt_i16_e32 vcc, s10, v21
	s_andn2_b64 s[14:15], s[14:15], exec
	s_and_b64 s[16:17], vcc, exec
	s_or_b64 s[14:15], s[14:15], s[16:17]
	s_cbranch_execz .LBB64_289
	s_branch .LBB64_290
.LBB64_297:
                                        ; implicit-def: $sgpr14_sgpr15
	s_mov_b64 s[16:17], 0
	s_cbranch_execnz .LBB64_301
	s_branch .LBB64_302
.LBB64_298:
	s_mov_b64 s[16:17], 0
                                        ; implicit-def: $sgpr14_sgpr15
	s_cbranch_execz .LBB64_300
; %bb.299:
	v_cmp_lt_i16_e32 vcc, s10, v20
	s_andn2_b64 s[14:15], s[14:15], exec
	s_and_b64 s[18:19], vcc, exec
	s_or_b64 s[14:15], s[14:15], s[18:19]
.LBB64_300:
	s_branch .LBB64_302
.LBB64_301:
	s_cmp_lg_u32 s9, 0
	s_mov_b64 s[6:7], -1
	s_cselect_b64 s[16:17], -1, 0
.LBB64_302:
	s_andn2_b64 vcc, exec, s[16:17]
	s_cbranch_vccz .LBB64_311
; %bb.303:
	s_andn2_b64 vcc, exec, s[6:7]
	s_cbranch_vccnz .LBB64_305
.LBB64_304:
	v_cmp_le_i16_e32 vcc, s10, v20
	s_andn2_b64 s[6:7], s[14:15], exec
	s_and_b64 s[14:15], vcc, exec
	s_or_b64 s[14:15], s[6:7], s[14:15]
.LBB64_305:
	s_movk_i32 s3, 0xff00
	v_and_b32_sdwa v20, v6, s3 dst_sel:DWORD dst_unused:UNUSED_PAD src0_sel:WORD_1 src1_sel:DWORD
	v_cndmask_b32_e64 v21, 0, 1, s[14:15]
	v_or_b32_sdwa v20, v21, v20 dst_sel:WORD_1 dst_unused:UNUSED_PAD src0_sel:DWORD src1_sel:DWORD
	s_mov_b32 s3, 0xffff
	v_and_or_b32 v6, v6, s3, v20
.LBB64_306:
	s_or_b64 exec, exec, s[4:5]
	v_or_b32_e32 v20, 0x300, v0
	v_cmp_gt_i32_e32 vcc, s8, v20
	s_and_saveexec_b64 s[4:5], vcc
	s_cbranch_execz .LBB64_321
; %bb.307:
	s_cmp_lt_i32 s9, 1
	s_mov_b64 s[6:7], 0
	s_cbranch_scc1 .LBB64_312
; %bb.308:
	s_cmp_gt_i32 s9, 1
	s_cbranch_scc0 .LBB64_313
; %bb.309:
	s_cmp_eq_u32 s9, 2
	s_cbranch_scc0 .LBB64_537
; %bb.310:
	v_cmp_ge_i16_e64 s[14:15], s10, v19
	s_mov_b64 s[16:17], 0
	s_branch .LBB64_315
.LBB64_311:
	v_cmp_gt_i16_e32 vcc, s10, v20
	s_andn2_b64 s[14:15], s[14:15], exec
	s_and_b64 s[16:17], vcc, exec
	s_or_b64 s[14:15], s[14:15], s[16:17]
	s_cbranch_execz .LBB64_304
	s_branch .LBB64_305
.LBB64_312:
                                        ; implicit-def: $sgpr14_sgpr15
	s_mov_b64 s[16:17], 0
	s_cbranch_execnz .LBB64_316
	s_branch .LBB64_317
.LBB64_313:
	s_mov_b64 s[16:17], 0
                                        ; implicit-def: $sgpr14_sgpr15
	s_cbranch_execz .LBB64_315
; %bb.314:
	v_cmp_lt_i16_e32 vcc, s10, v19
	s_andn2_b64 s[14:15], s[14:15], exec
	s_and_b64 s[18:19], vcc, exec
	s_or_b64 s[14:15], s[14:15], s[18:19]
.LBB64_315:
	s_branch .LBB64_317
.LBB64_316:
	s_cmp_lg_u32 s9, 0
	s_mov_b64 s[6:7], -1
	s_cselect_b64 s[16:17], -1, 0
.LBB64_317:
	s_andn2_b64 vcc, exec, s[16:17]
	s_cbranch_vccz .LBB64_326
; %bb.318:
	s_andn2_b64 vcc, exec, s[6:7]
	s_cbranch_vccnz .LBB64_320
.LBB64_319:
	v_cmp_le_i16_e32 vcc, s10, v19
	s_andn2_b64 s[6:7], s[14:15], exec
	s_and_b64 s[14:15], vcc, exec
	s_or_b64 s[14:15], s[6:7], s[14:15]
.LBB64_320:
	s_movk_i32 s3, 0xff
	v_cndmask_b32_e64 v20, 0, 1, s[14:15]
	v_and_b32_sdwa v19, v6, s3 dst_sel:DWORD dst_unused:UNUSED_PAD src0_sel:WORD_1 src1_sel:DWORD
	v_lshlrev_b16_e32 v20, 8, v20
	v_or_b32_sdwa v19, v19, v20 dst_sel:WORD_1 dst_unused:UNUSED_PAD src0_sel:DWORD src1_sel:DWORD
	s_mov_b32 s3, 0xffff
	v_and_or_b32 v6, v6, s3, v19
.LBB64_321:
	s_or_b64 exec, exec, s[4:5]
	v_or_b32_e32 v19, 0x400, v0
	v_cmp_gt_i32_e32 vcc, s8, v19
	s_and_saveexec_b64 s[4:5], vcc
	s_cbranch_execz .LBB64_336
; %bb.322:
	s_cmp_lt_i32 s9, 1
	s_mov_b64 s[6:7], 0
	s_cbranch_scc1 .LBB64_327
; %bb.323:
	s_cmp_gt_i32 s9, 1
	s_cbranch_scc0 .LBB64_328
; %bb.324:
	s_cmp_eq_u32 s9, 2
	s_cbranch_scc0 .LBB64_538
; %bb.325:
	v_cmp_ge_i16_e64 s[14:15], s10, v18
	s_mov_b64 s[16:17], 0
	s_branch .LBB64_330
.LBB64_326:
	v_cmp_gt_i16_e32 vcc, s10, v19
	s_andn2_b64 s[14:15], s[14:15], exec
	s_and_b64 s[16:17], vcc, exec
	s_or_b64 s[14:15], s[14:15], s[16:17]
	s_cbranch_execz .LBB64_319
	s_branch .LBB64_320
.LBB64_327:
                                        ; implicit-def: $sgpr14_sgpr15
	s_mov_b64 s[16:17], 0
	s_cbranch_execnz .LBB64_331
	s_branch .LBB64_332
.LBB64_328:
	s_mov_b64 s[16:17], 0
                                        ; implicit-def: $sgpr14_sgpr15
	s_cbranch_execz .LBB64_330
; %bb.329:
	v_cmp_lt_i16_e32 vcc, s10, v18
	s_andn2_b64 s[14:15], s[14:15], exec
	s_and_b64 s[18:19], vcc, exec
	s_or_b64 s[14:15], s[14:15], s[18:19]
.LBB64_330:
	s_branch .LBB64_332
.LBB64_331:
	s_cmp_lg_u32 s9, 0
	s_mov_b64 s[6:7], -1
	s_cselect_b64 s[16:17], -1, 0
.LBB64_332:
	s_andn2_b64 vcc, exec, s[16:17]
	s_cbranch_vccz .LBB64_341
; %bb.333:
	s_andn2_b64 vcc, exec, s[6:7]
	s_cbranch_vccnz .LBB64_335
.LBB64_334:
	v_cmp_le_i16_e32 vcc, s10, v18
	s_andn2_b64 s[6:7], s[14:15], exec
	s_and_b64 s[14:15], vcc, exec
	s_or_b64 s[14:15], s[6:7], s[14:15]
.LBB64_335:
	v_and_b32_e32 v18, 0xffffff00, v5
	v_cndmask_b32_e64 v19, 0, 1, s[14:15]
	v_or_b32_e32 v18, v19, v18
	v_and_b32_e32 v18, 0xffff, v18
	s_mov_b32 s3, 0xffff0000
	v_and_or_b32 v5, v5, s3, v18
.LBB64_336:
	s_or_b64 exec, exec, s[4:5]
	v_or_b32_e32 v18, 0x500, v0
	v_cmp_gt_i32_e32 vcc, s8, v18
	s_and_saveexec_b64 s[4:5], vcc
	s_cbranch_execz .LBB64_351
; %bb.337:
	s_cmp_lt_i32 s9, 1
	s_mov_b64 s[6:7], 0
	s_cbranch_scc1 .LBB64_342
; %bb.338:
	s_cmp_gt_i32 s9, 1
	s_cbranch_scc0 .LBB64_343
; %bb.339:
	s_cmp_eq_u32 s9, 2
	s_cbranch_scc0 .LBB64_539
; %bb.340:
	v_cmp_ge_i16_e64 s[14:15], s10, v17
	s_mov_b64 s[16:17], 0
	s_branch .LBB64_345
.LBB64_341:
	v_cmp_gt_i16_e32 vcc, s10, v18
	s_andn2_b64 s[14:15], s[14:15], exec
	s_and_b64 s[16:17], vcc, exec
	s_or_b64 s[14:15], s[14:15], s[16:17]
	s_cbranch_execz .LBB64_334
	s_branch .LBB64_335
.LBB64_342:
                                        ; implicit-def: $sgpr14_sgpr15
	s_mov_b64 s[16:17], 0
	s_cbranch_execnz .LBB64_346
	s_branch .LBB64_347
.LBB64_343:
	s_mov_b64 s[16:17], 0
                                        ; implicit-def: $sgpr14_sgpr15
	s_cbranch_execz .LBB64_345
; %bb.344:
	v_cmp_lt_i16_e32 vcc, s10, v17
	s_andn2_b64 s[14:15], s[14:15], exec
	s_and_b64 s[18:19], vcc, exec
	s_or_b64 s[14:15], s[14:15], s[18:19]
.LBB64_345:
	s_branch .LBB64_347
.LBB64_346:
	s_cmp_lg_u32 s9, 0
	s_mov_b64 s[6:7], -1
	s_cselect_b64 s[16:17], -1, 0
.LBB64_347:
	s_andn2_b64 vcc, exec, s[16:17]
	s_cbranch_vccz .LBB64_356
; %bb.348:
	s_andn2_b64 vcc, exec, s[6:7]
	s_cbranch_vccnz .LBB64_350
.LBB64_349:
	v_cmp_le_i16_e32 vcc, s10, v17
	s_andn2_b64 s[6:7], s[14:15], exec
	s_and_b64 s[14:15], vcc, exec
	s_or_b64 s[14:15], s[6:7], s[14:15]
.LBB64_350:
	v_cndmask_b32_e64 v17, 0, 1, s[14:15]
	v_lshlrev_b16_e32 v17, 8, v17
	v_or_b32_sdwa v17, v5, v17 dst_sel:DWORD dst_unused:UNUSED_PAD src0_sel:BYTE_0 src1_sel:DWORD
	v_and_b32_e32 v17, 0xffff, v17
	s_mov_b32 s3, 0xffff0000
	v_and_or_b32 v5, v5, s3, v17
.LBB64_351:
	s_or_b64 exec, exec, s[4:5]
	v_or_b32_e32 v17, 0x600, v0
	v_cmp_gt_i32_e32 vcc, s8, v17
	s_and_saveexec_b64 s[4:5], vcc
	s_cbranch_execz .LBB64_366
; %bb.352:
	s_cmp_lt_i32 s9, 1
	s_mov_b64 s[6:7], 0
	s_cbranch_scc1 .LBB64_357
; %bb.353:
	s_cmp_gt_i32 s9, 1
	s_cbranch_scc0 .LBB64_358
; %bb.354:
	s_cmp_eq_u32 s9, 2
	s_cbranch_scc0 .LBB64_540
; %bb.355:
	v_cmp_ge_i16_e64 s[14:15], s10, v16
	s_mov_b64 s[16:17], 0
	s_branch .LBB64_360
.LBB64_356:
	v_cmp_gt_i16_e32 vcc, s10, v17
	s_andn2_b64 s[14:15], s[14:15], exec
	s_and_b64 s[16:17], vcc, exec
	s_or_b64 s[14:15], s[14:15], s[16:17]
	s_cbranch_execz .LBB64_349
	s_branch .LBB64_350
.LBB64_357:
                                        ; implicit-def: $sgpr14_sgpr15
	s_mov_b64 s[16:17], 0
	s_cbranch_execnz .LBB64_361
	s_branch .LBB64_362
.LBB64_358:
	s_mov_b64 s[16:17], 0
                                        ; implicit-def: $sgpr14_sgpr15
	s_cbranch_execz .LBB64_360
; %bb.359:
	v_cmp_lt_i16_e32 vcc, s10, v16
	s_andn2_b64 s[14:15], s[14:15], exec
	s_and_b64 s[18:19], vcc, exec
	s_or_b64 s[14:15], s[14:15], s[18:19]
.LBB64_360:
	s_branch .LBB64_362
.LBB64_361:
	s_cmp_lg_u32 s9, 0
	s_mov_b64 s[6:7], -1
	s_cselect_b64 s[16:17], -1, 0
.LBB64_362:
	s_andn2_b64 vcc, exec, s[16:17]
	s_cbranch_vccz .LBB64_371
; %bb.363:
	s_andn2_b64 vcc, exec, s[6:7]
	s_cbranch_vccnz .LBB64_365
.LBB64_364:
	v_cmp_le_i16_e32 vcc, s10, v16
	s_andn2_b64 s[6:7], s[14:15], exec
	s_and_b64 s[14:15], vcc, exec
	s_or_b64 s[14:15], s[6:7], s[14:15]
.LBB64_365:
	s_movk_i32 s3, 0xff00
	v_and_b32_sdwa v16, v5, s3 dst_sel:DWORD dst_unused:UNUSED_PAD src0_sel:WORD_1 src1_sel:DWORD
	v_cndmask_b32_e64 v17, 0, 1, s[14:15]
	v_or_b32_sdwa v16, v17, v16 dst_sel:WORD_1 dst_unused:UNUSED_PAD src0_sel:DWORD src1_sel:DWORD
	s_mov_b32 s3, 0xffff
	v_and_or_b32 v5, v5, s3, v16
.LBB64_366:
	s_or_b64 exec, exec, s[4:5]
	v_or_b32_e32 v16, 0x700, v0
	v_cmp_gt_i32_e32 vcc, s8, v16
	s_and_saveexec_b64 s[4:5], vcc
	s_cbranch_execz .LBB64_381
; %bb.367:
	s_cmp_lt_i32 s9, 1
	s_mov_b64 s[6:7], 0
	s_cbranch_scc1 .LBB64_372
; %bb.368:
	s_cmp_gt_i32 s9, 1
	s_cbranch_scc0 .LBB64_373
; %bb.369:
	s_cmp_eq_u32 s9, 2
	s_cbranch_scc0 .LBB64_541
; %bb.370:
	v_cmp_ge_i16_e64 s[14:15], s10, v15
	s_mov_b64 s[16:17], 0
	s_branch .LBB64_375
.LBB64_371:
	v_cmp_gt_i16_e32 vcc, s10, v16
	s_andn2_b64 s[14:15], s[14:15], exec
	s_and_b64 s[16:17], vcc, exec
	s_or_b64 s[14:15], s[14:15], s[16:17]
	s_cbranch_execz .LBB64_364
	s_branch .LBB64_365
.LBB64_372:
                                        ; implicit-def: $sgpr14_sgpr15
	s_mov_b64 s[16:17], 0
	s_cbranch_execnz .LBB64_376
	s_branch .LBB64_377
.LBB64_373:
	s_mov_b64 s[16:17], 0
                                        ; implicit-def: $sgpr14_sgpr15
	s_cbranch_execz .LBB64_375
; %bb.374:
	v_cmp_lt_i16_e32 vcc, s10, v15
	s_andn2_b64 s[14:15], s[14:15], exec
	s_and_b64 s[18:19], vcc, exec
	s_or_b64 s[14:15], s[14:15], s[18:19]
.LBB64_375:
	s_branch .LBB64_377
.LBB64_376:
	s_cmp_lg_u32 s9, 0
	s_mov_b64 s[6:7], -1
	s_cselect_b64 s[16:17], -1, 0
.LBB64_377:
	s_andn2_b64 vcc, exec, s[16:17]
	s_cbranch_vccz .LBB64_386
; %bb.378:
	s_andn2_b64 vcc, exec, s[6:7]
	s_cbranch_vccnz .LBB64_380
.LBB64_379:
	v_cmp_le_i16_e32 vcc, s10, v15
	s_andn2_b64 s[6:7], s[14:15], exec
	s_and_b64 s[14:15], vcc, exec
	s_or_b64 s[14:15], s[6:7], s[14:15]
.LBB64_380:
	s_movk_i32 s3, 0xff
	v_cndmask_b32_e64 v16, 0, 1, s[14:15]
	v_and_b32_sdwa v15, v5, s3 dst_sel:DWORD dst_unused:UNUSED_PAD src0_sel:WORD_1 src1_sel:DWORD
	v_lshlrev_b16_e32 v16, 8, v16
	v_or_b32_sdwa v15, v15, v16 dst_sel:WORD_1 dst_unused:UNUSED_PAD src0_sel:DWORD src1_sel:DWORD
	s_mov_b32 s3, 0xffff
	v_and_or_b32 v5, v5, s3, v15
.LBB64_381:
	s_or_b64 exec, exec, s[4:5]
	v_or_b32_e32 v15, 0x800, v0
	v_cmp_gt_i32_e32 vcc, s8, v15
	s_and_saveexec_b64 s[4:5], vcc
	s_cbranch_execz .LBB64_396
; %bb.382:
	s_cmp_lt_i32 s9, 1
	s_mov_b64 s[6:7], 0
	s_cbranch_scc1 .LBB64_387
; %bb.383:
	s_cmp_gt_i32 s9, 1
	s_cbranch_scc0 .LBB64_388
; %bb.384:
	s_cmp_eq_u32 s9, 2
	s_cbranch_scc0 .LBB64_542
; %bb.385:
	v_cmp_ge_i16_e64 s[14:15], s10, v14
	s_mov_b64 s[16:17], 0
	s_branch .LBB64_390
.LBB64_386:
	v_cmp_gt_i16_e32 vcc, s10, v15
	s_andn2_b64 s[14:15], s[14:15], exec
	s_and_b64 s[16:17], vcc, exec
	s_or_b64 s[14:15], s[14:15], s[16:17]
	s_cbranch_execz .LBB64_379
	s_branch .LBB64_380
.LBB64_387:
                                        ; implicit-def: $sgpr14_sgpr15
	s_mov_b64 s[16:17], 0
	s_cbranch_execnz .LBB64_391
	s_branch .LBB64_392
.LBB64_388:
	s_mov_b64 s[16:17], 0
                                        ; implicit-def: $sgpr14_sgpr15
	s_cbranch_execz .LBB64_390
; %bb.389:
	v_cmp_lt_i16_e32 vcc, s10, v14
	s_andn2_b64 s[14:15], s[14:15], exec
	s_and_b64 s[18:19], vcc, exec
	s_or_b64 s[14:15], s[14:15], s[18:19]
.LBB64_390:
	s_branch .LBB64_392
.LBB64_391:
	s_cmp_lg_u32 s9, 0
	s_mov_b64 s[6:7], -1
	s_cselect_b64 s[16:17], -1, 0
.LBB64_392:
	s_andn2_b64 vcc, exec, s[16:17]
	s_cbranch_vccz .LBB64_401
; %bb.393:
	s_andn2_b64 vcc, exec, s[6:7]
	s_cbranch_vccnz .LBB64_395
.LBB64_394:
	v_cmp_le_i16_e32 vcc, s10, v14
	s_andn2_b64 s[6:7], s[14:15], exec
	s_and_b64 s[14:15], vcc, exec
	s_or_b64 s[14:15], s[6:7], s[14:15]
.LBB64_395:
	v_and_b32_e32 v14, 0xffffff00, v3
	v_cndmask_b32_e64 v15, 0, 1, s[14:15]
	v_or_b32_e32 v14, v15, v14
	v_and_b32_e32 v14, 0xffff, v14
	s_mov_b32 s3, 0xffff0000
	v_and_or_b32 v3, v3, s3, v14
.LBB64_396:
	s_or_b64 exec, exec, s[4:5]
	v_or_b32_e32 v14, 0x900, v0
	v_cmp_gt_i32_e32 vcc, s8, v14
	s_and_saveexec_b64 s[4:5], vcc
	s_cbranch_execz .LBB64_411
; %bb.397:
	s_cmp_lt_i32 s9, 1
	s_mov_b64 s[6:7], 0
	s_cbranch_scc1 .LBB64_402
; %bb.398:
	s_cmp_gt_i32 s9, 1
	s_cbranch_scc0 .LBB64_403
; %bb.399:
	s_cmp_eq_u32 s9, 2
	s_cbranch_scc0 .LBB64_543
; %bb.400:
	v_cmp_ge_i16_e64 s[14:15], s10, v13
	s_mov_b64 s[16:17], 0
	s_branch .LBB64_405
.LBB64_401:
	v_cmp_gt_i16_e32 vcc, s10, v14
	s_andn2_b64 s[14:15], s[14:15], exec
	s_and_b64 s[16:17], vcc, exec
	s_or_b64 s[14:15], s[14:15], s[16:17]
	s_cbranch_execz .LBB64_394
	s_branch .LBB64_395
.LBB64_402:
                                        ; implicit-def: $sgpr14_sgpr15
	s_mov_b64 s[16:17], 0
	s_cbranch_execnz .LBB64_406
	s_branch .LBB64_407
.LBB64_403:
	s_mov_b64 s[16:17], 0
                                        ; implicit-def: $sgpr14_sgpr15
	s_cbranch_execz .LBB64_405
; %bb.404:
	v_cmp_lt_i16_e32 vcc, s10, v13
	s_andn2_b64 s[14:15], s[14:15], exec
	s_and_b64 s[18:19], vcc, exec
	s_or_b64 s[14:15], s[14:15], s[18:19]
.LBB64_405:
	s_branch .LBB64_407
.LBB64_406:
	s_cmp_lg_u32 s9, 0
	s_mov_b64 s[6:7], -1
	s_cselect_b64 s[16:17], -1, 0
.LBB64_407:
	s_andn2_b64 vcc, exec, s[16:17]
	s_cbranch_vccz .LBB64_416
; %bb.408:
	s_andn2_b64 vcc, exec, s[6:7]
	s_cbranch_vccnz .LBB64_410
.LBB64_409:
	v_cmp_le_i16_e32 vcc, s10, v13
	s_andn2_b64 s[6:7], s[14:15], exec
	s_and_b64 s[14:15], vcc, exec
	s_or_b64 s[14:15], s[6:7], s[14:15]
.LBB64_410:
	v_cndmask_b32_e64 v13, 0, 1, s[14:15]
	v_lshlrev_b16_e32 v13, 8, v13
	v_or_b32_sdwa v13, v3, v13 dst_sel:DWORD dst_unused:UNUSED_PAD src0_sel:BYTE_0 src1_sel:DWORD
	v_and_b32_e32 v13, 0xffff, v13
	s_mov_b32 s3, 0xffff0000
	v_and_or_b32 v3, v3, s3, v13
.LBB64_411:
	s_or_b64 exec, exec, s[4:5]
	v_or_b32_e32 v13, 0xa00, v0
	v_cmp_gt_i32_e32 vcc, s8, v13
	s_and_saveexec_b64 s[4:5], vcc
	s_cbranch_execz .LBB64_426
; %bb.412:
	s_cmp_lt_i32 s9, 1
	s_mov_b64 s[6:7], 0
	s_cbranch_scc1 .LBB64_417
; %bb.413:
	s_cmp_gt_i32 s9, 1
	s_cbranch_scc0 .LBB64_418
; %bb.414:
	s_cmp_eq_u32 s9, 2
	s_cbranch_scc0 .LBB64_544
; %bb.415:
	v_cmp_ge_i16_e64 s[14:15], s10, v12
	s_mov_b64 s[16:17], 0
	s_branch .LBB64_420
.LBB64_416:
	v_cmp_gt_i16_e32 vcc, s10, v13
	s_andn2_b64 s[14:15], s[14:15], exec
	s_and_b64 s[16:17], vcc, exec
	s_or_b64 s[14:15], s[14:15], s[16:17]
	s_cbranch_execz .LBB64_409
	s_branch .LBB64_410
.LBB64_417:
                                        ; implicit-def: $sgpr14_sgpr15
	s_mov_b64 s[16:17], 0
	s_cbranch_execnz .LBB64_421
	s_branch .LBB64_422
.LBB64_418:
	s_mov_b64 s[16:17], 0
                                        ; implicit-def: $sgpr14_sgpr15
	s_cbranch_execz .LBB64_420
; %bb.419:
	v_cmp_lt_i16_e32 vcc, s10, v12
	s_andn2_b64 s[14:15], s[14:15], exec
	s_and_b64 s[18:19], vcc, exec
	s_or_b64 s[14:15], s[14:15], s[18:19]
.LBB64_420:
	s_branch .LBB64_422
.LBB64_421:
	s_cmp_lg_u32 s9, 0
	s_mov_b64 s[6:7], -1
	s_cselect_b64 s[16:17], -1, 0
.LBB64_422:
	s_andn2_b64 vcc, exec, s[16:17]
	s_cbranch_vccz .LBB64_431
; %bb.423:
	s_andn2_b64 vcc, exec, s[6:7]
	s_cbranch_vccnz .LBB64_425
.LBB64_424:
	v_cmp_le_i16_e32 vcc, s10, v12
	s_andn2_b64 s[6:7], s[14:15], exec
	s_and_b64 s[14:15], vcc, exec
	s_or_b64 s[14:15], s[6:7], s[14:15]
.LBB64_425:
	s_movk_i32 s3, 0xff00
	v_and_b32_sdwa v12, v3, s3 dst_sel:DWORD dst_unused:UNUSED_PAD src0_sel:WORD_1 src1_sel:DWORD
	v_cndmask_b32_e64 v13, 0, 1, s[14:15]
	v_or_b32_sdwa v12, v13, v12 dst_sel:WORD_1 dst_unused:UNUSED_PAD src0_sel:DWORD src1_sel:DWORD
	s_mov_b32 s3, 0xffff
	v_and_or_b32 v3, v3, s3, v12
.LBB64_426:
	s_or_b64 exec, exec, s[4:5]
	v_or_b32_e32 v12, 0xb00, v0
	v_cmp_gt_i32_e32 vcc, s8, v12
	s_and_saveexec_b64 s[4:5], vcc
	s_cbranch_execz .LBB64_441
; %bb.427:
	s_cmp_lt_i32 s9, 1
	s_mov_b64 s[6:7], 0
	s_cbranch_scc1 .LBB64_432
; %bb.428:
	s_cmp_gt_i32 s9, 1
	s_cbranch_scc0 .LBB64_433
; %bb.429:
	s_cmp_eq_u32 s9, 2
	s_cbranch_scc0 .LBB64_545
; %bb.430:
	v_cmp_ge_i16_e64 s[14:15], s10, v11
	s_mov_b64 s[16:17], 0
	s_branch .LBB64_435
.LBB64_431:
	v_cmp_gt_i16_e32 vcc, s10, v12
	s_andn2_b64 s[14:15], s[14:15], exec
	s_and_b64 s[16:17], vcc, exec
	s_or_b64 s[14:15], s[14:15], s[16:17]
	s_cbranch_execz .LBB64_424
	s_branch .LBB64_425
.LBB64_432:
                                        ; implicit-def: $sgpr14_sgpr15
	s_mov_b64 s[16:17], 0
	s_cbranch_execnz .LBB64_436
	s_branch .LBB64_437
.LBB64_433:
	s_mov_b64 s[16:17], 0
                                        ; implicit-def: $sgpr14_sgpr15
	s_cbranch_execz .LBB64_435
; %bb.434:
	v_cmp_lt_i16_e32 vcc, s10, v11
	s_andn2_b64 s[14:15], s[14:15], exec
	s_and_b64 s[18:19], vcc, exec
	s_or_b64 s[14:15], s[14:15], s[18:19]
.LBB64_435:
	s_branch .LBB64_437
.LBB64_436:
	s_cmp_lg_u32 s9, 0
	s_mov_b64 s[6:7], -1
	s_cselect_b64 s[16:17], -1, 0
.LBB64_437:
	s_andn2_b64 vcc, exec, s[16:17]
	s_cbranch_vccz .LBB64_446
; %bb.438:
	s_andn2_b64 vcc, exec, s[6:7]
	s_cbranch_vccnz .LBB64_440
.LBB64_439:
	v_cmp_le_i16_e32 vcc, s10, v11
	s_andn2_b64 s[6:7], s[14:15], exec
	s_and_b64 s[14:15], vcc, exec
	s_or_b64 s[14:15], s[6:7], s[14:15]
.LBB64_440:
	s_movk_i32 s3, 0xff
	v_cndmask_b32_e64 v12, 0, 1, s[14:15]
	v_and_b32_sdwa v11, v3, s3 dst_sel:DWORD dst_unused:UNUSED_PAD src0_sel:WORD_1 src1_sel:DWORD
	v_lshlrev_b16_e32 v12, 8, v12
	v_or_b32_sdwa v11, v11, v12 dst_sel:WORD_1 dst_unused:UNUSED_PAD src0_sel:DWORD src1_sel:DWORD
	s_mov_b32 s3, 0xffff
	v_and_or_b32 v3, v3, s3, v11
.LBB64_441:
	s_or_b64 exec, exec, s[4:5]
	v_or_b32_e32 v11, 0xc00, v0
	v_cmp_gt_i32_e32 vcc, s8, v11
	s_and_saveexec_b64 s[4:5], vcc
	s_cbranch_execz .LBB64_456
; %bb.442:
	s_cmp_lt_i32 s9, 1
	s_mov_b64 s[6:7], 0
	s_cbranch_scc1 .LBB64_447
; %bb.443:
	s_cmp_gt_i32 s9, 1
	s_cbranch_scc0 .LBB64_448
; %bb.444:
	s_cmp_eq_u32 s9, 2
	s_cbranch_scc0 .LBB64_546
; %bb.445:
	v_cmp_ge_i16_e64 s[14:15], s10, v10
	s_mov_b64 s[16:17], 0
	s_branch .LBB64_450
.LBB64_446:
	v_cmp_gt_i16_e32 vcc, s10, v11
	s_andn2_b64 s[14:15], s[14:15], exec
	s_and_b64 s[16:17], vcc, exec
	s_or_b64 s[14:15], s[14:15], s[16:17]
	s_cbranch_execz .LBB64_439
	s_branch .LBB64_440
.LBB64_447:
                                        ; implicit-def: $sgpr14_sgpr15
	s_mov_b64 s[16:17], 0
	s_cbranch_execnz .LBB64_451
	s_branch .LBB64_452
.LBB64_448:
	s_mov_b64 s[16:17], 0
                                        ; implicit-def: $sgpr14_sgpr15
	s_cbranch_execz .LBB64_450
; %bb.449:
	v_cmp_lt_i16_e32 vcc, s10, v10
	s_andn2_b64 s[14:15], s[14:15], exec
	s_and_b64 s[18:19], vcc, exec
	s_or_b64 s[14:15], s[14:15], s[18:19]
.LBB64_450:
	s_branch .LBB64_452
.LBB64_451:
	s_cmp_lg_u32 s9, 0
	s_mov_b64 s[6:7], -1
	s_cselect_b64 s[16:17], -1, 0
.LBB64_452:
	s_andn2_b64 vcc, exec, s[16:17]
	s_cbranch_vccz .LBB64_461
; %bb.453:
	s_andn2_b64 vcc, exec, s[6:7]
	s_cbranch_vccnz .LBB64_455
.LBB64_454:
	v_cmp_le_i16_e32 vcc, s10, v10
	s_andn2_b64 s[6:7], s[14:15], exec
	s_and_b64 s[14:15], vcc, exec
	s_or_b64 s[14:15], s[6:7], s[14:15]
.LBB64_455:
	v_and_b32_e32 v10, 0xffffff00, v2
	v_cndmask_b32_e64 v11, 0, 1, s[14:15]
	v_or_b32_e32 v10, v11, v10
	v_and_b32_e32 v10, 0xffff, v10
	s_mov_b32 s3, 0xffff0000
	v_and_or_b32 v2, v2, s3, v10
.LBB64_456:
	s_or_b64 exec, exec, s[4:5]
	v_or_b32_e32 v10, 0xd00, v0
	v_cmp_gt_i32_e32 vcc, s8, v10
	s_and_saveexec_b64 s[4:5], vcc
	s_cbranch_execz .LBB64_471
; %bb.457:
	s_cmp_lt_i32 s9, 1
	s_mov_b64 s[6:7], 0
	s_cbranch_scc1 .LBB64_462
; %bb.458:
	s_cmp_gt_i32 s9, 1
	s_cbranch_scc0 .LBB64_463
; %bb.459:
	s_cmp_eq_u32 s9, 2
	s_cbranch_scc0 .LBB64_547
; %bb.460:
	v_cmp_ge_i16_e64 s[14:15], s10, v9
	s_mov_b64 s[16:17], 0
	s_branch .LBB64_465
.LBB64_461:
	v_cmp_gt_i16_e32 vcc, s10, v10
	s_andn2_b64 s[14:15], s[14:15], exec
	s_and_b64 s[16:17], vcc, exec
	s_or_b64 s[14:15], s[14:15], s[16:17]
	s_cbranch_execz .LBB64_454
	s_branch .LBB64_455
.LBB64_462:
                                        ; implicit-def: $sgpr14_sgpr15
	s_mov_b64 s[16:17], 0
	s_cbranch_execnz .LBB64_466
	s_branch .LBB64_467
.LBB64_463:
	s_mov_b64 s[16:17], 0
                                        ; implicit-def: $sgpr14_sgpr15
	s_cbranch_execz .LBB64_465
; %bb.464:
	v_cmp_lt_i16_e32 vcc, s10, v9
	s_andn2_b64 s[14:15], s[14:15], exec
	s_and_b64 s[18:19], vcc, exec
	s_or_b64 s[14:15], s[14:15], s[18:19]
.LBB64_465:
	s_branch .LBB64_467
.LBB64_466:
	s_cmp_lg_u32 s9, 0
	s_mov_b64 s[6:7], -1
	s_cselect_b64 s[16:17], -1, 0
.LBB64_467:
	s_andn2_b64 vcc, exec, s[16:17]
	s_cbranch_vccz .LBB64_476
; %bb.468:
	s_andn2_b64 vcc, exec, s[6:7]
	s_cbranch_vccnz .LBB64_470
.LBB64_469:
	v_cmp_le_i16_e32 vcc, s10, v9
	s_andn2_b64 s[6:7], s[14:15], exec
	s_and_b64 s[14:15], vcc, exec
	s_or_b64 s[14:15], s[6:7], s[14:15]
.LBB64_470:
	v_cndmask_b32_e64 v9, 0, 1, s[14:15]
	v_lshlrev_b16_e32 v9, 8, v9
	v_or_b32_sdwa v9, v2, v9 dst_sel:DWORD dst_unused:UNUSED_PAD src0_sel:BYTE_0 src1_sel:DWORD
	v_and_b32_e32 v9, 0xffff, v9
	s_mov_b32 s3, 0xffff0000
	v_and_or_b32 v2, v2, s3, v9
.LBB64_471:
	s_or_b64 exec, exec, s[4:5]
	v_or_b32_e32 v9, 0xe00, v0
	v_cmp_gt_i32_e32 vcc, s8, v9
	s_and_saveexec_b64 s[4:5], vcc
	s_cbranch_execz .LBB64_486
; %bb.472:
	s_cmp_lt_i32 s9, 1
	s_mov_b64 s[6:7], 0
	s_cbranch_scc1 .LBB64_477
; %bb.473:
	s_cmp_gt_i32 s9, 1
	s_cbranch_scc0 .LBB64_478
; %bb.474:
	s_cmp_eq_u32 s9, 2
	s_cbranch_scc0 .LBB64_548
; %bb.475:
	v_cmp_ge_i16_e64 s[14:15], s10, v8
	s_mov_b64 s[16:17], 0
	s_branch .LBB64_480
.LBB64_476:
	v_cmp_gt_i16_e32 vcc, s10, v9
	s_andn2_b64 s[14:15], s[14:15], exec
	s_and_b64 s[16:17], vcc, exec
	s_or_b64 s[14:15], s[14:15], s[16:17]
	s_cbranch_execz .LBB64_469
	s_branch .LBB64_470
.LBB64_477:
                                        ; implicit-def: $sgpr14_sgpr15
	s_mov_b64 s[16:17], 0
	s_cbranch_execnz .LBB64_481
	s_branch .LBB64_482
.LBB64_478:
	s_mov_b64 s[16:17], 0
                                        ; implicit-def: $sgpr14_sgpr15
	s_cbranch_execz .LBB64_480
; %bb.479:
	v_cmp_lt_i16_e32 vcc, s10, v8
	s_andn2_b64 s[14:15], s[14:15], exec
	s_and_b64 s[18:19], vcc, exec
	s_or_b64 s[14:15], s[14:15], s[18:19]
.LBB64_480:
	s_branch .LBB64_482
.LBB64_481:
	s_cmp_lg_u32 s9, 0
	s_mov_b64 s[6:7], -1
	s_cselect_b64 s[16:17], -1, 0
.LBB64_482:
	s_andn2_b64 vcc, exec, s[16:17]
	s_cbranch_vccz .LBB64_491
; %bb.483:
	s_andn2_b64 vcc, exec, s[6:7]
	s_cbranch_vccnz .LBB64_485
.LBB64_484:
	v_cmp_le_i16_e32 vcc, s10, v8
	s_andn2_b64 s[6:7], s[14:15], exec
	s_and_b64 s[14:15], vcc, exec
	s_or_b64 s[14:15], s[6:7], s[14:15]
.LBB64_485:
	s_movk_i32 s3, 0xff00
	v_and_b32_sdwa v8, v2, s3 dst_sel:DWORD dst_unused:UNUSED_PAD src0_sel:WORD_1 src1_sel:DWORD
	v_cndmask_b32_e64 v9, 0, 1, s[14:15]
	v_or_b32_sdwa v8, v9, v8 dst_sel:WORD_1 dst_unused:UNUSED_PAD src0_sel:DWORD src1_sel:DWORD
	s_mov_b32 s3, 0xffff
	v_and_or_b32 v2, v2, s3, v8
.LBB64_486:
	s_or_b64 exec, exec, s[4:5]
	v_or_b32_e32 v8, 0xf00, v0
	v_cmp_gt_i32_e32 vcc, s8, v8
	s_and_saveexec_b64 s[4:5], vcc
	s_cbranch_execz .LBB64_501
; %bb.487:
	s_cmp_lt_i32 s9, 1
	s_mov_b64 s[6:7], 0
	s_cbranch_scc1 .LBB64_492
; %bb.488:
	s_cmp_gt_i32 s9, 1
	s_cbranch_scc0 .LBB64_493
; %bb.489:
	s_cmp_eq_u32 s9, 2
	s_cbranch_scc0 .LBB64_549
; %bb.490:
	v_cmp_ge_i16_e64 s[14:15], s10, v4
	s_mov_b64 s[16:17], 0
	s_branch .LBB64_495
.LBB64_491:
	v_cmp_gt_i16_e32 vcc, s10, v8
	s_andn2_b64 s[14:15], s[14:15], exec
	s_and_b64 s[16:17], vcc, exec
	s_or_b64 s[14:15], s[14:15], s[16:17]
	s_cbranch_execz .LBB64_484
	s_branch .LBB64_485
.LBB64_492:
                                        ; implicit-def: $sgpr14_sgpr15
	s_mov_b64 s[16:17], 0
	s_cbranch_execnz .LBB64_496
	s_branch .LBB64_497
.LBB64_493:
	s_mov_b64 s[16:17], 0
                                        ; implicit-def: $sgpr14_sgpr15
	s_cbranch_execz .LBB64_495
; %bb.494:
	v_cmp_lt_i16_e32 vcc, s10, v4
	s_andn2_b64 s[14:15], s[14:15], exec
	s_and_b64 s[18:19], vcc, exec
	s_or_b64 s[14:15], s[14:15], s[18:19]
.LBB64_495:
	s_branch .LBB64_497
.LBB64_496:
	s_cmp_lg_u32 s9, 0
	s_mov_b64 s[6:7], -1
	s_cselect_b64 s[16:17], -1, 0
.LBB64_497:
	s_andn2_b64 vcc, exec, s[16:17]
	s_cbranch_vccz .LBB64_534
; %bb.498:
	s_andn2_b64 vcc, exec, s[6:7]
	s_cbranch_vccnz .LBB64_500
.LBB64_499:
	v_cmp_le_i16_e32 vcc, s10, v4
	s_andn2_b64 s[6:7], s[14:15], exec
	s_and_b64 s[10:11], vcc, exec
	s_or_b64 s[14:15], s[6:7], s[10:11]
.LBB64_500:
	s_movk_i32 s3, 0xff
	v_cndmask_b32_e64 v8, 0, 1, s[14:15]
	v_and_b32_sdwa v4, v2, s3 dst_sel:DWORD dst_unused:UNUSED_PAD src0_sel:WORD_1 src1_sel:DWORD
	v_lshlrev_b16_e32 v8, 8, v8
	v_or_b32_sdwa v4, v4, v8 dst_sel:WORD_1 dst_unused:UNUSED_PAD src0_sel:DWORD src1_sel:DWORD
	s_mov_b32 s3, 0xffff
	v_and_or_b32 v2, v2, s3, v4
.LBB64_501:
	s_or_b64 exec, exec, s[4:5]
	s_and_saveexec_b64 s[4:5], s[0:1]
	s_xor_b64 s[0:1], exec, s[4:5]
	s_cbranch_execz .LBB64_503
; %bb.502:
	v_mov_b32_e32 v0, v7
	global_store_byte v1, v6, s[12:13]
.LBB64_503:
	s_or_b64 exec, exec, s[0:1]
	v_cmp_gt_i32_e32 vcc, s8, v0
	s_and_saveexec_b64 s[0:1], vcc
	s_cbranch_execnz .LBB64_520
; %bb.504:
	s_or_b64 exec, exec, s[0:1]
	v_cmp_gt_i32_e32 vcc, s8, v0
	s_and_saveexec_b64 s[0:1], vcc
	s_cbranch_execnz .LBB64_521
.LBB64_505:
	s_or_b64 exec, exec, s[0:1]
	v_cmp_gt_i32_e32 vcc, s8, v0
	s_and_saveexec_b64 s[0:1], vcc
	s_cbranch_execnz .LBB64_522
.LBB64_506:
	s_or_b64 exec, exec, s[0:1]
	v_cmp_gt_i32_e32 vcc, s8, v0
	s_and_saveexec_b64 s[0:1], vcc
	s_cbranch_execnz .LBB64_523
.LBB64_507:
	s_or_b64 exec, exec, s[0:1]
	v_cmp_gt_i32_e32 vcc, s8, v0
	s_and_saveexec_b64 s[0:1], vcc
	s_cbranch_execnz .LBB64_524
.LBB64_508:
	s_or_b64 exec, exec, s[0:1]
	v_cmp_gt_i32_e32 vcc, s8, v0
	s_and_saveexec_b64 s[0:1], vcc
	s_cbranch_execnz .LBB64_525
.LBB64_509:
	s_or_b64 exec, exec, s[0:1]
	v_cmp_gt_i32_e32 vcc, s8, v0
	s_and_saveexec_b64 s[0:1], vcc
	s_cbranch_execnz .LBB64_526
.LBB64_510:
	s_or_b64 exec, exec, s[0:1]
	v_cmp_gt_i32_e32 vcc, s8, v0
	s_and_saveexec_b64 s[0:1], vcc
	s_cbranch_execnz .LBB64_527
.LBB64_511:
	s_or_b64 exec, exec, s[0:1]
	v_cmp_gt_i32_e32 vcc, s8, v0
	s_and_saveexec_b64 s[0:1], vcc
	s_cbranch_execnz .LBB64_528
.LBB64_512:
	s_or_b64 exec, exec, s[0:1]
	v_cmp_gt_i32_e32 vcc, s8, v0
	s_and_saveexec_b64 s[0:1], vcc
	s_cbranch_execnz .LBB64_529
.LBB64_513:
	s_or_b64 exec, exec, s[0:1]
	v_cmp_gt_i32_e32 vcc, s8, v0
	s_and_saveexec_b64 s[0:1], vcc
	s_cbranch_execnz .LBB64_530
.LBB64_514:
	s_or_b64 exec, exec, s[0:1]
	v_cmp_gt_i32_e32 vcc, s8, v0
	s_and_saveexec_b64 s[0:1], vcc
	s_cbranch_execnz .LBB64_531
.LBB64_515:
	s_or_b64 exec, exec, s[0:1]
	v_cmp_gt_i32_e32 vcc, s8, v0
	s_and_saveexec_b64 s[0:1], vcc
	s_cbranch_execnz .LBB64_532
.LBB64_516:
	s_or_b64 exec, exec, s[0:1]
	v_cmp_gt_i32_e32 vcc, s8, v0
	s_and_saveexec_b64 s[0:1], vcc
	s_cbranch_execnz .LBB64_533
.LBB64_517:
	s_or_b64 exec, exec, s[0:1]
	v_cmp_gt_i32_e32 vcc, s8, v0
	s_and_saveexec_b64 s[0:1], vcc
	s_cbranch_execz .LBB64_519
.LBB64_518:
	v_lshrrev_b32_e32 v1, 24, v2
	v_add_u32_e32 v0, s2, v0
	global_store_byte v0, v1, s[12:13]
.LBB64_519:
	s_endpgm
.LBB64_520:
	v_lshrrev_b32_e32 v1, 8, v6
	v_add_u32_e32 v4, s2, v0
	v_add_u32_e32 v0, 0x100, v0
	global_store_byte v4, v1, s[12:13]
	s_or_b64 exec, exec, s[0:1]
	v_cmp_gt_i32_e32 vcc, s8, v0
	s_and_saveexec_b64 s[0:1], vcc
	s_cbranch_execz .LBB64_505
.LBB64_521:
	v_add_u32_e32 v1, s2, v0
	v_add_u32_e32 v0, 0x100, v0
	global_store_byte_d16_hi v1, v6, s[12:13]
	s_or_b64 exec, exec, s[0:1]
	v_cmp_gt_i32_e32 vcc, s8, v0
	s_and_saveexec_b64 s[0:1], vcc
	s_cbranch_execz .LBB64_506
.LBB64_522:
	v_lshrrev_b32_e32 v1, 24, v6
	v_add_u32_e32 v4, s2, v0
	v_add_u32_e32 v0, 0x100, v0
	global_store_byte v4, v1, s[12:13]
	s_or_b64 exec, exec, s[0:1]
	v_cmp_gt_i32_e32 vcc, s8, v0
	s_and_saveexec_b64 s[0:1], vcc
	s_cbranch_execz .LBB64_507
.LBB64_523:
	v_add_u32_e32 v1, s2, v0
	v_add_u32_e32 v0, 0x100, v0
	global_store_byte v1, v5, s[12:13]
	s_or_b64 exec, exec, s[0:1]
	v_cmp_gt_i32_e32 vcc, s8, v0
	s_and_saveexec_b64 s[0:1], vcc
	s_cbranch_execz .LBB64_508
.LBB64_524:
	v_lshrrev_b32_e32 v1, 8, v5
	v_add_u32_e32 v4, s2, v0
	v_add_u32_e32 v0, 0x100, v0
	global_store_byte v4, v1, s[12:13]
	s_or_b64 exec, exec, s[0:1]
	v_cmp_gt_i32_e32 vcc, s8, v0
	s_and_saveexec_b64 s[0:1], vcc
	s_cbranch_execz .LBB64_509
.LBB64_525:
	v_add_u32_e32 v1, s2, v0
	v_add_u32_e32 v0, 0x100, v0
	global_store_byte_d16_hi v1, v5, s[12:13]
	s_or_b64 exec, exec, s[0:1]
	v_cmp_gt_i32_e32 vcc, s8, v0
	s_and_saveexec_b64 s[0:1], vcc
	s_cbranch_execz .LBB64_510
.LBB64_526:
	v_lshrrev_b32_e32 v1, 24, v5
	v_add_u32_e32 v4, s2, v0
	v_add_u32_e32 v0, 0x100, v0
	global_store_byte v4, v1, s[12:13]
	s_or_b64 exec, exec, s[0:1]
	v_cmp_gt_i32_e32 vcc, s8, v0
	s_and_saveexec_b64 s[0:1], vcc
	s_cbranch_execz .LBB64_511
.LBB64_527:
	v_add_u32_e32 v1, s2, v0
	v_add_u32_e32 v0, 0x100, v0
	global_store_byte v1, v3, s[12:13]
	s_or_b64 exec, exec, s[0:1]
	v_cmp_gt_i32_e32 vcc, s8, v0
	s_and_saveexec_b64 s[0:1], vcc
	s_cbranch_execz .LBB64_512
.LBB64_528:
	v_lshrrev_b32_e32 v1, 8, v3
	v_add_u32_e32 v4, s2, v0
	v_add_u32_e32 v0, 0x100, v0
	global_store_byte v4, v1, s[12:13]
	s_or_b64 exec, exec, s[0:1]
	v_cmp_gt_i32_e32 vcc, s8, v0
	s_and_saveexec_b64 s[0:1], vcc
	s_cbranch_execz .LBB64_513
.LBB64_529:
	v_add_u32_e32 v1, s2, v0
	v_add_u32_e32 v0, 0x100, v0
	global_store_byte_d16_hi v1, v3, s[12:13]
	s_or_b64 exec, exec, s[0:1]
	v_cmp_gt_i32_e32 vcc, s8, v0
	s_and_saveexec_b64 s[0:1], vcc
	s_cbranch_execz .LBB64_514
.LBB64_530:
	v_lshrrev_b32_e32 v1, 24, v3
	v_add_u32_e32 v3, s2, v0
	v_add_u32_e32 v0, 0x100, v0
	global_store_byte v3, v1, s[12:13]
	s_or_b64 exec, exec, s[0:1]
	v_cmp_gt_i32_e32 vcc, s8, v0
	s_and_saveexec_b64 s[0:1], vcc
	s_cbranch_execz .LBB64_515
.LBB64_531:
	v_add_u32_e32 v1, s2, v0
	v_add_u32_e32 v0, 0x100, v0
	global_store_byte v1, v2, s[12:13]
	s_or_b64 exec, exec, s[0:1]
	v_cmp_gt_i32_e32 vcc, s8, v0
	s_and_saveexec_b64 s[0:1], vcc
	s_cbranch_execz .LBB64_516
.LBB64_532:
	v_lshrrev_b32_e32 v1, 8, v2
	v_add_u32_e32 v3, s2, v0
	v_add_u32_e32 v0, 0x100, v0
	global_store_byte v3, v1, s[12:13]
	s_or_b64 exec, exec, s[0:1]
	v_cmp_gt_i32_e32 vcc, s8, v0
	s_and_saveexec_b64 s[0:1], vcc
	s_cbranch_execz .LBB64_517
.LBB64_533:
	v_add_u32_e32 v1, s2, v0
	v_add_u32_e32 v0, 0x100, v0
	global_store_byte_d16_hi v1, v2, s[12:13]
	s_or_b64 exec, exec, s[0:1]
	v_cmp_gt_i32_e32 vcc, s8, v0
	s_and_saveexec_b64 s[0:1], vcc
	s_cbranch_execnz .LBB64_518
	s_branch .LBB64_519
.LBB64_534:
	v_cmp_gt_i16_e32 vcc, s10, v4
	s_andn2_b64 s[14:15], s[14:15], exec
	s_and_b64 s[16:17], vcc, exec
	s_or_b64 s[14:15], s[14:15], s[16:17]
	s_cbranch_execz .LBB64_499
	s_branch .LBB64_500
.LBB64_535:
	s_mov_b64 s[16:17], -1
                                        ; implicit-def: $sgpr14_sgpr15
	s_branch .LBB64_285
.LBB64_536:
	s_mov_b64 s[16:17], -1
                                        ; implicit-def: $sgpr14_sgpr15
	s_branch .LBB64_300
.LBB64_537:
	s_mov_b64 s[16:17], -1
                                        ; implicit-def: $sgpr14_sgpr15
	s_branch .LBB64_315
.LBB64_538:
	s_mov_b64 s[16:17], -1
                                        ; implicit-def: $sgpr14_sgpr15
	s_branch .LBB64_330
.LBB64_539:
	s_mov_b64 s[16:17], -1
                                        ; implicit-def: $sgpr14_sgpr15
	s_branch .LBB64_345
.LBB64_540:
	s_mov_b64 s[16:17], -1
                                        ; implicit-def: $sgpr14_sgpr15
	s_branch .LBB64_360
.LBB64_541:
	s_mov_b64 s[16:17], -1
                                        ; implicit-def: $sgpr14_sgpr15
	s_branch .LBB64_375
.LBB64_542:
	s_mov_b64 s[16:17], -1
                                        ; implicit-def: $sgpr14_sgpr15
	s_branch .LBB64_390
.LBB64_543:
	s_mov_b64 s[16:17], -1
                                        ; implicit-def: $sgpr14_sgpr15
	s_branch .LBB64_405
.LBB64_544:
	s_mov_b64 s[16:17], -1
                                        ; implicit-def: $sgpr14_sgpr15
	s_branch .LBB64_420
.LBB64_545:
	s_mov_b64 s[16:17], -1
                                        ; implicit-def: $sgpr14_sgpr15
	s_branch .LBB64_435
.LBB64_546:
	s_mov_b64 s[16:17], -1
                                        ; implicit-def: $sgpr14_sgpr15
	s_branch .LBB64_450
.LBB64_547:
	s_mov_b64 s[16:17], -1
                                        ; implicit-def: $sgpr14_sgpr15
	s_branch .LBB64_465
.LBB64_548:
	s_mov_b64 s[16:17], -1
                                        ; implicit-def: $sgpr14_sgpr15
	s_branch .LBB64_480
.LBB64_549:
	s_mov_b64 s[16:17], -1
                                        ; implicit-def: $sgpr14_sgpr15
	s_branch .LBB64_495
	.section	.rodata,"a",@progbits
	.p2align	6, 0x0
	.amdhsa_kernel _ZN2at6native29vectorized_elementwise_kernelILi16EZNS0_21compare_scalar_kernelIsEEvRNS_18TensorIteratorBaseENS0_12_GLOBAL__N_16OpTypeET_EUlsE_St5arrayIPcLm2EEEEviT0_T1_
		.amdhsa_group_segment_fixed_size 0
		.amdhsa_private_segment_fixed_size 0
		.amdhsa_kernarg_size 32
		.amdhsa_user_sgpr_count 6
		.amdhsa_user_sgpr_private_segment_buffer 1
		.amdhsa_user_sgpr_dispatch_ptr 0
		.amdhsa_user_sgpr_queue_ptr 0
		.amdhsa_user_sgpr_kernarg_segment_ptr 1
		.amdhsa_user_sgpr_dispatch_id 0
		.amdhsa_user_sgpr_flat_scratch_init 0
		.amdhsa_user_sgpr_private_segment_size 0
		.amdhsa_uses_dynamic_stack 0
		.amdhsa_system_sgpr_private_segment_wavefront_offset 0
		.amdhsa_system_sgpr_workgroup_id_x 1
		.amdhsa_system_sgpr_workgroup_id_y 0
		.amdhsa_system_sgpr_workgroup_id_z 0
		.amdhsa_system_sgpr_workgroup_info 0
		.amdhsa_system_vgpr_workitem_id 0
		.amdhsa_next_free_vgpr 22
		.amdhsa_next_free_sgpr 50
		.amdhsa_reserve_vcc 1
		.amdhsa_reserve_flat_scratch 0
		.amdhsa_float_round_mode_32 0
		.amdhsa_float_round_mode_16_64 0
		.amdhsa_float_denorm_mode_32 3
		.amdhsa_float_denorm_mode_16_64 3
		.amdhsa_dx10_clamp 1
		.amdhsa_ieee_mode 1
		.amdhsa_fp16_overflow 0
		.amdhsa_exception_fp_ieee_invalid_op 0
		.amdhsa_exception_fp_denorm_src 0
		.amdhsa_exception_fp_ieee_div_zero 0
		.amdhsa_exception_fp_ieee_overflow 0
		.amdhsa_exception_fp_ieee_underflow 0
		.amdhsa_exception_fp_ieee_inexact 0
		.amdhsa_exception_int_div_zero 0
	.end_amdhsa_kernel
	.section	.text._ZN2at6native29vectorized_elementwise_kernelILi16EZNS0_21compare_scalar_kernelIsEEvRNS_18TensorIteratorBaseENS0_12_GLOBAL__N_16OpTypeET_EUlsE_St5arrayIPcLm2EEEEviT0_T1_,"axG",@progbits,_ZN2at6native29vectorized_elementwise_kernelILi16EZNS0_21compare_scalar_kernelIsEEvRNS_18TensorIteratorBaseENS0_12_GLOBAL__N_16OpTypeET_EUlsE_St5arrayIPcLm2EEEEviT0_T1_,comdat
.Lfunc_end64:
	.size	_ZN2at6native29vectorized_elementwise_kernelILi16EZNS0_21compare_scalar_kernelIsEEvRNS_18TensorIteratorBaseENS0_12_GLOBAL__N_16OpTypeET_EUlsE_St5arrayIPcLm2EEEEviT0_T1_, .Lfunc_end64-_ZN2at6native29vectorized_elementwise_kernelILi16EZNS0_21compare_scalar_kernelIsEEvRNS_18TensorIteratorBaseENS0_12_GLOBAL__N_16OpTypeET_EUlsE_St5arrayIPcLm2EEEEviT0_T1_
                                        ; -- End function
	.set _ZN2at6native29vectorized_elementwise_kernelILi16EZNS0_21compare_scalar_kernelIsEEvRNS_18TensorIteratorBaseENS0_12_GLOBAL__N_16OpTypeET_EUlsE_St5arrayIPcLm2EEEEviT0_T1_.num_vgpr, 22
	.set _ZN2at6native29vectorized_elementwise_kernelILi16EZNS0_21compare_scalar_kernelIsEEvRNS_18TensorIteratorBaseENS0_12_GLOBAL__N_16OpTypeET_EUlsE_St5arrayIPcLm2EEEEviT0_T1_.num_agpr, 0
	.set _ZN2at6native29vectorized_elementwise_kernelILi16EZNS0_21compare_scalar_kernelIsEEvRNS_18TensorIteratorBaseENS0_12_GLOBAL__N_16OpTypeET_EUlsE_St5arrayIPcLm2EEEEviT0_T1_.numbered_sgpr, 50
	.set _ZN2at6native29vectorized_elementwise_kernelILi16EZNS0_21compare_scalar_kernelIsEEvRNS_18TensorIteratorBaseENS0_12_GLOBAL__N_16OpTypeET_EUlsE_St5arrayIPcLm2EEEEviT0_T1_.num_named_barrier, 0
	.set _ZN2at6native29vectorized_elementwise_kernelILi16EZNS0_21compare_scalar_kernelIsEEvRNS_18TensorIteratorBaseENS0_12_GLOBAL__N_16OpTypeET_EUlsE_St5arrayIPcLm2EEEEviT0_T1_.private_seg_size, 0
	.set _ZN2at6native29vectorized_elementwise_kernelILi16EZNS0_21compare_scalar_kernelIsEEvRNS_18TensorIteratorBaseENS0_12_GLOBAL__N_16OpTypeET_EUlsE_St5arrayIPcLm2EEEEviT0_T1_.uses_vcc, 1
	.set _ZN2at6native29vectorized_elementwise_kernelILi16EZNS0_21compare_scalar_kernelIsEEvRNS_18TensorIteratorBaseENS0_12_GLOBAL__N_16OpTypeET_EUlsE_St5arrayIPcLm2EEEEviT0_T1_.uses_flat_scratch, 0
	.set _ZN2at6native29vectorized_elementwise_kernelILi16EZNS0_21compare_scalar_kernelIsEEvRNS_18TensorIteratorBaseENS0_12_GLOBAL__N_16OpTypeET_EUlsE_St5arrayIPcLm2EEEEviT0_T1_.has_dyn_sized_stack, 0
	.set _ZN2at6native29vectorized_elementwise_kernelILi16EZNS0_21compare_scalar_kernelIsEEvRNS_18TensorIteratorBaseENS0_12_GLOBAL__N_16OpTypeET_EUlsE_St5arrayIPcLm2EEEEviT0_T1_.has_recursion, 0
	.set _ZN2at6native29vectorized_elementwise_kernelILi16EZNS0_21compare_scalar_kernelIsEEvRNS_18TensorIteratorBaseENS0_12_GLOBAL__N_16OpTypeET_EUlsE_St5arrayIPcLm2EEEEviT0_T1_.has_indirect_call, 0
	.section	.AMDGPU.csdata,"",@progbits
; Kernel info:
; codeLenInByte = 8900
; TotalNumSgprs: 54
; NumVgprs: 22
; ScratchSize: 0
; MemoryBound: 0
; FloatMode: 240
; IeeeMode: 1
; LDSByteSize: 0 bytes/workgroup (compile time only)
; SGPRBlocks: 6
; VGPRBlocks: 5
; NumSGPRsForWavesPerEU: 54
; NumVGPRsForWavesPerEU: 22
; Occupancy: 10
; WaveLimiterHint : 0
; COMPUTE_PGM_RSRC2:SCRATCH_EN: 0
; COMPUTE_PGM_RSRC2:USER_SGPR: 6
; COMPUTE_PGM_RSRC2:TRAP_HANDLER: 0
; COMPUTE_PGM_RSRC2:TGID_X_EN: 1
; COMPUTE_PGM_RSRC2:TGID_Y_EN: 0
; COMPUTE_PGM_RSRC2:TGID_Z_EN: 0
; COMPUTE_PGM_RSRC2:TIDIG_COMP_CNT: 0
	.section	.text._ZN2at6native29vectorized_elementwise_kernelILi8EZNS0_21compare_scalar_kernelIsEEvRNS_18TensorIteratorBaseENS0_12_GLOBAL__N_16OpTypeET_EUlsE_St5arrayIPcLm2EEEEviT0_T1_,"axG",@progbits,_ZN2at6native29vectorized_elementwise_kernelILi8EZNS0_21compare_scalar_kernelIsEEvRNS_18TensorIteratorBaseENS0_12_GLOBAL__N_16OpTypeET_EUlsE_St5arrayIPcLm2EEEEviT0_T1_,comdat
	.globl	_ZN2at6native29vectorized_elementwise_kernelILi8EZNS0_21compare_scalar_kernelIsEEvRNS_18TensorIteratorBaseENS0_12_GLOBAL__N_16OpTypeET_EUlsE_St5arrayIPcLm2EEEEviT0_T1_ ; -- Begin function _ZN2at6native29vectorized_elementwise_kernelILi8EZNS0_21compare_scalar_kernelIsEEvRNS_18TensorIteratorBaseENS0_12_GLOBAL__N_16OpTypeET_EUlsE_St5arrayIPcLm2EEEEviT0_T1_
	.p2align	8
	.type	_ZN2at6native29vectorized_elementwise_kernelILi8EZNS0_21compare_scalar_kernelIsEEvRNS_18TensorIteratorBaseENS0_12_GLOBAL__N_16OpTypeET_EUlsE_St5arrayIPcLm2EEEEviT0_T1_,@function
_ZN2at6native29vectorized_elementwise_kernelILi8EZNS0_21compare_scalar_kernelIsEEvRNS_18TensorIteratorBaseENS0_12_GLOBAL__N_16OpTypeET_EUlsE_St5arrayIPcLm2EEEEviT0_T1_: ; @_ZN2at6native29vectorized_elementwise_kernelILi8EZNS0_21compare_scalar_kernelIsEEvRNS_18TensorIteratorBaseENS0_12_GLOBAL__N_16OpTypeET_EUlsE_St5arrayIPcLm2EEEEviT0_T1_
; %bb.0:
	s_load_dwordx8 s[8:15], s[4:5], 0x0
	s_lshl_b32 s2, s6, 12
	s_mov_b64 s[0:1], -1
	s_waitcnt lgkmcnt(0)
	s_sub_i32 s8, s8, s2
	s_cmpk_gt_i32 s8, 0xfff
	s_cbranch_scc0 .LBB65_211
; %bb.1:
	s_ashr_i32 s3, s2, 31
	s_lshl_b64 s[0:1], s[2:3], 1
	s_add_u32 s0, s14, s0
	s_addc_u32 s1, s15, s1
	v_lshlrev_b32_e32 v11, 4, v0
	v_mov_b32_e32 v1, s1
	v_add_co_u32_e32 v2, vcc, s0, v11
	v_addc_co_u32_e32 v1, vcc, 0, v1, vcc
	v_add_co_u32_e32 v9, vcc, 0x1000, v2
	v_addc_co_u32_e32 v10, vcc, 0, v1, vcc
	global_load_dwordx4 v[5:8], v11, s[0:1]
	global_load_dwordx4 v[1:4], v[9:10], off
	s_cmp_lt_i32 s9, 1
	s_mov_b64 s[4:5], 0
	s_cbranch_scc1 .LBB65_5
; %bb.2:
	s_cmp_gt_i32 s9, 1
	s_cbranch_scc0 .LBB65_6
; %bb.3:
	s_cmp_eq_u32 s9, 2
	s_cbranch_scc0 .LBB65_7
; %bb.4:
	s_waitcnt vmcnt(1)
	v_cmp_ge_i16_e64 s[0:1], s10, v5
	s_mov_b64 s[6:7], 0
	s_branch .LBB65_8
.LBB65_5:
                                        ; implicit-def: $sgpr0_sgpr1
	s_mov_b64 s[6:7], 0
	s_cbranch_execnz .LBB65_11
	s_branch .LBB65_12
.LBB65_6:
	s_mov_b64 s[6:7], 0
                                        ; implicit-def: $sgpr0_sgpr1
	s_cbranch_execnz .LBB65_9
	s_branch .LBB65_10
.LBB65_7:
	s_mov_b64 s[6:7], -1
                                        ; implicit-def: $sgpr0_sgpr1
.LBB65_8:
	s_branch .LBB65_10
.LBB65_9:
	s_waitcnt vmcnt(1)
	v_cmp_lt_i16_e32 vcc, s10, v5
	s_andn2_b64 s[0:1], s[0:1], exec
	s_and_b64 s[16:17], vcc, exec
	s_or_b64 s[0:1], s[0:1], s[16:17]
.LBB65_10:
	s_branch .LBB65_12
.LBB65_11:
	s_cmp_lg_u32 s9, 0
	s_mov_b64 s[4:5], -1
	s_cselect_b64 s[6:7], -1, 0
.LBB65_12:
	s_andn2_b64 vcc, exec, s[6:7]
	s_cbranch_vccz .LBB65_18
; %bb.13:
	s_andn2_b64 vcc, exec, s[4:5]
	s_cbranch_vccz .LBB65_19
.LBB65_14:
	s_cmp_lt_i32 s9, 1
	s_mov_b64 s[6:7], 0
	s_cbranch_scc1 .LBB65_20
.LBB65_15:
	s_cmp_gt_i32 s9, 1
	s_cbranch_scc0 .LBB65_21
; %bb.16:
	s_cmp_eq_u32 s9, 2
	s_cbranch_scc0 .LBB65_251
; %bb.17:
	s_waitcnt vmcnt(1)
	v_cmp_le_i16_sdwa s[4:5], v5, s10 src0_sel:WORD_1 src1_sel:DWORD
	s_mov_b64 s[16:17], 0
	s_branch .LBB65_23
.LBB65_18:
	s_waitcnt vmcnt(1)
	v_cmp_gt_i16_e32 vcc, s10, v5
	s_andn2_b64 s[0:1], s[0:1], exec
	s_and_b64 s[6:7], vcc, exec
	s_or_b64 s[0:1], s[0:1], s[6:7]
	s_cbranch_execnz .LBB65_14
.LBB65_19:
	s_waitcnt vmcnt(1)
	v_cmp_le_i16_e32 vcc, s10, v5
	s_andn2_b64 s[0:1], s[0:1], exec
	s_and_b64 s[4:5], vcc, exec
	s_or_b64 s[0:1], s[0:1], s[4:5]
	s_cmp_lt_i32 s9, 1
	s_mov_b64 s[6:7], 0
	s_cbranch_scc0 .LBB65_15
.LBB65_20:
                                        ; implicit-def: $sgpr4_sgpr5
	s_mov_b64 s[16:17], 0
	s_cbranch_execnz .LBB65_24
	s_branch .LBB65_25
.LBB65_21:
	s_mov_b64 s[16:17], 0
                                        ; implicit-def: $sgpr4_sgpr5
	s_cbranch_execz .LBB65_23
; %bb.22:
	s_waitcnt vmcnt(1)
	v_cmp_gt_i16_sdwa s[18:19], v5, s10 src0_sel:WORD_1 src1_sel:DWORD
	s_andn2_b64 s[4:5], s[4:5], exec
	s_and_b64 s[18:19], s[18:19], exec
	s_or_b64 s[4:5], s[4:5], s[18:19]
.LBB65_23:
	s_branch .LBB65_25
.LBB65_24:
	s_cmp_lg_u32 s9, 0
	s_mov_b64 s[6:7], -1
	s_cselect_b64 s[16:17], -1, 0
.LBB65_25:
	s_andn2_b64 vcc, exec, s[16:17]
	s_cbranch_vccz .LBB65_31
; %bb.26:
	s_andn2_b64 vcc, exec, s[6:7]
	s_cbranch_vccz .LBB65_32
.LBB65_27:
	s_cmp_lt_i32 s9, 1
	s_mov_b64 s[16:17], 0
	s_cbranch_scc1 .LBB65_33
.LBB65_28:
	s_cmp_gt_i32 s9, 1
	s_cbranch_scc0 .LBB65_34
; %bb.29:
	s_cmp_eq_u32 s9, 2
	s_cbranch_scc0 .LBB65_252
; %bb.30:
	s_waitcnt vmcnt(1)
	v_cmp_ge_i16_e64 s[6:7], s10, v6
	s_mov_b64 s[18:19], 0
	s_branch .LBB65_36
.LBB65_31:
	s_waitcnt vmcnt(1)
	v_cmp_lt_i16_sdwa s[16:17], v5, s10 src0_sel:WORD_1 src1_sel:DWORD
	s_andn2_b64 s[4:5], s[4:5], exec
	s_and_b64 s[16:17], s[16:17], exec
	s_or_b64 s[4:5], s[4:5], s[16:17]
	s_cbranch_execnz .LBB65_27
.LBB65_32:
	s_waitcnt vmcnt(1)
	v_cmp_ge_i16_sdwa s[6:7], v5, s10 src0_sel:WORD_1 src1_sel:DWORD
	s_andn2_b64 s[4:5], s[4:5], exec
	s_and_b64 s[6:7], s[6:7], exec
	s_or_b64 s[4:5], s[4:5], s[6:7]
	s_cmp_lt_i32 s9, 1
	s_mov_b64 s[16:17], 0
	s_cbranch_scc0 .LBB65_28
.LBB65_33:
                                        ; implicit-def: $sgpr6_sgpr7
	s_mov_b64 s[18:19], 0
	s_cbranch_execnz .LBB65_37
	s_branch .LBB65_38
.LBB65_34:
	s_mov_b64 s[18:19], 0
                                        ; implicit-def: $sgpr6_sgpr7
	s_cbranch_execz .LBB65_36
; %bb.35:
	s_waitcnt vmcnt(1)
	v_cmp_lt_i16_e32 vcc, s10, v6
	s_andn2_b64 s[6:7], s[6:7], exec
	s_and_b64 s[20:21], vcc, exec
	s_or_b64 s[6:7], s[6:7], s[20:21]
.LBB65_36:
	s_branch .LBB65_38
.LBB65_37:
	s_cmp_lg_u32 s9, 0
	s_mov_b64 s[16:17], -1
	s_cselect_b64 s[18:19], -1, 0
.LBB65_38:
	s_andn2_b64 vcc, exec, s[18:19]
	s_cbranch_vccz .LBB65_44
; %bb.39:
	s_andn2_b64 vcc, exec, s[16:17]
	s_cbranch_vccz .LBB65_45
.LBB65_40:
	s_cmp_lt_i32 s9, 1
	s_mov_b64 s[18:19], 0
	s_cbranch_scc1 .LBB65_46
.LBB65_41:
	s_cmp_gt_i32 s9, 1
	s_cbranch_scc0 .LBB65_47
; %bb.42:
	s_cmp_eq_u32 s9, 2
	s_cbranch_scc0 .LBB65_253
; %bb.43:
	s_waitcnt vmcnt(1)
	v_cmp_le_i16_sdwa s[16:17], v6, s10 src0_sel:WORD_1 src1_sel:DWORD
	s_mov_b64 s[20:21], 0
	s_branch .LBB65_49
.LBB65_44:
	s_waitcnt vmcnt(1)
	v_cmp_gt_i16_e32 vcc, s10, v6
	s_andn2_b64 s[6:7], s[6:7], exec
	s_and_b64 s[18:19], vcc, exec
	s_or_b64 s[6:7], s[6:7], s[18:19]
	s_cbranch_execnz .LBB65_40
.LBB65_45:
	s_waitcnt vmcnt(1)
	v_cmp_le_i16_e32 vcc, s10, v6
	s_andn2_b64 s[6:7], s[6:7], exec
	s_and_b64 s[16:17], vcc, exec
	s_or_b64 s[6:7], s[6:7], s[16:17]
	s_cmp_lt_i32 s9, 1
	s_mov_b64 s[18:19], 0
	s_cbranch_scc0 .LBB65_41
.LBB65_46:
                                        ; implicit-def: $sgpr16_sgpr17
	s_mov_b64 s[20:21], 0
	s_cbranch_execnz .LBB65_50
	s_branch .LBB65_51
.LBB65_47:
	s_mov_b64 s[20:21], 0
                                        ; implicit-def: $sgpr16_sgpr17
	s_cbranch_execz .LBB65_49
; %bb.48:
	s_waitcnt vmcnt(1)
	v_cmp_gt_i16_sdwa s[22:23], v6, s10 src0_sel:WORD_1 src1_sel:DWORD
	s_andn2_b64 s[16:17], s[16:17], exec
	s_and_b64 s[22:23], s[22:23], exec
	s_or_b64 s[16:17], s[16:17], s[22:23]
.LBB65_49:
	s_branch .LBB65_51
.LBB65_50:
	s_cmp_lg_u32 s9, 0
	s_mov_b64 s[18:19], -1
	s_cselect_b64 s[20:21], -1, 0
.LBB65_51:
	s_andn2_b64 vcc, exec, s[20:21]
	s_cbranch_vccz .LBB65_57
; %bb.52:
	s_andn2_b64 vcc, exec, s[18:19]
	s_cbranch_vccz .LBB65_58
.LBB65_53:
	s_cmp_lt_i32 s9, 1
	s_mov_b64 s[20:21], 0
	s_cbranch_scc1 .LBB65_59
.LBB65_54:
	s_cmp_gt_i32 s9, 1
	s_cbranch_scc0 .LBB65_60
; %bb.55:
	s_cmp_eq_u32 s9, 2
	s_cbranch_scc0 .LBB65_254
; %bb.56:
	s_waitcnt vmcnt(1)
	v_cmp_ge_i16_e64 s[18:19], s10, v7
	s_mov_b64 s[22:23], 0
	s_branch .LBB65_62
.LBB65_57:
	s_waitcnt vmcnt(1)
	v_cmp_lt_i16_sdwa s[20:21], v6, s10 src0_sel:WORD_1 src1_sel:DWORD
	s_andn2_b64 s[16:17], s[16:17], exec
	s_and_b64 s[20:21], s[20:21], exec
	s_or_b64 s[16:17], s[16:17], s[20:21]
	s_cbranch_execnz .LBB65_53
.LBB65_58:
	s_waitcnt vmcnt(1)
	v_cmp_ge_i16_sdwa s[18:19], v6, s10 src0_sel:WORD_1 src1_sel:DWORD
	s_andn2_b64 s[16:17], s[16:17], exec
	s_and_b64 s[18:19], s[18:19], exec
	s_or_b64 s[16:17], s[16:17], s[18:19]
	s_cmp_lt_i32 s9, 1
	s_mov_b64 s[20:21], 0
	s_cbranch_scc0 .LBB65_54
.LBB65_59:
                                        ; implicit-def: $sgpr18_sgpr19
	s_mov_b64 s[22:23], 0
	s_cbranch_execnz .LBB65_63
	s_branch .LBB65_64
.LBB65_60:
	s_mov_b64 s[22:23], 0
                                        ; implicit-def: $sgpr18_sgpr19
	s_cbranch_execz .LBB65_62
; %bb.61:
	s_waitcnt vmcnt(1)
	v_cmp_lt_i16_e32 vcc, s10, v7
	s_andn2_b64 s[18:19], s[18:19], exec
	s_and_b64 s[24:25], vcc, exec
	s_or_b64 s[18:19], s[18:19], s[24:25]
.LBB65_62:
	s_branch .LBB65_64
.LBB65_63:
	s_cmp_lg_u32 s9, 0
	s_mov_b64 s[20:21], -1
	s_cselect_b64 s[22:23], -1, 0
.LBB65_64:
	s_andn2_b64 vcc, exec, s[22:23]
	s_cbranch_vccz .LBB65_70
; %bb.65:
	s_andn2_b64 vcc, exec, s[20:21]
	s_cbranch_vccz .LBB65_71
.LBB65_66:
	s_cmp_lt_i32 s9, 1
	s_mov_b64 s[22:23], 0
	s_cbranch_scc1 .LBB65_72
.LBB65_67:
	s_cmp_gt_i32 s9, 1
	s_cbranch_scc0 .LBB65_73
; %bb.68:
	s_cmp_eq_u32 s9, 2
	s_cbranch_scc0 .LBB65_255
; %bb.69:
	s_waitcnt vmcnt(1)
	v_cmp_le_i16_sdwa s[20:21], v7, s10 src0_sel:WORD_1 src1_sel:DWORD
	s_mov_b64 s[24:25], 0
	s_branch .LBB65_75
.LBB65_70:
	s_waitcnt vmcnt(1)
	v_cmp_gt_i16_e32 vcc, s10, v7
	s_andn2_b64 s[18:19], s[18:19], exec
	s_and_b64 s[22:23], vcc, exec
	s_or_b64 s[18:19], s[18:19], s[22:23]
	s_cbranch_execnz .LBB65_66
.LBB65_71:
	s_waitcnt vmcnt(1)
	v_cmp_le_i16_e32 vcc, s10, v7
	s_andn2_b64 s[18:19], s[18:19], exec
	s_and_b64 s[20:21], vcc, exec
	s_or_b64 s[18:19], s[18:19], s[20:21]
	s_cmp_lt_i32 s9, 1
	s_mov_b64 s[22:23], 0
	s_cbranch_scc0 .LBB65_67
.LBB65_72:
                                        ; implicit-def: $sgpr20_sgpr21
	s_mov_b64 s[24:25], 0
	s_cbranch_execnz .LBB65_76
	s_branch .LBB65_77
.LBB65_73:
	s_mov_b64 s[24:25], 0
                                        ; implicit-def: $sgpr20_sgpr21
	s_cbranch_execz .LBB65_75
; %bb.74:
	s_waitcnt vmcnt(1)
	v_cmp_gt_i16_sdwa s[26:27], v7, s10 src0_sel:WORD_1 src1_sel:DWORD
	s_andn2_b64 s[20:21], s[20:21], exec
	s_and_b64 s[26:27], s[26:27], exec
	s_or_b64 s[20:21], s[20:21], s[26:27]
.LBB65_75:
	s_branch .LBB65_77
.LBB65_76:
	s_cmp_lg_u32 s9, 0
	s_mov_b64 s[22:23], -1
	s_cselect_b64 s[24:25], -1, 0
.LBB65_77:
	s_andn2_b64 vcc, exec, s[24:25]
	s_cbranch_vccz .LBB65_83
; %bb.78:
	s_andn2_b64 vcc, exec, s[22:23]
	s_cbranch_vccz .LBB65_84
.LBB65_79:
	s_cmp_lt_i32 s9, 1
	s_mov_b64 s[24:25], 0
	s_cbranch_scc1 .LBB65_85
.LBB65_80:
	s_cmp_gt_i32 s9, 1
	s_cbranch_scc0 .LBB65_86
; %bb.81:
	s_cmp_eq_u32 s9, 2
	s_cbranch_scc0 .LBB65_256
; %bb.82:
	s_waitcnt vmcnt(1)
	v_cmp_ge_i16_e64 s[22:23], s10, v8
	s_mov_b64 s[26:27], 0
	s_branch .LBB65_88
.LBB65_83:
	s_waitcnt vmcnt(1)
	v_cmp_lt_i16_sdwa s[24:25], v7, s10 src0_sel:WORD_1 src1_sel:DWORD
	s_andn2_b64 s[20:21], s[20:21], exec
	s_and_b64 s[24:25], s[24:25], exec
	s_or_b64 s[20:21], s[20:21], s[24:25]
	s_cbranch_execnz .LBB65_79
.LBB65_84:
	s_waitcnt vmcnt(1)
	v_cmp_ge_i16_sdwa s[22:23], v7, s10 src0_sel:WORD_1 src1_sel:DWORD
	s_andn2_b64 s[20:21], s[20:21], exec
	s_and_b64 s[22:23], s[22:23], exec
	s_or_b64 s[20:21], s[20:21], s[22:23]
	s_cmp_lt_i32 s9, 1
	s_mov_b64 s[24:25], 0
	s_cbranch_scc0 .LBB65_80
.LBB65_85:
                                        ; implicit-def: $sgpr22_sgpr23
	s_mov_b64 s[26:27], 0
	s_cbranch_execnz .LBB65_89
	s_branch .LBB65_90
.LBB65_86:
	s_mov_b64 s[26:27], 0
                                        ; implicit-def: $sgpr22_sgpr23
	s_cbranch_execz .LBB65_88
; %bb.87:
	s_waitcnt vmcnt(1)
	v_cmp_lt_i16_e32 vcc, s10, v8
	s_andn2_b64 s[22:23], s[22:23], exec
	s_and_b64 s[28:29], vcc, exec
	s_or_b64 s[22:23], s[22:23], s[28:29]
.LBB65_88:
	s_branch .LBB65_90
.LBB65_89:
	s_cmp_lg_u32 s9, 0
	s_mov_b64 s[24:25], -1
	s_cselect_b64 s[26:27], -1, 0
.LBB65_90:
	s_andn2_b64 vcc, exec, s[26:27]
	s_cbranch_vccz .LBB65_96
; %bb.91:
	s_andn2_b64 vcc, exec, s[24:25]
	s_cbranch_vccz .LBB65_97
.LBB65_92:
	s_cmp_lt_i32 s9, 1
	s_mov_b64 s[26:27], 0
	s_cbranch_scc1 .LBB65_98
.LBB65_93:
	s_cmp_gt_i32 s9, 1
	s_cbranch_scc0 .LBB65_99
; %bb.94:
	s_cmp_eq_u32 s9, 2
	s_cbranch_scc0 .LBB65_257
; %bb.95:
	s_waitcnt vmcnt(1)
	v_cmp_le_i16_sdwa s[24:25], v8, s10 src0_sel:WORD_1 src1_sel:DWORD
	s_mov_b64 s[28:29], 0
	s_branch .LBB65_101
.LBB65_96:
	s_waitcnt vmcnt(1)
	v_cmp_gt_i16_e32 vcc, s10, v8
	s_andn2_b64 s[22:23], s[22:23], exec
	s_and_b64 s[26:27], vcc, exec
	s_or_b64 s[22:23], s[22:23], s[26:27]
	s_cbranch_execnz .LBB65_92
.LBB65_97:
	s_waitcnt vmcnt(1)
	v_cmp_le_i16_e32 vcc, s10, v8
	s_andn2_b64 s[22:23], s[22:23], exec
	s_and_b64 s[24:25], vcc, exec
	s_or_b64 s[22:23], s[22:23], s[24:25]
	s_cmp_lt_i32 s9, 1
	s_mov_b64 s[26:27], 0
	s_cbranch_scc0 .LBB65_93
.LBB65_98:
                                        ; implicit-def: $sgpr24_sgpr25
	s_mov_b64 s[28:29], 0
	s_cbranch_execnz .LBB65_102
	s_branch .LBB65_103
.LBB65_99:
	s_mov_b64 s[28:29], 0
                                        ; implicit-def: $sgpr24_sgpr25
	s_cbranch_execz .LBB65_101
; %bb.100:
	s_waitcnt vmcnt(1)
	v_cmp_gt_i16_sdwa s[30:31], v8, s10 src0_sel:WORD_1 src1_sel:DWORD
	s_andn2_b64 s[24:25], s[24:25], exec
	s_and_b64 s[30:31], s[30:31], exec
	s_or_b64 s[24:25], s[24:25], s[30:31]
.LBB65_101:
	s_branch .LBB65_103
.LBB65_102:
	s_cmp_lg_u32 s9, 0
	s_mov_b64 s[26:27], -1
	s_cselect_b64 s[28:29], -1, 0
.LBB65_103:
	s_andn2_b64 vcc, exec, s[28:29]
	s_cbranch_vccz .LBB65_109
; %bb.104:
	s_andn2_b64 vcc, exec, s[26:27]
	s_cbranch_vccz .LBB65_110
.LBB65_105:
	s_cmp_lt_i32 s9, 1
	s_mov_b64 s[28:29], 0
	s_cbranch_scc1 .LBB65_111
.LBB65_106:
	s_cmp_gt_i32 s9, 1
	s_cbranch_scc0 .LBB65_112
; %bb.107:
	s_cmp_eq_u32 s9, 2
	s_cbranch_scc0 .LBB65_258
; %bb.108:
	s_waitcnt vmcnt(0)
	v_cmp_ge_i16_e64 s[26:27], s10, v1
	s_mov_b64 s[30:31], 0
	s_branch .LBB65_114
.LBB65_109:
	s_waitcnt vmcnt(1)
	v_cmp_lt_i16_sdwa s[28:29], v8, s10 src0_sel:WORD_1 src1_sel:DWORD
	s_andn2_b64 s[24:25], s[24:25], exec
	s_and_b64 s[28:29], s[28:29], exec
	s_or_b64 s[24:25], s[24:25], s[28:29]
	s_cbranch_execnz .LBB65_105
.LBB65_110:
	s_waitcnt vmcnt(1)
	v_cmp_ge_i16_sdwa s[26:27], v8, s10 src0_sel:WORD_1 src1_sel:DWORD
	s_andn2_b64 s[24:25], s[24:25], exec
	s_and_b64 s[26:27], s[26:27], exec
	s_or_b64 s[24:25], s[24:25], s[26:27]
	s_cmp_lt_i32 s9, 1
	s_mov_b64 s[28:29], 0
	s_cbranch_scc0 .LBB65_106
.LBB65_111:
                                        ; implicit-def: $sgpr26_sgpr27
	s_mov_b64 s[30:31], 0
	s_cbranch_execnz .LBB65_115
	s_branch .LBB65_116
.LBB65_112:
	s_mov_b64 s[30:31], 0
                                        ; implicit-def: $sgpr26_sgpr27
	s_cbranch_execz .LBB65_114
; %bb.113:
	s_waitcnt vmcnt(0)
	v_cmp_lt_i16_e32 vcc, s10, v1
	s_andn2_b64 s[26:27], s[26:27], exec
	s_and_b64 s[34:35], vcc, exec
	s_or_b64 s[26:27], s[26:27], s[34:35]
.LBB65_114:
	s_branch .LBB65_116
.LBB65_115:
	s_cmp_lg_u32 s9, 0
	s_mov_b64 s[28:29], -1
	s_cselect_b64 s[30:31], -1, 0
.LBB65_116:
	s_andn2_b64 vcc, exec, s[30:31]
	s_cbranch_vccz .LBB65_122
; %bb.117:
	s_andn2_b64 vcc, exec, s[28:29]
	s_cbranch_vccz .LBB65_123
.LBB65_118:
	s_cmp_lt_i32 s9, 1
	s_mov_b64 s[30:31], 0
	s_cbranch_scc1 .LBB65_124
.LBB65_119:
	s_cmp_gt_i32 s9, 1
	s_cbranch_scc0 .LBB65_125
; %bb.120:
	s_cmp_eq_u32 s9, 2
	s_cbranch_scc0 .LBB65_259
; %bb.121:
	s_waitcnt vmcnt(0)
	v_cmp_le_i16_sdwa s[28:29], v1, s10 src0_sel:WORD_1 src1_sel:DWORD
	s_mov_b64 s[34:35], 0
	s_branch .LBB65_127
.LBB65_122:
	s_waitcnt vmcnt(0)
	v_cmp_gt_i16_e32 vcc, s10, v1
	s_andn2_b64 s[26:27], s[26:27], exec
	s_and_b64 s[30:31], vcc, exec
	s_or_b64 s[26:27], s[26:27], s[30:31]
	s_cbranch_execnz .LBB65_118
.LBB65_123:
	s_waitcnt vmcnt(0)
	v_cmp_le_i16_e32 vcc, s10, v1
	s_andn2_b64 s[26:27], s[26:27], exec
	s_and_b64 s[28:29], vcc, exec
	s_or_b64 s[26:27], s[26:27], s[28:29]
	s_cmp_lt_i32 s9, 1
	s_mov_b64 s[30:31], 0
	s_cbranch_scc0 .LBB65_119
.LBB65_124:
                                        ; implicit-def: $sgpr28_sgpr29
	s_mov_b64 s[34:35], 0
	s_cbranch_execnz .LBB65_128
	s_branch .LBB65_129
.LBB65_125:
	s_mov_b64 s[34:35], 0
                                        ; implicit-def: $sgpr28_sgpr29
	s_cbranch_execz .LBB65_127
; %bb.126:
	s_waitcnt vmcnt(0)
	v_cmp_gt_i16_sdwa s[36:37], v1, s10 src0_sel:WORD_1 src1_sel:DWORD
	s_andn2_b64 s[28:29], s[28:29], exec
	s_and_b64 s[36:37], s[36:37], exec
	s_or_b64 s[28:29], s[28:29], s[36:37]
.LBB65_127:
	s_branch .LBB65_129
.LBB65_128:
	s_cmp_lg_u32 s9, 0
	s_mov_b64 s[30:31], -1
	s_cselect_b64 s[34:35], -1, 0
.LBB65_129:
	s_andn2_b64 vcc, exec, s[34:35]
	s_cbranch_vccz .LBB65_135
; %bb.130:
	s_andn2_b64 vcc, exec, s[30:31]
	s_cbranch_vccz .LBB65_136
.LBB65_131:
	s_cmp_lt_i32 s9, 1
	s_mov_b64 s[34:35], 0
	s_cbranch_scc1 .LBB65_137
.LBB65_132:
	s_cmp_gt_i32 s9, 1
	s_cbranch_scc0 .LBB65_138
; %bb.133:
	s_cmp_eq_u32 s9, 2
	s_cbranch_scc0 .LBB65_260
; %bb.134:
	s_waitcnt vmcnt(0)
	v_cmp_ge_i16_e64 s[30:31], s10, v2
	s_mov_b64 s[36:37], 0
	s_branch .LBB65_140
.LBB65_135:
	s_waitcnt vmcnt(0)
	v_cmp_lt_i16_sdwa s[34:35], v1, s10 src0_sel:WORD_1 src1_sel:DWORD
	s_andn2_b64 s[28:29], s[28:29], exec
	s_and_b64 s[34:35], s[34:35], exec
	s_or_b64 s[28:29], s[28:29], s[34:35]
	s_cbranch_execnz .LBB65_131
.LBB65_136:
	s_waitcnt vmcnt(0)
	v_cmp_ge_i16_sdwa s[30:31], v1, s10 src0_sel:WORD_1 src1_sel:DWORD
	s_andn2_b64 s[28:29], s[28:29], exec
	s_and_b64 s[30:31], s[30:31], exec
	s_or_b64 s[28:29], s[28:29], s[30:31]
	s_cmp_lt_i32 s9, 1
	s_mov_b64 s[34:35], 0
	s_cbranch_scc0 .LBB65_132
.LBB65_137:
                                        ; implicit-def: $sgpr30_sgpr31
	s_mov_b64 s[36:37], 0
	s_cbranch_execnz .LBB65_141
	s_branch .LBB65_142
.LBB65_138:
	s_mov_b64 s[36:37], 0
                                        ; implicit-def: $sgpr30_sgpr31
	s_cbranch_execz .LBB65_140
; %bb.139:
	s_waitcnt vmcnt(0)
	v_cmp_lt_i16_e32 vcc, s10, v2
	s_andn2_b64 s[30:31], s[30:31], exec
	s_and_b64 s[38:39], vcc, exec
	s_or_b64 s[30:31], s[30:31], s[38:39]
.LBB65_140:
	s_branch .LBB65_142
.LBB65_141:
	s_cmp_lg_u32 s9, 0
	s_mov_b64 s[34:35], -1
	s_cselect_b64 s[36:37], -1, 0
.LBB65_142:
	s_andn2_b64 vcc, exec, s[36:37]
	s_cbranch_vccz .LBB65_148
; %bb.143:
	s_andn2_b64 vcc, exec, s[34:35]
	s_cbranch_vccz .LBB65_149
.LBB65_144:
	s_cmp_lt_i32 s9, 1
	s_mov_b64 s[36:37], 0
	s_cbranch_scc1 .LBB65_150
.LBB65_145:
	s_cmp_gt_i32 s9, 1
	s_cbranch_scc0 .LBB65_151
; %bb.146:
	s_cmp_eq_u32 s9, 2
	s_cbranch_scc0 .LBB65_261
; %bb.147:
	s_waitcnt vmcnt(0)
	v_cmp_le_i16_sdwa s[34:35], v2, s10 src0_sel:WORD_1 src1_sel:DWORD
	s_mov_b64 s[38:39], 0
	s_branch .LBB65_153
.LBB65_148:
	s_waitcnt vmcnt(0)
	v_cmp_gt_i16_e32 vcc, s10, v2
	s_andn2_b64 s[30:31], s[30:31], exec
	s_and_b64 s[36:37], vcc, exec
	s_or_b64 s[30:31], s[30:31], s[36:37]
	s_cbranch_execnz .LBB65_144
.LBB65_149:
	s_waitcnt vmcnt(0)
	v_cmp_le_i16_e32 vcc, s10, v2
	s_andn2_b64 s[30:31], s[30:31], exec
	s_and_b64 s[34:35], vcc, exec
	s_or_b64 s[30:31], s[30:31], s[34:35]
	s_cmp_lt_i32 s9, 1
	s_mov_b64 s[36:37], 0
	s_cbranch_scc0 .LBB65_145
.LBB65_150:
                                        ; implicit-def: $sgpr34_sgpr35
	s_mov_b64 s[38:39], 0
	s_cbranch_execnz .LBB65_154
	s_branch .LBB65_155
.LBB65_151:
	s_mov_b64 s[38:39], 0
                                        ; implicit-def: $sgpr34_sgpr35
	s_cbranch_execz .LBB65_153
; %bb.152:
	s_waitcnt vmcnt(0)
	v_cmp_gt_i16_sdwa s[40:41], v2, s10 src0_sel:WORD_1 src1_sel:DWORD
	s_andn2_b64 s[34:35], s[34:35], exec
	s_and_b64 s[40:41], s[40:41], exec
	s_or_b64 s[34:35], s[34:35], s[40:41]
.LBB65_153:
	s_branch .LBB65_155
.LBB65_154:
	s_cmp_lg_u32 s9, 0
	s_mov_b64 s[36:37], -1
	s_cselect_b64 s[38:39], -1, 0
.LBB65_155:
	s_andn2_b64 vcc, exec, s[38:39]
	s_cbranch_vccz .LBB65_161
; %bb.156:
	s_andn2_b64 vcc, exec, s[36:37]
	s_cbranch_vccz .LBB65_162
.LBB65_157:
	s_cmp_lt_i32 s9, 1
	s_mov_b64 s[38:39], 0
	s_cbranch_scc1 .LBB65_163
.LBB65_158:
	s_cmp_gt_i32 s9, 1
	s_cbranch_scc0 .LBB65_164
; %bb.159:
	s_cmp_eq_u32 s9, 2
	s_cbranch_scc0 .LBB65_262
; %bb.160:
	s_waitcnt vmcnt(0)
	v_cmp_ge_i16_e64 s[36:37], s10, v3
	s_mov_b64 s[40:41], 0
	s_branch .LBB65_166
.LBB65_161:
	s_waitcnt vmcnt(0)
	v_cmp_lt_i16_sdwa s[38:39], v2, s10 src0_sel:WORD_1 src1_sel:DWORD
	s_andn2_b64 s[34:35], s[34:35], exec
	s_and_b64 s[38:39], s[38:39], exec
	s_or_b64 s[34:35], s[34:35], s[38:39]
	s_cbranch_execnz .LBB65_157
.LBB65_162:
	s_waitcnt vmcnt(0)
	v_cmp_ge_i16_sdwa s[36:37], v2, s10 src0_sel:WORD_1 src1_sel:DWORD
	s_andn2_b64 s[34:35], s[34:35], exec
	s_and_b64 s[36:37], s[36:37], exec
	s_or_b64 s[34:35], s[34:35], s[36:37]
	s_cmp_lt_i32 s9, 1
	s_mov_b64 s[38:39], 0
	s_cbranch_scc0 .LBB65_158
.LBB65_163:
                                        ; implicit-def: $sgpr36_sgpr37
	s_mov_b64 s[40:41], 0
	s_cbranch_execnz .LBB65_167
	s_branch .LBB65_168
.LBB65_164:
	s_mov_b64 s[40:41], 0
                                        ; implicit-def: $sgpr36_sgpr37
	s_cbranch_execz .LBB65_166
; %bb.165:
	s_waitcnt vmcnt(0)
	v_cmp_lt_i16_e32 vcc, s10, v3
	s_andn2_b64 s[36:37], s[36:37], exec
	s_and_b64 s[42:43], vcc, exec
	s_or_b64 s[36:37], s[36:37], s[42:43]
.LBB65_166:
	s_branch .LBB65_168
.LBB65_167:
	s_cmp_lg_u32 s9, 0
	s_mov_b64 s[38:39], -1
	s_cselect_b64 s[40:41], -1, 0
.LBB65_168:
	s_andn2_b64 vcc, exec, s[40:41]
	s_cbranch_vccz .LBB65_174
; %bb.169:
	s_andn2_b64 vcc, exec, s[38:39]
	s_cbranch_vccz .LBB65_175
.LBB65_170:
	s_cmp_lt_i32 s9, 1
	s_mov_b64 s[40:41], 0
	s_cbranch_scc1 .LBB65_176
.LBB65_171:
	s_cmp_gt_i32 s9, 1
	s_cbranch_scc0 .LBB65_177
; %bb.172:
	s_cmp_eq_u32 s9, 2
	s_cbranch_scc0 .LBB65_263
; %bb.173:
	s_waitcnt vmcnt(0)
	v_cmp_le_i16_sdwa s[38:39], v3, s10 src0_sel:WORD_1 src1_sel:DWORD
	s_mov_b64 s[42:43], 0
	s_branch .LBB65_179
.LBB65_174:
	s_waitcnt vmcnt(0)
	v_cmp_gt_i16_e32 vcc, s10, v3
	s_andn2_b64 s[36:37], s[36:37], exec
	s_and_b64 s[40:41], vcc, exec
	s_or_b64 s[36:37], s[36:37], s[40:41]
	s_cbranch_execnz .LBB65_170
.LBB65_175:
	s_waitcnt vmcnt(0)
	v_cmp_le_i16_e32 vcc, s10, v3
	s_andn2_b64 s[36:37], s[36:37], exec
	s_and_b64 s[38:39], vcc, exec
	s_or_b64 s[36:37], s[36:37], s[38:39]
	s_cmp_lt_i32 s9, 1
	s_mov_b64 s[40:41], 0
	s_cbranch_scc0 .LBB65_171
.LBB65_176:
                                        ; implicit-def: $sgpr38_sgpr39
	s_mov_b64 s[42:43], 0
	s_cbranch_execnz .LBB65_180
	s_branch .LBB65_181
.LBB65_177:
	s_mov_b64 s[42:43], 0
                                        ; implicit-def: $sgpr38_sgpr39
	s_cbranch_execz .LBB65_179
; %bb.178:
	s_waitcnt vmcnt(0)
	v_cmp_gt_i16_sdwa s[44:45], v3, s10 src0_sel:WORD_1 src1_sel:DWORD
	s_andn2_b64 s[38:39], s[38:39], exec
	s_and_b64 s[44:45], s[44:45], exec
	s_or_b64 s[38:39], s[38:39], s[44:45]
.LBB65_179:
	s_branch .LBB65_181
.LBB65_180:
	s_cmp_lg_u32 s9, 0
	s_mov_b64 s[40:41], -1
	s_cselect_b64 s[42:43], -1, 0
.LBB65_181:
	s_andn2_b64 vcc, exec, s[42:43]
	s_cbranch_vccz .LBB65_187
; %bb.182:
	s_andn2_b64 vcc, exec, s[40:41]
	s_cbranch_vccz .LBB65_188
.LBB65_183:
	s_cmp_lt_i32 s9, 1
	s_mov_b64 s[42:43], 0
	s_cbranch_scc1 .LBB65_189
.LBB65_184:
	s_cmp_gt_i32 s9, 1
	s_cbranch_scc0 .LBB65_190
; %bb.185:
	s_cmp_eq_u32 s9, 2
	s_cbranch_scc0 .LBB65_264
; %bb.186:
	s_waitcnt vmcnt(0)
	v_cmp_ge_i16_e64 s[40:41], s10, v4
	s_mov_b64 s[44:45], 0
	s_branch .LBB65_192
.LBB65_187:
	s_waitcnt vmcnt(0)
	v_cmp_lt_i16_sdwa s[42:43], v3, s10 src0_sel:WORD_1 src1_sel:DWORD
	s_andn2_b64 s[38:39], s[38:39], exec
	s_and_b64 s[42:43], s[42:43], exec
	s_or_b64 s[38:39], s[38:39], s[42:43]
	s_cbranch_execnz .LBB65_183
.LBB65_188:
	s_waitcnt vmcnt(0)
	v_cmp_ge_i16_sdwa s[40:41], v3, s10 src0_sel:WORD_1 src1_sel:DWORD
	s_andn2_b64 s[38:39], s[38:39], exec
	s_and_b64 s[40:41], s[40:41], exec
	s_or_b64 s[38:39], s[38:39], s[40:41]
	s_cmp_lt_i32 s9, 1
	s_mov_b64 s[42:43], 0
	s_cbranch_scc0 .LBB65_184
.LBB65_189:
                                        ; implicit-def: $sgpr40_sgpr41
	s_mov_b64 s[44:45], 0
	s_cbranch_execnz .LBB65_193
	s_branch .LBB65_194
.LBB65_190:
	s_mov_b64 s[44:45], 0
                                        ; implicit-def: $sgpr40_sgpr41
	s_cbranch_execz .LBB65_192
; %bb.191:
	s_waitcnt vmcnt(0)
	v_cmp_lt_i16_e32 vcc, s10, v4
	s_andn2_b64 s[40:41], s[40:41], exec
	s_and_b64 s[46:47], vcc, exec
	s_or_b64 s[40:41], s[40:41], s[46:47]
.LBB65_192:
	s_branch .LBB65_194
.LBB65_193:
	s_cmp_lg_u32 s9, 0
	s_mov_b64 s[42:43], -1
	s_cselect_b64 s[44:45], -1, 0
.LBB65_194:
	s_andn2_b64 vcc, exec, s[44:45]
	s_cbranch_vccz .LBB65_200
; %bb.195:
	s_andn2_b64 vcc, exec, s[42:43]
	s_cbranch_vccz .LBB65_201
.LBB65_196:
	s_cmp_lt_i32 s9, 1
	s_mov_b64 s[44:45], 0
	s_cbranch_scc1 .LBB65_202
.LBB65_197:
	s_cmp_gt_i32 s9, 1
	s_cbranch_scc0 .LBB65_203
; %bb.198:
	s_cmp_eq_u32 s9, 2
	s_cbranch_scc0 .LBB65_265
; %bb.199:
	s_waitcnt vmcnt(0)
	v_cmp_le_i16_sdwa s[42:43], v4, s10 src0_sel:WORD_1 src1_sel:DWORD
	s_mov_b64 s[46:47], 0
	s_branch .LBB65_205
.LBB65_200:
	s_waitcnt vmcnt(0)
	v_cmp_gt_i16_e32 vcc, s10, v4
	s_andn2_b64 s[40:41], s[40:41], exec
	s_and_b64 s[44:45], vcc, exec
	s_or_b64 s[40:41], s[40:41], s[44:45]
	s_cbranch_execnz .LBB65_196
.LBB65_201:
	s_waitcnt vmcnt(0)
	v_cmp_le_i16_e32 vcc, s10, v4
	s_andn2_b64 s[40:41], s[40:41], exec
	s_and_b64 s[42:43], vcc, exec
	s_or_b64 s[40:41], s[40:41], s[42:43]
	s_cmp_lt_i32 s9, 1
	s_mov_b64 s[44:45], 0
	s_cbranch_scc0 .LBB65_197
.LBB65_202:
                                        ; implicit-def: $sgpr42_sgpr43
	s_mov_b64 s[46:47], 0
	s_cbranch_execnz .LBB65_206
	s_branch .LBB65_207
.LBB65_203:
	s_mov_b64 s[46:47], 0
                                        ; implicit-def: $sgpr42_sgpr43
	s_cbranch_execz .LBB65_205
; %bb.204:
	s_waitcnt vmcnt(0)
	v_cmp_gt_i16_sdwa s[48:49], v4, s10 src0_sel:WORD_1 src1_sel:DWORD
	s_andn2_b64 s[42:43], s[42:43], exec
	s_and_b64 s[48:49], s[48:49], exec
	s_or_b64 s[42:43], s[42:43], s[48:49]
.LBB65_205:
	s_branch .LBB65_207
.LBB65_206:
	s_cmp_lg_u32 s9, 0
	s_mov_b64 s[44:45], -1
	s_cselect_b64 s[46:47], -1, 0
.LBB65_207:
	s_andn2_b64 vcc, exec, s[46:47]
	s_cbranch_vccz .LBB65_249
; %bb.208:
	s_andn2_b64 vcc, exec, s[44:45]
	s_cbranch_vccnz .LBB65_210
.LBB65_209:
	s_waitcnt vmcnt(0)
	v_cmp_ge_i16_sdwa s[44:45], v4, s10 src0_sel:WORD_1 src1_sel:DWORD
	s_andn2_b64 s[42:43], s[42:43], exec
	s_and_b64 s[44:45], s[44:45], exec
	s_or_b64 s[42:43], s[42:43], s[44:45]
.LBB65_210:
	s_waitcnt vmcnt(0)
	v_cndmask_b32_e64 v1, 0, 1, s[4:5]
	v_lshlrev_b16_e32 v1, 8, v1
	v_cndmask_b32_e64 v2, 0, 1, s[0:1]
	v_or_b32_e32 v1, v2, v1
	v_cndmask_b32_e64 v2, 0, 1, s[16:17]
	v_lshlrev_b16_e32 v2, 8, v2
	v_cndmask_b32_e64 v3, 0, 1, s[6:7]
	v_or_b32_sdwa v2, v3, v2 dst_sel:WORD_1 dst_unused:UNUSED_PAD src0_sel:DWORD src1_sel:DWORD
	v_or_b32_sdwa v1, v1, v2 dst_sel:DWORD dst_unused:UNUSED_PAD src0_sel:WORD_0 src1_sel:DWORD
	v_cndmask_b32_e64 v2, 0, 1, s[20:21]
	v_lshlrev_b16_e32 v2, 8, v2
	v_cndmask_b32_e64 v3, 0, 1, s[18:19]
	v_or_b32_e32 v2, v3, v2
	v_cndmask_b32_e64 v3, 0, 1, s[24:25]
	v_lshlrev_b16_e32 v3, 8, v3
	v_cndmask_b32_e64 v4, 0, 1, s[22:23]
	v_or_b32_sdwa v3, v4, v3 dst_sel:WORD_1 dst_unused:UNUSED_PAD src0_sel:DWORD src1_sel:DWORD
	v_or_b32_sdwa v2, v2, v3 dst_sel:DWORD dst_unused:UNUSED_PAD src0_sel:WORD_0 src1_sel:DWORD
	;; [unrolled: 9-line block ×3, first 2 shown]
	v_cndmask_b32_e64 v4, 0, 1, s[38:39]
	v_lshlrev_b16_e32 v4, 8, v4
	v_cndmask_b32_e64 v5, 0, 1, s[36:37]
	v_or_b32_e32 v4, v5, v4
	v_cndmask_b32_e64 v5, 0, 1, s[42:43]
	v_lshlrev_b16_e32 v5, 8, v5
	v_cndmask_b32_e64 v6, 0, 1, s[40:41]
	v_or_b32_sdwa v5, v6, v5 dst_sel:WORD_1 dst_unused:UNUSED_PAD src0_sel:DWORD src1_sel:DWORD
	s_add_u32 s0, s12, s2
	v_or_b32_sdwa v4, v4, v5 dst_sel:DWORD dst_unused:UNUSED_PAD src0_sel:WORD_0 src1_sel:DWORD
	s_addc_u32 s1, s13, s3
	v_lshlrev_b32_e32 v5, 3, v0
	global_store_dwordx2 v5, v[1:2], s[0:1]
	global_store_dwordx2 v5, v[3:4], s[0:1] offset:2048
	s_mov_b64 s[0:1], 0
.LBB65_211:
	s_and_b64 vcc, exec, s[0:1]
	s_cbranch_vccz .LBB65_519
; %bb.212:
	v_cmp_gt_i32_e64 s[0:1], s8, v0
	v_mov_b32_e32 v21, 0
	v_or_b32_e32 v1, s2, v0
	v_mov_b32_e32 v7, 0
	v_mov_b32_e32 v2, v0
	s_and_saveexec_b64 s[4:5], s[0:1]
	s_cbranch_execz .LBB65_214
; %bb.213:
	v_mov_b32_e32 v2, 0
	v_lshlrev_b64 v[2:3], 1, v[1:2]
	v_mov_b32_e32 v4, s15
	v_add_co_u32_e32 v2, vcc, s14, v2
	v_addc_co_u32_e32 v3, vcc, v4, v3, vcc
	global_load_ushort v7, v[2:3], off
	v_or_b32_e32 v2, 0x100, v0
.LBB65_214:
	s_or_b64 exec, exec, s[4:5]
	v_cmp_gt_i32_e32 vcc, s8, v2
	s_and_saveexec_b64 s[4:5], vcc
	s_cbranch_execz .LBB65_216
; %bb.215:
	v_add_u32_e32 v3, s2, v2
	v_mov_b32_e32 v4, 0
	v_lshlrev_b64 v[3:4], 1, v[3:4]
	v_mov_b32_e32 v5, s15
	v_add_co_u32_e32 v3, vcc, s14, v3
	v_addc_co_u32_e32 v4, vcc, v5, v4, vcc
	global_load_ushort v21, v[3:4], off
	v_add_u32_e32 v2, 0x100, v2
.LBB65_216:
	s_or_b64 exec, exec, s[4:5]
	v_cmp_gt_i32_e32 vcc, s8, v2
	v_mov_b32_e32 v19, 0
	v_mov_b32_e32 v20, 0
	s_and_saveexec_b64 s[4:5], vcc
	s_cbranch_execz .LBB65_218
; %bb.217:
	v_add_u32_e32 v3, s2, v2
	v_mov_b32_e32 v4, 0
	v_lshlrev_b64 v[3:4], 1, v[3:4]
	v_mov_b32_e32 v5, s15
	v_add_co_u32_e32 v3, vcc, s14, v3
	v_addc_co_u32_e32 v4, vcc, v5, v4, vcc
	global_load_ushort v20, v[3:4], off
	v_add_u32_e32 v2, 0x100, v2
.LBB65_218:
	s_or_b64 exec, exec, s[4:5]
	v_cmp_gt_i32_e32 vcc, s8, v2
	s_and_saveexec_b64 s[4:5], vcc
	s_cbranch_execz .LBB65_220
; %bb.219:
	v_add_u32_e32 v3, s2, v2
	v_mov_b32_e32 v4, 0
	v_lshlrev_b64 v[3:4], 1, v[3:4]
	v_mov_b32_e32 v5, s15
	v_add_co_u32_e32 v3, vcc, s14, v3
	v_addc_co_u32_e32 v4, vcc, v5, v4, vcc
	global_load_ushort v19, v[3:4], off
	v_add_u32_e32 v2, 0x100, v2
.LBB65_220:
	s_or_b64 exec, exec, s[4:5]
	v_cmp_gt_i32_e32 vcc, s8, v2
	v_mov_b32_e32 v17, 0
	v_mov_b32_e32 v18, 0
	s_and_saveexec_b64 s[4:5], vcc
	s_cbranch_execz .LBB65_222
; %bb.221:
	v_add_u32_e32 v3, s2, v2
	v_mov_b32_e32 v4, 0
	v_lshlrev_b64 v[3:4], 1, v[3:4]
	v_mov_b32_e32 v5, s15
	v_add_co_u32_e32 v3, vcc, s14, v3
	v_addc_co_u32_e32 v4, vcc, v5, v4, vcc
	global_load_ushort v18, v[3:4], off
	v_add_u32_e32 v2, 0x100, v2
.LBB65_222:
	;; [unrolled: 30-line block ×7, first 2 shown]
	s_or_b64 exec, exec, s[4:5]
	v_cmp_gt_i32_e32 vcc, s8, v2
	s_and_saveexec_b64 s[4:5], vcc
	s_cbranch_execz .LBB65_244
; %bb.243:
	v_add_u32_e32 v2, s2, v2
	v_mov_b32_e32 v3, 0
	v_lshlrev_b64 v[2:3], 1, v[2:3]
	v_mov_b32_e32 v4, s15
	v_add_co_u32_e32 v2, vcc, s14, v2
	v_addc_co_u32_e32 v3, vcc, v4, v3, vcc
	global_load_ushort v4, v[2:3], off
.LBB65_244:
	s_or_b64 exec, exec, s[4:5]
	v_mov_b32_e32 v6, 0
	v_mov_b32_e32 v5, v6
	;; [unrolled: 1-line block ×4, first 2 shown]
	s_and_saveexec_b64 s[4:5], s[0:1]
	s_cbranch_execz .LBB65_276
; %bb.245:
	s_cmp_lt_i32 s9, 1
	s_mov_b64 s[6:7], 0
	s_cbranch_scc1 .LBB65_250
; %bb.246:
	s_cmp_gt_i32 s9, 1
	s_cbranch_scc0 .LBB65_266
; %bb.247:
	s_cmp_eq_u32 s9, 2
	s_cbranch_scc0 .LBB65_267
; %bb.248:
	s_waitcnt vmcnt(0)
	v_cmp_ge_i16_e64 s[14:15], s10, v7
	s_mov_b64 s[16:17], 0
	s_branch .LBB65_268
.LBB65_249:
	s_waitcnt vmcnt(0)
	v_cmp_lt_i16_sdwa s[46:47], v4, s10 src0_sel:WORD_1 src1_sel:DWORD
	s_andn2_b64 s[42:43], s[42:43], exec
	s_and_b64 s[46:47], s[46:47], exec
	s_or_b64 s[42:43], s[42:43], s[46:47]
	s_cbranch_execz .LBB65_209
	s_branch .LBB65_210
.LBB65_250:
                                        ; implicit-def: $sgpr14_sgpr15
	s_mov_b64 s[16:17], 0
	s_cbranch_execnz .LBB65_271
	s_branch .LBB65_272
.LBB65_251:
	s_mov_b64 s[16:17], -1
                                        ; implicit-def: $sgpr4_sgpr5
	s_branch .LBB65_23
.LBB65_252:
	s_mov_b64 s[18:19], -1
                                        ; implicit-def: $sgpr6_sgpr7
	s_branch .LBB65_36
.LBB65_253:
	s_mov_b64 s[20:21], -1
                                        ; implicit-def: $sgpr16_sgpr17
	s_branch .LBB65_49
.LBB65_254:
	s_mov_b64 s[22:23], -1
                                        ; implicit-def: $sgpr18_sgpr19
	s_branch .LBB65_62
.LBB65_255:
	s_mov_b64 s[24:25], -1
                                        ; implicit-def: $sgpr20_sgpr21
	s_branch .LBB65_75
.LBB65_256:
	s_mov_b64 s[26:27], -1
                                        ; implicit-def: $sgpr22_sgpr23
	s_branch .LBB65_88
.LBB65_257:
	s_mov_b64 s[28:29], -1
                                        ; implicit-def: $sgpr24_sgpr25
	s_branch .LBB65_101
.LBB65_258:
	s_mov_b64 s[30:31], -1
                                        ; implicit-def: $sgpr26_sgpr27
	s_branch .LBB65_114
.LBB65_259:
	s_mov_b64 s[34:35], -1
                                        ; implicit-def: $sgpr28_sgpr29
	s_branch .LBB65_127
.LBB65_260:
	s_mov_b64 s[36:37], -1
                                        ; implicit-def: $sgpr30_sgpr31
	s_branch .LBB65_140
.LBB65_261:
	s_mov_b64 s[38:39], -1
                                        ; implicit-def: $sgpr34_sgpr35
	s_branch .LBB65_153
.LBB65_262:
	s_mov_b64 s[40:41], -1
                                        ; implicit-def: $sgpr36_sgpr37
	s_branch .LBB65_166
.LBB65_263:
	s_mov_b64 s[42:43], -1
                                        ; implicit-def: $sgpr38_sgpr39
	s_branch .LBB65_179
.LBB65_264:
	s_mov_b64 s[44:45], -1
                                        ; implicit-def: $sgpr40_sgpr41
	s_branch .LBB65_192
.LBB65_265:
	s_mov_b64 s[46:47], -1
                                        ; implicit-def: $sgpr42_sgpr43
	s_branch .LBB65_205
.LBB65_266:
	s_mov_b64 s[16:17], 0
                                        ; implicit-def: $sgpr14_sgpr15
	s_cbranch_execnz .LBB65_269
	s_branch .LBB65_270
.LBB65_267:
	s_mov_b64 s[16:17], -1
                                        ; implicit-def: $sgpr14_sgpr15
.LBB65_268:
	s_branch .LBB65_270
.LBB65_269:
	s_waitcnt vmcnt(0)
	v_cmp_lt_i16_e32 vcc, s10, v7
	s_andn2_b64 s[14:15], s[14:15], exec
	s_and_b64 s[18:19], vcc, exec
	s_or_b64 s[14:15], s[14:15], s[18:19]
.LBB65_270:
	s_branch .LBB65_272
.LBB65_271:
	s_cmp_lg_u32 s9, 0
	s_mov_b64 s[6:7], -1
	s_cselect_b64 s[16:17], -1, 0
.LBB65_272:
	s_andn2_b64 vcc, exec, s[16:17]
	s_cbranch_vccz .LBB65_281
; %bb.273:
	s_andn2_b64 vcc, exec, s[6:7]
	s_cbranch_vccnz .LBB65_275
.LBB65_274:
	s_waitcnt vmcnt(0)
	v_cmp_le_i16_e32 vcc, s10, v7
	s_andn2_b64 s[6:7], s[14:15], exec
	s_and_b64 s[14:15], vcc, exec
	s_or_b64 s[14:15], s[6:7], s[14:15]
.LBB65_275:
	v_cndmask_b32_e64 v2, 0, 1, s[14:15]
	v_mov_b32_e32 v5, 0
	v_and_b32_e32 v6, 0xffff, v2
	v_mov_b32_e32 v3, v5
	v_mov_b32_e32 v2, v5
.LBB65_276:
	s_or_b64 exec, exec, s[4:5]
	s_waitcnt vmcnt(0)
	v_or_b32_e32 v7, 0x100, v0
	v_cmp_gt_i32_e32 vcc, s8, v7
	s_and_saveexec_b64 s[4:5], vcc
	s_cbranch_execz .LBB65_291
; %bb.277:
	s_cmp_lt_i32 s9, 1
	s_mov_b64 s[6:7], 0
	s_cbranch_scc1 .LBB65_282
; %bb.278:
	s_cmp_gt_i32 s9, 1
	s_cbranch_scc0 .LBB65_283
; %bb.279:
	s_cmp_eq_u32 s9, 2
	s_cbranch_scc0 .LBB65_535
; %bb.280:
	v_cmp_ge_i16_e64 s[14:15], s10, v21
	s_mov_b64 s[16:17], 0
	s_branch .LBB65_285
.LBB65_281:
	s_waitcnt vmcnt(0)
	v_cmp_gt_i16_e32 vcc, s10, v7
	s_andn2_b64 s[14:15], s[14:15], exec
	s_and_b64 s[16:17], vcc, exec
	s_or_b64 s[14:15], s[14:15], s[16:17]
	s_cbranch_execz .LBB65_274
	s_branch .LBB65_275
.LBB65_282:
                                        ; implicit-def: $sgpr14_sgpr15
	s_mov_b64 s[16:17], 0
	s_cbranch_execnz .LBB65_286
	s_branch .LBB65_287
.LBB65_283:
	s_mov_b64 s[16:17], 0
                                        ; implicit-def: $sgpr14_sgpr15
	s_cbranch_execz .LBB65_285
; %bb.284:
	v_cmp_lt_i16_e32 vcc, s10, v21
	s_andn2_b64 s[14:15], s[14:15], exec
	s_and_b64 s[18:19], vcc, exec
	s_or_b64 s[14:15], s[14:15], s[18:19]
.LBB65_285:
	s_branch .LBB65_287
.LBB65_286:
	s_cmp_lg_u32 s9, 0
	s_mov_b64 s[6:7], -1
	s_cselect_b64 s[16:17], -1, 0
.LBB65_287:
	s_andn2_b64 vcc, exec, s[16:17]
	s_cbranch_vccz .LBB65_296
; %bb.288:
	s_andn2_b64 vcc, exec, s[6:7]
	s_cbranch_vccnz .LBB65_290
.LBB65_289:
	v_cmp_le_i16_e32 vcc, s10, v21
	s_andn2_b64 s[6:7], s[14:15], exec
	s_and_b64 s[14:15], vcc, exec
	s_or_b64 s[14:15], s[6:7], s[14:15]
.LBB65_290:
	v_cndmask_b32_e64 v21, 0, 1, s[14:15]
	v_lshlrev_b16_e32 v21, 8, v21
	v_or_b32_sdwa v21, v6, v21 dst_sel:DWORD dst_unused:UNUSED_PAD src0_sel:BYTE_0 src1_sel:DWORD
	v_and_b32_e32 v21, 0xffff, v21
	s_mov_b32 s3, 0xffff0000
	v_and_or_b32 v6, v6, s3, v21
.LBB65_291:
	s_or_b64 exec, exec, s[4:5]
	v_or_b32_e32 v21, 0x200, v0
	v_cmp_gt_i32_e32 vcc, s8, v21
	s_and_saveexec_b64 s[4:5], vcc
	s_cbranch_execz .LBB65_306
; %bb.292:
	s_cmp_lt_i32 s9, 1
	s_mov_b64 s[6:7], 0
	s_cbranch_scc1 .LBB65_297
; %bb.293:
	s_cmp_gt_i32 s9, 1
	s_cbranch_scc0 .LBB65_298
; %bb.294:
	s_cmp_eq_u32 s9, 2
	s_cbranch_scc0 .LBB65_536
; %bb.295:
	v_cmp_ge_i16_e64 s[14:15], s10, v20
	s_mov_b64 s[16:17], 0
	s_branch .LBB65_300
.LBB65_296:
	v_cmp_gt_i16_e32 vcc, s10, v21
	s_andn2_b64 s[14:15], s[14:15], exec
	s_and_b64 s[16:17], vcc, exec
	s_or_b64 s[14:15], s[14:15], s[16:17]
	s_cbranch_execz .LBB65_289
	s_branch .LBB65_290
.LBB65_297:
                                        ; implicit-def: $sgpr14_sgpr15
	s_mov_b64 s[16:17], 0
	s_cbranch_execnz .LBB65_301
	s_branch .LBB65_302
.LBB65_298:
	s_mov_b64 s[16:17], 0
                                        ; implicit-def: $sgpr14_sgpr15
	s_cbranch_execz .LBB65_300
; %bb.299:
	v_cmp_lt_i16_e32 vcc, s10, v20
	s_andn2_b64 s[14:15], s[14:15], exec
	s_and_b64 s[18:19], vcc, exec
	s_or_b64 s[14:15], s[14:15], s[18:19]
.LBB65_300:
	s_branch .LBB65_302
.LBB65_301:
	s_cmp_lg_u32 s9, 0
	s_mov_b64 s[6:7], -1
	s_cselect_b64 s[16:17], -1, 0
.LBB65_302:
	s_andn2_b64 vcc, exec, s[16:17]
	s_cbranch_vccz .LBB65_311
; %bb.303:
	s_andn2_b64 vcc, exec, s[6:7]
	s_cbranch_vccnz .LBB65_305
.LBB65_304:
	v_cmp_le_i16_e32 vcc, s10, v20
	s_andn2_b64 s[6:7], s[14:15], exec
	s_and_b64 s[14:15], vcc, exec
	s_or_b64 s[14:15], s[6:7], s[14:15]
.LBB65_305:
	s_movk_i32 s3, 0xff00
	v_and_b32_sdwa v20, v6, s3 dst_sel:DWORD dst_unused:UNUSED_PAD src0_sel:WORD_1 src1_sel:DWORD
	v_cndmask_b32_e64 v21, 0, 1, s[14:15]
	v_or_b32_sdwa v20, v21, v20 dst_sel:WORD_1 dst_unused:UNUSED_PAD src0_sel:DWORD src1_sel:DWORD
	s_mov_b32 s3, 0xffff
	v_and_or_b32 v6, v6, s3, v20
.LBB65_306:
	s_or_b64 exec, exec, s[4:5]
	v_or_b32_e32 v20, 0x300, v0
	v_cmp_gt_i32_e32 vcc, s8, v20
	s_and_saveexec_b64 s[4:5], vcc
	s_cbranch_execz .LBB65_321
; %bb.307:
	s_cmp_lt_i32 s9, 1
	s_mov_b64 s[6:7], 0
	s_cbranch_scc1 .LBB65_312
; %bb.308:
	s_cmp_gt_i32 s9, 1
	s_cbranch_scc0 .LBB65_313
; %bb.309:
	s_cmp_eq_u32 s9, 2
	s_cbranch_scc0 .LBB65_537
; %bb.310:
	v_cmp_ge_i16_e64 s[14:15], s10, v19
	s_mov_b64 s[16:17], 0
	s_branch .LBB65_315
.LBB65_311:
	v_cmp_gt_i16_e32 vcc, s10, v20
	s_andn2_b64 s[14:15], s[14:15], exec
	s_and_b64 s[16:17], vcc, exec
	s_or_b64 s[14:15], s[14:15], s[16:17]
	s_cbranch_execz .LBB65_304
	s_branch .LBB65_305
.LBB65_312:
                                        ; implicit-def: $sgpr14_sgpr15
	s_mov_b64 s[16:17], 0
	s_cbranch_execnz .LBB65_316
	s_branch .LBB65_317
.LBB65_313:
	s_mov_b64 s[16:17], 0
                                        ; implicit-def: $sgpr14_sgpr15
	s_cbranch_execz .LBB65_315
; %bb.314:
	v_cmp_lt_i16_e32 vcc, s10, v19
	s_andn2_b64 s[14:15], s[14:15], exec
	s_and_b64 s[18:19], vcc, exec
	s_or_b64 s[14:15], s[14:15], s[18:19]
.LBB65_315:
	s_branch .LBB65_317
.LBB65_316:
	s_cmp_lg_u32 s9, 0
	s_mov_b64 s[6:7], -1
	s_cselect_b64 s[16:17], -1, 0
.LBB65_317:
	s_andn2_b64 vcc, exec, s[16:17]
	s_cbranch_vccz .LBB65_326
; %bb.318:
	s_andn2_b64 vcc, exec, s[6:7]
	s_cbranch_vccnz .LBB65_320
.LBB65_319:
	v_cmp_le_i16_e32 vcc, s10, v19
	s_andn2_b64 s[6:7], s[14:15], exec
	s_and_b64 s[14:15], vcc, exec
	s_or_b64 s[14:15], s[6:7], s[14:15]
.LBB65_320:
	s_movk_i32 s3, 0xff
	v_cndmask_b32_e64 v20, 0, 1, s[14:15]
	v_and_b32_sdwa v19, v6, s3 dst_sel:DWORD dst_unused:UNUSED_PAD src0_sel:WORD_1 src1_sel:DWORD
	v_lshlrev_b16_e32 v20, 8, v20
	v_or_b32_sdwa v19, v19, v20 dst_sel:WORD_1 dst_unused:UNUSED_PAD src0_sel:DWORD src1_sel:DWORD
	s_mov_b32 s3, 0xffff
	v_and_or_b32 v6, v6, s3, v19
.LBB65_321:
	s_or_b64 exec, exec, s[4:5]
	v_or_b32_e32 v19, 0x400, v0
	v_cmp_gt_i32_e32 vcc, s8, v19
	s_and_saveexec_b64 s[4:5], vcc
	s_cbranch_execz .LBB65_336
; %bb.322:
	s_cmp_lt_i32 s9, 1
	s_mov_b64 s[6:7], 0
	s_cbranch_scc1 .LBB65_327
; %bb.323:
	s_cmp_gt_i32 s9, 1
	s_cbranch_scc0 .LBB65_328
; %bb.324:
	s_cmp_eq_u32 s9, 2
	s_cbranch_scc0 .LBB65_538
; %bb.325:
	v_cmp_ge_i16_e64 s[14:15], s10, v18
	s_mov_b64 s[16:17], 0
	s_branch .LBB65_330
.LBB65_326:
	v_cmp_gt_i16_e32 vcc, s10, v19
	s_andn2_b64 s[14:15], s[14:15], exec
	s_and_b64 s[16:17], vcc, exec
	s_or_b64 s[14:15], s[14:15], s[16:17]
	s_cbranch_execz .LBB65_319
	s_branch .LBB65_320
.LBB65_327:
                                        ; implicit-def: $sgpr14_sgpr15
	s_mov_b64 s[16:17], 0
	s_cbranch_execnz .LBB65_331
	s_branch .LBB65_332
.LBB65_328:
	s_mov_b64 s[16:17], 0
                                        ; implicit-def: $sgpr14_sgpr15
	s_cbranch_execz .LBB65_330
; %bb.329:
	v_cmp_lt_i16_e32 vcc, s10, v18
	s_andn2_b64 s[14:15], s[14:15], exec
	s_and_b64 s[18:19], vcc, exec
	s_or_b64 s[14:15], s[14:15], s[18:19]
.LBB65_330:
	s_branch .LBB65_332
.LBB65_331:
	s_cmp_lg_u32 s9, 0
	s_mov_b64 s[6:7], -1
	s_cselect_b64 s[16:17], -1, 0
.LBB65_332:
	s_andn2_b64 vcc, exec, s[16:17]
	s_cbranch_vccz .LBB65_341
; %bb.333:
	s_andn2_b64 vcc, exec, s[6:7]
	s_cbranch_vccnz .LBB65_335
.LBB65_334:
	v_cmp_le_i16_e32 vcc, s10, v18
	s_andn2_b64 s[6:7], s[14:15], exec
	s_and_b64 s[14:15], vcc, exec
	s_or_b64 s[14:15], s[6:7], s[14:15]
.LBB65_335:
	v_and_b32_e32 v18, 0xffffff00, v5
	v_cndmask_b32_e64 v19, 0, 1, s[14:15]
	v_or_b32_e32 v18, v19, v18
	v_and_b32_e32 v18, 0xffff, v18
	s_mov_b32 s3, 0xffff0000
	v_and_or_b32 v5, v5, s3, v18
.LBB65_336:
	s_or_b64 exec, exec, s[4:5]
	v_or_b32_e32 v18, 0x500, v0
	v_cmp_gt_i32_e32 vcc, s8, v18
	s_and_saveexec_b64 s[4:5], vcc
	s_cbranch_execz .LBB65_351
; %bb.337:
	s_cmp_lt_i32 s9, 1
	s_mov_b64 s[6:7], 0
	s_cbranch_scc1 .LBB65_342
; %bb.338:
	s_cmp_gt_i32 s9, 1
	s_cbranch_scc0 .LBB65_343
; %bb.339:
	s_cmp_eq_u32 s9, 2
	s_cbranch_scc0 .LBB65_539
; %bb.340:
	v_cmp_ge_i16_e64 s[14:15], s10, v17
	s_mov_b64 s[16:17], 0
	s_branch .LBB65_345
.LBB65_341:
	v_cmp_gt_i16_e32 vcc, s10, v18
	s_andn2_b64 s[14:15], s[14:15], exec
	s_and_b64 s[16:17], vcc, exec
	s_or_b64 s[14:15], s[14:15], s[16:17]
	s_cbranch_execz .LBB65_334
	s_branch .LBB65_335
.LBB65_342:
                                        ; implicit-def: $sgpr14_sgpr15
	s_mov_b64 s[16:17], 0
	s_cbranch_execnz .LBB65_346
	s_branch .LBB65_347
.LBB65_343:
	s_mov_b64 s[16:17], 0
                                        ; implicit-def: $sgpr14_sgpr15
	s_cbranch_execz .LBB65_345
; %bb.344:
	v_cmp_lt_i16_e32 vcc, s10, v17
	s_andn2_b64 s[14:15], s[14:15], exec
	s_and_b64 s[18:19], vcc, exec
	s_or_b64 s[14:15], s[14:15], s[18:19]
.LBB65_345:
	s_branch .LBB65_347
.LBB65_346:
	s_cmp_lg_u32 s9, 0
	s_mov_b64 s[6:7], -1
	s_cselect_b64 s[16:17], -1, 0
.LBB65_347:
	s_andn2_b64 vcc, exec, s[16:17]
	s_cbranch_vccz .LBB65_356
; %bb.348:
	s_andn2_b64 vcc, exec, s[6:7]
	s_cbranch_vccnz .LBB65_350
.LBB65_349:
	v_cmp_le_i16_e32 vcc, s10, v17
	s_andn2_b64 s[6:7], s[14:15], exec
	s_and_b64 s[14:15], vcc, exec
	s_or_b64 s[14:15], s[6:7], s[14:15]
.LBB65_350:
	v_cndmask_b32_e64 v17, 0, 1, s[14:15]
	v_lshlrev_b16_e32 v17, 8, v17
	v_or_b32_sdwa v17, v5, v17 dst_sel:DWORD dst_unused:UNUSED_PAD src0_sel:BYTE_0 src1_sel:DWORD
	v_and_b32_e32 v17, 0xffff, v17
	s_mov_b32 s3, 0xffff0000
	v_and_or_b32 v5, v5, s3, v17
.LBB65_351:
	s_or_b64 exec, exec, s[4:5]
	v_or_b32_e32 v17, 0x600, v0
	v_cmp_gt_i32_e32 vcc, s8, v17
	s_and_saveexec_b64 s[4:5], vcc
	s_cbranch_execz .LBB65_366
; %bb.352:
	s_cmp_lt_i32 s9, 1
	s_mov_b64 s[6:7], 0
	s_cbranch_scc1 .LBB65_357
; %bb.353:
	s_cmp_gt_i32 s9, 1
	s_cbranch_scc0 .LBB65_358
; %bb.354:
	s_cmp_eq_u32 s9, 2
	s_cbranch_scc0 .LBB65_540
; %bb.355:
	v_cmp_ge_i16_e64 s[14:15], s10, v16
	s_mov_b64 s[16:17], 0
	s_branch .LBB65_360
.LBB65_356:
	v_cmp_gt_i16_e32 vcc, s10, v17
	s_andn2_b64 s[14:15], s[14:15], exec
	s_and_b64 s[16:17], vcc, exec
	s_or_b64 s[14:15], s[14:15], s[16:17]
	s_cbranch_execz .LBB65_349
	s_branch .LBB65_350
.LBB65_357:
                                        ; implicit-def: $sgpr14_sgpr15
	s_mov_b64 s[16:17], 0
	s_cbranch_execnz .LBB65_361
	s_branch .LBB65_362
.LBB65_358:
	s_mov_b64 s[16:17], 0
                                        ; implicit-def: $sgpr14_sgpr15
	s_cbranch_execz .LBB65_360
; %bb.359:
	v_cmp_lt_i16_e32 vcc, s10, v16
	s_andn2_b64 s[14:15], s[14:15], exec
	s_and_b64 s[18:19], vcc, exec
	s_or_b64 s[14:15], s[14:15], s[18:19]
.LBB65_360:
	s_branch .LBB65_362
.LBB65_361:
	s_cmp_lg_u32 s9, 0
	s_mov_b64 s[6:7], -1
	s_cselect_b64 s[16:17], -1, 0
.LBB65_362:
	s_andn2_b64 vcc, exec, s[16:17]
	s_cbranch_vccz .LBB65_371
; %bb.363:
	s_andn2_b64 vcc, exec, s[6:7]
	s_cbranch_vccnz .LBB65_365
.LBB65_364:
	v_cmp_le_i16_e32 vcc, s10, v16
	s_andn2_b64 s[6:7], s[14:15], exec
	s_and_b64 s[14:15], vcc, exec
	s_or_b64 s[14:15], s[6:7], s[14:15]
.LBB65_365:
	s_movk_i32 s3, 0xff00
	v_and_b32_sdwa v16, v5, s3 dst_sel:DWORD dst_unused:UNUSED_PAD src0_sel:WORD_1 src1_sel:DWORD
	v_cndmask_b32_e64 v17, 0, 1, s[14:15]
	v_or_b32_sdwa v16, v17, v16 dst_sel:WORD_1 dst_unused:UNUSED_PAD src0_sel:DWORD src1_sel:DWORD
	s_mov_b32 s3, 0xffff
	v_and_or_b32 v5, v5, s3, v16
.LBB65_366:
	s_or_b64 exec, exec, s[4:5]
	v_or_b32_e32 v16, 0x700, v0
	v_cmp_gt_i32_e32 vcc, s8, v16
	s_and_saveexec_b64 s[4:5], vcc
	s_cbranch_execz .LBB65_381
; %bb.367:
	s_cmp_lt_i32 s9, 1
	s_mov_b64 s[6:7], 0
	s_cbranch_scc1 .LBB65_372
; %bb.368:
	s_cmp_gt_i32 s9, 1
	s_cbranch_scc0 .LBB65_373
; %bb.369:
	s_cmp_eq_u32 s9, 2
	s_cbranch_scc0 .LBB65_541
; %bb.370:
	v_cmp_ge_i16_e64 s[14:15], s10, v15
	s_mov_b64 s[16:17], 0
	s_branch .LBB65_375
.LBB65_371:
	v_cmp_gt_i16_e32 vcc, s10, v16
	s_andn2_b64 s[14:15], s[14:15], exec
	s_and_b64 s[16:17], vcc, exec
	s_or_b64 s[14:15], s[14:15], s[16:17]
	s_cbranch_execz .LBB65_364
	s_branch .LBB65_365
.LBB65_372:
                                        ; implicit-def: $sgpr14_sgpr15
	s_mov_b64 s[16:17], 0
	s_cbranch_execnz .LBB65_376
	s_branch .LBB65_377
.LBB65_373:
	s_mov_b64 s[16:17], 0
                                        ; implicit-def: $sgpr14_sgpr15
	s_cbranch_execz .LBB65_375
; %bb.374:
	v_cmp_lt_i16_e32 vcc, s10, v15
	s_andn2_b64 s[14:15], s[14:15], exec
	s_and_b64 s[18:19], vcc, exec
	s_or_b64 s[14:15], s[14:15], s[18:19]
.LBB65_375:
	s_branch .LBB65_377
.LBB65_376:
	s_cmp_lg_u32 s9, 0
	s_mov_b64 s[6:7], -1
	s_cselect_b64 s[16:17], -1, 0
.LBB65_377:
	s_andn2_b64 vcc, exec, s[16:17]
	s_cbranch_vccz .LBB65_386
; %bb.378:
	s_andn2_b64 vcc, exec, s[6:7]
	s_cbranch_vccnz .LBB65_380
.LBB65_379:
	v_cmp_le_i16_e32 vcc, s10, v15
	s_andn2_b64 s[6:7], s[14:15], exec
	s_and_b64 s[14:15], vcc, exec
	s_or_b64 s[14:15], s[6:7], s[14:15]
.LBB65_380:
	s_movk_i32 s3, 0xff
	v_cndmask_b32_e64 v16, 0, 1, s[14:15]
	v_and_b32_sdwa v15, v5, s3 dst_sel:DWORD dst_unused:UNUSED_PAD src0_sel:WORD_1 src1_sel:DWORD
	v_lshlrev_b16_e32 v16, 8, v16
	v_or_b32_sdwa v15, v15, v16 dst_sel:WORD_1 dst_unused:UNUSED_PAD src0_sel:DWORD src1_sel:DWORD
	s_mov_b32 s3, 0xffff
	v_and_or_b32 v5, v5, s3, v15
.LBB65_381:
	s_or_b64 exec, exec, s[4:5]
	v_or_b32_e32 v15, 0x800, v0
	v_cmp_gt_i32_e32 vcc, s8, v15
	s_and_saveexec_b64 s[4:5], vcc
	s_cbranch_execz .LBB65_396
; %bb.382:
	s_cmp_lt_i32 s9, 1
	s_mov_b64 s[6:7], 0
	s_cbranch_scc1 .LBB65_387
; %bb.383:
	s_cmp_gt_i32 s9, 1
	s_cbranch_scc0 .LBB65_388
; %bb.384:
	s_cmp_eq_u32 s9, 2
	s_cbranch_scc0 .LBB65_542
; %bb.385:
	v_cmp_ge_i16_e64 s[14:15], s10, v14
	s_mov_b64 s[16:17], 0
	s_branch .LBB65_390
.LBB65_386:
	v_cmp_gt_i16_e32 vcc, s10, v15
	s_andn2_b64 s[14:15], s[14:15], exec
	s_and_b64 s[16:17], vcc, exec
	s_or_b64 s[14:15], s[14:15], s[16:17]
	s_cbranch_execz .LBB65_379
	s_branch .LBB65_380
.LBB65_387:
                                        ; implicit-def: $sgpr14_sgpr15
	s_mov_b64 s[16:17], 0
	s_cbranch_execnz .LBB65_391
	s_branch .LBB65_392
.LBB65_388:
	s_mov_b64 s[16:17], 0
                                        ; implicit-def: $sgpr14_sgpr15
	s_cbranch_execz .LBB65_390
; %bb.389:
	v_cmp_lt_i16_e32 vcc, s10, v14
	s_andn2_b64 s[14:15], s[14:15], exec
	s_and_b64 s[18:19], vcc, exec
	s_or_b64 s[14:15], s[14:15], s[18:19]
.LBB65_390:
	s_branch .LBB65_392
.LBB65_391:
	s_cmp_lg_u32 s9, 0
	s_mov_b64 s[6:7], -1
	s_cselect_b64 s[16:17], -1, 0
.LBB65_392:
	s_andn2_b64 vcc, exec, s[16:17]
	s_cbranch_vccz .LBB65_401
; %bb.393:
	s_andn2_b64 vcc, exec, s[6:7]
	s_cbranch_vccnz .LBB65_395
.LBB65_394:
	v_cmp_le_i16_e32 vcc, s10, v14
	s_andn2_b64 s[6:7], s[14:15], exec
	s_and_b64 s[14:15], vcc, exec
	s_or_b64 s[14:15], s[6:7], s[14:15]
.LBB65_395:
	v_and_b32_e32 v14, 0xffffff00, v3
	v_cndmask_b32_e64 v15, 0, 1, s[14:15]
	v_or_b32_e32 v14, v15, v14
	v_and_b32_e32 v14, 0xffff, v14
	s_mov_b32 s3, 0xffff0000
	v_and_or_b32 v3, v3, s3, v14
.LBB65_396:
	s_or_b64 exec, exec, s[4:5]
	v_or_b32_e32 v14, 0x900, v0
	v_cmp_gt_i32_e32 vcc, s8, v14
	s_and_saveexec_b64 s[4:5], vcc
	s_cbranch_execz .LBB65_411
; %bb.397:
	s_cmp_lt_i32 s9, 1
	s_mov_b64 s[6:7], 0
	s_cbranch_scc1 .LBB65_402
; %bb.398:
	s_cmp_gt_i32 s9, 1
	s_cbranch_scc0 .LBB65_403
; %bb.399:
	s_cmp_eq_u32 s9, 2
	s_cbranch_scc0 .LBB65_543
; %bb.400:
	v_cmp_ge_i16_e64 s[14:15], s10, v13
	s_mov_b64 s[16:17], 0
	s_branch .LBB65_405
.LBB65_401:
	v_cmp_gt_i16_e32 vcc, s10, v14
	s_andn2_b64 s[14:15], s[14:15], exec
	s_and_b64 s[16:17], vcc, exec
	s_or_b64 s[14:15], s[14:15], s[16:17]
	s_cbranch_execz .LBB65_394
	s_branch .LBB65_395
.LBB65_402:
                                        ; implicit-def: $sgpr14_sgpr15
	s_mov_b64 s[16:17], 0
	s_cbranch_execnz .LBB65_406
	s_branch .LBB65_407
.LBB65_403:
	s_mov_b64 s[16:17], 0
                                        ; implicit-def: $sgpr14_sgpr15
	s_cbranch_execz .LBB65_405
; %bb.404:
	v_cmp_lt_i16_e32 vcc, s10, v13
	s_andn2_b64 s[14:15], s[14:15], exec
	s_and_b64 s[18:19], vcc, exec
	s_or_b64 s[14:15], s[14:15], s[18:19]
.LBB65_405:
	s_branch .LBB65_407
.LBB65_406:
	s_cmp_lg_u32 s9, 0
	s_mov_b64 s[6:7], -1
	s_cselect_b64 s[16:17], -1, 0
.LBB65_407:
	s_andn2_b64 vcc, exec, s[16:17]
	s_cbranch_vccz .LBB65_416
; %bb.408:
	s_andn2_b64 vcc, exec, s[6:7]
	s_cbranch_vccnz .LBB65_410
.LBB65_409:
	v_cmp_le_i16_e32 vcc, s10, v13
	s_andn2_b64 s[6:7], s[14:15], exec
	s_and_b64 s[14:15], vcc, exec
	s_or_b64 s[14:15], s[6:7], s[14:15]
.LBB65_410:
	v_cndmask_b32_e64 v13, 0, 1, s[14:15]
	v_lshlrev_b16_e32 v13, 8, v13
	v_or_b32_sdwa v13, v3, v13 dst_sel:DWORD dst_unused:UNUSED_PAD src0_sel:BYTE_0 src1_sel:DWORD
	v_and_b32_e32 v13, 0xffff, v13
	s_mov_b32 s3, 0xffff0000
	v_and_or_b32 v3, v3, s3, v13
.LBB65_411:
	s_or_b64 exec, exec, s[4:5]
	v_or_b32_e32 v13, 0xa00, v0
	v_cmp_gt_i32_e32 vcc, s8, v13
	s_and_saveexec_b64 s[4:5], vcc
	s_cbranch_execz .LBB65_426
; %bb.412:
	s_cmp_lt_i32 s9, 1
	s_mov_b64 s[6:7], 0
	s_cbranch_scc1 .LBB65_417
; %bb.413:
	s_cmp_gt_i32 s9, 1
	s_cbranch_scc0 .LBB65_418
; %bb.414:
	s_cmp_eq_u32 s9, 2
	s_cbranch_scc0 .LBB65_544
; %bb.415:
	v_cmp_ge_i16_e64 s[14:15], s10, v12
	s_mov_b64 s[16:17], 0
	s_branch .LBB65_420
.LBB65_416:
	v_cmp_gt_i16_e32 vcc, s10, v13
	s_andn2_b64 s[14:15], s[14:15], exec
	s_and_b64 s[16:17], vcc, exec
	s_or_b64 s[14:15], s[14:15], s[16:17]
	s_cbranch_execz .LBB65_409
	s_branch .LBB65_410
.LBB65_417:
                                        ; implicit-def: $sgpr14_sgpr15
	s_mov_b64 s[16:17], 0
	s_cbranch_execnz .LBB65_421
	s_branch .LBB65_422
.LBB65_418:
	s_mov_b64 s[16:17], 0
                                        ; implicit-def: $sgpr14_sgpr15
	s_cbranch_execz .LBB65_420
; %bb.419:
	v_cmp_lt_i16_e32 vcc, s10, v12
	s_andn2_b64 s[14:15], s[14:15], exec
	s_and_b64 s[18:19], vcc, exec
	s_or_b64 s[14:15], s[14:15], s[18:19]
.LBB65_420:
	s_branch .LBB65_422
.LBB65_421:
	s_cmp_lg_u32 s9, 0
	s_mov_b64 s[6:7], -1
	s_cselect_b64 s[16:17], -1, 0
.LBB65_422:
	s_andn2_b64 vcc, exec, s[16:17]
	s_cbranch_vccz .LBB65_431
; %bb.423:
	s_andn2_b64 vcc, exec, s[6:7]
	s_cbranch_vccnz .LBB65_425
.LBB65_424:
	v_cmp_le_i16_e32 vcc, s10, v12
	s_andn2_b64 s[6:7], s[14:15], exec
	s_and_b64 s[14:15], vcc, exec
	s_or_b64 s[14:15], s[6:7], s[14:15]
.LBB65_425:
	s_movk_i32 s3, 0xff00
	v_and_b32_sdwa v12, v3, s3 dst_sel:DWORD dst_unused:UNUSED_PAD src0_sel:WORD_1 src1_sel:DWORD
	v_cndmask_b32_e64 v13, 0, 1, s[14:15]
	v_or_b32_sdwa v12, v13, v12 dst_sel:WORD_1 dst_unused:UNUSED_PAD src0_sel:DWORD src1_sel:DWORD
	s_mov_b32 s3, 0xffff
	v_and_or_b32 v3, v3, s3, v12
.LBB65_426:
	s_or_b64 exec, exec, s[4:5]
	v_or_b32_e32 v12, 0xb00, v0
	v_cmp_gt_i32_e32 vcc, s8, v12
	s_and_saveexec_b64 s[4:5], vcc
	s_cbranch_execz .LBB65_441
; %bb.427:
	s_cmp_lt_i32 s9, 1
	s_mov_b64 s[6:7], 0
	s_cbranch_scc1 .LBB65_432
; %bb.428:
	s_cmp_gt_i32 s9, 1
	s_cbranch_scc0 .LBB65_433
; %bb.429:
	s_cmp_eq_u32 s9, 2
	s_cbranch_scc0 .LBB65_545
; %bb.430:
	v_cmp_ge_i16_e64 s[14:15], s10, v11
	s_mov_b64 s[16:17], 0
	s_branch .LBB65_435
.LBB65_431:
	v_cmp_gt_i16_e32 vcc, s10, v12
	s_andn2_b64 s[14:15], s[14:15], exec
	s_and_b64 s[16:17], vcc, exec
	s_or_b64 s[14:15], s[14:15], s[16:17]
	s_cbranch_execz .LBB65_424
	s_branch .LBB65_425
.LBB65_432:
                                        ; implicit-def: $sgpr14_sgpr15
	s_mov_b64 s[16:17], 0
	s_cbranch_execnz .LBB65_436
	s_branch .LBB65_437
.LBB65_433:
	s_mov_b64 s[16:17], 0
                                        ; implicit-def: $sgpr14_sgpr15
	s_cbranch_execz .LBB65_435
; %bb.434:
	v_cmp_lt_i16_e32 vcc, s10, v11
	s_andn2_b64 s[14:15], s[14:15], exec
	s_and_b64 s[18:19], vcc, exec
	s_or_b64 s[14:15], s[14:15], s[18:19]
.LBB65_435:
	s_branch .LBB65_437
.LBB65_436:
	s_cmp_lg_u32 s9, 0
	s_mov_b64 s[6:7], -1
	s_cselect_b64 s[16:17], -1, 0
.LBB65_437:
	s_andn2_b64 vcc, exec, s[16:17]
	s_cbranch_vccz .LBB65_446
; %bb.438:
	s_andn2_b64 vcc, exec, s[6:7]
	s_cbranch_vccnz .LBB65_440
.LBB65_439:
	v_cmp_le_i16_e32 vcc, s10, v11
	s_andn2_b64 s[6:7], s[14:15], exec
	s_and_b64 s[14:15], vcc, exec
	s_or_b64 s[14:15], s[6:7], s[14:15]
.LBB65_440:
	s_movk_i32 s3, 0xff
	v_cndmask_b32_e64 v12, 0, 1, s[14:15]
	v_and_b32_sdwa v11, v3, s3 dst_sel:DWORD dst_unused:UNUSED_PAD src0_sel:WORD_1 src1_sel:DWORD
	v_lshlrev_b16_e32 v12, 8, v12
	v_or_b32_sdwa v11, v11, v12 dst_sel:WORD_1 dst_unused:UNUSED_PAD src0_sel:DWORD src1_sel:DWORD
	s_mov_b32 s3, 0xffff
	v_and_or_b32 v3, v3, s3, v11
.LBB65_441:
	s_or_b64 exec, exec, s[4:5]
	v_or_b32_e32 v11, 0xc00, v0
	v_cmp_gt_i32_e32 vcc, s8, v11
	s_and_saveexec_b64 s[4:5], vcc
	s_cbranch_execz .LBB65_456
; %bb.442:
	s_cmp_lt_i32 s9, 1
	s_mov_b64 s[6:7], 0
	s_cbranch_scc1 .LBB65_447
; %bb.443:
	s_cmp_gt_i32 s9, 1
	s_cbranch_scc0 .LBB65_448
; %bb.444:
	s_cmp_eq_u32 s9, 2
	s_cbranch_scc0 .LBB65_546
; %bb.445:
	v_cmp_ge_i16_e64 s[14:15], s10, v10
	s_mov_b64 s[16:17], 0
	s_branch .LBB65_450
.LBB65_446:
	v_cmp_gt_i16_e32 vcc, s10, v11
	s_andn2_b64 s[14:15], s[14:15], exec
	s_and_b64 s[16:17], vcc, exec
	s_or_b64 s[14:15], s[14:15], s[16:17]
	s_cbranch_execz .LBB65_439
	s_branch .LBB65_440
.LBB65_447:
                                        ; implicit-def: $sgpr14_sgpr15
	s_mov_b64 s[16:17], 0
	s_cbranch_execnz .LBB65_451
	s_branch .LBB65_452
.LBB65_448:
	s_mov_b64 s[16:17], 0
                                        ; implicit-def: $sgpr14_sgpr15
	s_cbranch_execz .LBB65_450
; %bb.449:
	v_cmp_lt_i16_e32 vcc, s10, v10
	s_andn2_b64 s[14:15], s[14:15], exec
	s_and_b64 s[18:19], vcc, exec
	s_or_b64 s[14:15], s[14:15], s[18:19]
.LBB65_450:
	s_branch .LBB65_452
.LBB65_451:
	s_cmp_lg_u32 s9, 0
	s_mov_b64 s[6:7], -1
	s_cselect_b64 s[16:17], -1, 0
.LBB65_452:
	s_andn2_b64 vcc, exec, s[16:17]
	s_cbranch_vccz .LBB65_461
; %bb.453:
	s_andn2_b64 vcc, exec, s[6:7]
	s_cbranch_vccnz .LBB65_455
.LBB65_454:
	v_cmp_le_i16_e32 vcc, s10, v10
	s_andn2_b64 s[6:7], s[14:15], exec
	s_and_b64 s[14:15], vcc, exec
	s_or_b64 s[14:15], s[6:7], s[14:15]
.LBB65_455:
	v_and_b32_e32 v10, 0xffffff00, v2
	v_cndmask_b32_e64 v11, 0, 1, s[14:15]
	v_or_b32_e32 v10, v11, v10
	v_and_b32_e32 v10, 0xffff, v10
	s_mov_b32 s3, 0xffff0000
	v_and_or_b32 v2, v2, s3, v10
.LBB65_456:
	s_or_b64 exec, exec, s[4:5]
	v_or_b32_e32 v10, 0xd00, v0
	v_cmp_gt_i32_e32 vcc, s8, v10
	s_and_saveexec_b64 s[4:5], vcc
	s_cbranch_execz .LBB65_471
; %bb.457:
	s_cmp_lt_i32 s9, 1
	s_mov_b64 s[6:7], 0
	s_cbranch_scc1 .LBB65_462
; %bb.458:
	s_cmp_gt_i32 s9, 1
	s_cbranch_scc0 .LBB65_463
; %bb.459:
	s_cmp_eq_u32 s9, 2
	s_cbranch_scc0 .LBB65_547
; %bb.460:
	v_cmp_ge_i16_e64 s[14:15], s10, v9
	s_mov_b64 s[16:17], 0
	s_branch .LBB65_465
.LBB65_461:
	v_cmp_gt_i16_e32 vcc, s10, v10
	s_andn2_b64 s[14:15], s[14:15], exec
	s_and_b64 s[16:17], vcc, exec
	s_or_b64 s[14:15], s[14:15], s[16:17]
	s_cbranch_execz .LBB65_454
	s_branch .LBB65_455
.LBB65_462:
                                        ; implicit-def: $sgpr14_sgpr15
	s_mov_b64 s[16:17], 0
	s_cbranch_execnz .LBB65_466
	s_branch .LBB65_467
.LBB65_463:
	s_mov_b64 s[16:17], 0
                                        ; implicit-def: $sgpr14_sgpr15
	s_cbranch_execz .LBB65_465
; %bb.464:
	v_cmp_lt_i16_e32 vcc, s10, v9
	s_andn2_b64 s[14:15], s[14:15], exec
	s_and_b64 s[18:19], vcc, exec
	s_or_b64 s[14:15], s[14:15], s[18:19]
.LBB65_465:
	s_branch .LBB65_467
.LBB65_466:
	s_cmp_lg_u32 s9, 0
	s_mov_b64 s[6:7], -1
	s_cselect_b64 s[16:17], -1, 0
.LBB65_467:
	s_andn2_b64 vcc, exec, s[16:17]
	s_cbranch_vccz .LBB65_476
; %bb.468:
	s_andn2_b64 vcc, exec, s[6:7]
	s_cbranch_vccnz .LBB65_470
.LBB65_469:
	v_cmp_le_i16_e32 vcc, s10, v9
	s_andn2_b64 s[6:7], s[14:15], exec
	s_and_b64 s[14:15], vcc, exec
	s_or_b64 s[14:15], s[6:7], s[14:15]
.LBB65_470:
	v_cndmask_b32_e64 v9, 0, 1, s[14:15]
	v_lshlrev_b16_e32 v9, 8, v9
	v_or_b32_sdwa v9, v2, v9 dst_sel:DWORD dst_unused:UNUSED_PAD src0_sel:BYTE_0 src1_sel:DWORD
	v_and_b32_e32 v9, 0xffff, v9
	s_mov_b32 s3, 0xffff0000
	v_and_or_b32 v2, v2, s3, v9
.LBB65_471:
	s_or_b64 exec, exec, s[4:5]
	v_or_b32_e32 v9, 0xe00, v0
	v_cmp_gt_i32_e32 vcc, s8, v9
	s_and_saveexec_b64 s[4:5], vcc
	s_cbranch_execz .LBB65_486
; %bb.472:
	s_cmp_lt_i32 s9, 1
	s_mov_b64 s[6:7], 0
	s_cbranch_scc1 .LBB65_477
; %bb.473:
	s_cmp_gt_i32 s9, 1
	s_cbranch_scc0 .LBB65_478
; %bb.474:
	s_cmp_eq_u32 s9, 2
	s_cbranch_scc0 .LBB65_548
; %bb.475:
	v_cmp_ge_i16_e64 s[14:15], s10, v8
	s_mov_b64 s[16:17], 0
	s_branch .LBB65_480
.LBB65_476:
	v_cmp_gt_i16_e32 vcc, s10, v9
	s_andn2_b64 s[14:15], s[14:15], exec
	s_and_b64 s[16:17], vcc, exec
	s_or_b64 s[14:15], s[14:15], s[16:17]
	s_cbranch_execz .LBB65_469
	s_branch .LBB65_470
.LBB65_477:
                                        ; implicit-def: $sgpr14_sgpr15
	s_mov_b64 s[16:17], 0
	s_cbranch_execnz .LBB65_481
	s_branch .LBB65_482
.LBB65_478:
	s_mov_b64 s[16:17], 0
                                        ; implicit-def: $sgpr14_sgpr15
	s_cbranch_execz .LBB65_480
; %bb.479:
	v_cmp_lt_i16_e32 vcc, s10, v8
	s_andn2_b64 s[14:15], s[14:15], exec
	s_and_b64 s[18:19], vcc, exec
	s_or_b64 s[14:15], s[14:15], s[18:19]
.LBB65_480:
	s_branch .LBB65_482
.LBB65_481:
	s_cmp_lg_u32 s9, 0
	s_mov_b64 s[6:7], -1
	s_cselect_b64 s[16:17], -1, 0
.LBB65_482:
	s_andn2_b64 vcc, exec, s[16:17]
	s_cbranch_vccz .LBB65_491
; %bb.483:
	s_andn2_b64 vcc, exec, s[6:7]
	s_cbranch_vccnz .LBB65_485
.LBB65_484:
	v_cmp_le_i16_e32 vcc, s10, v8
	s_andn2_b64 s[6:7], s[14:15], exec
	s_and_b64 s[14:15], vcc, exec
	s_or_b64 s[14:15], s[6:7], s[14:15]
.LBB65_485:
	s_movk_i32 s3, 0xff00
	v_and_b32_sdwa v8, v2, s3 dst_sel:DWORD dst_unused:UNUSED_PAD src0_sel:WORD_1 src1_sel:DWORD
	v_cndmask_b32_e64 v9, 0, 1, s[14:15]
	v_or_b32_sdwa v8, v9, v8 dst_sel:WORD_1 dst_unused:UNUSED_PAD src0_sel:DWORD src1_sel:DWORD
	s_mov_b32 s3, 0xffff
	v_and_or_b32 v2, v2, s3, v8
.LBB65_486:
	s_or_b64 exec, exec, s[4:5]
	v_or_b32_e32 v8, 0xf00, v0
	v_cmp_gt_i32_e32 vcc, s8, v8
	s_and_saveexec_b64 s[4:5], vcc
	s_cbranch_execz .LBB65_501
; %bb.487:
	s_cmp_lt_i32 s9, 1
	s_mov_b64 s[6:7], 0
	s_cbranch_scc1 .LBB65_492
; %bb.488:
	s_cmp_gt_i32 s9, 1
	s_cbranch_scc0 .LBB65_493
; %bb.489:
	s_cmp_eq_u32 s9, 2
	s_cbranch_scc0 .LBB65_549
; %bb.490:
	v_cmp_ge_i16_e64 s[14:15], s10, v4
	s_mov_b64 s[16:17], 0
	s_branch .LBB65_495
.LBB65_491:
	v_cmp_gt_i16_e32 vcc, s10, v8
	s_andn2_b64 s[14:15], s[14:15], exec
	s_and_b64 s[16:17], vcc, exec
	s_or_b64 s[14:15], s[14:15], s[16:17]
	s_cbranch_execz .LBB65_484
	s_branch .LBB65_485
.LBB65_492:
                                        ; implicit-def: $sgpr14_sgpr15
	s_mov_b64 s[16:17], 0
	s_cbranch_execnz .LBB65_496
	s_branch .LBB65_497
.LBB65_493:
	s_mov_b64 s[16:17], 0
                                        ; implicit-def: $sgpr14_sgpr15
	s_cbranch_execz .LBB65_495
; %bb.494:
	v_cmp_lt_i16_e32 vcc, s10, v4
	s_andn2_b64 s[14:15], s[14:15], exec
	s_and_b64 s[18:19], vcc, exec
	s_or_b64 s[14:15], s[14:15], s[18:19]
.LBB65_495:
	s_branch .LBB65_497
.LBB65_496:
	s_cmp_lg_u32 s9, 0
	s_mov_b64 s[6:7], -1
	s_cselect_b64 s[16:17], -1, 0
.LBB65_497:
	s_andn2_b64 vcc, exec, s[16:17]
	s_cbranch_vccz .LBB65_534
; %bb.498:
	s_andn2_b64 vcc, exec, s[6:7]
	s_cbranch_vccnz .LBB65_500
.LBB65_499:
	v_cmp_le_i16_e32 vcc, s10, v4
	s_andn2_b64 s[6:7], s[14:15], exec
	s_and_b64 s[10:11], vcc, exec
	s_or_b64 s[14:15], s[6:7], s[10:11]
.LBB65_500:
	s_movk_i32 s3, 0xff
	v_cndmask_b32_e64 v8, 0, 1, s[14:15]
	v_and_b32_sdwa v4, v2, s3 dst_sel:DWORD dst_unused:UNUSED_PAD src0_sel:WORD_1 src1_sel:DWORD
	v_lshlrev_b16_e32 v8, 8, v8
	v_or_b32_sdwa v4, v4, v8 dst_sel:WORD_1 dst_unused:UNUSED_PAD src0_sel:DWORD src1_sel:DWORD
	s_mov_b32 s3, 0xffff
	v_and_or_b32 v2, v2, s3, v4
.LBB65_501:
	s_or_b64 exec, exec, s[4:5]
	s_and_saveexec_b64 s[4:5], s[0:1]
	s_xor_b64 s[0:1], exec, s[4:5]
	s_cbranch_execz .LBB65_503
; %bb.502:
	v_mov_b32_e32 v0, v7
	global_store_byte v1, v6, s[12:13]
.LBB65_503:
	s_or_b64 exec, exec, s[0:1]
	v_cmp_gt_i32_e32 vcc, s8, v0
	s_and_saveexec_b64 s[0:1], vcc
	s_cbranch_execnz .LBB65_520
; %bb.504:
	s_or_b64 exec, exec, s[0:1]
	v_cmp_gt_i32_e32 vcc, s8, v0
	s_and_saveexec_b64 s[0:1], vcc
	s_cbranch_execnz .LBB65_521
.LBB65_505:
	s_or_b64 exec, exec, s[0:1]
	v_cmp_gt_i32_e32 vcc, s8, v0
	s_and_saveexec_b64 s[0:1], vcc
	s_cbranch_execnz .LBB65_522
.LBB65_506:
	s_or_b64 exec, exec, s[0:1]
	v_cmp_gt_i32_e32 vcc, s8, v0
	s_and_saveexec_b64 s[0:1], vcc
	s_cbranch_execnz .LBB65_523
.LBB65_507:
	s_or_b64 exec, exec, s[0:1]
	v_cmp_gt_i32_e32 vcc, s8, v0
	s_and_saveexec_b64 s[0:1], vcc
	s_cbranch_execnz .LBB65_524
.LBB65_508:
	s_or_b64 exec, exec, s[0:1]
	v_cmp_gt_i32_e32 vcc, s8, v0
	s_and_saveexec_b64 s[0:1], vcc
	s_cbranch_execnz .LBB65_525
.LBB65_509:
	s_or_b64 exec, exec, s[0:1]
	v_cmp_gt_i32_e32 vcc, s8, v0
	s_and_saveexec_b64 s[0:1], vcc
	s_cbranch_execnz .LBB65_526
.LBB65_510:
	s_or_b64 exec, exec, s[0:1]
	v_cmp_gt_i32_e32 vcc, s8, v0
	s_and_saveexec_b64 s[0:1], vcc
	s_cbranch_execnz .LBB65_527
.LBB65_511:
	s_or_b64 exec, exec, s[0:1]
	v_cmp_gt_i32_e32 vcc, s8, v0
	s_and_saveexec_b64 s[0:1], vcc
	s_cbranch_execnz .LBB65_528
.LBB65_512:
	s_or_b64 exec, exec, s[0:1]
	v_cmp_gt_i32_e32 vcc, s8, v0
	s_and_saveexec_b64 s[0:1], vcc
	s_cbranch_execnz .LBB65_529
.LBB65_513:
	s_or_b64 exec, exec, s[0:1]
	v_cmp_gt_i32_e32 vcc, s8, v0
	s_and_saveexec_b64 s[0:1], vcc
	s_cbranch_execnz .LBB65_530
.LBB65_514:
	s_or_b64 exec, exec, s[0:1]
	v_cmp_gt_i32_e32 vcc, s8, v0
	s_and_saveexec_b64 s[0:1], vcc
	s_cbranch_execnz .LBB65_531
.LBB65_515:
	s_or_b64 exec, exec, s[0:1]
	v_cmp_gt_i32_e32 vcc, s8, v0
	s_and_saveexec_b64 s[0:1], vcc
	s_cbranch_execnz .LBB65_532
.LBB65_516:
	s_or_b64 exec, exec, s[0:1]
	v_cmp_gt_i32_e32 vcc, s8, v0
	s_and_saveexec_b64 s[0:1], vcc
	s_cbranch_execnz .LBB65_533
.LBB65_517:
	s_or_b64 exec, exec, s[0:1]
	v_cmp_gt_i32_e32 vcc, s8, v0
	s_and_saveexec_b64 s[0:1], vcc
	s_cbranch_execz .LBB65_519
.LBB65_518:
	v_lshrrev_b32_e32 v1, 24, v2
	v_add_u32_e32 v0, s2, v0
	global_store_byte v0, v1, s[12:13]
.LBB65_519:
	s_endpgm
.LBB65_520:
	v_lshrrev_b32_e32 v1, 8, v6
	v_add_u32_e32 v4, s2, v0
	v_add_u32_e32 v0, 0x100, v0
	global_store_byte v4, v1, s[12:13]
	s_or_b64 exec, exec, s[0:1]
	v_cmp_gt_i32_e32 vcc, s8, v0
	s_and_saveexec_b64 s[0:1], vcc
	s_cbranch_execz .LBB65_505
.LBB65_521:
	v_add_u32_e32 v1, s2, v0
	v_add_u32_e32 v0, 0x100, v0
	global_store_byte_d16_hi v1, v6, s[12:13]
	s_or_b64 exec, exec, s[0:1]
	v_cmp_gt_i32_e32 vcc, s8, v0
	s_and_saveexec_b64 s[0:1], vcc
	s_cbranch_execz .LBB65_506
.LBB65_522:
	v_lshrrev_b32_e32 v1, 24, v6
	v_add_u32_e32 v4, s2, v0
	v_add_u32_e32 v0, 0x100, v0
	global_store_byte v4, v1, s[12:13]
	s_or_b64 exec, exec, s[0:1]
	v_cmp_gt_i32_e32 vcc, s8, v0
	s_and_saveexec_b64 s[0:1], vcc
	s_cbranch_execz .LBB65_507
.LBB65_523:
	v_add_u32_e32 v1, s2, v0
	v_add_u32_e32 v0, 0x100, v0
	global_store_byte v1, v5, s[12:13]
	s_or_b64 exec, exec, s[0:1]
	v_cmp_gt_i32_e32 vcc, s8, v0
	s_and_saveexec_b64 s[0:1], vcc
	s_cbranch_execz .LBB65_508
.LBB65_524:
	v_lshrrev_b32_e32 v1, 8, v5
	v_add_u32_e32 v4, s2, v0
	v_add_u32_e32 v0, 0x100, v0
	global_store_byte v4, v1, s[12:13]
	s_or_b64 exec, exec, s[0:1]
	v_cmp_gt_i32_e32 vcc, s8, v0
	s_and_saveexec_b64 s[0:1], vcc
	s_cbranch_execz .LBB65_509
.LBB65_525:
	v_add_u32_e32 v1, s2, v0
	v_add_u32_e32 v0, 0x100, v0
	global_store_byte_d16_hi v1, v5, s[12:13]
	s_or_b64 exec, exec, s[0:1]
	v_cmp_gt_i32_e32 vcc, s8, v0
	s_and_saveexec_b64 s[0:1], vcc
	s_cbranch_execz .LBB65_510
.LBB65_526:
	v_lshrrev_b32_e32 v1, 24, v5
	v_add_u32_e32 v4, s2, v0
	v_add_u32_e32 v0, 0x100, v0
	global_store_byte v4, v1, s[12:13]
	s_or_b64 exec, exec, s[0:1]
	v_cmp_gt_i32_e32 vcc, s8, v0
	s_and_saveexec_b64 s[0:1], vcc
	s_cbranch_execz .LBB65_511
.LBB65_527:
	v_add_u32_e32 v1, s2, v0
	v_add_u32_e32 v0, 0x100, v0
	global_store_byte v1, v3, s[12:13]
	s_or_b64 exec, exec, s[0:1]
	v_cmp_gt_i32_e32 vcc, s8, v0
	s_and_saveexec_b64 s[0:1], vcc
	s_cbranch_execz .LBB65_512
.LBB65_528:
	v_lshrrev_b32_e32 v1, 8, v3
	v_add_u32_e32 v4, s2, v0
	v_add_u32_e32 v0, 0x100, v0
	global_store_byte v4, v1, s[12:13]
	s_or_b64 exec, exec, s[0:1]
	v_cmp_gt_i32_e32 vcc, s8, v0
	s_and_saveexec_b64 s[0:1], vcc
	s_cbranch_execz .LBB65_513
.LBB65_529:
	v_add_u32_e32 v1, s2, v0
	v_add_u32_e32 v0, 0x100, v0
	global_store_byte_d16_hi v1, v3, s[12:13]
	s_or_b64 exec, exec, s[0:1]
	v_cmp_gt_i32_e32 vcc, s8, v0
	s_and_saveexec_b64 s[0:1], vcc
	s_cbranch_execz .LBB65_514
.LBB65_530:
	v_lshrrev_b32_e32 v1, 24, v3
	v_add_u32_e32 v3, s2, v0
	v_add_u32_e32 v0, 0x100, v0
	global_store_byte v3, v1, s[12:13]
	s_or_b64 exec, exec, s[0:1]
	v_cmp_gt_i32_e32 vcc, s8, v0
	s_and_saveexec_b64 s[0:1], vcc
	s_cbranch_execz .LBB65_515
.LBB65_531:
	v_add_u32_e32 v1, s2, v0
	v_add_u32_e32 v0, 0x100, v0
	global_store_byte v1, v2, s[12:13]
	s_or_b64 exec, exec, s[0:1]
	v_cmp_gt_i32_e32 vcc, s8, v0
	s_and_saveexec_b64 s[0:1], vcc
	s_cbranch_execz .LBB65_516
.LBB65_532:
	v_lshrrev_b32_e32 v1, 8, v2
	v_add_u32_e32 v3, s2, v0
	v_add_u32_e32 v0, 0x100, v0
	global_store_byte v3, v1, s[12:13]
	s_or_b64 exec, exec, s[0:1]
	v_cmp_gt_i32_e32 vcc, s8, v0
	s_and_saveexec_b64 s[0:1], vcc
	s_cbranch_execz .LBB65_517
.LBB65_533:
	v_add_u32_e32 v1, s2, v0
	v_add_u32_e32 v0, 0x100, v0
	global_store_byte_d16_hi v1, v2, s[12:13]
	s_or_b64 exec, exec, s[0:1]
	v_cmp_gt_i32_e32 vcc, s8, v0
	s_and_saveexec_b64 s[0:1], vcc
	s_cbranch_execnz .LBB65_518
	s_branch .LBB65_519
.LBB65_534:
	v_cmp_gt_i16_e32 vcc, s10, v4
	s_andn2_b64 s[14:15], s[14:15], exec
	s_and_b64 s[16:17], vcc, exec
	s_or_b64 s[14:15], s[14:15], s[16:17]
	s_cbranch_execz .LBB65_499
	s_branch .LBB65_500
.LBB65_535:
	s_mov_b64 s[16:17], -1
                                        ; implicit-def: $sgpr14_sgpr15
	s_branch .LBB65_285
.LBB65_536:
	s_mov_b64 s[16:17], -1
                                        ; implicit-def: $sgpr14_sgpr15
	s_branch .LBB65_300
.LBB65_537:
	s_mov_b64 s[16:17], -1
                                        ; implicit-def: $sgpr14_sgpr15
	s_branch .LBB65_315
.LBB65_538:
	s_mov_b64 s[16:17], -1
                                        ; implicit-def: $sgpr14_sgpr15
	s_branch .LBB65_330
.LBB65_539:
	s_mov_b64 s[16:17], -1
                                        ; implicit-def: $sgpr14_sgpr15
	s_branch .LBB65_345
.LBB65_540:
	s_mov_b64 s[16:17], -1
                                        ; implicit-def: $sgpr14_sgpr15
	s_branch .LBB65_360
.LBB65_541:
	s_mov_b64 s[16:17], -1
                                        ; implicit-def: $sgpr14_sgpr15
	s_branch .LBB65_375
.LBB65_542:
	s_mov_b64 s[16:17], -1
                                        ; implicit-def: $sgpr14_sgpr15
	s_branch .LBB65_390
.LBB65_543:
	s_mov_b64 s[16:17], -1
                                        ; implicit-def: $sgpr14_sgpr15
	s_branch .LBB65_405
.LBB65_544:
	s_mov_b64 s[16:17], -1
                                        ; implicit-def: $sgpr14_sgpr15
	s_branch .LBB65_420
.LBB65_545:
	s_mov_b64 s[16:17], -1
                                        ; implicit-def: $sgpr14_sgpr15
	s_branch .LBB65_435
.LBB65_546:
	s_mov_b64 s[16:17], -1
                                        ; implicit-def: $sgpr14_sgpr15
	s_branch .LBB65_450
.LBB65_547:
	s_mov_b64 s[16:17], -1
                                        ; implicit-def: $sgpr14_sgpr15
	s_branch .LBB65_465
.LBB65_548:
	s_mov_b64 s[16:17], -1
                                        ; implicit-def: $sgpr14_sgpr15
	s_branch .LBB65_480
.LBB65_549:
	s_mov_b64 s[16:17], -1
                                        ; implicit-def: $sgpr14_sgpr15
	s_branch .LBB65_495
	.section	.rodata,"a",@progbits
	.p2align	6, 0x0
	.amdhsa_kernel _ZN2at6native29vectorized_elementwise_kernelILi8EZNS0_21compare_scalar_kernelIsEEvRNS_18TensorIteratorBaseENS0_12_GLOBAL__N_16OpTypeET_EUlsE_St5arrayIPcLm2EEEEviT0_T1_
		.amdhsa_group_segment_fixed_size 0
		.amdhsa_private_segment_fixed_size 0
		.amdhsa_kernarg_size 32
		.amdhsa_user_sgpr_count 6
		.amdhsa_user_sgpr_private_segment_buffer 1
		.amdhsa_user_sgpr_dispatch_ptr 0
		.amdhsa_user_sgpr_queue_ptr 0
		.amdhsa_user_sgpr_kernarg_segment_ptr 1
		.amdhsa_user_sgpr_dispatch_id 0
		.amdhsa_user_sgpr_flat_scratch_init 0
		.amdhsa_user_sgpr_private_segment_size 0
		.amdhsa_uses_dynamic_stack 0
		.amdhsa_system_sgpr_private_segment_wavefront_offset 0
		.amdhsa_system_sgpr_workgroup_id_x 1
		.amdhsa_system_sgpr_workgroup_id_y 0
		.amdhsa_system_sgpr_workgroup_id_z 0
		.amdhsa_system_sgpr_workgroup_info 0
		.amdhsa_system_vgpr_workitem_id 0
		.amdhsa_next_free_vgpr 22
		.amdhsa_next_free_sgpr 50
		.amdhsa_reserve_vcc 1
		.amdhsa_reserve_flat_scratch 0
		.amdhsa_float_round_mode_32 0
		.amdhsa_float_round_mode_16_64 0
		.amdhsa_float_denorm_mode_32 3
		.amdhsa_float_denorm_mode_16_64 3
		.amdhsa_dx10_clamp 1
		.amdhsa_ieee_mode 1
		.amdhsa_fp16_overflow 0
		.amdhsa_exception_fp_ieee_invalid_op 0
		.amdhsa_exception_fp_denorm_src 0
		.amdhsa_exception_fp_ieee_div_zero 0
		.amdhsa_exception_fp_ieee_overflow 0
		.amdhsa_exception_fp_ieee_underflow 0
		.amdhsa_exception_fp_ieee_inexact 0
		.amdhsa_exception_int_div_zero 0
	.end_amdhsa_kernel
	.section	.text._ZN2at6native29vectorized_elementwise_kernelILi8EZNS0_21compare_scalar_kernelIsEEvRNS_18TensorIteratorBaseENS0_12_GLOBAL__N_16OpTypeET_EUlsE_St5arrayIPcLm2EEEEviT0_T1_,"axG",@progbits,_ZN2at6native29vectorized_elementwise_kernelILi8EZNS0_21compare_scalar_kernelIsEEvRNS_18TensorIteratorBaseENS0_12_GLOBAL__N_16OpTypeET_EUlsE_St5arrayIPcLm2EEEEviT0_T1_,comdat
.Lfunc_end65:
	.size	_ZN2at6native29vectorized_elementwise_kernelILi8EZNS0_21compare_scalar_kernelIsEEvRNS_18TensorIteratorBaseENS0_12_GLOBAL__N_16OpTypeET_EUlsE_St5arrayIPcLm2EEEEviT0_T1_, .Lfunc_end65-_ZN2at6native29vectorized_elementwise_kernelILi8EZNS0_21compare_scalar_kernelIsEEvRNS_18TensorIteratorBaseENS0_12_GLOBAL__N_16OpTypeET_EUlsE_St5arrayIPcLm2EEEEviT0_T1_
                                        ; -- End function
	.set _ZN2at6native29vectorized_elementwise_kernelILi8EZNS0_21compare_scalar_kernelIsEEvRNS_18TensorIteratorBaseENS0_12_GLOBAL__N_16OpTypeET_EUlsE_St5arrayIPcLm2EEEEviT0_T1_.num_vgpr, 22
	.set _ZN2at6native29vectorized_elementwise_kernelILi8EZNS0_21compare_scalar_kernelIsEEvRNS_18TensorIteratorBaseENS0_12_GLOBAL__N_16OpTypeET_EUlsE_St5arrayIPcLm2EEEEviT0_T1_.num_agpr, 0
	.set _ZN2at6native29vectorized_elementwise_kernelILi8EZNS0_21compare_scalar_kernelIsEEvRNS_18TensorIteratorBaseENS0_12_GLOBAL__N_16OpTypeET_EUlsE_St5arrayIPcLm2EEEEviT0_T1_.numbered_sgpr, 50
	.set _ZN2at6native29vectorized_elementwise_kernelILi8EZNS0_21compare_scalar_kernelIsEEvRNS_18TensorIteratorBaseENS0_12_GLOBAL__N_16OpTypeET_EUlsE_St5arrayIPcLm2EEEEviT0_T1_.num_named_barrier, 0
	.set _ZN2at6native29vectorized_elementwise_kernelILi8EZNS0_21compare_scalar_kernelIsEEvRNS_18TensorIteratorBaseENS0_12_GLOBAL__N_16OpTypeET_EUlsE_St5arrayIPcLm2EEEEviT0_T1_.private_seg_size, 0
	.set _ZN2at6native29vectorized_elementwise_kernelILi8EZNS0_21compare_scalar_kernelIsEEvRNS_18TensorIteratorBaseENS0_12_GLOBAL__N_16OpTypeET_EUlsE_St5arrayIPcLm2EEEEviT0_T1_.uses_vcc, 1
	.set _ZN2at6native29vectorized_elementwise_kernelILi8EZNS0_21compare_scalar_kernelIsEEvRNS_18TensorIteratorBaseENS0_12_GLOBAL__N_16OpTypeET_EUlsE_St5arrayIPcLm2EEEEviT0_T1_.uses_flat_scratch, 0
	.set _ZN2at6native29vectorized_elementwise_kernelILi8EZNS0_21compare_scalar_kernelIsEEvRNS_18TensorIteratorBaseENS0_12_GLOBAL__N_16OpTypeET_EUlsE_St5arrayIPcLm2EEEEviT0_T1_.has_dyn_sized_stack, 0
	.set _ZN2at6native29vectorized_elementwise_kernelILi8EZNS0_21compare_scalar_kernelIsEEvRNS_18TensorIteratorBaseENS0_12_GLOBAL__N_16OpTypeET_EUlsE_St5arrayIPcLm2EEEEviT0_T1_.has_recursion, 0
	.set _ZN2at6native29vectorized_elementwise_kernelILi8EZNS0_21compare_scalar_kernelIsEEvRNS_18TensorIteratorBaseENS0_12_GLOBAL__N_16OpTypeET_EUlsE_St5arrayIPcLm2EEEEviT0_T1_.has_indirect_call, 0
	.section	.AMDGPU.csdata,"",@progbits
; Kernel info:
; codeLenInByte = 8932
; TotalNumSgprs: 54
; NumVgprs: 22
; ScratchSize: 0
; MemoryBound: 0
; FloatMode: 240
; IeeeMode: 1
; LDSByteSize: 0 bytes/workgroup (compile time only)
; SGPRBlocks: 6
; VGPRBlocks: 5
; NumSGPRsForWavesPerEU: 54
; NumVGPRsForWavesPerEU: 22
; Occupancy: 10
; WaveLimiterHint : 1
; COMPUTE_PGM_RSRC2:SCRATCH_EN: 0
; COMPUTE_PGM_RSRC2:USER_SGPR: 6
; COMPUTE_PGM_RSRC2:TRAP_HANDLER: 0
; COMPUTE_PGM_RSRC2:TGID_X_EN: 1
; COMPUTE_PGM_RSRC2:TGID_Y_EN: 0
; COMPUTE_PGM_RSRC2:TGID_Z_EN: 0
; COMPUTE_PGM_RSRC2:TIDIG_COMP_CNT: 0
	.section	.text._ZN2at6native29vectorized_elementwise_kernelILi4EZNS0_21compare_scalar_kernelIsEEvRNS_18TensorIteratorBaseENS0_12_GLOBAL__N_16OpTypeET_EUlsE_St5arrayIPcLm2EEEEviT0_T1_,"axG",@progbits,_ZN2at6native29vectorized_elementwise_kernelILi4EZNS0_21compare_scalar_kernelIsEEvRNS_18TensorIteratorBaseENS0_12_GLOBAL__N_16OpTypeET_EUlsE_St5arrayIPcLm2EEEEviT0_T1_,comdat
	.globl	_ZN2at6native29vectorized_elementwise_kernelILi4EZNS0_21compare_scalar_kernelIsEEvRNS_18TensorIteratorBaseENS0_12_GLOBAL__N_16OpTypeET_EUlsE_St5arrayIPcLm2EEEEviT0_T1_ ; -- Begin function _ZN2at6native29vectorized_elementwise_kernelILi4EZNS0_21compare_scalar_kernelIsEEvRNS_18TensorIteratorBaseENS0_12_GLOBAL__N_16OpTypeET_EUlsE_St5arrayIPcLm2EEEEviT0_T1_
	.p2align	8
	.type	_ZN2at6native29vectorized_elementwise_kernelILi4EZNS0_21compare_scalar_kernelIsEEvRNS_18TensorIteratorBaseENS0_12_GLOBAL__N_16OpTypeET_EUlsE_St5arrayIPcLm2EEEEviT0_T1_,@function
_ZN2at6native29vectorized_elementwise_kernelILi4EZNS0_21compare_scalar_kernelIsEEvRNS_18TensorIteratorBaseENS0_12_GLOBAL__N_16OpTypeET_EUlsE_St5arrayIPcLm2EEEEviT0_T1_: ; @_ZN2at6native29vectorized_elementwise_kernelILi4EZNS0_21compare_scalar_kernelIsEEvRNS_18TensorIteratorBaseENS0_12_GLOBAL__N_16OpTypeET_EUlsE_St5arrayIPcLm2EEEEviT0_T1_
; %bb.0:
	s_load_dwordx8 s[8:15], s[4:5], 0x0
	s_lshl_b32 s2, s6, 12
	s_mov_b64 s[0:1], -1
	s_waitcnt lgkmcnt(0)
	s_sub_i32 s8, s8, s2
	s_cmpk_gt_i32 s8, 0xfff
	s_cbranch_scc0 .LBB66_211
; %bb.1:
	s_ashr_i32 s3, s2, 31
	s_lshl_b64 s[0:1], s[2:3], 1
	s_add_u32 s0, s14, s0
	s_addc_u32 s1, s15, s1
	v_lshlrev_b32_e32 v11, 3, v0
	v_mov_b32_e32 v1, s1
	v_add_co_u32_e32 v2, vcc, s0, v11
	v_addc_co_u32_e32 v1, vcc, 0, v1, vcc
	v_add_co_u32_e32 v9, vcc, 0x1000, v2
	v_addc_co_u32_e32 v10, vcc, 0, v1, vcc
	global_load_dwordx2 v[7:8], v11, s[0:1]
	global_load_dwordx2 v[5:6], v11, s[0:1] offset:2048
	global_load_dwordx2 v[3:4], v[9:10], off
	global_load_dwordx2 v[1:2], v[9:10], off offset:2048
	s_cmp_lt_i32 s9, 1
	s_mov_b64 s[4:5], 0
	s_cbranch_scc1 .LBB66_5
; %bb.2:
	s_cmp_gt_i32 s9, 1
	s_cbranch_scc0 .LBB66_6
; %bb.3:
	s_cmp_eq_u32 s9, 2
	s_cbranch_scc0 .LBB66_7
; %bb.4:
	s_waitcnt vmcnt(3)
	v_cmp_ge_i16_e64 s[0:1], s10, v7
	s_mov_b64 s[6:7], 0
	s_branch .LBB66_8
.LBB66_5:
                                        ; implicit-def: $sgpr0_sgpr1
	s_mov_b64 s[6:7], 0
	s_cbranch_execnz .LBB66_11
	s_branch .LBB66_12
.LBB66_6:
	s_mov_b64 s[6:7], 0
                                        ; implicit-def: $sgpr0_sgpr1
	s_cbranch_execnz .LBB66_9
	s_branch .LBB66_10
.LBB66_7:
	s_mov_b64 s[6:7], -1
                                        ; implicit-def: $sgpr0_sgpr1
.LBB66_8:
	s_branch .LBB66_10
.LBB66_9:
	s_waitcnt vmcnt(3)
	v_cmp_lt_i16_e32 vcc, s10, v7
	s_andn2_b64 s[0:1], s[0:1], exec
	s_and_b64 s[16:17], vcc, exec
	s_or_b64 s[0:1], s[0:1], s[16:17]
.LBB66_10:
	s_branch .LBB66_12
.LBB66_11:
	s_cmp_lg_u32 s9, 0
	s_mov_b64 s[4:5], -1
	s_cselect_b64 s[6:7], -1, 0
.LBB66_12:
	s_andn2_b64 vcc, exec, s[6:7]
	s_cbranch_vccz .LBB66_18
; %bb.13:
	s_andn2_b64 vcc, exec, s[4:5]
	s_cbranch_vccz .LBB66_19
.LBB66_14:
	s_cmp_lt_i32 s9, 1
	s_mov_b64 s[6:7], 0
	s_cbranch_scc1 .LBB66_20
.LBB66_15:
	s_cmp_gt_i32 s9, 1
	s_cbranch_scc0 .LBB66_21
; %bb.16:
	s_cmp_eq_u32 s9, 2
	s_cbranch_scc0 .LBB66_251
; %bb.17:
	s_waitcnt vmcnt(3)
	v_cmp_le_i16_sdwa s[4:5], v7, s10 src0_sel:WORD_1 src1_sel:DWORD
	s_mov_b64 s[16:17], 0
	s_branch .LBB66_23
.LBB66_18:
	s_waitcnt vmcnt(3)
	v_cmp_gt_i16_e32 vcc, s10, v7
	s_andn2_b64 s[0:1], s[0:1], exec
	s_and_b64 s[6:7], vcc, exec
	s_or_b64 s[0:1], s[0:1], s[6:7]
	s_cbranch_execnz .LBB66_14
.LBB66_19:
	s_waitcnt vmcnt(3)
	v_cmp_le_i16_e32 vcc, s10, v7
	s_andn2_b64 s[0:1], s[0:1], exec
	s_and_b64 s[4:5], vcc, exec
	s_or_b64 s[0:1], s[0:1], s[4:5]
	s_cmp_lt_i32 s9, 1
	s_mov_b64 s[6:7], 0
	s_cbranch_scc0 .LBB66_15
.LBB66_20:
                                        ; implicit-def: $sgpr4_sgpr5
	s_mov_b64 s[16:17], 0
	s_cbranch_execnz .LBB66_24
	s_branch .LBB66_25
.LBB66_21:
	s_mov_b64 s[16:17], 0
                                        ; implicit-def: $sgpr4_sgpr5
	s_cbranch_execz .LBB66_23
; %bb.22:
	s_waitcnt vmcnt(3)
	v_cmp_gt_i16_sdwa s[18:19], v7, s10 src0_sel:WORD_1 src1_sel:DWORD
	s_andn2_b64 s[4:5], s[4:5], exec
	s_and_b64 s[18:19], s[18:19], exec
	s_or_b64 s[4:5], s[4:5], s[18:19]
.LBB66_23:
	s_branch .LBB66_25
.LBB66_24:
	s_cmp_lg_u32 s9, 0
	s_mov_b64 s[6:7], -1
	s_cselect_b64 s[16:17], -1, 0
.LBB66_25:
	s_andn2_b64 vcc, exec, s[16:17]
	s_cbranch_vccz .LBB66_31
; %bb.26:
	s_andn2_b64 vcc, exec, s[6:7]
	s_cbranch_vccz .LBB66_32
.LBB66_27:
	s_cmp_lt_i32 s9, 1
	s_mov_b64 s[16:17], 0
	s_cbranch_scc1 .LBB66_33
.LBB66_28:
	s_cmp_gt_i32 s9, 1
	s_cbranch_scc0 .LBB66_34
; %bb.29:
	s_cmp_eq_u32 s9, 2
	s_cbranch_scc0 .LBB66_252
; %bb.30:
	s_waitcnt vmcnt(3)
	v_cmp_ge_i16_e64 s[6:7], s10, v8
	s_mov_b64 s[18:19], 0
	s_branch .LBB66_36
.LBB66_31:
	s_waitcnt vmcnt(3)
	v_cmp_lt_i16_sdwa s[16:17], v7, s10 src0_sel:WORD_1 src1_sel:DWORD
	s_andn2_b64 s[4:5], s[4:5], exec
	s_and_b64 s[16:17], s[16:17], exec
	s_or_b64 s[4:5], s[4:5], s[16:17]
	s_cbranch_execnz .LBB66_27
.LBB66_32:
	s_waitcnt vmcnt(3)
	v_cmp_ge_i16_sdwa s[6:7], v7, s10 src0_sel:WORD_1 src1_sel:DWORD
	s_andn2_b64 s[4:5], s[4:5], exec
	s_and_b64 s[6:7], s[6:7], exec
	s_or_b64 s[4:5], s[4:5], s[6:7]
	s_cmp_lt_i32 s9, 1
	s_mov_b64 s[16:17], 0
	s_cbranch_scc0 .LBB66_28
.LBB66_33:
                                        ; implicit-def: $sgpr6_sgpr7
	s_mov_b64 s[18:19], 0
	s_cbranch_execnz .LBB66_37
	s_branch .LBB66_38
.LBB66_34:
	s_mov_b64 s[18:19], 0
                                        ; implicit-def: $sgpr6_sgpr7
	s_cbranch_execz .LBB66_36
; %bb.35:
	s_waitcnt vmcnt(3)
	v_cmp_lt_i16_e32 vcc, s10, v8
	s_andn2_b64 s[6:7], s[6:7], exec
	s_and_b64 s[20:21], vcc, exec
	s_or_b64 s[6:7], s[6:7], s[20:21]
.LBB66_36:
	s_branch .LBB66_38
.LBB66_37:
	s_cmp_lg_u32 s9, 0
	s_mov_b64 s[16:17], -1
	s_cselect_b64 s[18:19], -1, 0
.LBB66_38:
	s_andn2_b64 vcc, exec, s[18:19]
	s_cbranch_vccz .LBB66_44
; %bb.39:
	s_andn2_b64 vcc, exec, s[16:17]
	s_cbranch_vccz .LBB66_45
.LBB66_40:
	s_cmp_lt_i32 s9, 1
	s_mov_b64 s[18:19], 0
	s_cbranch_scc1 .LBB66_46
.LBB66_41:
	s_cmp_gt_i32 s9, 1
	s_cbranch_scc0 .LBB66_47
; %bb.42:
	s_cmp_eq_u32 s9, 2
	s_cbranch_scc0 .LBB66_253
; %bb.43:
	s_waitcnt vmcnt(3)
	v_cmp_le_i16_sdwa s[16:17], v8, s10 src0_sel:WORD_1 src1_sel:DWORD
	s_mov_b64 s[20:21], 0
	s_branch .LBB66_49
.LBB66_44:
	s_waitcnt vmcnt(3)
	v_cmp_gt_i16_e32 vcc, s10, v8
	s_andn2_b64 s[6:7], s[6:7], exec
	s_and_b64 s[18:19], vcc, exec
	s_or_b64 s[6:7], s[6:7], s[18:19]
	s_cbranch_execnz .LBB66_40
.LBB66_45:
	s_waitcnt vmcnt(3)
	v_cmp_le_i16_e32 vcc, s10, v8
	s_andn2_b64 s[6:7], s[6:7], exec
	s_and_b64 s[16:17], vcc, exec
	s_or_b64 s[6:7], s[6:7], s[16:17]
	s_cmp_lt_i32 s9, 1
	s_mov_b64 s[18:19], 0
	s_cbranch_scc0 .LBB66_41
.LBB66_46:
                                        ; implicit-def: $sgpr16_sgpr17
	s_mov_b64 s[20:21], 0
	s_cbranch_execnz .LBB66_50
	s_branch .LBB66_51
.LBB66_47:
	s_mov_b64 s[20:21], 0
                                        ; implicit-def: $sgpr16_sgpr17
	s_cbranch_execz .LBB66_49
; %bb.48:
	s_waitcnt vmcnt(3)
	v_cmp_gt_i16_sdwa s[22:23], v8, s10 src0_sel:WORD_1 src1_sel:DWORD
	s_andn2_b64 s[16:17], s[16:17], exec
	s_and_b64 s[22:23], s[22:23], exec
	s_or_b64 s[16:17], s[16:17], s[22:23]
.LBB66_49:
	s_branch .LBB66_51
.LBB66_50:
	s_cmp_lg_u32 s9, 0
	s_mov_b64 s[18:19], -1
	s_cselect_b64 s[20:21], -1, 0
.LBB66_51:
	s_andn2_b64 vcc, exec, s[20:21]
	s_cbranch_vccz .LBB66_57
; %bb.52:
	s_andn2_b64 vcc, exec, s[18:19]
	s_cbranch_vccz .LBB66_58
.LBB66_53:
	s_cmp_lt_i32 s9, 1
	s_mov_b64 s[20:21], 0
	s_cbranch_scc1 .LBB66_59
.LBB66_54:
	s_cmp_gt_i32 s9, 1
	s_cbranch_scc0 .LBB66_60
; %bb.55:
	s_cmp_eq_u32 s9, 2
	s_cbranch_scc0 .LBB66_254
; %bb.56:
	s_waitcnt vmcnt(2)
	v_cmp_ge_i16_e64 s[18:19], s10, v5
	s_mov_b64 s[22:23], 0
	s_branch .LBB66_62
.LBB66_57:
	s_waitcnt vmcnt(3)
	v_cmp_lt_i16_sdwa s[20:21], v8, s10 src0_sel:WORD_1 src1_sel:DWORD
	s_andn2_b64 s[16:17], s[16:17], exec
	s_and_b64 s[20:21], s[20:21], exec
	s_or_b64 s[16:17], s[16:17], s[20:21]
	s_cbranch_execnz .LBB66_53
.LBB66_58:
	s_waitcnt vmcnt(3)
	v_cmp_ge_i16_sdwa s[18:19], v8, s10 src0_sel:WORD_1 src1_sel:DWORD
	s_andn2_b64 s[16:17], s[16:17], exec
	s_and_b64 s[18:19], s[18:19], exec
	s_or_b64 s[16:17], s[16:17], s[18:19]
	s_cmp_lt_i32 s9, 1
	s_mov_b64 s[20:21], 0
	s_cbranch_scc0 .LBB66_54
.LBB66_59:
                                        ; implicit-def: $sgpr18_sgpr19
	s_mov_b64 s[22:23], 0
	s_cbranch_execnz .LBB66_63
	s_branch .LBB66_64
.LBB66_60:
	s_mov_b64 s[22:23], 0
                                        ; implicit-def: $sgpr18_sgpr19
	s_cbranch_execz .LBB66_62
; %bb.61:
	s_waitcnt vmcnt(2)
	v_cmp_lt_i16_e32 vcc, s10, v5
	s_andn2_b64 s[18:19], s[18:19], exec
	s_and_b64 s[24:25], vcc, exec
	s_or_b64 s[18:19], s[18:19], s[24:25]
.LBB66_62:
	s_branch .LBB66_64
.LBB66_63:
	s_cmp_lg_u32 s9, 0
	s_mov_b64 s[20:21], -1
	s_cselect_b64 s[22:23], -1, 0
.LBB66_64:
	s_andn2_b64 vcc, exec, s[22:23]
	s_cbranch_vccz .LBB66_70
; %bb.65:
	s_andn2_b64 vcc, exec, s[20:21]
	s_cbranch_vccz .LBB66_71
.LBB66_66:
	s_cmp_lt_i32 s9, 1
	s_mov_b64 s[22:23], 0
	s_cbranch_scc1 .LBB66_72
.LBB66_67:
	s_cmp_gt_i32 s9, 1
	s_cbranch_scc0 .LBB66_73
; %bb.68:
	s_cmp_eq_u32 s9, 2
	s_cbranch_scc0 .LBB66_255
; %bb.69:
	s_waitcnt vmcnt(2)
	v_cmp_le_i16_sdwa s[20:21], v5, s10 src0_sel:WORD_1 src1_sel:DWORD
	s_mov_b64 s[24:25], 0
	s_branch .LBB66_75
.LBB66_70:
	s_waitcnt vmcnt(2)
	v_cmp_gt_i16_e32 vcc, s10, v5
	s_andn2_b64 s[18:19], s[18:19], exec
	s_and_b64 s[22:23], vcc, exec
	s_or_b64 s[18:19], s[18:19], s[22:23]
	s_cbranch_execnz .LBB66_66
.LBB66_71:
	s_waitcnt vmcnt(2)
	v_cmp_le_i16_e32 vcc, s10, v5
	s_andn2_b64 s[18:19], s[18:19], exec
	s_and_b64 s[20:21], vcc, exec
	s_or_b64 s[18:19], s[18:19], s[20:21]
	s_cmp_lt_i32 s9, 1
	s_mov_b64 s[22:23], 0
	s_cbranch_scc0 .LBB66_67
.LBB66_72:
                                        ; implicit-def: $sgpr20_sgpr21
	s_mov_b64 s[24:25], 0
	s_cbranch_execnz .LBB66_76
	s_branch .LBB66_77
.LBB66_73:
	s_mov_b64 s[24:25], 0
                                        ; implicit-def: $sgpr20_sgpr21
	s_cbranch_execz .LBB66_75
; %bb.74:
	s_waitcnt vmcnt(2)
	v_cmp_gt_i16_sdwa s[26:27], v5, s10 src0_sel:WORD_1 src1_sel:DWORD
	s_andn2_b64 s[20:21], s[20:21], exec
	s_and_b64 s[26:27], s[26:27], exec
	s_or_b64 s[20:21], s[20:21], s[26:27]
.LBB66_75:
	s_branch .LBB66_77
.LBB66_76:
	s_cmp_lg_u32 s9, 0
	s_mov_b64 s[22:23], -1
	s_cselect_b64 s[24:25], -1, 0
.LBB66_77:
	s_andn2_b64 vcc, exec, s[24:25]
	s_cbranch_vccz .LBB66_83
; %bb.78:
	s_andn2_b64 vcc, exec, s[22:23]
	s_cbranch_vccz .LBB66_84
.LBB66_79:
	s_cmp_lt_i32 s9, 1
	s_mov_b64 s[24:25], 0
	s_cbranch_scc1 .LBB66_85
.LBB66_80:
	s_cmp_gt_i32 s9, 1
	s_cbranch_scc0 .LBB66_86
; %bb.81:
	s_cmp_eq_u32 s9, 2
	s_cbranch_scc0 .LBB66_256
; %bb.82:
	s_waitcnt vmcnt(2)
	v_cmp_ge_i16_e64 s[22:23], s10, v6
	s_mov_b64 s[26:27], 0
	s_branch .LBB66_88
.LBB66_83:
	s_waitcnt vmcnt(2)
	v_cmp_lt_i16_sdwa s[24:25], v5, s10 src0_sel:WORD_1 src1_sel:DWORD
	s_andn2_b64 s[20:21], s[20:21], exec
	s_and_b64 s[24:25], s[24:25], exec
	s_or_b64 s[20:21], s[20:21], s[24:25]
	s_cbranch_execnz .LBB66_79
.LBB66_84:
	s_waitcnt vmcnt(2)
	v_cmp_ge_i16_sdwa s[22:23], v5, s10 src0_sel:WORD_1 src1_sel:DWORD
	s_andn2_b64 s[20:21], s[20:21], exec
	s_and_b64 s[22:23], s[22:23], exec
	s_or_b64 s[20:21], s[20:21], s[22:23]
	s_cmp_lt_i32 s9, 1
	s_mov_b64 s[24:25], 0
	s_cbranch_scc0 .LBB66_80
.LBB66_85:
                                        ; implicit-def: $sgpr22_sgpr23
	s_mov_b64 s[26:27], 0
	s_cbranch_execnz .LBB66_89
	s_branch .LBB66_90
.LBB66_86:
	s_mov_b64 s[26:27], 0
                                        ; implicit-def: $sgpr22_sgpr23
	s_cbranch_execz .LBB66_88
; %bb.87:
	s_waitcnt vmcnt(2)
	v_cmp_lt_i16_e32 vcc, s10, v6
	s_andn2_b64 s[22:23], s[22:23], exec
	s_and_b64 s[28:29], vcc, exec
	s_or_b64 s[22:23], s[22:23], s[28:29]
.LBB66_88:
	s_branch .LBB66_90
.LBB66_89:
	s_cmp_lg_u32 s9, 0
	s_mov_b64 s[24:25], -1
	s_cselect_b64 s[26:27], -1, 0
.LBB66_90:
	s_andn2_b64 vcc, exec, s[26:27]
	s_cbranch_vccz .LBB66_96
; %bb.91:
	s_andn2_b64 vcc, exec, s[24:25]
	s_cbranch_vccz .LBB66_97
.LBB66_92:
	s_cmp_lt_i32 s9, 1
	s_mov_b64 s[26:27], 0
	s_cbranch_scc1 .LBB66_98
.LBB66_93:
	s_cmp_gt_i32 s9, 1
	s_cbranch_scc0 .LBB66_99
; %bb.94:
	s_cmp_eq_u32 s9, 2
	s_cbranch_scc0 .LBB66_257
; %bb.95:
	s_waitcnt vmcnt(2)
	v_cmp_le_i16_sdwa s[24:25], v6, s10 src0_sel:WORD_1 src1_sel:DWORD
	s_mov_b64 s[28:29], 0
	s_branch .LBB66_101
.LBB66_96:
	s_waitcnt vmcnt(2)
	v_cmp_gt_i16_e32 vcc, s10, v6
	s_andn2_b64 s[22:23], s[22:23], exec
	s_and_b64 s[26:27], vcc, exec
	s_or_b64 s[22:23], s[22:23], s[26:27]
	s_cbranch_execnz .LBB66_92
.LBB66_97:
	s_waitcnt vmcnt(2)
	v_cmp_le_i16_e32 vcc, s10, v6
	s_andn2_b64 s[22:23], s[22:23], exec
	s_and_b64 s[24:25], vcc, exec
	s_or_b64 s[22:23], s[22:23], s[24:25]
	s_cmp_lt_i32 s9, 1
	s_mov_b64 s[26:27], 0
	s_cbranch_scc0 .LBB66_93
.LBB66_98:
                                        ; implicit-def: $sgpr24_sgpr25
	s_mov_b64 s[28:29], 0
	s_cbranch_execnz .LBB66_102
	s_branch .LBB66_103
.LBB66_99:
	s_mov_b64 s[28:29], 0
                                        ; implicit-def: $sgpr24_sgpr25
	s_cbranch_execz .LBB66_101
; %bb.100:
	s_waitcnt vmcnt(2)
	v_cmp_gt_i16_sdwa s[30:31], v6, s10 src0_sel:WORD_1 src1_sel:DWORD
	s_andn2_b64 s[24:25], s[24:25], exec
	s_and_b64 s[30:31], s[30:31], exec
	s_or_b64 s[24:25], s[24:25], s[30:31]
.LBB66_101:
	s_branch .LBB66_103
.LBB66_102:
	s_cmp_lg_u32 s9, 0
	s_mov_b64 s[26:27], -1
	s_cselect_b64 s[28:29], -1, 0
.LBB66_103:
	s_andn2_b64 vcc, exec, s[28:29]
	s_cbranch_vccz .LBB66_109
; %bb.104:
	s_andn2_b64 vcc, exec, s[26:27]
	s_cbranch_vccz .LBB66_110
.LBB66_105:
	s_cmp_lt_i32 s9, 1
	s_mov_b64 s[28:29], 0
	s_cbranch_scc1 .LBB66_111
.LBB66_106:
	s_cmp_gt_i32 s9, 1
	s_cbranch_scc0 .LBB66_112
; %bb.107:
	s_cmp_eq_u32 s9, 2
	s_cbranch_scc0 .LBB66_258
; %bb.108:
	s_waitcnt vmcnt(1)
	v_cmp_ge_i16_e64 s[26:27], s10, v3
	s_mov_b64 s[30:31], 0
	s_branch .LBB66_114
.LBB66_109:
	s_waitcnt vmcnt(2)
	v_cmp_lt_i16_sdwa s[28:29], v6, s10 src0_sel:WORD_1 src1_sel:DWORD
	s_andn2_b64 s[24:25], s[24:25], exec
	s_and_b64 s[28:29], s[28:29], exec
	s_or_b64 s[24:25], s[24:25], s[28:29]
	s_cbranch_execnz .LBB66_105
.LBB66_110:
	s_waitcnt vmcnt(2)
	v_cmp_ge_i16_sdwa s[26:27], v6, s10 src0_sel:WORD_1 src1_sel:DWORD
	s_andn2_b64 s[24:25], s[24:25], exec
	s_and_b64 s[26:27], s[26:27], exec
	s_or_b64 s[24:25], s[24:25], s[26:27]
	s_cmp_lt_i32 s9, 1
	s_mov_b64 s[28:29], 0
	s_cbranch_scc0 .LBB66_106
.LBB66_111:
                                        ; implicit-def: $sgpr26_sgpr27
	s_mov_b64 s[30:31], 0
	s_cbranch_execnz .LBB66_115
	s_branch .LBB66_116
.LBB66_112:
	s_mov_b64 s[30:31], 0
                                        ; implicit-def: $sgpr26_sgpr27
	s_cbranch_execz .LBB66_114
; %bb.113:
	s_waitcnt vmcnt(1)
	v_cmp_lt_i16_e32 vcc, s10, v3
	s_andn2_b64 s[26:27], s[26:27], exec
	s_and_b64 s[34:35], vcc, exec
	s_or_b64 s[26:27], s[26:27], s[34:35]
.LBB66_114:
	s_branch .LBB66_116
.LBB66_115:
	s_cmp_lg_u32 s9, 0
	s_mov_b64 s[28:29], -1
	s_cselect_b64 s[30:31], -1, 0
.LBB66_116:
	s_andn2_b64 vcc, exec, s[30:31]
	s_cbranch_vccz .LBB66_122
; %bb.117:
	s_andn2_b64 vcc, exec, s[28:29]
	s_cbranch_vccz .LBB66_123
.LBB66_118:
	s_cmp_lt_i32 s9, 1
	s_mov_b64 s[30:31], 0
	s_cbranch_scc1 .LBB66_124
.LBB66_119:
	s_cmp_gt_i32 s9, 1
	s_cbranch_scc0 .LBB66_125
; %bb.120:
	s_cmp_eq_u32 s9, 2
	s_cbranch_scc0 .LBB66_259
; %bb.121:
	s_waitcnt vmcnt(1)
	v_cmp_le_i16_sdwa s[28:29], v3, s10 src0_sel:WORD_1 src1_sel:DWORD
	s_mov_b64 s[34:35], 0
	s_branch .LBB66_127
.LBB66_122:
	s_waitcnt vmcnt(1)
	v_cmp_gt_i16_e32 vcc, s10, v3
	s_andn2_b64 s[26:27], s[26:27], exec
	s_and_b64 s[30:31], vcc, exec
	s_or_b64 s[26:27], s[26:27], s[30:31]
	s_cbranch_execnz .LBB66_118
.LBB66_123:
	s_waitcnt vmcnt(1)
	v_cmp_le_i16_e32 vcc, s10, v3
	s_andn2_b64 s[26:27], s[26:27], exec
	s_and_b64 s[28:29], vcc, exec
	s_or_b64 s[26:27], s[26:27], s[28:29]
	s_cmp_lt_i32 s9, 1
	s_mov_b64 s[30:31], 0
	s_cbranch_scc0 .LBB66_119
.LBB66_124:
                                        ; implicit-def: $sgpr28_sgpr29
	s_mov_b64 s[34:35], 0
	s_cbranch_execnz .LBB66_128
	s_branch .LBB66_129
.LBB66_125:
	s_mov_b64 s[34:35], 0
                                        ; implicit-def: $sgpr28_sgpr29
	s_cbranch_execz .LBB66_127
; %bb.126:
	s_waitcnt vmcnt(1)
	v_cmp_gt_i16_sdwa s[36:37], v3, s10 src0_sel:WORD_1 src1_sel:DWORD
	s_andn2_b64 s[28:29], s[28:29], exec
	s_and_b64 s[36:37], s[36:37], exec
	s_or_b64 s[28:29], s[28:29], s[36:37]
.LBB66_127:
	s_branch .LBB66_129
.LBB66_128:
	s_cmp_lg_u32 s9, 0
	s_mov_b64 s[30:31], -1
	s_cselect_b64 s[34:35], -1, 0
.LBB66_129:
	s_andn2_b64 vcc, exec, s[34:35]
	s_cbranch_vccz .LBB66_135
; %bb.130:
	s_andn2_b64 vcc, exec, s[30:31]
	s_cbranch_vccz .LBB66_136
.LBB66_131:
	s_cmp_lt_i32 s9, 1
	s_mov_b64 s[34:35], 0
	s_cbranch_scc1 .LBB66_137
.LBB66_132:
	s_cmp_gt_i32 s9, 1
	s_cbranch_scc0 .LBB66_138
; %bb.133:
	s_cmp_eq_u32 s9, 2
	s_cbranch_scc0 .LBB66_260
; %bb.134:
	s_waitcnt vmcnt(1)
	v_cmp_ge_i16_e64 s[30:31], s10, v4
	s_mov_b64 s[36:37], 0
	s_branch .LBB66_140
.LBB66_135:
	s_waitcnt vmcnt(1)
	v_cmp_lt_i16_sdwa s[34:35], v3, s10 src0_sel:WORD_1 src1_sel:DWORD
	s_andn2_b64 s[28:29], s[28:29], exec
	s_and_b64 s[34:35], s[34:35], exec
	s_or_b64 s[28:29], s[28:29], s[34:35]
	s_cbranch_execnz .LBB66_131
.LBB66_136:
	s_waitcnt vmcnt(1)
	v_cmp_ge_i16_sdwa s[30:31], v3, s10 src0_sel:WORD_1 src1_sel:DWORD
	s_andn2_b64 s[28:29], s[28:29], exec
	s_and_b64 s[30:31], s[30:31], exec
	s_or_b64 s[28:29], s[28:29], s[30:31]
	s_cmp_lt_i32 s9, 1
	s_mov_b64 s[34:35], 0
	s_cbranch_scc0 .LBB66_132
.LBB66_137:
                                        ; implicit-def: $sgpr30_sgpr31
	s_mov_b64 s[36:37], 0
	s_cbranch_execnz .LBB66_141
	s_branch .LBB66_142
.LBB66_138:
	s_mov_b64 s[36:37], 0
                                        ; implicit-def: $sgpr30_sgpr31
	s_cbranch_execz .LBB66_140
; %bb.139:
	s_waitcnt vmcnt(1)
	v_cmp_lt_i16_e32 vcc, s10, v4
	s_andn2_b64 s[30:31], s[30:31], exec
	s_and_b64 s[38:39], vcc, exec
	s_or_b64 s[30:31], s[30:31], s[38:39]
.LBB66_140:
	s_branch .LBB66_142
.LBB66_141:
	s_cmp_lg_u32 s9, 0
	s_mov_b64 s[34:35], -1
	s_cselect_b64 s[36:37], -1, 0
.LBB66_142:
	s_andn2_b64 vcc, exec, s[36:37]
	s_cbranch_vccz .LBB66_148
; %bb.143:
	s_andn2_b64 vcc, exec, s[34:35]
	s_cbranch_vccz .LBB66_149
.LBB66_144:
	s_cmp_lt_i32 s9, 1
	s_mov_b64 s[36:37], 0
	s_cbranch_scc1 .LBB66_150
.LBB66_145:
	s_cmp_gt_i32 s9, 1
	s_cbranch_scc0 .LBB66_151
; %bb.146:
	s_cmp_eq_u32 s9, 2
	s_cbranch_scc0 .LBB66_261
; %bb.147:
	s_waitcnt vmcnt(1)
	v_cmp_le_i16_sdwa s[34:35], v4, s10 src0_sel:WORD_1 src1_sel:DWORD
	s_mov_b64 s[38:39], 0
	s_branch .LBB66_153
.LBB66_148:
	s_waitcnt vmcnt(1)
	v_cmp_gt_i16_e32 vcc, s10, v4
	s_andn2_b64 s[30:31], s[30:31], exec
	s_and_b64 s[36:37], vcc, exec
	s_or_b64 s[30:31], s[30:31], s[36:37]
	s_cbranch_execnz .LBB66_144
.LBB66_149:
	s_waitcnt vmcnt(1)
	v_cmp_le_i16_e32 vcc, s10, v4
	s_andn2_b64 s[30:31], s[30:31], exec
	s_and_b64 s[34:35], vcc, exec
	s_or_b64 s[30:31], s[30:31], s[34:35]
	s_cmp_lt_i32 s9, 1
	s_mov_b64 s[36:37], 0
	s_cbranch_scc0 .LBB66_145
.LBB66_150:
                                        ; implicit-def: $sgpr34_sgpr35
	s_mov_b64 s[38:39], 0
	s_cbranch_execnz .LBB66_154
	s_branch .LBB66_155
.LBB66_151:
	s_mov_b64 s[38:39], 0
                                        ; implicit-def: $sgpr34_sgpr35
	s_cbranch_execz .LBB66_153
; %bb.152:
	s_waitcnt vmcnt(1)
	v_cmp_gt_i16_sdwa s[40:41], v4, s10 src0_sel:WORD_1 src1_sel:DWORD
	s_andn2_b64 s[34:35], s[34:35], exec
	s_and_b64 s[40:41], s[40:41], exec
	s_or_b64 s[34:35], s[34:35], s[40:41]
.LBB66_153:
	s_branch .LBB66_155
.LBB66_154:
	s_cmp_lg_u32 s9, 0
	s_mov_b64 s[36:37], -1
	s_cselect_b64 s[38:39], -1, 0
.LBB66_155:
	s_andn2_b64 vcc, exec, s[38:39]
	s_cbranch_vccz .LBB66_161
; %bb.156:
	s_andn2_b64 vcc, exec, s[36:37]
	s_cbranch_vccz .LBB66_162
.LBB66_157:
	s_cmp_lt_i32 s9, 1
	s_mov_b64 s[38:39], 0
	s_cbranch_scc1 .LBB66_163
.LBB66_158:
	s_cmp_gt_i32 s9, 1
	s_cbranch_scc0 .LBB66_164
; %bb.159:
	s_cmp_eq_u32 s9, 2
	s_cbranch_scc0 .LBB66_262
; %bb.160:
	s_waitcnt vmcnt(0)
	v_cmp_ge_i16_e64 s[36:37], s10, v1
	s_mov_b64 s[40:41], 0
	s_branch .LBB66_166
.LBB66_161:
	s_waitcnt vmcnt(1)
	v_cmp_lt_i16_sdwa s[38:39], v4, s10 src0_sel:WORD_1 src1_sel:DWORD
	s_andn2_b64 s[34:35], s[34:35], exec
	s_and_b64 s[38:39], s[38:39], exec
	s_or_b64 s[34:35], s[34:35], s[38:39]
	s_cbranch_execnz .LBB66_157
.LBB66_162:
	s_waitcnt vmcnt(1)
	v_cmp_ge_i16_sdwa s[36:37], v4, s10 src0_sel:WORD_1 src1_sel:DWORD
	s_andn2_b64 s[34:35], s[34:35], exec
	s_and_b64 s[36:37], s[36:37], exec
	s_or_b64 s[34:35], s[34:35], s[36:37]
	s_cmp_lt_i32 s9, 1
	s_mov_b64 s[38:39], 0
	s_cbranch_scc0 .LBB66_158
.LBB66_163:
                                        ; implicit-def: $sgpr36_sgpr37
	s_mov_b64 s[40:41], 0
	s_cbranch_execnz .LBB66_167
	s_branch .LBB66_168
.LBB66_164:
	s_mov_b64 s[40:41], 0
                                        ; implicit-def: $sgpr36_sgpr37
	s_cbranch_execz .LBB66_166
; %bb.165:
	s_waitcnt vmcnt(0)
	v_cmp_lt_i16_e32 vcc, s10, v1
	s_andn2_b64 s[36:37], s[36:37], exec
	s_and_b64 s[42:43], vcc, exec
	s_or_b64 s[36:37], s[36:37], s[42:43]
.LBB66_166:
	s_branch .LBB66_168
.LBB66_167:
	s_cmp_lg_u32 s9, 0
	s_mov_b64 s[38:39], -1
	s_cselect_b64 s[40:41], -1, 0
.LBB66_168:
	s_andn2_b64 vcc, exec, s[40:41]
	s_cbranch_vccz .LBB66_174
; %bb.169:
	s_andn2_b64 vcc, exec, s[38:39]
	s_cbranch_vccz .LBB66_175
.LBB66_170:
	s_cmp_lt_i32 s9, 1
	s_mov_b64 s[40:41], 0
	s_cbranch_scc1 .LBB66_176
.LBB66_171:
	s_cmp_gt_i32 s9, 1
	s_cbranch_scc0 .LBB66_177
; %bb.172:
	s_cmp_eq_u32 s9, 2
	s_cbranch_scc0 .LBB66_263
; %bb.173:
	s_waitcnt vmcnt(0)
	v_cmp_le_i16_sdwa s[38:39], v1, s10 src0_sel:WORD_1 src1_sel:DWORD
	s_mov_b64 s[42:43], 0
	s_branch .LBB66_179
.LBB66_174:
	s_waitcnt vmcnt(0)
	v_cmp_gt_i16_e32 vcc, s10, v1
	s_andn2_b64 s[36:37], s[36:37], exec
	s_and_b64 s[40:41], vcc, exec
	s_or_b64 s[36:37], s[36:37], s[40:41]
	s_cbranch_execnz .LBB66_170
.LBB66_175:
	s_waitcnt vmcnt(0)
	v_cmp_le_i16_e32 vcc, s10, v1
	s_andn2_b64 s[36:37], s[36:37], exec
	s_and_b64 s[38:39], vcc, exec
	s_or_b64 s[36:37], s[36:37], s[38:39]
	s_cmp_lt_i32 s9, 1
	s_mov_b64 s[40:41], 0
	s_cbranch_scc0 .LBB66_171
.LBB66_176:
                                        ; implicit-def: $sgpr38_sgpr39
	s_mov_b64 s[42:43], 0
	s_cbranch_execnz .LBB66_180
	s_branch .LBB66_181
.LBB66_177:
	s_mov_b64 s[42:43], 0
                                        ; implicit-def: $sgpr38_sgpr39
	s_cbranch_execz .LBB66_179
; %bb.178:
	s_waitcnt vmcnt(0)
	v_cmp_gt_i16_sdwa s[44:45], v1, s10 src0_sel:WORD_1 src1_sel:DWORD
	s_andn2_b64 s[38:39], s[38:39], exec
	s_and_b64 s[44:45], s[44:45], exec
	s_or_b64 s[38:39], s[38:39], s[44:45]
.LBB66_179:
	s_branch .LBB66_181
.LBB66_180:
	s_cmp_lg_u32 s9, 0
	s_mov_b64 s[40:41], -1
	s_cselect_b64 s[42:43], -1, 0
.LBB66_181:
	s_andn2_b64 vcc, exec, s[42:43]
	s_cbranch_vccz .LBB66_187
; %bb.182:
	s_andn2_b64 vcc, exec, s[40:41]
	s_cbranch_vccz .LBB66_188
.LBB66_183:
	s_cmp_lt_i32 s9, 1
	s_mov_b64 s[42:43], 0
	s_cbranch_scc1 .LBB66_189
.LBB66_184:
	s_cmp_gt_i32 s9, 1
	s_cbranch_scc0 .LBB66_190
; %bb.185:
	s_cmp_eq_u32 s9, 2
	s_cbranch_scc0 .LBB66_264
; %bb.186:
	s_waitcnt vmcnt(0)
	v_cmp_ge_i16_e64 s[40:41], s10, v2
	s_mov_b64 s[44:45], 0
	s_branch .LBB66_192
.LBB66_187:
	s_waitcnt vmcnt(0)
	v_cmp_lt_i16_sdwa s[42:43], v1, s10 src0_sel:WORD_1 src1_sel:DWORD
	s_andn2_b64 s[38:39], s[38:39], exec
	s_and_b64 s[42:43], s[42:43], exec
	s_or_b64 s[38:39], s[38:39], s[42:43]
	s_cbranch_execnz .LBB66_183
.LBB66_188:
	s_waitcnt vmcnt(0)
	v_cmp_ge_i16_sdwa s[40:41], v1, s10 src0_sel:WORD_1 src1_sel:DWORD
	s_andn2_b64 s[38:39], s[38:39], exec
	s_and_b64 s[40:41], s[40:41], exec
	s_or_b64 s[38:39], s[38:39], s[40:41]
	s_cmp_lt_i32 s9, 1
	s_mov_b64 s[42:43], 0
	s_cbranch_scc0 .LBB66_184
.LBB66_189:
                                        ; implicit-def: $sgpr40_sgpr41
	s_mov_b64 s[44:45], 0
	s_cbranch_execnz .LBB66_193
	s_branch .LBB66_194
.LBB66_190:
	s_mov_b64 s[44:45], 0
                                        ; implicit-def: $sgpr40_sgpr41
	s_cbranch_execz .LBB66_192
; %bb.191:
	s_waitcnt vmcnt(0)
	v_cmp_lt_i16_e32 vcc, s10, v2
	s_andn2_b64 s[40:41], s[40:41], exec
	s_and_b64 s[46:47], vcc, exec
	s_or_b64 s[40:41], s[40:41], s[46:47]
.LBB66_192:
	s_branch .LBB66_194
.LBB66_193:
	s_cmp_lg_u32 s9, 0
	s_mov_b64 s[42:43], -1
	s_cselect_b64 s[44:45], -1, 0
.LBB66_194:
	s_andn2_b64 vcc, exec, s[44:45]
	s_cbranch_vccz .LBB66_200
; %bb.195:
	s_andn2_b64 vcc, exec, s[42:43]
	s_cbranch_vccz .LBB66_201
.LBB66_196:
	s_cmp_lt_i32 s9, 1
	s_mov_b64 s[44:45], 0
	s_cbranch_scc1 .LBB66_202
.LBB66_197:
	s_cmp_gt_i32 s9, 1
	s_cbranch_scc0 .LBB66_203
; %bb.198:
	s_cmp_eq_u32 s9, 2
	s_cbranch_scc0 .LBB66_265
; %bb.199:
	s_waitcnt vmcnt(0)
	v_cmp_le_i16_sdwa s[42:43], v2, s10 src0_sel:WORD_1 src1_sel:DWORD
	s_mov_b64 s[46:47], 0
	s_branch .LBB66_205
.LBB66_200:
	s_waitcnt vmcnt(0)
	v_cmp_gt_i16_e32 vcc, s10, v2
	s_andn2_b64 s[40:41], s[40:41], exec
	s_and_b64 s[44:45], vcc, exec
	s_or_b64 s[40:41], s[40:41], s[44:45]
	s_cbranch_execnz .LBB66_196
.LBB66_201:
	s_waitcnt vmcnt(0)
	v_cmp_le_i16_e32 vcc, s10, v2
	s_andn2_b64 s[40:41], s[40:41], exec
	s_and_b64 s[42:43], vcc, exec
	s_or_b64 s[40:41], s[40:41], s[42:43]
	s_cmp_lt_i32 s9, 1
	s_mov_b64 s[44:45], 0
	s_cbranch_scc0 .LBB66_197
.LBB66_202:
                                        ; implicit-def: $sgpr42_sgpr43
	s_mov_b64 s[46:47], 0
	s_cbranch_execnz .LBB66_206
	s_branch .LBB66_207
.LBB66_203:
	s_mov_b64 s[46:47], 0
                                        ; implicit-def: $sgpr42_sgpr43
	s_cbranch_execz .LBB66_205
; %bb.204:
	s_waitcnt vmcnt(0)
	v_cmp_gt_i16_sdwa s[48:49], v2, s10 src0_sel:WORD_1 src1_sel:DWORD
	s_andn2_b64 s[42:43], s[42:43], exec
	s_and_b64 s[48:49], s[48:49], exec
	s_or_b64 s[42:43], s[42:43], s[48:49]
.LBB66_205:
	s_branch .LBB66_207
.LBB66_206:
	s_cmp_lg_u32 s9, 0
	s_mov_b64 s[44:45], -1
	s_cselect_b64 s[46:47], -1, 0
.LBB66_207:
	s_andn2_b64 vcc, exec, s[46:47]
	s_cbranch_vccz .LBB66_249
; %bb.208:
	s_andn2_b64 vcc, exec, s[44:45]
	s_cbranch_vccnz .LBB66_210
.LBB66_209:
	s_waitcnt vmcnt(0)
	v_cmp_ge_i16_sdwa s[44:45], v2, s10 src0_sel:WORD_1 src1_sel:DWORD
	s_andn2_b64 s[42:43], s[42:43], exec
	s_and_b64 s[44:45], s[44:45], exec
	s_or_b64 s[42:43], s[42:43], s[44:45]
.LBB66_210:
	s_waitcnt vmcnt(0)
	v_cndmask_b32_e64 v1, 0, 1, s[4:5]
	v_lshlrev_b16_e32 v1, 8, v1
	v_cndmask_b32_e64 v2, 0, 1, s[0:1]
	v_or_b32_e32 v1, v2, v1
	v_cndmask_b32_e64 v2, 0, 1, s[16:17]
	v_lshlrev_b16_e32 v2, 8, v2
	v_cndmask_b32_e64 v3, 0, 1, s[6:7]
	v_or_b32_sdwa v2, v3, v2 dst_sel:WORD_1 dst_unused:UNUSED_PAD src0_sel:DWORD src1_sel:DWORD
	v_or_b32_sdwa v1, v1, v2 dst_sel:DWORD dst_unused:UNUSED_PAD src0_sel:WORD_0 src1_sel:DWORD
	v_cndmask_b32_e64 v2, 0, 1, s[20:21]
	v_lshlrev_b16_e32 v2, 8, v2
	v_cndmask_b32_e64 v3, 0, 1, s[18:19]
	v_or_b32_e32 v2, v3, v2
	v_cndmask_b32_e64 v3, 0, 1, s[24:25]
	v_lshlrev_b16_e32 v3, 8, v3
	v_cndmask_b32_e64 v4, 0, 1, s[22:23]
	v_or_b32_sdwa v3, v4, v3 dst_sel:WORD_1 dst_unused:UNUSED_PAD src0_sel:DWORD src1_sel:DWORD
	v_or_b32_sdwa v2, v2, v3 dst_sel:DWORD dst_unused:UNUSED_PAD src0_sel:WORD_0 src1_sel:DWORD
	;; [unrolled: 9-line block ×3, first 2 shown]
	v_cndmask_b32_e64 v4, 0, 1, s[38:39]
	v_lshlrev_b16_e32 v4, 8, v4
	v_cndmask_b32_e64 v5, 0, 1, s[36:37]
	v_or_b32_e32 v4, v5, v4
	v_cndmask_b32_e64 v5, 0, 1, s[42:43]
	v_lshlrev_b16_e32 v5, 8, v5
	v_cndmask_b32_e64 v6, 0, 1, s[40:41]
	v_or_b32_sdwa v5, v6, v5 dst_sel:WORD_1 dst_unused:UNUSED_PAD src0_sel:DWORD src1_sel:DWORD
	s_add_u32 s0, s12, s2
	v_or_b32_sdwa v4, v4, v5 dst_sel:DWORD dst_unused:UNUSED_PAD src0_sel:WORD_0 src1_sel:DWORD
	s_addc_u32 s1, s13, s3
	v_lshlrev_b32_e32 v5, 2, v0
	global_store_dword v5, v1, s[0:1]
	global_store_dword v5, v2, s[0:1] offset:1024
	global_store_dword v5, v3, s[0:1] offset:2048
	global_store_dword v5, v4, s[0:1] offset:3072
	s_mov_b64 s[0:1], 0
.LBB66_211:
	s_and_b64 vcc, exec, s[0:1]
	s_cbranch_vccz .LBB66_519
; %bb.212:
	v_cmp_gt_i32_e64 s[0:1], s8, v0
	v_mov_b32_e32 v21, 0
	v_or_b32_e32 v1, s2, v0
	v_mov_b32_e32 v7, 0
	v_mov_b32_e32 v2, v0
	s_and_saveexec_b64 s[4:5], s[0:1]
	s_cbranch_execz .LBB66_214
; %bb.213:
	v_mov_b32_e32 v2, 0
	v_lshlrev_b64 v[2:3], 1, v[1:2]
	v_mov_b32_e32 v4, s15
	v_add_co_u32_e32 v2, vcc, s14, v2
	v_addc_co_u32_e32 v3, vcc, v4, v3, vcc
	global_load_ushort v7, v[2:3], off
	v_or_b32_e32 v2, 0x100, v0
.LBB66_214:
	s_or_b64 exec, exec, s[4:5]
	v_cmp_gt_i32_e32 vcc, s8, v2
	s_and_saveexec_b64 s[4:5], vcc
	s_cbranch_execz .LBB66_216
; %bb.215:
	v_add_u32_e32 v3, s2, v2
	v_mov_b32_e32 v4, 0
	v_lshlrev_b64 v[3:4], 1, v[3:4]
	v_mov_b32_e32 v5, s15
	v_add_co_u32_e32 v3, vcc, s14, v3
	v_addc_co_u32_e32 v4, vcc, v5, v4, vcc
	global_load_ushort v21, v[3:4], off
	v_add_u32_e32 v2, 0x100, v2
.LBB66_216:
	s_or_b64 exec, exec, s[4:5]
	v_cmp_gt_i32_e32 vcc, s8, v2
	v_mov_b32_e32 v19, 0
	v_mov_b32_e32 v20, 0
	s_and_saveexec_b64 s[4:5], vcc
	s_cbranch_execz .LBB66_218
; %bb.217:
	v_add_u32_e32 v3, s2, v2
	v_mov_b32_e32 v4, 0
	v_lshlrev_b64 v[3:4], 1, v[3:4]
	v_mov_b32_e32 v5, s15
	v_add_co_u32_e32 v3, vcc, s14, v3
	v_addc_co_u32_e32 v4, vcc, v5, v4, vcc
	global_load_ushort v20, v[3:4], off
	v_add_u32_e32 v2, 0x100, v2
.LBB66_218:
	s_or_b64 exec, exec, s[4:5]
	v_cmp_gt_i32_e32 vcc, s8, v2
	s_and_saveexec_b64 s[4:5], vcc
	s_cbranch_execz .LBB66_220
; %bb.219:
	v_add_u32_e32 v3, s2, v2
	v_mov_b32_e32 v4, 0
	v_lshlrev_b64 v[3:4], 1, v[3:4]
	v_mov_b32_e32 v5, s15
	v_add_co_u32_e32 v3, vcc, s14, v3
	v_addc_co_u32_e32 v4, vcc, v5, v4, vcc
	global_load_ushort v19, v[3:4], off
	v_add_u32_e32 v2, 0x100, v2
.LBB66_220:
	s_or_b64 exec, exec, s[4:5]
	v_cmp_gt_i32_e32 vcc, s8, v2
	v_mov_b32_e32 v17, 0
	v_mov_b32_e32 v18, 0
	s_and_saveexec_b64 s[4:5], vcc
	s_cbranch_execz .LBB66_222
; %bb.221:
	v_add_u32_e32 v3, s2, v2
	v_mov_b32_e32 v4, 0
	v_lshlrev_b64 v[3:4], 1, v[3:4]
	v_mov_b32_e32 v5, s15
	v_add_co_u32_e32 v3, vcc, s14, v3
	v_addc_co_u32_e32 v4, vcc, v5, v4, vcc
	global_load_ushort v18, v[3:4], off
	v_add_u32_e32 v2, 0x100, v2
.LBB66_222:
	;; [unrolled: 30-line block ×7, first 2 shown]
	s_or_b64 exec, exec, s[4:5]
	v_cmp_gt_i32_e32 vcc, s8, v2
	s_and_saveexec_b64 s[4:5], vcc
	s_cbranch_execz .LBB66_244
; %bb.243:
	v_add_u32_e32 v2, s2, v2
	v_mov_b32_e32 v3, 0
	v_lshlrev_b64 v[2:3], 1, v[2:3]
	v_mov_b32_e32 v4, s15
	v_add_co_u32_e32 v2, vcc, s14, v2
	v_addc_co_u32_e32 v3, vcc, v4, v3, vcc
	global_load_ushort v4, v[2:3], off
.LBB66_244:
	s_or_b64 exec, exec, s[4:5]
	v_mov_b32_e32 v6, 0
	v_mov_b32_e32 v5, v6
	;; [unrolled: 1-line block ×4, first 2 shown]
	s_and_saveexec_b64 s[4:5], s[0:1]
	s_cbranch_execz .LBB66_276
; %bb.245:
	s_cmp_lt_i32 s9, 1
	s_mov_b64 s[6:7], 0
	s_cbranch_scc1 .LBB66_250
; %bb.246:
	s_cmp_gt_i32 s9, 1
	s_cbranch_scc0 .LBB66_266
; %bb.247:
	s_cmp_eq_u32 s9, 2
	s_cbranch_scc0 .LBB66_267
; %bb.248:
	s_waitcnt vmcnt(0)
	v_cmp_ge_i16_e64 s[14:15], s10, v7
	s_mov_b64 s[16:17], 0
	s_branch .LBB66_268
.LBB66_249:
	s_waitcnt vmcnt(0)
	v_cmp_lt_i16_sdwa s[46:47], v2, s10 src0_sel:WORD_1 src1_sel:DWORD
	s_andn2_b64 s[42:43], s[42:43], exec
	s_and_b64 s[46:47], s[46:47], exec
	s_or_b64 s[42:43], s[42:43], s[46:47]
	s_cbranch_execz .LBB66_209
	s_branch .LBB66_210
.LBB66_250:
                                        ; implicit-def: $sgpr14_sgpr15
	s_mov_b64 s[16:17], 0
	s_cbranch_execnz .LBB66_271
	s_branch .LBB66_272
.LBB66_251:
	s_mov_b64 s[16:17], -1
                                        ; implicit-def: $sgpr4_sgpr5
	s_branch .LBB66_23
.LBB66_252:
	s_mov_b64 s[18:19], -1
                                        ; implicit-def: $sgpr6_sgpr7
	s_branch .LBB66_36
.LBB66_253:
	s_mov_b64 s[20:21], -1
                                        ; implicit-def: $sgpr16_sgpr17
	s_branch .LBB66_49
.LBB66_254:
	s_mov_b64 s[22:23], -1
                                        ; implicit-def: $sgpr18_sgpr19
	s_branch .LBB66_62
.LBB66_255:
	s_mov_b64 s[24:25], -1
                                        ; implicit-def: $sgpr20_sgpr21
	s_branch .LBB66_75
.LBB66_256:
	s_mov_b64 s[26:27], -1
                                        ; implicit-def: $sgpr22_sgpr23
	s_branch .LBB66_88
.LBB66_257:
	s_mov_b64 s[28:29], -1
                                        ; implicit-def: $sgpr24_sgpr25
	s_branch .LBB66_101
.LBB66_258:
	s_mov_b64 s[30:31], -1
                                        ; implicit-def: $sgpr26_sgpr27
	s_branch .LBB66_114
.LBB66_259:
	s_mov_b64 s[34:35], -1
                                        ; implicit-def: $sgpr28_sgpr29
	s_branch .LBB66_127
.LBB66_260:
	s_mov_b64 s[36:37], -1
                                        ; implicit-def: $sgpr30_sgpr31
	s_branch .LBB66_140
.LBB66_261:
	s_mov_b64 s[38:39], -1
                                        ; implicit-def: $sgpr34_sgpr35
	s_branch .LBB66_153
.LBB66_262:
	s_mov_b64 s[40:41], -1
                                        ; implicit-def: $sgpr36_sgpr37
	s_branch .LBB66_166
.LBB66_263:
	s_mov_b64 s[42:43], -1
                                        ; implicit-def: $sgpr38_sgpr39
	s_branch .LBB66_179
.LBB66_264:
	s_mov_b64 s[44:45], -1
                                        ; implicit-def: $sgpr40_sgpr41
	s_branch .LBB66_192
.LBB66_265:
	s_mov_b64 s[46:47], -1
                                        ; implicit-def: $sgpr42_sgpr43
	s_branch .LBB66_205
.LBB66_266:
	s_mov_b64 s[16:17], 0
                                        ; implicit-def: $sgpr14_sgpr15
	s_cbranch_execnz .LBB66_269
	s_branch .LBB66_270
.LBB66_267:
	s_mov_b64 s[16:17], -1
                                        ; implicit-def: $sgpr14_sgpr15
.LBB66_268:
	s_branch .LBB66_270
.LBB66_269:
	s_waitcnt vmcnt(0)
	v_cmp_lt_i16_e32 vcc, s10, v7
	s_andn2_b64 s[14:15], s[14:15], exec
	s_and_b64 s[18:19], vcc, exec
	s_or_b64 s[14:15], s[14:15], s[18:19]
.LBB66_270:
	s_branch .LBB66_272
.LBB66_271:
	s_cmp_lg_u32 s9, 0
	s_mov_b64 s[6:7], -1
	s_cselect_b64 s[16:17], -1, 0
.LBB66_272:
	s_andn2_b64 vcc, exec, s[16:17]
	s_cbranch_vccz .LBB66_281
; %bb.273:
	s_andn2_b64 vcc, exec, s[6:7]
	s_cbranch_vccnz .LBB66_275
.LBB66_274:
	s_waitcnt vmcnt(0)
	v_cmp_le_i16_e32 vcc, s10, v7
	s_andn2_b64 s[6:7], s[14:15], exec
	s_and_b64 s[14:15], vcc, exec
	s_or_b64 s[14:15], s[6:7], s[14:15]
.LBB66_275:
	v_cndmask_b32_e64 v2, 0, 1, s[14:15]
	v_mov_b32_e32 v5, 0
	v_and_b32_e32 v6, 0xffff, v2
	v_mov_b32_e32 v3, v5
	v_mov_b32_e32 v2, v5
.LBB66_276:
	s_or_b64 exec, exec, s[4:5]
	s_waitcnt vmcnt(0)
	v_or_b32_e32 v7, 0x100, v0
	v_cmp_gt_i32_e32 vcc, s8, v7
	s_and_saveexec_b64 s[4:5], vcc
	s_cbranch_execz .LBB66_291
; %bb.277:
	s_cmp_lt_i32 s9, 1
	s_mov_b64 s[6:7], 0
	s_cbranch_scc1 .LBB66_282
; %bb.278:
	s_cmp_gt_i32 s9, 1
	s_cbranch_scc0 .LBB66_283
; %bb.279:
	s_cmp_eq_u32 s9, 2
	s_cbranch_scc0 .LBB66_535
; %bb.280:
	v_cmp_ge_i16_e64 s[14:15], s10, v21
	s_mov_b64 s[16:17], 0
	s_branch .LBB66_285
.LBB66_281:
	s_waitcnt vmcnt(0)
	v_cmp_gt_i16_e32 vcc, s10, v7
	s_andn2_b64 s[14:15], s[14:15], exec
	s_and_b64 s[16:17], vcc, exec
	s_or_b64 s[14:15], s[14:15], s[16:17]
	s_cbranch_execz .LBB66_274
	s_branch .LBB66_275
.LBB66_282:
                                        ; implicit-def: $sgpr14_sgpr15
	s_mov_b64 s[16:17], 0
	s_cbranch_execnz .LBB66_286
	s_branch .LBB66_287
.LBB66_283:
	s_mov_b64 s[16:17], 0
                                        ; implicit-def: $sgpr14_sgpr15
	s_cbranch_execz .LBB66_285
; %bb.284:
	v_cmp_lt_i16_e32 vcc, s10, v21
	s_andn2_b64 s[14:15], s[14:15], exec
	s_and_b64 s[18:19], vcc, exec
	s_or_b64 s[14:15], s[14:15], s[18:19]
.LBB66_285:
	s_branch .LBB66_287
.LBB66_286:
	s_cmp_lg_u32 s9, 0
	s_mov_b64 s[6:7], -1
	s_cselect_b64 s[16:17], -1, 0
.LBB66_287:
	s_andn2_b64 vcc, exec, s[16:17]
	s_cbranch_vccz .LBB66_296
; %bb.288:
	s_andn2_b64 vcc, exec, s[6:7]
	s_cbranch_vccnz .LBB66_290
.LBB66_289:
	v_cmp_le_i16_e32 vcc, s10, v21
	s_andn2_b64 s[6:7], s[14:15], exec
	s_and_b64 s[14:15], vcc, exec
	s_or_b64 s[14:15], s[6:7], s[14:15]
.LBB66_290:
	v_cndmask_b32_e64 v21, 0, 1, s[14:15]
	v_lshlrev_b16_e32 v21, 8, v21
	v_or_b32_sdwa v21, v6, v21 dst_sel:DWORD dst_unused:UNUSED_PAD src0_sel:BYTE_0 src1_sel:DWORD
	v_and_b32_e32 v21, 0xffff, v21
	s_mov_b32 s3, 0xffff0000
	v_and_or_b32 v6, v6, s3, v21
.LBB66_291:
	s_or_b64 exec, exec, s[4:5]
	v_or_b32_e32 v21, 0x200, v0
	v_cmp_gt_i32_e32 vcc, s8, v21
	s_and_saveexec_b64 s[4:5], vcc
	s_cbranch_execz .LBB66_306
; %bb.292:
	s_cmp_lt_i32 s9, 1
	s_mov_b64 s[6:7], 0
	s_cbranch_scc1 .LBB66_297
; %bb.293:
	s_cmp_gt_i32 s9, 1
	s_cbranch_scc0 .LBB66_298
; %bb.294:
	s_cmp_eq_u32 s9, 2
	s_cbranch_scc0 .LBB66_536
; %bb.295:
	v_cmp_ge_i16_e64 s[14:15], s10, v20
	s_mov_b64 s[16:17], 0
	s_branch .LBB66_300
.LBB66_296:
	v_cmp_gt_i16_e32 vcc, s10, v21
	s_andn2_b64 s[14:15], s[14:15], exec
	s_and_b64 s[16:17], vcc, exec
	s_or_b64 s[14:15], s[14:15], s[16:17]
	s_cbranch_execz .LBB66_289
	s_branch .LBB66_290
.LBB66_297:
                                        ; implicit-def: $sgpr14_sgpr15
	s_mov_b64 s[16:17], 0
	s_cbranch_execnz .LBB66_301
	s_branch .LBB66_302
.LBB66_298:
	s_mov_b64 s[16:17], 0
                                        ; implicit-def: $sgpr14_sgpr15
	s_cbranch_execz .LBB66_300
; %bb.299:
	v_cmp_lt_i16_e32 vcc, s10, v20
	s_andn2_b64 s[14:15], s[14:15], exec
	s_and_b64 s[18:19], vcc, exec
	s_or_b64 s[14:15], s[14:15], s[18:19]
.LBB66_300:
	s_branch .LBB66_302
.LBB66_301:
	s_cmp_lg_u32 s9, 0
	s_mov_b64 s[6:7], -1
	s_cselect_b64 s[16:17], -1, 0
.LBB66_302:
	s_andn2_b64 vcc, exec, s[16:17]
	s_cbranch_vccz .LBB66_311
; %bb.303:
	s_andn2_b64 vcc, exec, s[6:7]
	s_cbranch_vccnz .LBB66_305
.LBB66_304:
	v_cmp_le_i16_e32 vcc, s10, v20
	s_andn2_b64 s[6:7], s[14:15], exec
	s_and_b64 s[14:15], vcc, exec
	s_or_b64 s[14:15], s[6:7], s[14:15]
.LBB66_305:
	s_movk_i32 s3, 0xff00
	v_and_b32_sdwa v20, v6, s3 dst_sel:DWORD dst_unused:UNUSED_PAD src0_sel:WORD_1 src1_sel:DWORD
	v_cndmask_b32_e64 v21, 0, 1, s[14:15]
	v_or_b32_sdwa v20, v21, v20 dst_sel:WORD_1 dst_unused:UNUSED_PAD src0_sel:DWORD src1_sel:DWORD
	s_mov_b32 s3, 0xffff
	v_and_or_b32 v6, v6, s3, v20
.LBB66_306:
	s_or_b64 exec, exec, s[4:5]
	v_or_b32_e32 v20, 0x300, v0
	v_cmp_gt_i32_e32 vcc, s8, v20
	s_and_saveexec_b64 s[4:5], vcc
	s_cbranch_execz .LBB66_321
; %bb.307:
	s_cmp_lt_i32 s9, 1
	s_mov_b64 s[6:7], 0
	s_cbranch_scc1 .LBB66_312
; %bb.308:
	s_cmp_gt_i32 s9, 1
	s_cbranch_scc0 .LBB66_313
; %bb.309:
	s_cmp_eq_u32 s9, 2
	s_cbranch_scc0 .LBB66_537
; %bb.310:
	v_cmp_ge_i16_e64 s[14:15], s10, v19
	s_mov_b64 s[16:17], 0
	s_branch .LBB66_315
.LBB66_311:
	v_cmp_gt_i16_e32 vcc, s10, v20
	s_andn2_b64 s[14:15], s[14:15], exec
	s_and_b64 s[16:17], vcc, exec
	s_or_b64 s[14:15], s[14:15], s[16:17]
	s_cbranch_execz .LBB66_304
	s_branch .LBB66_305
.LBB66_312:
                                        ; implicit-def: $sgpr14_sgpr15
	s_mov_b64 s[16:17], 0
	s_cbranch_execnz .LBB66_316
	s_branch .LBB66_317
.LBB66_313:
	s_mov_b64 s[16:17], 0
                                        ; implicit-def: $sgpr14_sgpr15
	s_cbranch_execz .LBB66_315
; %bb.314:
	v_cmp_lt_i16_e32 vcc, s10, v19
	s_andn2_b64 s[14:15], s[14:15], exec
	s_and_b64 s[18:19], vcc, exec
	s_or_b64 s[14:15], s[14:15], s[18:19]
.LBB66_315:
	s_branch .LBB66_317
.LBB66_316:
	s_cmp_lg_u32 s9, 0
	s_mov_b64 s[6:7], -1
	s_cselect_b64 s[16:17], -1, 0
.LBB66_317:
	s_andn2_b64 vcc, exec, s[16:17]
	s_cbranch_vccz .LBB66_326
; %bb.318:
	s_andn2_b64 vcc, exec, s[6:7]
	s_cbranch_vccnz .LBB66_320
.LBB66_319:
	v_cmp_le_i16_e32 vcc, s10, v19
	s_andn2_b64 s[6:7], s[14:15], exec
	s_and_b64 s[14:15], vcc, exec
	s_or_b64 s[14:15], s[6:7], s[14:15]
.LBB66_320:
	s_movk_i32 s3, 0xff
	v_cndmask_b32_e64 v20, 0, 1, s[14:15]
	v_and_b32_sdwa v19, v6, s3 dst_sel:DWORD dst_unused:UNUSED_PAD src0_sel:WORD_1 src1_sel:DWORD
	v_lshlrev_b16_e32 v20, 8, v20
	v_or_b32_sdwa v19, v19, v20 dst_sel:WORD_1 dst_unused:UNUSED_PAD src0_sel:DWORD src1_sel:DWORD
	s_mov_b32 s3, 0xffff
	v_and_or_b32 v6, v6, s3, v19
.LBB66_321:
	s_or_b64 exec, exec, s[4:5]
	v_or_b32_e32 v19, 0x400, v0
	v_cmp_gt_i32_e32 vcc, s8, v19
	s_and_saveexec_b64 s[4:5], vcc
	s_cbranch_execz .LBB66_336
; %bb.322:
	s_cmp_lt_i32 s9, 1
	s_mov_b64 s[6:7], 0
	s_cbranch_scc1 .LBB66_327
; %bb.323:
	s_cmp_gt_i32 s9, 1
	s_cbranch_scc0 .LBB66_328
; %bb.324:
	s_cmp_eq_u32 s9, 2
	s_cbranch_scc0 .LBB66_538
; %bb.325:
	v_cmp_ge_i16_e64 s[14:15], s10, v18
	s_mov_b64 s[16:17], 0
	s_branch .LBB66_330
.LBB66_326:
	v_cmp_gt_i16_e32 vcc, s10, v19
	s_andn2_b64 s[14:15], s[14:15], exec
	s_and_b64 s[16:17], vcc, exec
	s_or_b64 s[14:15], s[14:15], s[16:17]
	s_cbranch_execz .LBB66_319
	s_branch .LBB66_320
.LBB66_327:
                                        ; implicit-def: $sgpr14_sgpr15
	s_mov_b64 s[16:17], 0
	s_cbranch_execnz .LBB66_331
	s_branch .LBB66_332
.LBB66_328:
	s_mov_b64 s[16:17], 0
                                        ; implicit-def: $sgpr14_sgpr15
	s_cbranch_execz .LBB66_330
; %bb.329:
	v_cmp_lt_i16_e32 vcc, s10, v18
	s_andn2_b64 s[14:15], s[14:15], exec
	s_and_b64 s[18:19], vcc, exec
	s_or_b64 s[14:15], s[14:15], s[18:19]
.LBB66_330:
	s_branch .LBB66_332
.LBB66_331:
	s_cmp_lg_u32 s9, 0
	s_mov_b64 s[6:7], -1
	s_cselect_b64 s[16:17], -1, 0
.LBB66_332:
	s_andn2_b64 vcc, exec, s[16:17]
	s_cbranch_vccz .LBB66_341
; %bb.333:
	s_andn2_b64 vcc, exec, s[6:7]
	s_cbranch_vccnz .LBB66_335
.LBB66_334:
	v_cmp_le_i16_e32 vcc, s10, v18
	s_andn2_b64 s[6:7], s[14:15], exec
	s_and_b64 s[14:15], vcc, exec
	s_or_b64 s[14:15], s[6:7], s[14:15]
.LBB66_335:
	v_and_b32_e32 v18, 0xffffff00, v5
	v_cndmask_b32_e64 v19, 0, 1, s[14:15]
	v_or_b32_e32 v18, v19, v18
	v_and_b32_e32 v18, 0xffff, v18
	s_mov_b32 s3, 0xffff0000
	v_and_or_b32 v5, v5, s3, v18
.LBB66_336:
	s_or_b64 exec, exec, s[4:5]
	v_or_b32_e32 v18, 0x500, v0
	v_cmp_gt_i32_e32 vcc, s8, v18
	s_and_saveexec_b64 s[4:5], vcc
	s_cbranch_execz .LBB66_351
; %bb.337:
	s_cmp_lt_i32 s9, 1
	s_mov_b64 s[6:7], 0
	s_cbranch_scc1 .LBB66_342
; %bb.338:
	s_cmp_gt_i32 s9, 1
	s_cbranch_scc0 .LBB66_343
; %bb.339:
	s_cmp_eq_u32 s9, 2
	s_cbranch_scc0 .LBB66_539
; %bb.340:
	v_cmp_ge_i16_e64 s[14:15], s10, v17
	s_mov_b64 s[16:17], 0
	s_branch .LBB66_345
.LBB66_341:
	v_cmp_gt_i16_e32 vcc, s10, v18
	s_andn2_b64 s[14:15], s[14:15], exec
	s_and_b64 s[16:17], vcc, exec
	s_or_b64 s[14:15], s[14:15], s[16:17]
	s_cbranch_execz .LBB66_334
	s_branch .LBB66_335
.LBB66_342:
                                        ; implicit-def: $sgpr14_sgpr15
	s_mov_b64 s[16:17], 0
	s_cbranch_execnz .LBB66_346
	s_branch .LBB66_347
.LBB66_343:
	s_mov_b64 s[16:17], 0
                                        ; implicit-def: $sgpr14_sgpr15
	s_cbranch_execz .LBB66_345
; %bb.344:
	v_cmp_lt_i16_e32 vcc, s10, v17
	s_andn2_b64 s[14:15], s[14:15], exec
	s_and_b64 s[18:19], vcc, exec
	s_or_b64 s[14:15], s[14:15], s[18:19]
.LBB66_345:
	s_branch .LBB66_347
.LBB66_346:
	s_cmp_lg_u32 s9, 0
	s_mov_b64 s[6:7], -1
	s_cselect_b64 s[16:17], -1, 0
.LBB66_347:
	s_andn2_b64 vcc, exec, s[16:17]
	s_cbranch_vccz .LBB66_356
; %bb.348:
	s_andn2_b64 vcc, exec, s[6:7]
	s_cbranch_vccnz .LBB66_350
.LBB66_349:
	v_cmp_le_i16_e32 vcc, s10, v17
	s_andn2_b64 s[6:7], s[14:15], exec
	s_and_b64 s[14:15], vcc, exec
	s_or_b64 s[14:15], s[6:7], s[14:15]
.LBB66_350:
	v_cndmask_b32_e64 v17, 0, 1, s[14:15]
	v_lshlrev_b16_e32 v17, 8, v17
	v_or_b32_sdwa v17, v5, v17 dst_sel:DWORD dst_unused:UNUSED_PAD src0_sel:BYTE_0 src1_sel:DWORD
	v_and_b32_e32 v17, 0xffff, v17
	s_mov_b32 s3, 0xffff0000
	v_and_or_b32 v5, v5, s3, v17
.LBB66_351:
	s_or_b64 exec, exec, s[4:5]
	v_or_b32_e32 v17, 0x600, v0
	v_cmp_gt_i32_e32 vcc, s8, v17
	s_and_saveexec_b64 s[4:5], vcc
	s_cbranch_execz .LBB66_366
; %bb.352:
	s_cmp_lt_i32 s9, 1
	s_mov_b64 s[6:7], 0
	s_cbranch_scc1 .LBB66_357
; %bb.353:
	s_cmp_gt_i32 s9, 1
	s_cbranch_scc0 .LBB66_358
; %bb.354:
	s_cmp_eq_u32 s9, 2
	s_cbranch_scc0 .LBB66_540
; %bb.355:
	v_cmp_ge_i16_e64 s[14:15], s10, v16
	s_mov_b64 s[16:17], 0
	s_branch .LBB66_360
.LBB66_356:
	v_cmp_gt_i16_e32 vcc, s10, v17
	s_andn2_b64 s[14:15], s[14:15], exec
	s_and_b64 s[16:17], vcc, exec
	s_or_b64 s[14:15], s[14:15], s[16:17]
	s_cbranch_execz .LBB66_349
	s_branch .LBB66_350
.LBB66_357:
                                        ; implicit-def: $sgpr14_sgpr15
	s_mov_b64 s[16:17], 0
	s_cbranch_execnz .LBB66_361
	s_branch .LBB66_362
.LBB66_358:
	s_mov_b64 s[16:17], 0
                                        ; implicit-def: $sgpr14_sgpr15
	s_cbranch_execz .LBB66_360
; %bb.359:
	v_cmp_lt_i16_e32 vcc, s10, v16
	s_andn2_b64 s[14:15], s[14:15], exec
	s_and_b64 s[18:19], vcc, exec
	s_or_b64 s[14:15], s[14:15], s[18:19]
.LBB66_360:
	s_branch .LBB66_362
.LBB66_361:
	s_cmp_lg_u32 s9, 0
	s_mov_b64 s[6:7], -1
	s_cselect_b64 s[16:17], -1, 0
.LBB66_362:
	s_andn2_b64 vcc, exec, s[16:17]
	s_cbranch_vccz .LBB66_371
; %bb.363:
	s_andn2_b64 vcc, exec, s[6:7]
	s_cbranch_vccnz .LBB66_365
.LBB66_364:
	v_cmp_le_i16_e32 vcc, s10, v16
	s_andn2_b64 s[6:7], s[14:15], exec
	s_and_b64 s[14:15], vcc, exec
	s_or_b64 s[14:15], s[6:7], s[14:15]
.LBB66_365:
	s_movk_i32 s3, 0xff00
	v_and_b32_sdwa v16, v5, s3 dst_sel:DWORD dst_unused:UNUSED_PAD src0_sel:WORD_1 src1_sel:DWORD
	v_cndmask_b32_e64 v17, 0, 1, s[14:15]
	v_or_b32_sdwa v16, v17, v16 dst_sel:WORD_1 dst_unused:UNUSED_PAD src0_sel:DWORD src1_sel:DWORD
	s_mov_b32 s3, 0xffff
	v_and_or_b32 v5, v5, s3, v16
.LBB66_366:
	s_or_b64 exec, exec, s[4:5]
	v_or_b32_e32 v16, 0x700, v0
	v_cmp_gt_i32_e32 vcc, s8, v16
	s_and_saveexec_b64 s[4:5], vcc
	s_cbranch_execz .LBB66_381
; %bb.367:
	s_cmp_lt_i32 s9, 1
	s_mov_b64 s[6:7], 0
	s_cbranch_scc1 .LBB66_372
; %bb.368:
	s_cmp_gt_i32 s9, 1
	s_cbranch_scc0 .LBB66_373
; %bb.369:
	s_cmp_eq_u32 s9, 2
	s_cbranch_scc0 .LBB66_541
; %bb.370:
	v_cmp_ge_i16_e64 s[14:15], s10, v15
	s_mov_b64 s[16:17], 0
	s_branch .LBB66_375
.LBB66_371:
	v_cmp_gt_i16_e32 vcc, s10, v16
	s_andn2_b64 s[14:15], s[14:15], exec
	s_and_b64 s[16:17], vcc, exec
	s_or_b64 s[14:15], s[14:15], s[16:17]
	s_cbranch_execz .LBB66_364
	s_branch .LBB66_365
.LBB66_372:
                                        ; implicit-def: $sgpr14_sgpr15
	s_mov_b64 s[16:17], 0
	s_cbranch_execnz .LBB66_376
	s_branch .LBB66_377
.LBB66_373:
	s_mov_b64 s[16:17], 0
                                        ; implicit-def: $sgpr14_sgpr15
	s_cbranch_execz .LBB66_375
; %bb.374:
	v_cmp_lt_i16_e32 vcc, s10, v15
	s_andn2_b64 s[14:15], s[14:15], exec
	s_and_b64 s[18:19], vcc, exec
	s_or_b64 s[14:15], s[14:15], s[18:19]
.LBB66_375:
	s_branch .LBB66_377
.LBB66_376:
	s_cmp_lg_u32 s9, 0
	s_mov_b64 s[6:7], -1
	s_cselect_b64 s[16:17], -1, 0
.LBB66_377:
	s_andn2_b64 vcc, exec, s[16:17]
	s_cbranch_vccz .LBB66_386
; %bb.378:
	s_andn2_b64 vcc, exec, s[6:7]
	s_cbranch_vccnz .LBB66_380
.LBB66_379:
	v_cmp_le_i16_e32 vcc, s10, v15
	s_andn2_b64 s[6:7], s[14:15], exec
	s_and_b64 s[14:15], vcc, exec
	s_or_b64 s[14:15], s[6:7], s[14:15]
.LBB66_380:
	s_movk_i32 s3, 0xff
	v_cndmask_b32_e64 v16, 0, 1, s[14:15]
	v_and_b32_sdwa v15, v5, s3 dst_sel:DWORD dst_unused:UNUSED_PAD src0_sel:WORD_1 src1_sel:DWORD
	v_lshlrev_b16_e32 v16, 8, v16
	v_or_b32_sdwa v15, v15, v16 dst_sel:WORD_1 dst_unused:UNUSED_PAD src0_sel:DWORD src1_sel:DWORD
	s_mov_b32 s3, 0xffff
	v_and_or_b32 v5, v5, s3, v15
.LBB66_381:
	s_or_b64 exec, exec, s[4:5]
	v_or_b32_e32 v15, 0x800, v0
	v_cmp_gt_i32_e32 vcc, s8, v15
	s_and_saveexec_b64 s[4:5], vcc
	s_cbranch_execz .LBB66_396
; %bb.382:
	s_cmp_lt_i32 s9, 1
	s_mov_b64 s[6:7], 0
	s_cbranch_scc1 .LBB66_387
; %bb.383:
	s_cmp_gt_i32 s9, 1
	s_cbranch_scc0 .LBB66_388
; %bb.384:
	s_cmp_eq_u32 s9, 2
	s_cbranch_scc0 .LBB66_542
; %bb.385:
	v_cmp_ge_i16_e64 s[14:15], s10, v14
	s_mov_b64 s[16:17], 0
	s_branch .LBB66_390
.LBB66_386:
	v_cmp_gt_i16_e32 vcc, s10, v15
	s_andn2_b64 s[14:15], s[14:15], exec
	s_and_b64 s[16:17], vcc, exec
	s_or_b64 s[14:15], s[14:15], s[16:17]
	s_cbranch_execz .LBB66_379
	s_branch .LBB66_380
.LBB66_387:
                                        ; implicit-def: $sgpr14_sgpr15
	s_mov_b64 s[16:17], 0
	s_cbranch_execnz .LBB66_391
	s_branch .LBB66_392
.LBB66_388:
	s_mov_b64 s[16:17], 0
                                        ; implicit-def: $sgpr14_sgpr15
	s_cbranch_execz .LBB66_390
; %bb.389:
	v_cmp_lt_i16_e32 vcc, s10, v14
	s_andn2_b64 s[14:15], s[14:15], exec
	s_and_b64 s[18:19], vcc, exec
	s_or_b64 s[14:15], s[14:15], s[18:19]
.LBB66_390:
	s_branch .LBB66_392
.LBB66_391:
	s_cmp_lg_u32 s9, 0
	s_mov_b64 s[6:7], -1
	s_cselect_b64 s[16:17], -1, 0
.LBB66_392:
	s_andn2_b64 vcc, exec, s[16:17]
	s_cbranch_vccz .LBB66_401
; %bb.393:
	s_andn2_b64 vcc, exec, s[6:7]
	s_cbranch_vccnz .LBB66_395
.LBB66_394:
	v_cmp_le_i16_e32 vcc, s10, v14
	s_andn2_b64 s[6:7], s[14:15], exec
	s_and_b64 s[14:15], vcc, exec
	s_or_b64 s[14:15], s[6:7], s[14:15]
.LBB66_395:
	v_and_b32_e32 v14, 0xffffff00, v3
	v_cndmask_b32_e64 v15, 0, 1, s[14:15]
	v_or_b32_e32 v14, v15, v14
	v_and_b32_e32 v14, 0xffff, v14
	s_mov_b32 s3, 0xffff0000
	v_and_or_b32 v3, v3, s3, v14
.LBB66_396:
	s_or_b64 exec, exec, s[4:5]
	v_or_b32_e32 v14, 0x900, v0
	v_cmp_gt_i32_e32 vcc, s8, v14
	s_and_saveexec_b64 s[4:5], vcc
	s_cbranch_execz .LBB66_411
; %bb.397:
	s_cmp_lt_i32 s9, 1
	s_mov_b64 s[6:7], 0
	s_cbranch_scc1 .LBB66_402
; %bb.398:
	s_cmp_gt_i32 s9, 1
	s_cbranch_scc0 .LBB66_403
; %bb.399:
	s_cmp_eq_u32 s9, 2
	s_cbranch_scc0 .LBB66_543
; %bb.400:
	v_cmp_ge_i16_e64 s[14:15], s10, v13
	s_mov_b64 s[16:17], 0
	s_branch .LBB66_405
.LBB66_401:
	v_cmp_gt_i16_e32 vcc, s10, v14
	s_andn2_b64 s[14:15], s[14:15], exec
	s_and_b64 s[16:17], vcc, exec
	s_or_b64 s[14:15], s[14:15], s[16:17]
	s_cbranch_execz .LBB66_394
	s_branch .LBB66_395
.LBB66_402:
                                        ; implicit-def: $sgpr14_sgpr15
	s_mov_b64 s[16:17], 0
	s_cbranch_execnz .LBB66_406
	s_branch .LBB66_407
.LBB66_403:
	s_mov_b64 s[16:17], 0
                                        ; implicit-def: $sgpr14_sgpr15
	s_cbranch_execz .LBB66_405
; %bb.404:
	v_cmp_lt_i16_e32 vcc, s10, v13
	s_andn2_b64 s[14:15], s[14:15], exec
	s_and_b64 s[18:19], vcc, exec
	s_or_b64 s[14:15], s[14:15], s[18:19]
.LBB66_405:
	s_branch .LBB66_407
.LBB66_406:
	s_cmp_lg_u32 s9, 0
	s_mov_b64 s[6:7], -1
	s_cselect_b64 s[16:17], -1, 0
.LBB66_407:
	s_andn2_b64 vcc, exec, s[16:17]
	s_cbranch_vccz .LBB66_416
; %bb.408:
	s_andn2_b64 vcc, exec, s[6:7]
	s_cbranch_vccnz .LBB66_410
.LBB66_409:
	v_cmp_le_i16_e32 vcc, s10, v13
	s_andn2_b64 s[6:7], s[14:15], exec
	s_and_b64 s[14:15], vcc, exec
	s_or_b64 s[14:15], s[6:7], s[14:15]
.LBB66_410:
	v_cndmask_b32_e64 v13, 0, 1, s[14:15]
	v_lshlrev_b16_e32 v13, 8, v13
	v_or_b32_sdwa v13, v3, v13 dst_sel:DWORD dst_unused:UNUSED_PAD src0_sel:BYTE_0 src1_sel:DWORD
	v_and_b32_e32 v13, 0xffff, v13
	s_mov_b32 s3, 0xffff0000
	v_and_or_b32 v3, v3, s3, v13
.LBB66_411:
	s_or_b64 exec, exec, s[4:5]
	v_or_b32_e32 v13, 0xa00, v0
	v_cmp_gt_i32_e32 vcc, s8, v13
	s_and_saveexec_b64 s[4:5], vcc
	s_cbranch_execz .LBB66_426
; %bb.412:
	s_cmp_lt_i32 s9, 1
	s_mov_b64 s[6:7], 0
	s_cbranch_scc1 .LBB66_417
; %bb.413:
	s_cmp_gt_i32 s9, 1
	s_cbranch_scc0 .LBB66_418
; %bb.414:
	s_cmp_eq_u32 s9, 2
	s_cbranch_scc0 .LBB66_544
; %bb.415:
	v_cmp_ge_i16_e64 s[14:15], s10, v12
	s_mov_b64 s[16:17], 0
	s_branch .LBB66_420
.LBB66_416:
	v_cmp_gt_i16_e32 vcc, s10, v13
	s_andn2_b64 s[14:15], s[14:15], exec
	s_and_b64 s[16:17], vcc, exec
	s_or_b64 s[14:15], s[14:15], s[16:17]
	s_cbranch_execz .LBB66_409
	s_branch .LBB66_410
.LBB66_417:
                                        ; implicit-def: $sgpr14_sgpr15
	s_mov_b64 s[16:17], 0
	s_cbranch_execnz .LBB66_421
	s_branch .LBB66_422
.LBB66_418:
	s_mov_b64 s[16:17], 0
                                        ; implicit-def: $sgpr14_sgpr15
	s_cbranch_execz .LBB66_420
; %bb.419:
	v_cmp_lt_i16_e32 vcc, s10, v12
	s_andn2_b64 s[14:15], s[14:15], exec
	s_and_b64 s[18:19], vcc, exec
	s_or_b64 s[14:15], s[14:15], s[18:19]
.LBB66_420:
	s_branch .LBB66_422
.LBB66_421:
	s_cmp_lg_u32 s9, 0
	s_mov_b64 s[6:7], -1
	s_cselect_b64 s[16:17], -1, 0
.LBB66_422:
	s_andn2_b64 vcc, exec, s[16:17]
	s_cbranch_vccz .LBB66_431
; %bb.423:
	s_andn2_b64 vcc, exec, s[6:7]
	s_cbranch_vccnz .LBB66_425
.LBB66_424:
	v_cmp_le_i16_e32 vcc, s10, v12
	s_andn2_b64 s[6:7], s[14:15], exec
	s_and_b64 s[14:15], vcc, exec
	s_or_b64 s[14:15], s[6:7], s[14:15]
.LBB66_425:
	s_movk_i32 s3, 0xff00
	v_and_b32_sdwa v12, v3, s3 dst_sel:DWORD dst_unused:UNUSED_PAD src0_sel:WORD_1 src1_sel:DWORD
	v_cndmask_b32_e64 v13, 0, 1, s[14:15]
	v_or_b32_sdwa v12, v13, v12 dst_sel:WORD_1 dst_unused:UNUSED_PAD src0_sel:DWORD src1_sel:DWORD
	s_mov_b32 s3, 0xffff
	v_and_or_b32 v3, v3, s3, v12
.LBB66_426:
	s_or_b64 exec, exec, s[4:5]
	v_or_b32_e32 v12, 0xb00, v0
	v_cmp_gt_i32_e32 vcc, s8, v12
	s_and_saveexec_b64 s[4:5], vcc
	s_cbranch_execz .LBB66_441
; %bb.427:
	s_cmp_lt_i32 s9, 1
	s_mov_b64 s[6:7], 0
	s_cbranch_scc1 .LBB66_432
; %bb.428:
	s_cmp_gt_i32 s9, 1
	s_cbranch_scc0 .LBB66_433
; %bb.429:
	s_cmp_eq_u32 s9, 2
	s_cbranch_scc0 .LBB66_545
; %bb.430:
	v_cmp_ge_i16_e64 s[14:15], s10, v11
	s_mov_b64 s[16:17], 0
	s_branch .LBB66_435
.LBB66_431:
	v_cmp_gt_i16_e32 vcc, s10, v12
	s_andn2_b64 s[14:15], s[14:15], exec
	s_and_b64 s[16:17], vcc, exec
	s_or_b64 s[14:15], s[14:15], s[16:17]
	s_cbranch_execz .LBB66_424
	s_branch .LBB66_425
.LBB66_432:
                                        ; implicit-def: $sgpr14_sgpr15
	s_mov_b64 s[16:17], 0
	s_cbranch_execnz .LBB66_436
	s_branch .LBB66_437
.LBB66_433:
	s_mov_b64 s[16:17], 0
                                        ; implicit-def: $sgpr14_sgpr15
	s_cbranch_execz .LBB66_435
; %bb.434:
	v_cmp_lt_i16_e32 vcc, s10, v11
	s_andn2_b64 s[14:15], s[14:15], exec
	s_and_b64 s[18:19], vcc, exec
	s_or_b64 s[14:15], s[14:15], s[18:19]
.LBB66_435:
	s_branch .LBB66_437
.LBB66_436:
	s_cmp_lg_u32 s9, 0
	s_mov_b64 s[6:7], -1
	s_cselect_b64 s[16:17], -1, 0
.LBB66_437:
	s_andn2_b64 vcc, exec, s[16:17]
	s_cbranch_vccz .LBB66_446
; %bb.438:
	s_andn2_b64 vcc, exec, s[6:7]
	s_cbranch_vccnz .LBB66_440
.LBB66_439:
	v_cmp_le_i16_e32 vcc, s10, v11
	s_andn2_b64 s[6:7], s[14:15], exec
	s_and_b64 s[14:15], vcc, exec
	s_or_b64 s[14:15], s[6:7], s[14:15]
.LBB66_440:
	s_movk_i32 s3, 0xff
	v_cndmask_b32_e64 v12, 0, 1, s[14:15]
	v_and_b32_sdwa v11, v3, s3 dst_sel:DWORD dst_unused:UNUSED_PAD src0_sel:WORD_1 src1_sel:DWORD
	v_lshlrev_b16_e32 v12, 8, v12
	v_or_b32_sdwa v11, v11, v12 dst_sel:WORD_1 dst_unused:UNUSED_PAD src0_sel:DWORD src1_sel:DWORD
	s_mov_b32 s3, 0xffff
	v_and_or_b32 v3, v3, s3, v11
.LBB66_441:
	s_or_b64 exec, exec, s[4:5]
	v_or_b32_e32 v11, 0xc00, v0
	v_cmp_gt_i32_e32 vcc, s8, v11
	s_and_saveexec_b64 s[4:5], vcc
	s_cbranch_execz .LBB66_456
; %bb.442:
	s_cmp_lt_i32 s9, 1
	s_mov_b64 s[6:7], 0
	s_cbranch_scc1 .LBB66_447
; %bb.443:
	s_cmp_gt_i32 s9, 1
	s_cbranch_scc0 .LBB66_448
; %bb.444:
	s_cmp_eq_u32 s9, 2
	s_cbranch_scc0 .LBB66_546
; %bb.445:
	v_cmp_ge_i16_e64 s[14:15], s10, v10
	s_mov_b64 s[16:17], 0
	s_branch .LBB66_450
.LBB66_446:
	v_cmp_gt_i16_e32 vcc, s10, v11
	s_andn2_b64 s[14:15], s[14:15], exec
	s_and_b64 s[16:17], vcc, exec
	s_or_b64 s[14:15], s[14:15], s[16:17]
	s_cbranch_execz .LBB66_439
	s_branch .LBB66_440
.LBB66_447:
                                        ; implicit-def: $sgpr14_sgpr15
	s_mov_b64 s[16:17], 0
	s_cbranch_execnz .LBB66_451
	s_branch .LBB66_452
.LBB66_448:
	s_mov_b64 s[16:17], 0
                                        ; implicit-def: $sgpr14_sgpr15
	s_cbranch_execz .LBB66_450
; %bb.449:
	v_cmp_lt_i16_e32 vcc, s10, v10
	s_andn2_b64 s[14:15], s[14:15], exec
	s_and_b64 s[18:19], vcc, exec
	s_or_b64 s[14:15], s[14:15], s[18:19]
.LBB66_450:
	s_branch .LBB66_452
.LBB66_451:
	s_cmp_lg_u32 s9, 0
	s_mov_b64 s[6:7], -1
	s_cselect_b64 s[16:17], -1, 0
.LBB66_452:
	s_andn2_b64 vcc, exec, s[16:17]
	s_cbranch_vccz .LBB66_461
; %bb.453:
	s_andn2_b64 vcc, exec, s[6:7]
	s_cbranch_vccnz .LBB66_455
.LBB66_454:
	v_cmp_le_i16_e32 vcc, s10, v10
	s_andn2_b64 s[6:7], s[14:15], exec
	s_and_b64 s[14:15], vcc, exec
	s_or_b64 s[14:15], s[6:7], s[14:15]
.LBB66_455:
	v_and_b32_e32 v10, 0xffffff00, v2
	v_cndmask_b32_e64 v11, 0, 1, s[14:15]
	v_or_b32_e32 v10, v11, v10
	v_and_b32_e32 v10, 0xffff, v10
	s_mov_b32 s3, 0xffff0000
	v_and_or_b32 v2, v2, s3, v10
.LBB66_456:
	s_or_b64 exec, exec, s[4:5]
	v_or_b32_e32 v10, 0xd00, v0
	v_cmp_gt_i32_e32 vcc, s8, v10
	s_and_saveexec_b64 s[4:5], vcc
	s_cbranch_execz .LBB66_471
; %bb.457:
	s_cmp_lt_i32 s9, 1
	s_mov_b64 s[6:7], 0
	s_cbranch_scc1 .LBB66_462
; %bb.458:
	s_cmp_gt_i32 s9, 1
	s_cbranch_scc0 .LBB66_463
; %bb.459:
	s_cmp_eq_u32 s9, 2
	s_cbranch_scc0 .LBB66_547
; %bb.460:
	v_cmp_ge_i16_e64 s[14:15], s10, v9
	s_mov_b64 s[16:17], 0
	s_branch .LBB66_465
.LBB66_461:
	v_cmp_gt_i16_e32 vcc, s10, v10
	s_andn2_b64 s[14:15], s[14:15], exec
	s_and_b64 s[16:17], vcc, exec
	s_or_b64 s[14:15], s[14:15], s[16:17]
	s_cbranch_execz .LBB66_454
	s_branch .LBB66_455
.LBB66_462:
                                        ; implicit-def: $sgpr14_sgpr15
	s_mov_b64 s[16:17], 0
	s_cbranch_execnz .LBB66_466
	s_branch .LBB66_467
.LBB66_463:
	s_mov_b64 s[16:17], 0
                                        ; implicit-def: $sgpr14_sgpr15
	s_cbranch_execz .LBB66_465
; %bb.464:
	v_cmp_lt_i16_e32 vcc, s10, v9
	s_andn2_b64 s[14:15], s[14:15], exec
	s_and_b64 s[18:19], vcc, exec
	s_or_b64 s[14:15], s[14:15], s[18:19]
.LBB66_465:
	s_branch .LBB66_467
.LBB66_466:
	s_cmp_lg_u32 s9, 0
	s_mov_b64 s[6:7], -1
	s_cselect_b64 s[16:17], -1, 0
.LBB66_467:
	s_andn2_b64 vcc, exec, s[16:17]
	s_cbranch_vccz .LBB66_476
; %bb.468:
	s_andn2_b64 vcc, exec, s[6:7]
	s_cbranch_vccnz .LBB66_470
.LBB66_469:
	v_cmp_le_i16_e32 vcc, s10, v9
	s_andn2_b64 s[6:7], s[14:15], exec
	s_and_b64 s[14:15], vcc, exec
	s_or_b64 s[14:15], s[6:7], s[14:15]
.LBB66_470:
	v_cndmask_b32_e64 v9, 0, 1, s[14:15]
	v_lshlrev_b16_e32 v9, 8, v9
	v_or_b32_sdwa v9, v2, v9 dst_sel:DWORD dst_unused:UNUSED_PAD src0_sel:BYTE_0 src1_sel:DWORD
	v_and_b32_e32 v9, 0xffff, v9
	s_mov_b32 s3, 0xffff0000
	v_and_or_b32 v2, v2, s3, v9
.LBB66_471:
	s_or_b64 exec, exec, s[4:5]
	v_or_b32_e32 v9, 0xe00, v0
	v_cmp_gt_i32_e32 vcc, s8, v9
	s_and_saveexec_b64 s[4:5], vcc
	s_cbranch_execz .LBB66_486
; %bb.472:
	s_cmp_lt_i32 s9, 1
	s_mov_b64 s[6:7], 0
	s_cbranch_scc1 .LBB66_477
; %bb.473:
	s_cmp_gt_i32 s9, 1
	s_cbranch_scc0 .LBB66_478
; %bb.474:
	s_cmp_eq_u32 s9, 2
	s_cbranch_scc0 .LBB66_548
; %bb.475:
	v_cmp_ge_i16_e64 s[14:15], s10, v8
	s_mov_b64 s[16:17], 0
	s_branch .LBB66_480
.LBB66_476:
	v_cmp_gt_i16_e32 vcc, s10, v9
	s_andn2_b64 s[14:15], s[14:15], exec
	s_and_b64 s[16:17], vcc, exec
	s_or_b64 s[14:15], s[14:15], s[16:17]
	s_cbranch_execz .LBB66_469
	s_branch .LBB66_470
.LBB66_477:
                                        ; implicit-def: $sgpr14_sgpr15
	s_mov_b64 s[16:17], 0
	s_cbranch_execnz .LBB66_481
	s_branch .LBB66_482
.LBB66_478:
	s_mov_b64 s[16:17], 0
                                        ; implicit-def: $sgpr14_sgpr15
	s_cbranch_execz .LBB66_480
; %bb.479:
	v_cmp_lt_i16_e32 vcc, s10, v8
	s_andn2_b64 s[14:15], s[14:15], exec
	s_and_b64 s[18:19], vcc, exec
	s_or_b64 s[14:15], s[14:15], s[18:19]
.LBB66_480:
	s_branch .LBB66_482
.LBB66_481:
	s_cmp_lg_u32 s9, 0
	s_mov_b64 s[6:7], -1
	s_cselect_b64 s[16:17], -1, 0
.LBB66_482:
	s_andn2_b64 vcc, exec, s[16:17]
	s_cbranch_vccz .LBB66_491
; %bb.483:
	s_andn2_b64 vcc, exec, s[6:7]
	s_cbranch_vccnz .LBB66_485
.LBB66_484:
	v_cmp_le_i16_e32 vcc, s10, v8
	s_andn2_b64 s[6:7], s[14:15], exec
	s_and_b64 s[14:15], vcc, exec
	s_or_b64 s[14:15], s[6:7], s[14:15]
.LBB66_485:
	s_movk_i32 s3, 0xff00
	v_and_b32_sdwa v8, v2, s3 dst_sel:DWORD dst_unused:UNUSED_PAD src0_sel:WORD_1 src1_sel:DWORD
	v_cndmask_b32_e64 v9, 0, 1, s[14:15]
	v_or_b32_sdwa v8, v9, v8 dst_sel:WORD_1 dst_unused:UNUSED_PAD src0_sel:DWORD src1_sel:DWORD
	s_mov_b32 s3, 0xffff
	v_and_or_b32 v2, v2, s3, v8
.LBB66_486:
	s_or_b64 exec, exec, s[4:5]
	v_or_b32_e32 v8, 0xf00, v0
	v_cmp_gt_i32_e32 vcc, s8, v8
	s_and_saveexec_b64 s[4:5], vcc
	s_cbranch_execz .LBB66_501
; %bb.487:
	s_cmp_lt_i32 s9, 1
	s_mov_b64 s[6:7], 0
	s_cbranch_scc1 .LBB66_492
; %bb.488:
	s_cmp_gt_i32 s9, 1
	s_cbranch_scc0 .LBB66_493
; %bb.489:
	s_cmp_eq_u32 s9, 2
	s_cbranch_scc0 .LBB66_549
; %bb.490:
	v_cmp_ge_i16_e64 s[14:15], s10, v4
	s_mov_b64 s[16:17], 0
	s_branch .LBB66_495
.LBB66_491:
	v_cmp_gt_i16_e32 vcc, s10, v8
	s_andn2_b64 s[14:15], s[14:15], exec
	s_and_b64 s[16:17], vcc, exec
	s_or_b64 s[14:15], s[14:15], s[16:17]
	s_cbranch_execz .LBB66_484
	s_branch .LBB66_485
.LBB66_492:
                                        ; implicit-def: $sgpr14_sgpr15
	s_mov_b64 s[16:17], 0
	s_cbranch_execnz .LBB66_496
	s_branch .LBB66_497
.LBB66_493:
	s_mov_b64 s[16:17], 0
                                        ; implicit-def: $sgpr14_sgpr15
	s_cbranch_execz .LBB66_495
; %bb.494:
	v_cmp_lt_i16_e32 vcc, s10, v4
	s_andn2_b64 s[14:15], s[14:15], exec
	s_and_b64 s[18:19], vcc, exec
	s_or_b64 s[14:15], s[14:15], s[18:19]
.LBB66_495:
	s_branch .LBB66_497
.LBB66_496:
	s_cmp_lg_u32 s9, 0
	s_mov_b64 s[6:7], -1
	s_cselect_b64 s[16:17], -1, 0
.LBB66_497:
	s_andn2_b64 vcc, exec, s[16:17]
	s_cbranch_vccz .LBB66_534
; %bb.498:
	s_andn2_b64 vcc, exec, s[6:7]
	s_cbranch_vccnz .LBB66_500
.LBB66_499:
	v_cmp_le_i16_e32 vcc, s10, v4
	s_andn2_b64 s[6:7], s[14:15], exec
	s_and_b64 s[10:11], vcc, exec
	s_or_b64 s[14:15], s[6:7], s[10:11]
.LBB66_500:
	s_movk_i32 s3, 0xff
	v_cndmask_b32_e64 v8, 0, 1, s[14:15]
	v_and_b32_sdwa v4, v2, s3 dst_sel:DWORD dst_unused:UNUSED_PAD src0_sel:WORD_1 src1_sel:DWORD
	v_lshlrev_b16_e32 v8, 8, v8
	v_or_b32_sdwa v4, v4, v8 dst_sel:WORD_1 dst_unused:UNUSED_PAD src0_sel:DWORD src1_sel:DWORD
	s_mov_b32 s3, 0xffff
	v_and_or_b32 v2, v2, s3, v4
.LBB66_501:
	s_or_b64 exec, exec, s[4:5]
	s_and_saveexec_b64 s[4:5], s[0:1]
	s_xor_b64 s[0:1], exec, s[4:5]
	s_cbranch_execz .LBB66_503
; %bb.502:
	v_mov_b32_e32 v0, v7
	global_store_byte v1, v6, s[12:13]
.LBB66_503:
	s_or_b64 exec, exec, s[0:1]
	v_cmp_gt_i32_e32 vcc, s8, v0
	s_and_saveexec_b64 s[0:1], vcc
	s_cbranch_execnz .LBB66_520
; %bb.504:
	s_or_b64 exec, exec, s[0:1]
	v_cmp_gt_i32_e32 vcc, s8, v0
	s_and_saveexec_b64 s[0:1], vcc
	s_cbranch_execnz .LBB66_521
.LBB66_505:
	s_or_b64 exec, exec, s[0:1]
	v_cmp_gt_i32_e32 vcc, s8, v0
	s_and_saveexec_b64 s[0:1], vcc
	s_cbranch_execnz .LBB66_522
.LBB66_506:
	s_or_b64 exec, exec, s[0:1]
	v_cmp_gt_i32_e32 vcc, s8, v0
	s_and_saveexec_b64 s[0:1], vcc
	s_cbranch_execnz .LBB66_523
.LBB66_507:
	s_or_b64 exec, exec, s[0:1]
	v_cmp_gt_i32_e32 vcc, s8, v0
	s_and_saveexec_b64 s[0:1], vcc
	s_cbranch_execnz .LBB66_524
.LBB66_508:
	s_or_b64 exec, exec, s[0:1]
	v_cmp_gt_i32_e32 vcc, s8, v0
	s_and_saveexec_b64 s[0:1], vcc
	s_cbranch_execnz .LBB66_525
.LBB66_509:
	s_or_b64 exec, exec, s[0:1]
	v_cmp_gt_i32_e32 vcc, s8, v0
	s_and_saveexec_b64 s[0:1], vcc
	s_cbranch_execnz .LBB66_526
.LBB66_510:
	s_or_b64 exec, exec, s[0:1]
	v_cmp_gt_i32_e32 vcc, s8, v0
	s_and_saveexec_b64 s[0:1], vcc
	s_cbranch_execnz .LBB66_527
.LBB66_511:
	s_or_b64 exec, exec, s[0:1]
	v_cmp_gt_i32_e32 vcc, s8, v0
	s_and_saveexec_b64 s[0:1], vcc
	s_cbranch_execnz .LBB66_528
.LBB66_512:
	s_or_b64 exec, exec, s[0:1]
	v_cmp_gt_i32_e32 vcc, s8, v0
	s_and_saveexec_b64 s[0:1], vcc
	s_cbranch_execnz .LBB66_529
.LBB66_513:
	s_or_b64 exec, exec, s[0:1]
	v_cmp_gt_i32_e32 vcc, s8, v0
	s_and_saveexec_b64 s[0:1], vcc
	s_cbranch_execnz .LBB66_530
.LBB66_514:
	s_or_b64 exec, exec, s[0:1]
	v_cmp_gt_i32_e32 vcc, s8, v0
	s_and_saveexec_b64 s[0:1], vcc
	s_cbranch_execnz .LBB66_531
.LBB66_515:
	s_or_b64 exec, exec, s[0:1]
	v_cmp_gt_i32_e32 vcc, s8, v0
	s_and_saveexec_b64 s[0:1], vcc
	s_cbranch_execnz .LBB66_532
.LBB66_516:
	s_or_b64 exec, exec, s[0:1]
	v_cmp_gt_i32_e32 vcc, s8, v0
	s_and_saveexec_b64 s[0:1], vcc
	s_cbranch_execnz .LBB66_533
.LBB66_517:
	s_or_b64 exec, exec, s[0:1]
	v_cmp_gt_i32_e32 vcc, s8, v0
	s_and_saveexec_b64 s[0:1], vcc
	s_cbranch_execz .LBB66_519
.LBB66_518:
	v_lshrrev_b32_e32 v1, 24, v2
	v_add_u32_e32 v0, s2, v0
	global_store_byte v0, v1, s[12:13]
.LBB66_519:
	s_endpgm
.LBB66_520:
	v_lshrrev_b32_e32 v1, 8, v6
	v_add_u32_e32 v4, s2, v0
	v_add_u32_e32 v0, 0x100, v0
	global_store_byte v4, v1, s[12:13]
	s_or_b64 exec, exec, s[0:1]
	v_cmp_gt_i32_e32 vcc, s8, v0
	s_and_saveexec_b64 s[0:1], vcc
	s_cbranch_execz .LBB66_505
.LBB66_521:
	v_add_u32_e32 v1, s2, v0
	v_add_u32_e32 v0, 0x100, v0
	global_store_byte_d16_hi v1, v6, s[12:13]
	s_or_b64 exec, exec, s[0:1]
	v_cmp_gt_i32_e32 vcc, s8, v0
	s_and_saveexec_b64 s[0:1], vcc
	s_cbranch_execz .LBB66_506
.LBB66_522:
	v_lshrrev_b32_e32 v1, 24, v6
	v_add_u32_e32 v4, s2, v0
	v_add_u32_e32 v0, 0x100, v0
	global_store_byte v4, v1, s[12:13]
	s_or_b64 exec, exec, s[0:1]
	v_cmp_gt_i32_e32 vcc, s8, v0
	s_and_saveexec_b64 s[0:1], vcc
	s_cbranch_execz .LBB66_507
.LBB66_523:
	v_add_u32_e32 v1, s2, v0
	v_add_u32_e32 v0, 0x100, v0
	global_store_byte v1, v5, s[12:13]
	s_or_b64 exec, exec, s[0:1]
	v_cmp_gt_i32_e32 vcc, s8, v0
	s_and_saveexec_b64 s[0:1], vcc
	s_cbranch_execz .LBB66_508
.LBB66_524:
	v_lshrrev_b32_e32 v1, 8, v5
	v_add_u32_e32 v4, s2, v0
	v_add_u32_e32 v0, 0x100, v0
	global_store_byte v4, v1, s[12:13]
	s_or_b64 exec, exec, s[0:1]
	v_cmp_gt_i32_e32 vcc, s8, v0
	s_and_saveexec_b64 s[0:1], vcc
	s_cbranch_execz .LBB66_509
.LBB66_525:
	v_add_u32_e32 v1, s2, v0
	v_add_u32_e32 v0, 0x100, v0
	global_store_byte_d16_hi v1, v5, s[12:13]
	s_or_b64 exec, exec, s[0:1]
	v_cmp_gt_i32_e32 vcc, s8, v0
	s_and_saveexec_b64 s[0:1], vcc
	s_cbranch_execz .LBB66_510
.LBB66_526:
	v_lshrrev_b32_e32 v1, 24, v5
	v_add_u32_e32 v4, s2, v0
	v_add_u32_e32 v0, 0x100, v0
	global_store_byte v4, v1, s[12:13]
	s_or_b64 exec, exec, s[0:1]
	v_cmp_gt_i32_e32 vcc, s8, v0
	s_and_saveexec_b64 s[0:1], vcc
	s_cbranch_execz .LBB66_511
.LBB66_527:
	v_add_u32_e32 v1, s2, v0
	v_add_u32_e32 v0, 0x100, v0
	global_store_byte v1, v3, s[12:13]
	s_or_b64 exec, exec, s[0:1]
	v_cmp_gt_i32_e32 vcc, s8, v0
	s_and_saveexec_b64 s[0:1], vcc
	s_cbranch_execz .LBB66_512
.LBB66_528:
	v_lshrrev_b32_e32 v1, 8, v3
	v_add_u32_e32 v4, s2, v0
	v_add_u32_e32 v0, 0x100, v0
	global_store_byte v4, v1, s[12:13]
	s_or_b64 exec, exec, s[0:1]
	v_cmp_gt_i32_e32 vcc, s8, v0
	s_and_saveexec_b64 s[0:1], vcc
	s_cbranch_execz .LBB66_513
.LBB66_529:
	v_add_u32_e32 v1, s2, v0
	v_add_u32_e32 v0, 0x100, v0
	global_store_byte_d16_hi v1, v3, s[12:13]
	s_or_b64 exec, exec, s[0:1]
	v_cmp_gt_i32_e32 vcc, s8, v0
	s_and_saveexec_b64 s[0:1], vcc
	s_cbranch_execz .LBB66_514
.LBB66_530:
	v_lshrrev_b32_e32 v1, 24, v3
	v_add_u32_e32 v3, s2, v0
	v_add_u32_e32 v0, 0x100, v0
	global_store_byte v3, v1, s[12:13]
	s_or_b64 exec, exec, s[0:1]
	v_cmp_gt_i32_e32 vcc, s8, v0
	s_and_saveexec_b64 s[0:1], vcc
	s_cbranch_execz .LBB66_515
.LBB66_531:
	v_add_u32_e32 v1, s2, v0
	v_add_u32_e32 v0, 0x100, v0
	global_store_byte v1, v2, s[12:13]
	s_or_b64 exec, exec, s[0:1]
	v_cmp_gt_i32_e32 vcc, s8, v0
	s_and_saveexec_b64 s[0:1], vcc
	s_cbranch_execz .LBB66_516
.LBB66_532:
	v_lshrrev_b32_e32 v1, 8, v2
	v_add_u32_e32 v3, s2, v0
	v_add_u32_e32 v0, 0x100, v0
	global_store_byte v3, v1, s[12:13]
	s_or_b64 exec, exec, s[0:1]
	v_cmp_gt_i32_e32 vcc, s8, v0
	s_and_saveexec_b64 s[0:1], vcc
	s_cbranch_execz .LBB66_517
.LBB66_533:
	v_add_u32_e32 v1, s2, v0
	v_add_u32_e32 v0, 0x100, v0
	global_store_byte_d16_hi v1, v2, s[12:13]
	s_or_b64 exec, exec, s[0:1]
	v_cmp_gt_i32_e32 vcc, s8, v0
	s_and_saveexec_b64 s[0:1], vcc
	s_cbranch_execnz .LBB66_518
	s_branch .LBB66_519
.LBB66_534:
	v_cmp_gt_i16_e32 vcc, s10, v4
	s_andn2_b64 s[14:15], s[14:15], exec
	s_and_b64 s[16:17], vcc, exec
	s_or_b64 s[14:15], s[14:15], s[16:17]
	s_cbranch_execz .LBB66_499
	s_branch .LBB66_500
.LBB66_535:
	s_mov_b64 s[16:17], -1
                                        ; implicit-def: $sgpr14_sgpr15
	s_branch .LBB66_285
.LBB66_536:
	s_mov_b64 s[16:17], -1
                                        ; implicit-def: $sgpr14_sgpr15
	s_branch .LBB66_300
.LBB66_537:
	s_mov_b64 s[16:17], -1
                                        ; implicit-def: $sgpr14_sgpr15
	s_branch .LBB66_315
.LBB66_538:
	s_mov_b64 s[16:17], -1
                                        ; implicit-def: $sgpr14_sgpr15
	s_branch .LBB66_330
.LBB66_539:
	s_mov_b64 s[16:17], -1
                                        ; implicit-def: $sgpr14_sgpr15
	s_branch .LBB66_345
.LBB66_540:
	s_mov_b64 s[16:17], -1
                                        ; implicit-def: $sgpr14_sgpr15
	s_branch .LBB66_360
.LBB66_541:
	s_mov_b64 s[16:17], -1
                                        ; implicit-def: $sgpr14_sgpr15
	s_branch .LBB66_375
.LBB66_542:
	s_mov_b64 s[16:17], -1
                                        ; implicit-def: $sgpr14_sgpr15
	s_branch .LBB66_390
.LBB66_543:
	s_mov_b64 s[16:17], -1
                                        ; implicit-def: $sgpr14_sgpr15
	s_branch .LBB66_405
.LBB66_544:
	s_mov_b64 s[16:17], -1
                                        ; implicit-def: $sgpr14_sgpr15
	s_branch .LBB66_420
.LBB66_545:
	s_mov_b64 s[16:17], -1
                                        ; implicit-def: $sgpr14_sgpr15
	s_branch .LBB66_435
.LBB66_546:
	s_mov_b64 s[16:17], -1
                                        ; implicit-def: $sgpr14_sgpr15
	s_branch .LBB66_450
.LBB66_547:
	s_mov_b64 s[16:17], -1
                                        ; implicit-def: $sgpr14_sgpr15
	s_branch .LBB66_465
.LBB66_548:
	s_mov_b64 s[16:17], -1
                                        ; implicit-def: $sgpr14_sgpr15
	s_branch .LBB66_480
.LBB66_549:
	s_mov_b64 s[16:17], -1
                                        ; implicit-def: $sgpr14_sgpr15
	s_branch .LBB66_495
	.section	.rodata,"a",@progbits
	.p2align	6, 0x0
	.amdhsa_kernel _ZN2at6native29vectorized_elementwise_kernelILi4EZNS0_21compare_scalar_kernelIsEEvRNS_18TensorIteratorBaseENS0_12_GLOBAL__N_16OpTypeET_EUlsE_St5arrayIPcLm2EEEEviT0_T1_
		.amdhsa_group_segment_fixed_size 0
		.amdhsa_private_segment_fixed_size 0
		.amdhsa_kernarg_size 32
		.amdhsa_user_sgpr_count 6
		.amdhsa_user_sgpr_private_segment_buffer 1
		.amdhsa_user_sgpr_dispatch_ptr 0
		.amdhsa_user_sgpr_queue_ptr 0
		.amdhsa_user_sgpr_kernarg_segment_ptr 1
		.amdhsa_user_sgpr_dispatch_id 0
		.amdhsa_user_sgpr_flat_scratch_init 0
		.amdhsa_user_sgpr_private_segment_size 0
		.amdhsa_uses_dynamic_stack 0
		.amdhsa_system_sgpr_private_segment_wavefront_offset 0
		.amdhsa_system_sgpr_workgroup_id_x 1
		.amdhsa_system_sgpr_workgroup_id_y 0
		.amdhsa_system_sgpr_workgroup_id_z 0
		.amdhsa_system_sgpr_workgroup_info 0
		.amdhsa_system_vgpr_workitem_id 0
		.amdhsa_next_free_vgpr 22
		.amdhsa_next_free_sgpr 50
		.amdhsa_reserve_vcc 1
		.amdhsa_reserve_flat_scratch 0
		.amdhsa_float_round_mode_32 0
		.amdhsa_float_round_mode_16_64 0
		.amdhsa_float_denorm_mode_32 3
		.amdhsa_float_denorm_mode_16_64 3
		.amdhsa_dx10_clamp 1
		.amdhsa_ieee_mode 1
		.amdhsa_fp16_overflow 0
		.amdhsa_exception_fp_ieee_invalid_op 0
		.amdhsa_exception_fp_denorm_src 0
		.amdhsa_exception_fp_ieee_div_zero 0
		.amdhsa_exception_fp_ieee_overflow 0
		.amdhsa_exception_fp_ieee_underflow 0
		.amdhsa_exception_fp_ieee_inexact 0
		.amdhsa_exception_int_div_zero 0
	.end_amdhsa_kernel
	.section	.text._ZN2at6native29vectorized_elementwise_kernelILi4EZNS0_21compare_scalar_kernelIsEEvRNS_18TensorIteratorBaseENS0_12_GLOBAL__N_16OpTypeET_EUlsE_St5arrayIPcLm2EEEEviT0_T1_,"axG",@progbits,_ZN2at6native29vectorized_elementwise_kernelILi4EZNS0_21compare_scalar_kernelIsEEvRNS_18TensorIteratorBaseENS0_12_GLOBAL__N_16OpTypeET_EUlsE_St5arrayIPcLm2EEEEviT0_T1_,comdat
.Lfunc_end66:
	.size	_ZN2at6native29vectorized_elementwise_kernelILi4EZNS0_21compare_scalar_kernelIsEEvRNS_18TensorIteratorBaseENS0_12_GLOBAL__N_16OpTypeET_EUlsE_St5arrayIPcLm2EEEEviT0_T1_, .Lfunc_end66-_ZN2at6native29vectorized_elementwise_kernelILi4EZNS0_21compare_scalar_kernelIsEEvRNS_18TensorIteratorBaseENS0_12_GLOBAL__N_16OpTypeET_EUlsE_St5arrayIPcLm2EEEEviT0_T1_
                                        ; -- End function
	.set _ZN2at6native29vectorized_elementwise_kernelILi4EZNS0_21compare_scalar_kernelIsEEvRNS_18TensorIteratorBaseENS0_12_GLOBAL__N_16OpTypeET_EUlsE_St5arrayIPcLm2EEEEviT0_T1_.num_vgpr, 22
	.set _ZN2at6native29vectorized_elementwise_kernelILi4EZNS0_21compare_scalar_kernelIsEEvRNS_18TensorIteratorBaseENS0_12_GLOBAL__N_16OpTypeET_EUlsE_St5arrayIPcLm2EEEEviT0_T1_.num_agpr, 0
	.set _ZN2at6native29vectorized_elementwise_kernelILi4EZNS0_21compare_scalar_kernelIsEEvRNS_18TensorIteratorBaseENS0_12_GLOBAL__N_16OpTypeET_EUlsE_St5arrayIPcLm2EEEEviT0_T1_.numbered_sgpr, 50
	.set _ZN2at6native29vectorized_elementwise_kernelILi4EZNS0_21compare_scalar_kernelIsEEvRNS_18TensorIteratorBaseENS0_12_GLOBAL__N_16OpTypeET_EUlsE_St5arrayIPcLm2EEEEviT0_T1_.num_named_barrier, 0
	.set _ZN2at6native29vectorized_elementwise_kernelILi4EZNS0_21compare_scalar_kernelIsEEvRNS_18TensorIteratorBaseENS0_12_GLOBAL__N_16OpTypeET_EUlsE_St5arrayIPcLm2EEEEviT0_T1_.private_seg_size, 0
	.set _ZN2at6native29vectorized_elementwise_kernelILi4EZNS0_21compare_scalar_kernelIsEEvRNS_18TensorIteratorBaseENS0_12_GLOBAL__N_16OpTypeET_EUlsE_St5arrayIPcLm2EEEEviT0_T1_.uses_vcc, 1
	.set _ZN2at6native29vectorized_elementwise_kernelILi4EZNS0_21compare_scalar_kernelIsEEvRNS_18TensorIteratorBaseENS0_12_GLOBAL__N_16OpTypeET_EUlsE_St5arrayIPcLm2EEEEviT0_T1_.uses_flat_scratch, 0
	.set _ZN2at6native29vectorized_elementwise_kernelILi4EZNS0_21compare_scalar_kernelIsEEvRNS_18TensorIteratorBaseENS0_12_GLOBAL__N_16OpTypeET_EUlsE_St5arrayIPcLm2EEEEviT0_T1_.has_dyn_sized_stack, 0
	.set _ZN2at6native29vectorized_elementwise_kernelILi4EZNS0_21compare_scalar_kernelIsEEvRNS_18TensorIteratorBaseENS0_12_GLOBAL__N_16OpTypeET_EUlsE_St5arrayIPcLm2EEEEviT0_T1_.has_recursion, 0
	.set _ZN2at6native29vectorized_elementwise_kernelILi4EZNS0_21compare_scalar_kernelIsEEvRNS_18TensorIteratorBaseENS0_12_GLOBAL__N_16OpTypeET_EUlsE_St5arrayIPcLm2EEEEviT0_T1_.has_indirect_call, 0
	.section	.AMDGPU.csdata,"",@progbits
; Kernel info:
; codeLenInByte = 8964
; TotalNumSgprs: 54
; NumVgprs: 22
; ScratchSize: 0
; MemoryBound: 0
; FloatMode: 240
; IeeeMode: 1
; LDSByteSize: 0 bytes/workgroup (compile time only)
; SGPRBlocks: 6
; VGPRBlocks: 5
; NumSGPRsForWavesPerEU: 54
; NumVGPRsForWavesPerEU: 22
; Occupancy: 10
; WaveLimiterHint : 1
; COMPUTE_PGM_RSRC2:SCRATCH_EN: 0
; COMPUTE_PGM_RSRC2:USER_SGPR: 6
; COMPUTE_PGM_RSRC2:TRAP_HANDLER: 0
; COMPUTE_PGM_RSRC2:TGID_X_EN: 1
; COMPUTE_PGM_RSRC2:TGID_Y_EN: 0
; COMPUTE_PGM_RSRC2:TGID_Z_EN: 0
; COMPUTE_PGM_RSRC2:TIDIG_COMP_CNT: 0
	.section	.text._ZN2at6native29vectorized_elementwise_kernelILi2EZNS0_21compare_scalar_kernelIsEEvRNS_18TensorIteratorBaseENS0_12_GLOBAL__N_16OpTypeET_EUlsE_St5arrayIPcLm2EEEEviT0_T1_,"axG",@progbits,_ZN2at6native29vectorized_elementwise_kernelILi2EZNS0_21compare_scalar_kernelIsEEvRNS_18TensorIteratorBaseENS0_12_GLOBAL__N_16OpTypeET_EUlsE_St5arrayIPcLm2EEEEviT0_T1_,comdat
	.globl	_ZN2at6native29vectorized_elementwise_kernelILi2EZNS0_21compare_scalar_kernelIsEEvRNS_18TensorIteratorBaseENS0_12_GLOBAL__N_16OpTypeET_EUlsE_St5arrayIPcLm2EEEEviT0_T1_ ; -- Begin function _ZN2at6native29vectorized_elementwise_kernelILi2EZNS0_21compare_scalar_kernelIsEEvRNS_18TensorIteratorBaseENS0_12_GLOBAL__N_16OpTypeET_EUlsE_St5arrayIPcLm2EEEEviT0_T1_
	.p2align	8
	.type	_ZN2at6native29vectorized_elementwise_kernelILi2EZNS0_21compare_scalar_kernelIsEEvRNS_18TensorIteratorBaseENS0_12_GLOBAL__N_16OpTypeET_EUlsE_St5arrayIPcLm2EEEEviT0_T1_,@function
_ZN2at6native29vectorized_elementwise_kernelILi2EZNS0_21compare_scalar_kernelIsEEvRNS_18TensorIteratorBaseENS0_12_GLOBAL__N_16OpTypeET_EUlsE_St5arrayIPcLm2EEEEviT0_T1_: ; @_ZN2at6native29vectorized_elementwise_kernelILi2EZNS0_21compare_scalar_kernelIsEEvRNS_18TensorIteratorBaseENS0_12_GLOBAL__N_16OpTypeET_EUlsE_St5arrayIPcLm2EEEEviT0_T1_
; %bb.0:
	s_load_dwordx8 s[8:15], s[4:5], 0x0
	s_lshl_b32 s2, s6, 12
	s_mov_b64 s[0:1], -1
	s_waitcnt lgkmcnt(0)
	s_sub_i32 s8, s8, s2
	s_cmpk_gt_i32 s8, 0xfff
	s_cbranch_scc0 .LBB67_211
; %bb.1:
	s_ashr_i32 s3, s2, 31
	s_lshl_b64 s[0:1], s[2:3], 1
	s_add_u32 s0, s14, s0
	s_addc_u32 s1, s15, s1
	v_lshlrev_b32_e32 v11, 2, v0
	v_mov_b32_e32 v1, s1
	v_add_co_u32_e32 v2, vcc, s0, v11
	v_addc_co_u32_e32 v1, vcc, 0, v1, vcc
	v_add_co_u32_e32 v9, vcc, 0x1000, v2
	v_addc_co_u32_e32 v10, vcc, 0, v1, vcc
	global_load_dword v8, v11, s[0:1]
	global_load_dword v7, v11, s[0:1] offset:1024
	global_load_dword v6, v11, s[0:1] offset:2048
	;; [unrolled: 1-line block ×3, first 2 shown]
	global_load_dword v4, v[9:10], off
	global_load_dword v3, v[9:10], off offset:1024
	global_load_dword v2, v[9:10], off offset:2048
	;; [unrolled: 1-line block ×3, first 2 shown]
	s_cmp_lt_i32 s9, 1
	s_mov_b64 s[4:5], 0
	s_cbranch_scc1 .LBB67_5
; %bb.2:
	s_cmp_gt_i32 s9, 1
	s_cbranch_scc0 .LBB67_6
; %bb.3:
	s_cmp_eq_u32 s9, 2
	s_cbranch_scc0 .LBB67_7
; %bb.4:
	s_waitcnt vmcnt(7)
	v_cmp_ge_i16_e64 s[0:1], s10, v8
	s_mov_b64 s[6:7], 0
	s_branch .LBB67_8
.LBB67_5:
                                        ; implicit-def: $sgpr0_sgpr1
	s_mov_b64 s[6:7], 0
	s_cbranch_execnz .LBB67_11
	s_branch .LBB67_12
.LBB67_6:
	s_mov_b64 s[6:7], 0
                                        ; implicit-def: $sgpr0_sgpr1
	s_cbranch_execnz .LBB67_9
	s_branch .LBB67_10
.LBB67_7:
	s_mov_b64 s[6:7], -1
                                        ; implicit-def: $sgpr0_sgpr1
.LBB67_8:
	s_branch .LBB67_10
.LBB67_9:
	s_waitcnt vmcnt(7)
	v_cmp_lt_i16_e32 vcc, s10, v8
	s_andn2_b64 s[0:1], s[0:1], exec
	s_and_b64 s[16:17], vcc, exec
	s_or_b64 s[0:1], s[0:1], s[16:17]
.LBB67_10:
	s_branch .LBB67_12
.LBB67_11:
	s_cmp_lg_u32 s9, 0
	s_mov_b64 s[4:5], -1
	s_cselect_b64 s[6:7], -1, 0
.LBB67_12:
	s_andn2_b64 vcc, exec, s[6:7]
	s_cbranch_vccz .LBB67_18
; %bb.13:
	s_andn2_b64 vcc, exec, s[4:5]
	s_cbranch_vccz .LBB67_19
.LBB67_14:
	s_cmp_lt_i32 s9, 1
	s_mov_b64 s[6:7], 0
	s_cbranch_scc1 .LBB67_20
.LBB67_15:
	s_cmp_gt_i32 s9, 1
	s_cbranch_scc0 .LBB67_21
; %bb.16:
	s_cmp_eq_u32 s9, 2
	s_cbranch_scc0 .LBB67_251
; %bb.17:
	s_waitcnt vmcnt(7)
	v_cmp_le_i16_sdwa s[4:5], v8, s10 src0_sel:WORD_1 src1_sel:DWORD
	s_mov_b64 s[16:17], 0
	s_branch .LBB67_23
.LBB67_18:
	s_waitcnt vmcnt(7)
	v_cmp_gt_i16_e32 vcc, s10, v8
	s_andn2_b64 s[0:1], s[0:1], exec
	s_and_b64 s[6:7], vcc, exec
	s_or_b64 s[0:1], s[0:1], s[6:7]
	s_cbranch_execnz .LBB67_14
.LBB67_19:
	s_waitcnt vmcnt(7)
	v_cmp_le_i16_e32 vcc, s10, v8
	s_andn2_b64 s[0:1], s[0:1], exec
	s_and_b64 s[4:5], vcc, exec
	s_or_b64 s[0:1], s[0:1], s[4:5]
	s_cmp_lt_i32 s9, 1
	s_mov_b64 s[6:7], 0
	s_cbranch_scc0 .LBB67_15
.LBB67_20:
                                        ; implicit-def: $sgpr4_sgpr5
	s_mov_b64 s[16:17], 0
	s_cbranch_execnz .LBB67_24
	s_branch .LBB67_25
.LBB67_21:
	s_mov_b64 s[16:17], 0
                                        ; implicit-def: $sgpr4_sgpr5
	s_cbranch_execz .LBB67_23
; %bb.22:
	s_waitcnt vmcnt(7)
	v_cmp_gt_i16_sdwa s[18:19], v8, s10 src0_sel:WORD_1 src1_sel:DWORD
	s_andn2_b64 s[4:5], s[4:5], exec
	s_and_b64 s[18:19], s[18:19], exec
	s_or_b64 s[4:5], s[4:5], s[18:19]
.LBB67_23:
	s_branch .LBB67_25
.LBB67_24:
	s_cmp_lg_u32 s9, 0
	s_mov_b64 s[6:7], -1
	s_cselect_b64 s[16:17], -1, 0
.LBB67_25:
	s_andn2_b64 vcc, exec, s[16:17]
	s_cbranch_vccz .LBB67_31
; %bb.26:
	s_andn2_b64 vcc, exec, s[6:7]
	s_cbranch_vccz .LBB67_32
.LBB67_27:
	s_cmp_lt_i32 s9, 1
	s_mov_b64 s[16:17], 0
	s_cbranch_scc1 .LBB67_33
.LBB67_28:
	s_cmp_gt_i32 s9, 1
	s_cbranch_scc0 .LBB67_34
; %bb.29:
	s_cmp_eq_u32 s9, 2
	s_cbranch_scc0 .LBB67_252
; %bb.30:
	s_waitcnt vmcnt(6)
	v_cmp_ge_i16_e64 s[6:7], s10, v7
	s_mov_b64 s[18:19], 0
	s_branch .LBB67_36
.LBB67_31:
	s_waitcnt vmcnt(7)
	v_cmp_lt_i16_sdwa s[16:17], v8, s10 src0_sel:WORD_1 src1_sel:DWORD
	s_andn2_b64 s[4:5], s[4:5], exec
	s_and_b64 s[16:17], s[16:17], exec
	s_or_b64 s[4:5], s[4:5], s[16:17]
	s_cbranch_execnz .LBB67_27
.LBB67_32:
	s_waitcnt vmcnt(7)
	v_cmp_ge_i16_sdwa s[6:7], v8, s10 src0_sel:WORD_1 src1_sel:DWORD
	s_andn2_b64 s[4:5], s[4:5], exec
	s_and_b64 s[6:7], s[6:7], exec
	s_or_b64 s[4:5], s[4:5], s[6:7]
	s_cmp_lt_i32 s9, 1
	s_mov_b64 s[16:17], 0
	s_cbranch_scc0 .LBB67_28
.LBB67_33:
                                        ; implicit-def: $sgpr6_sgpr7
	s_mov_b64 s[18:19], 0
	s_cbranch_execnz .LBB67_37
	s_branch .LBB67_38
.LBB67_34:
	s_mov_b64 s[18:19], 0
                                        ; implicit-def: $sgpr6_sgpr7
	s_cbranch_execz .LBB67_36
; %bb.35:
	s_waitcnt vmcnt(6)
	v_cmp_lt_i16_e32 vcc, s10, v7
	s_andn2_b64 s[6:7], s[6:7], exec
	s_and_b64 s[20:21], vcc, exec
	s_or_b64 s[6:7], s[6:7], s[20:21]
.LBB67_36:
	s_branch .LBB67_38
.LBB67_37:
	s_cmp_lg_u32 s9, 0
	s_mov_b64 s[16:17], -1
	s_cselect_b64 s[18:19], -1, 0
.LBB67_38:
	s_andn2_b64 vcc, exec, s[18:19]
	s_cbranch_vccz .LBB67_44
; %bb.39:
	s_andn2_b64 vcc, exec, s[16:17]
	s_cbranch_vccz .LBB67_45
.LBB67_40:
	s_cmp_lt_i32 s9, 1
	s_mov_b64 s[18:19], 0
	s_cbranch_scc1 .LBB67_46
.LBB67_41:
	s_cmp_gt_i32 s9, 1
	s_cbranch_scc0 .LBB67_47
; %bb.42:
	s_cmp_eq_u32 s9, 2
	s_cbranch_scc0 .LBB67_253
; %bb.43:
	s_waitcnt vmcnt(6)
	v_cmp_le_i16_sdwa s[16:17], v7, s10 src0_sel:WORD_1 src1_sel:DWORD
	s_mov_b64 s[20:21], 0
	s_branch .LBB67_49
.LBB67_44:
	s_waitcnt vmcnt(6)
	v_cmp_gt_i16_e32 vcc, s10, v7
	s_andn2_b64 s[6:7], s[6:7], exec
	s_and_b64 s[18:19], vcc, exec
	s_or_b64 s[6:7], s[6:7], s[18:19]
	s_cbranch_execnz .LBB67_40
.LBB67_45:
	s_waitcnt vmcnt(6)
	v_cmp_le_i16_e32 vcc, s10, v7
	s_andn2_b64 s[6:7], s[6:7], exec
	s_and_b64 s[16:17], vcc, exec
	s_or_b64 s[6:7], s[6:7], s[16:17]
	s_cmp_lt_i32 s9, 1
	s_mov_b64 s[18:19], 0
	s_cbranch_scc0 .LBB67_41
.LBB67_46:
                                        ; implicit-def: $sgpr16_sgpr17
	s_mov_b64 s[20:21], 0
	s_cbranch_execnz .LBB67_50
	s_branch .LBB67_51
.LBB67_47:
	s_mov_b64 s[20:21], 0
                                        ; implicit-def: $sgpr16_sgpr17
	s_cbranch_execz .LBB67_49
; %bb.48:
	s_waitcnt vmcnt(6)
	v_cmp_gt_i16_sdwa s[22:23], v7, s10 src0_sel:WORD_1 src1_sel:DWORD
	s_andn2_b64 s[16:17], s[16:17], exec
	s_and_b64 s[22:23], s[22:23], exec
	s_or_b64 s[16:17], s[16:17], s[22:23]
.LBB67_49:
	s_branch .LBB67_51
.LBB67_50:
	s_cmp_lg_u32 s9, 0
	s_mov_b64 s[18:19], -1
	s_cselect_b64 s[20:21], -1, 0
.LBB67_51:
	s_andn2_b64 vcc, exec, s[20:21]
	s_cbranch_vccz .LBB67_57
; %bb.52:
	s_andn2_b64 vcc, exec, s[18:19]
	s_cbranch_vccz .LBB67_58
.LBB67_53:
	s_cmp_lt_i32 s9, 1
	s_mov_b64 s[20:21], 0
	s_cbranch_scc1 .LBB67_59
.LBB67_54:
	s_cmp_gt_i32 s9, 1
	s_cbranch_scc0 .LBB67_60
; %bb.55:
	s_cmp_eq_u32 s9, 2
	s_cbranch_scc0 .LBB67_254
; %bb.56:
	s_waitcnt vmcnt(5)
	v_cmp_ge_i16_e64 s[18:19], s10, v6
	s_mov_b64 s[22:23], 0
	s_branch .LBB67_62
.LBB67_57:
	s_waitcnt vmcnt(6)
	v_cmp_lt_i16_sdwa s[20:21], v7, s10 src0_sel:WORD_1 src1_sel:DWORD
	s_andn2_b64 s[16:17], s[16:17], exec
	s_and_b64 s[20:21], s[20:21], exec
	s_or_b64 s[16:17], s[16:17], s[20:21]
	s_cbranch_execnz .LBB67_53
.LBB67_58:
	s_waitcnt vmcnt(6)
	v_cmp_ge_i16_sdwa s[18:19], v7, s10 src0_sel:WORD_1 src1_sel:DWORD
	s_andn2_b64 s[16:17], s[16:17], exec
	s_and_b64 s[18:19], s[18:19], exec
	s_or_b64 s[16:17], s[16:17], s[18:19]
	s_cmp_lt_i32 s9, 1
	s_mov_b64 s[20:21], 0
	s_cbranch_scc0 .LBB67_54
.LBB67_59:
                                        ; implicit-def: $sgpr18_sgpr19
	s_mov_b64 s[22:23], 0
	s_cbranch_execnz .LBB67_63
	s_branch .LBB67_64
.LBB67_60:
	s_mov_b64 s[22:23], 0
                                        ; implicit-def: $sgpr18_sgpr19
	s_cbranch_execz .LBB67_62
; %bb.61:
	s_waitcnt vmcnt(5)
	v_cmp_lt_i16_e32 vcc, s10, v6
	s_andn2_b64 s[18:19], s[18:19], exec
	s_and_b64 s[24:25], vcc, exec
	s_or_b64 s[18:19], s[18:19], s[24:25]
.LBB67_62:
	s_branch .LBB67_64
.LBB67_63:
	s_cmp_lg_u32 s9, 0
	s_mov_b64 s[20:21], -1
	s_cselect_b64 s[22:23], -1, 0
.LBB67_64:
	s_andn2_b64 vcc, exec, s[22:23]
	s_cbranch_vccz .LBB67_70
; %bb.65:
	s_andn2_b64 vcc, exec, s[20:21]
	s_cbranch_vccz .LBB67_71
.LBB67_66:
	s_cmp_lt_i32 s9, 1
	s_mov_b64 s[22:23], 0
	s_cbranch_scc1 .LBB67_72
.LBB67_67:
	s_cmp_gt_i32 s9, 1
	s_cbranch_scc0 .LBB67_73
; %bb.68:
	s_cmp_eq_u32 s9, 2
	s_cbranch_scc0 .LBB67_255
; %bb.69:
	s_waitcnt vmcnt(5)
	v_cmp_le_i16_sdwa s[20:21], v6, s10 src0_sel:WORD_1 src1_sel:DWORD
	s_mov_b64 s[24:25], 0
	s_branch .LBB67_75
.LBB67_70:
	s_waitcnt vmcnt(5)
	v_cmp_gt_i16_e32 vcc, s10, v6
	s_andn2_b64 s[18:19], s[18:19], exec
	s_and_b64 s[22:23], vcc, exec
	s_or_b64 s[18:19], s[18:19], s[22:23]
	s_cbranch_execnz .LBB67_66
.LBB67_71:
	s_waitcnt vmcnt(5)
	v_cmp_le_i16_e32 vcc, s10, v6
	s_andn2_b64 s[18:19], s[18:19], exec
	s_and_b64 s[20:21], vcc, exec
	s_or_b64 s[18:19], s[18:19], s[20:21]
	s_cmp_lt_i32 s9, 1
	s_mov_b64 s[22:23], 0
	s_cbranch_scc0 .LBB67_67
.LBB67_72:
                                        ; implicit-def: $sgpr20_sgpr21
	s_mov_b64 s[24:25], 0
	s_cbranch_execnz .LBB67_76
	s_branch .LBB67_77
.LBB67_73:
	s_mov_b64 s[24:25], 0
                                        ; implicit-def: $sgpr20_sgpr21
	s_cbranch_execz .LBB67_75
; %bb.74:
	s_waitcnt vmcnt(5)
	v_cmp_gt_i16_sdwa s[26:27], v6, s10 src0_sel:WORD_1 src1_sel:DWORD
	s_andn2_b64 s[20:21], s[20:21], exec
	s_and_b64 s[26:27], s[26:27], exec
	s_or_b64 s[20:21], s[20:21], s[26:27]
.LBB67_75:
	s_branch .LBB67_77
.LBB67_76:
	s_cmp_lg_u32 s9, 0
	s_mov_b64 s[22:23], -1
	s_cselect_b64 s[24:25], -1, 0
.LBB67_77:
	s_andn2_b64 vcc, exec, s[24:25]
	s_cbranch_vccz .LBB67_83
; %bb.78:
	s_andn2_b64 vcc, exec, s[22:23]
	s_cbranch_vccz .LBB67_84
.LBB67_79:
	s_cmp_lt_i32 s9, 1
	s_mov_b64 s[24:25], 0
	s_cbranch_scc1 .LBB67_85
.LBB67_80:
	s_cmp_gt_i32 s9, 1
	s_cbranch_scc0 .LBB67_86
; %bb.81:
	s_cmp_eq_u32 s9, 2
	s_cbranch_scc0 .LBB67_256
; %bb.82:
	s_waitcnt vmcnt(4)
	v_cmp_ge_i16_e64 s[22:23], s10, v5
	s_mov_b64 s[26:27], 0
	s_branch .LBB67_88
.LBB67_83:
	s_waitcnt vmcnt(5)
	v_cmp_lt_i16_sdwa s[24:25], v6, s10 src0_sel:WORD_1 src1_sel:DWORD
	s_andn2_b64 s[20:21], s[20:21], exec
	s_and_b64 s[24:25], s[24:25], exec
	s_or_b64 s[20:21], s[20:21], s[24:25]
	s_cbranch_execnz .LBB67_79
.LBB67_84:
	s_waitcnt vmcnt(5)
	v_cmp_ge_i16_sdwa s[22:23], v6, s10 src0_sel:WORD_1 src1_sel:DWORD
	s_andn2_b64 s[20:21], s[20:21], exec
	s_and_b64 s[22:23], s[22:23], exec
	s_or_b64 s[20:21], s[20:21], s[22:23]
	s_cmp_lt_i32 s9, 1
	s_mov_b64 s[24:25], 0
	s_cbranch_scc0 .LBB67_80
.LBB67_85:
                                        ; implicit-def: $sgpr22_sgpr23
	s_mov_b64 s[26:27], 0
	s_cbranch_execnz .LBB67_89
	s_branch .LBB67_90
.LBB67_86:
	s_mov_b64 s[26:27], 0
                                        ; implicit-def: $sgpr22_sgpr23
	s_cbranch_execz .LBB67_88
; %bb.87:
	s_waitcnt vmcnt(4)
	v_cmp_lt_i16_e32 vcc, s10, v5
	s_andn2_b64 s[22:23], s[22:23], exec
	s_and_b64 s[28:29], vcc, exec
	s_or_b64 s[22:23], s[22:23], s[28:29]
.LBB67_88:
	s_branch .LBB67_90
.LBB67_89:
	s_cmp_lg_u32 s9, 0
	s_mov_b64 s[24:25], -1
	s_cselect_b64 s[26:27], -1, 0
.LBB67_90:
	s_andn2_b64 vcc, exec, s[26:27]
	s_cbranch_vccz .LBB67_96
; %bb.91:
	s_andn2_b64 vcc, exec, s[24:25]
	s_cbranch_vccz .LBB67_97
.LBB67_92:
	s_cmp_lt_i32 s9, 1
	s_mov_b64 s[26:27], 0
	s_cbranch_scc1 .LBB67_98
.LBB67_93:
	s_cmp_gt_i32 s9, 1
	s_cbranch_scc0 .LBB67_99
; %bb.94:
	s_cmp_eq_u32 s9, 2
	s_cbranch_scc0 .LBB67_257
; %bb.95:
	s_waitcnt vmcnt(4)
	v_cmp_le_i16_sdwa s[24:25], v5, s10 src0_sel:WORD_1 src1_sel:DWORD
	s_mov_b64 s[28:29], 0
	s_branch .LBB67_101
.LBB67_96:
	s_waitcnt vmcnt(4)
	v_cmp_gt_i16_e32 vcc, s10, v5
	s_andn2_b64 s[22:23], s[22:23], exec
	s_and_b64 s[26:27], vcc, exec
	s_or_b64 s[22:23], s[22:23], s[26:27]
	s_cbranch_execnz .LBB67_92
.LBB67_97:
	s_waitcnt vmcnt(4)
	v_cmp_le_i16_e32 vcc, s10, v5
	s_andn2_b64 s[22:23], s[22:23], exec
	s_and_b64 s[24:25], vcc, exec
	s_or_b64 s[22:23], s[22:23], s[24:25]
	s_cmp_lt_i32 s9, 1
	s_mov_b64 s[26:27], 0
	s_cbranch_scc0 .LBB67_93
.LBB67_98:
                                        ; implicit-def: $sgpr24_sgpr25
	s_mov_b64 s[28:29], 0
	s_cbranch_execnz .LBB67_102
	s_branch .LBB67_103
.LBB67_99:
	s_mov_b64 s[28:29], 0
                                        ; implicit-def: $sgpr24_sgpr25
	s_cbranch_execz .LBB67_101
; %bb.100:
	s_waitcnt vmcnt(4)
	v_cmp_gt_i16_sdwa s[30:31], v5, s10 src0_sel:WORD_1 src1_sel:DWORD
	s_andn2_b64 s[24:25], s[24:25], exec
	s_and_b64 s[30:31], s[30:31], exec
	s_or_b64 s[24:25], s[24:25], s[30:31]
.LBB67_101:
	s_branch .LBB67_103
.LBB67_102:
	s_cmp_lg_u32 s9, 0
	s_mov_b64 s[26:27], -1
	s_cselect_b64 s[28:29], -1, 0
.LBB67_103:
	s_andn2_b64 vcc, exec, s[28:29]
	s_cbranch_vccz .LBB67_109
; %bb.104:
	s_andn2_b64 vcc, exec, s[26:27]
	s_cbranch_vccz .LBB67_110
.LBB67_105:
	s_cmp_lt_i32 s9, 1
	s_mov_b64 s[28:29], 0
	s_cbranch_scc1 .LBB67_111
.LBB67_106:
	s_cmp_gt_i32 s9, 1
	s_cbranch_scc0 .LBB67_112
; %bb.107:
	s_cmp_eq_u32 s9, 2
	s_cbranch_scc0 .LBB67_258
; %bb.108:
	s_waitcnt vmcnt(3)
	v_cmp_ge_i16_e64 s[26:27], s10, v4
	s_mov_b64 s[30:31], 0
	s_branch .LBB67_114
.LBB67_109:
	s_waitcnt vmcnt(4)
	v_cmp_lt_i16_sdwa s[28:29], v5, s10 src0_sel:WORD_1 src1_sel:DWORD
	s_andn2_b64 s[24:25], s[24:25], exec
	s_and_b64 s[28:29], s[28:29], exec
	s_or_b64 s[24:25], s[24:25], s[28:29]
	s_cbranch_execnz .LBB67_105
.LBB67_110:
	s_waitcnt vmcnt(4)
	v_cmp_ge_i16_sdwa s[26:27], v5, s10 src0_sel:WORD_1 src1_sel:DWORD
	s_andn2_b64 s[24:25], s[24:25], exec
	s_and_b64 s[26:27], s[26:27], exec
	s_or_b64 s[24:25], s[24:25], s[26:27]
	s_cmp_lt_i32 s9, 1
	s_mov_b64 s[28:29], 0
	s_cbranch_scc0 .LBB67_106
.LBB67_111:
                                        ; implicit-def: $sgpr26_sgpr27
	s_mov_b64 s[30:31], 0
	s_cbranch_execnz .LBB67_115
	s_branch .LBB67_116
.LBB67_112:
	s_mov_b64 s[30:31], 0
                                        ; implicit-def: $sgpr26_sgpr27
	s_cbranch_execz .LBB67_114
; %bb.113:
	s_waitcnt vmcnt(3)
	v_cmp_lt_i16_e32 vcc, s10, v4
	s_andn2_b64 s[26:27], s[26:27], exec
	s_and_b64 s[34:35], vcc, exec
	s_or_b64 s[26:27], s[26:27], s[34:35]
.LBB67_114:
	s_branch .LBB67_116
.LBB67_115:
	s_cmp_lg_u32 s9, 0
	s_mov_b64 s[28:29], -1
	s_cselect_b64 s[30:31], -1, 0
.LBB67_116:
	s_andn2_b64 vcc, exec, s[30:31]
	s_cbranch_vccz .LBB67_122
; %bb.117:
	s_andn2_b64 vcc, exec, s[28:29]
	s_cbranch_vccz .LBB67_123
.LBB67_118:
	s_cmp_lt_i32 s9, 1
	s_mov_b64 s[30:31], 0
	s_cbranch_scc1 .LBB67_124
.LBB67_119:
	s_cmp_gt_i32 s9, 1
	s_cbranch_scc0 .LBB67_125
; %bb.120:
	s_cmp_eq_u32 s9, 2
	s_cbranch_scc0 .LBB67_259
; %bb.121:
	s_waitcnt vmcnt(3)
	v_cmp_le_i16_sdwa s[28:29], v4, s10 src0_sel:WORD_1 src1_sel:DWORD
	s_mov_b64 s[34:35], 0
	s_branch .LBB67_127
.LBB67_122:
	s_waitcnt vmcnt(3)
	v_cmp_gt_i16_e32 vcc, s10, v4
	s_andn2_b64 s[26:27], s[26:27], exec
	s_and_b64 s[30:31], vcc, exec
	s_or_b64 s[26:27], s[26:27], s[30:31]
	s_cbranch_execnz .LBB67_118
.LBB67_123:
	s_waitcnt vmcnt(3)
	v_cmp_le_i16_e32 vcc, s10, v4
	s_andn2_b64 s[26:27], s[26:27], exec
	s_and_b64 s[28:29], vcc, exec
	s_or_b64 s[26:27], s[26:27], s[28:29]
	s_cmp_lt_i32 s9, 1
	s_mov_b64 s[30:31], 0
	s_cbranch_scc0 .LBB67_119
.LBB67_124:
                                        ; implicit-def: $sgpr28_sgpr29
	s_mov_b64 s[34:35], 0
	s_cbranch_execnz .LBB67_128
	s_branch .LBB67_129
.LBB67_125:
	s_mov_b64 s[34:35], 0
                                        ; implicit-def: $sgpr28_sgpr29
	s_cbranch_execz .LBB67_127
; %bb.126:
	s_waitcnt vmcnt(3)
	v_cmp_gt_i16_sdwa s[36:37], v4, s10 src0_sel:WORD_1 src1_sel:DWORD
	s_andn2_b64 s[28:29], s[28:29], exec
	s_and_b64 s[36:37], s[36:37], exec
	s_or_b64 s[28:29], s[28:29], s[36:37]
.LBB67_127:
	s_branch .LBB67_129
.LBB67_128:
	s_cmp_lg_u32 s9, 0
	s_mov_b64 s[30:31], -1
	s_cselect_b64 s[34:35], -1, 0
.LBB67_129:
	s_andn2_b64 vcc, exec, s[34:35]
	s_cbranch_vccz .LBB67_135
; %bb.130:
	s_andn2_b64 vcc, exec, s[30:31]
	s_cbranch_vccz .LBB67_136
.LBB67_131:
	s_cmp_lt_i32 s9, 1
	s_mov_b64 s[34:35], 0
	s_cbranch_scc1 .LBB67_137
.LBB67_132:
	s_cmp_gt_i32 s9, 1
	s_cbranch_scc0 .LBB67_138
; %bb.133:
	s_cmp_eq_u32 s9, 2
	s_cbranch_scc0 .LBB67_260
; %bb.134:
	s_waitcnt vmcnt(2)
	v_cmp_ge_i16_e64 s[30:31], s10, v3
	s_mov_b64 s[36:37], 0
	s_branch .LBB67_140
.LBB67_135:
	s_waitcnt vmcnt(3)
	v_cmp_lt_i16_sdwa s[34:35], v4, s10 src0_sel:WORD_1 src1_sel:DWORD
	s_andn2_b64 s[28:29], s[28:29], exec
	s_and_b64 s[34:35], s[34:35], exec
	s_or_b64 s[28:29], s[28:29], s[34:35]
	s_cbranch_execnz .LBB67_131
.LBB67_136:
	s_waitcnt vmcnt(3)
	v_cmp_ge_i16_sdwa s[30:31], v4, s10 src0_sel:WORD_1 src1_sel:DWORD
	s_andn2_b64 s[28:29], s[28:29], exec
	s_and_b64 s[30:31], s[30:31], exec
	s_or_b64 s[28:29], s[28:29], s[30:31]
	s_cmp_lt_i32 s9, 1
	s_mov_b64 s[34:35], 0
	s_cbranch_scc0 .LBB67_132
.LBB67_137:
                                        ; implicit-def: $sgpr30_sgpr31
	s_mov_b64 s[36:37], 0
	s_cbranch_execnz .LBB67_141
	s_branch .LBB67_142
.LBB67_138:
	s_mov_b64 s[36:37], 0
                                        ; implicit-def: $sgpr30_sgpr31
	s_cbranch_execz .LBB67_140
; %bb.139:
	s_waitcnt vmcnt(2)
	v_cmp_lt_i16_e32 vcc, s10, v3
	s_andn2_b64 s[30:31], s[30:31], exec
	s_and_b64 s[38:39], vcc, exec
	s_or_b64 s[30:31], s[30:31], s[38:39]
.LBB67_140:
	s_branch .LBB67_142
.LBB67_141:
	s_cmp_lg_u32 s9, 0
	s_mov_b64 s[34:35], -1
	s_cselect_b64 s[36:37], -1, 0
.LBB67_142:
	s_andn2_b64 vcc, exec, s[36:37]
	s_cbranch_vccz .LBB67_148
; %bb.143:
	s_andn2_b64 vcc, exec, s[34:35]
	s_cbranch_vccz .LBB67_149
.LBB67_144:
	s_cmp_lt_i32 s9, 1
	s_mov_b64 s[36:37], 0
	s_cbranch_scc1 .LBB67_150
.LBB67_145:
	s_cmp_gt_i32 s9, 1
	s_cbranch_scc0 .LBB67_151
; %bb.146:
	s_cmp_eq_u32 s9, 2
	s_cbranch_scc0 .LBB67_261
; %bb.147:
	s_waitcnt vmcnt(2)
	v_cmp_le_i16_sdwa s[34:35], v3, s10 src0_sel:WORD_1 src1_sel:DWORD
	s_mov_b64 s[38:39], 0
	s_branch .LBB67_153
.LBB67_148:
	s_waitcnt vmcnt(2)
	v_cmp_gt_i16_e32 vcc, s10, v3
	s_andn2_b64 s[30:31], s[30:31], exec
	s_and_b64 s[36:37], vcc, exec
	s_or_b64 s[30:31], s[30:31], s[36:37]
	s_cbranch_execnz .LBB67_144
.LBB67_149:
	s_waitcnt vmcnt(2)
	v_cmp_le_i16_e32 vcc, s10, v3
	s_andn2_b64 s[30:31], s[30:31], exec
	s_and_b64 s[34:35], vcc, exec
	s_or_b64 s[30:31], s[30:31], s[34:35]
	s_cmp_lt_i32 s9, 1
	s_mov_b64 s[36:37], 0
	s_cbranch_scc0 .LBB67_145
.LBB67_150:
                                        ; implicit-def: $sgpr34_sgpr35
	s_mov_b64 s[38:39], 0
	s_cbranch_execnz .LBB67_154
	s_branch .LBB67_155
.LBB67_151:
	s_mov_b64 s[38:39], 0
                                        ; implicit-def: $sgpr34_sgpr35
	s_cbranch_execz .LBB67_153
; %bb.152:
	s_waitcnt vmcnt(2)
	v_cmp_gt_i16_sdwa s[40:41], v3, s10 src0_sel:WORD_1 src1_sel:DWORD
	s_andn2_b64 s[34:35], s[34:35], exec
	s_and_b64 s[40:41], s[40:41], exec
	s_or_b64 s[34:35], s[34:35], s[40:41]
.LBB67_153:
	s_branch .LBB67_155
.LBB67_154:
	s_cmp_lg_u32 s9, 0
	s_mov_b64 s[36:37], -1
	s_cselect_b64 s[38:39], -1, 0
.LBB67_155:
	s_andn2_b64 vcc, exec, s[38:39]
	s_cbranch_vccz .LBB67_161
; %bb.156:
	s_andn2_b64 vcc, exec, s[36:37]
	s_cbranch_vccz .LBB67_162
.LBB67_157:
	s_cmp_lt_i32 s9, 1
	s_mov_b64 s[38:39], 0
	s_cbranch_scc1 .LBB67_163
.LBB67_158:
	s_cmp_gt_i32 s9, 1
	s_cbranch_scc0 .LBB67_164
; %bb.159:
	s_cmp_eq_u32 s9, 2
	s_cbranch_scc0 .LBB67_262
; %bb.160:
	s_waitcnt vmcnt(1)
	v_cmp_ge_i16_e64 s[36:37], s10, v2
	s_mov_b64 s[40:41], 0
	s_branch .LBB67_166
.LBB67_161:
	s_waitcnt vmcnt(2)
	v_cmp_lt_i16_sdwa s[38:39], v3, s10 src0_sel:WORD_1 src1_sel:DWORD
	s_andn2_b64 s[34:35], s[34:35], exec
	s_and_b64 s[38:39], s[38:39], exec
	s_or_b64 s[34:35], s[34:35], s[38:39]
	s_cbranch_execnz .LBB67_157
.LBB67_162:
	s_waitcnt vmcnt(2)
	v_cmp_ge_i16_sdwa s[36:37], v3, s10 src0_sel:WORD_1 src1_sel:DWORD
	s_andn2_b64 s[34:35], s[34:35], exec
	s_and_b64 s[36:37], s[36:37], exec
	s_or_b64 s[34:35], s[34:35], s[36:37]
	s_cmp_lt_i32 s9, 1
	s_mov_b64 s[38:39], 0
	s_cbranch_scc0 .LBB67_158
.LBB67_163:
                                        ; implicit-def: $sgpr36_sgpr37
	s_mov_b64 s[40:41], 0
	s_cbranch_execnz .LBB67_167
	s_branch .LBB67_168
.LBB67_164:
	s_mov_b64 s[40:41], 0
                                        ; implicit-def: $sgpr36_sgpr37
	s_cbranch_execz .LBB67_166
; %bb.165:
	s_waitcnt vmcnt(1)
	v_cmp_lt_i16_e32 vcc, s10, v2
	s_andn2_b64 s[36:37], s[36:37], exec
	s_and_b64 s[42:43], vcc, exec
	s_or_b64 s[36:37], s[36:37], s[42:43]
.LBB67_166:
	s_branch .LBB67_168
.LBB67_167:
	s_cmp_lg_u32 s9, 0
	s_mov_b64 s[38:39], -1
	s_cselect_b64 s[40:41], -1, 0
.LBB67_168:
	s_andn2_b64 vcc, exec, s[40:41]
	s_cbranch_vccz .LBB67_174
; %bb.169:
	s_andn2_b64 vcc, exec, s[38:39]
	s_cbranch_vccz .LBB67_175
.LBB67_170:
	s_cmp_lt_i32 s9, 1
	s_mov_b64 s[40:41], 0
	s_cbranch_scc1 .LBB67_176
.LBB67_171:
	s_cmp_gt_i32 s9, 1
	s_cbranch_scc0 .LBB67_177
; %bb.172:
	s_cmp_eq_u32 s9, 2
	s_cbranch_scc0 .LBB67_263
; %bb.173:
	s_waitcnt vmcnt(1)
	v_cmp_le_i16_sdwa s[38:39], v2, s10 src0_sel:WORD_1 src1_sel:DWORD
	s_mov_b64 s[42:43], 0
	s_branch .LBB67_179
.LBB67_174:
	s_waitcnt vmcnt(1)
	v_cmp_gt_i16_e32 vcc, s10, v2
	s_andn2_b64 s[36:37], s[36:37], exec
	s_and_b64 s[40:41], vcc, exec
	s_or_b64 s[36:37], s[36:37], s[40:41]
	s_cbranch_execnz .LBB67_170
.LBB67_175:
	s_waitcnt vmcnt(1)
	v_cmp_le_i16_e32 vcc, s10, v2
	s_andn2_b64 s[36:37], s[36:37], exec
	s_and_b64 s[38:39], vcc, exec
	s_or_b64 s[36:37], s[36:37], s[38:39]
	s_cmp_lt_i32 s9, 1
	s_mov_b64 s[40:41], 0
	s_cbranch_scc0 .LBB67_171
.LBB67_176:
                                        ; implicit-def: $sgpr38_sgpr39
	s_mov_b64 s[42:43], 0
	s_cbranch_execnz .LBB67_180
	s_branch .LBB67_181
.LBB67_177:
	s_mov_b64 s[42:43], 0
                                        ; implicit-def: $sgpr38_sgpr39
	s_cbranch_execz .LBB67_179
; %bb.178:
	s_waitcnt vmcnt(1)
	v_cmp_gt_i16_sdwa s[44:45], v2, s10 src0_sel:WORD_1 src1_sel:DWORD
	s_andn2_b64 s[38:39], s[38:39], exec
	s_and_b64 s[44:45], s[44:45], exec
	s_or_b64 s[38:39], s[38:39], s[44:45]
.LBB67_179:
	s_branch .LBB67_181
.LBB67_180:
	s_cmp_lg_u32 s9, 0
	s_mov_b64 s[40:41], -1
	s_cselect_b64 s[42:43], -1, 0
.LBB67_181:
	s_andn2_b64 vcc, exec, s[42:43]
	s_cbranch_vccz .LBB67_187
; %bb.182:
	s_andn2_b64 vcc, exec, s[40:41]
	s_cbranch_vccz .LBB67_188
.LBB67_183:
	s_cmp_lt_i32 s9, 1
	s_mov_b64 s[42:43], 0
	s_cbranch_scc1 .LBB67_189
.LBB67_184:
	s_cmp_gt_i32 s9, 1
	s_cbranch_scc0 .LBB67_190
; %bb.185:
	s_cmp_eq_u32 s9, 2
	s_cbranch_scc0 .LBB67_264
; %bb.186:
	s_waitcnt vmcnt(0)
	v_cmp_ge_i16_e64 s[40:41], s10, v1
	s_mov_b64 s[44:45], 0
	s_branch .LBB67_192
.LBB67_187:
	s_waitcnt vmcnt(1)
	v_cmp_lt_i16_sdwa s[42:43], v2, s10 src0_sel:WORD_1 src1_sel:DWORD
	s_andn2_b64 s[38:39], s[38:39], exec
	s_and_b64 s[42:43], s[42:43], exec
	s_or_b64 s[38:39], s[38:39], s[42:43]
	s_cbranch_execnz .LBB67_183
.LBB67_188:
	s_waitcnt vmcnt(1)
	v_cmp_ge_i16_sdwa s[40:41], v2, s10 src0_sel:WORD_1 src1_sel:DWORD
	s_andn2_b64 s[38:39], s[38:39], exec
	s_and_b64 s[40:41], s[40:41], exec
	s_or_b64 s[38:39], s[38:39], s[40:41]
	s_cmp_lt_i32 s9, 1
	s_mov_b64 s[42:43], 0
	s_cbranch_scc0 .LBB67_184
.LBB67_189:
                                        ; implicit-def: $sgpr40_sgpr41
	s_mov_b64 s[44:45], 0
	s_cbranch_execnz .LBB67_193
	s_branch .LBB67_194
.LBB67_190:
	s_mov_b64 s[44:45], 0
                                        ; implicit-def: $sgpr40_sgpr41
	s_cbranch_execz .LBB67_192
; %bb.191:
	s_waitcnt vmcnt(0)
	v_cmp_lt_i16_e32 vcc, s10, v1
	s_andn2_b64 s[40:41], s[40:41], exec
	s_and_b64 s[46:47], vcc, exec
	s_or_b64 s[40:41], s[40:41], s[46:47]
.LBB67_192:
	s_branch .LBB67_194
.LBB67_193:
	s_cmp_lg_u32 s9, 0
	s_mov_b64 s[42:43], -1
	s_cselect_b64 s[44:45], -1, 0
.LBB67_194:
	s_andn2_b64 vcc, exec, s[44:45]
	s_cbranch_vccz .LBB67_200
; %bb.195:
	s_andn2_b64 vcc, exec, s[42:43]
	s_cbranch_vccz .LBB67_201
.LBB67_196:
	s_cmp_lt_i32 s9, 1
	s_mov_b64 s[44:45], 0
	s_cbranch_scc1 .LBB67_202
.LBB67_197:
	s_cmp_gt_i32 s9, 1
	s_cbranch_scc0 .LBB67_203
; %bb.198:
	s_cmp_eq_u32 s9, 2
	s_cbranch_scc0 .LBB67_265
; %bb.199:
	s_waitcnt vmcnt(0)
	v_cmp_le_i16_sdwa s[42:43], v1, s10 src0_sel:WORD_1 src1_sel:DWORD
	s_mov_b64 s[46:47], 0
	s_branch .LBB67_205
.LBB67_200:
	s_waitcnt vmcnt(0)
	v_cmp_gt_i16_e32 vcc, s10, v1
	s_andn2_b64 s[40:41], s[40:41], exec
	s_and_b64 s[44:45], vcc, exec
	s_or_b64 s[40:41], s[40:41], s[44:45]
	s_cbranch_execnz .LBB67_196
.LBB67_201:
	s_waitcnt vmcnt(0)
	v_cmp_le_i16_e32 vcc, s10, v1
	s_andn2_b64 s[40:41], s[40:41], exec
	s_and_b64 s[42:43], vcc, exec
	s_or_b64 s[40:41], s[40:41], s[42:43]
	s_cmp_lt_i32 s9, 1
	s_mov_b64 s[44:45], 0
	s_cbranch_scc0 .LBB67_197
.LBB67_202:
                                        ; implicit-def: $sgpr42_sgpr43
	s_mov_b64 s[46:47], 0
	s_cbranch_execnz .LBB67_206
	s_branch .LBB67_207
.LBB67_203:
	s_mov_b64 s[46:47], 0
                                        ; implicit-def: $sgpr42_sgpr43
	s_cbranch_execz .LBB67_205
; %bb.204:
	s_waitcnt vmcnt(0)
	v_cmp_gt_i16_sdwa s[48:49], v1, s10 src0_sel:WORD_1 src1_sel:DWORD
	s_andn2_b64 s[42:43], s[42:43], exec
	s_and_b64 s[48:49], s[48:49], exec
	s_or_b64 s[42:43], s[42:43], s[48:49]
.LBB67_205:
	s_branch .LBB67_207
.LBB67_206:
	s_cmp_lg_u32 s9, 0
	s_mov_b64 s[44:45], -1
	s_cselect_b64 s[46:47], -1, 0
.LBB67_207:
	s_andn2_b64 vcc, exec, s[46:47]
	s_cbranch_vccz .LBB67_249
; %bb.208:
	s_andn2_b64 vcc, exec, s[44:45]
	s_cbranch_vccnz .LBB67_210
.LBB67_209:
	s_waitcnt vmcnt(0)
	v_cmp_ge_i16_sdwa s[44:45], v1, s10 src0_sel:WORD_1 src1_sel:DWORD
	s_andn2_b64 s[42:43], s[42:43], exec
	s_and_b64 s[44:45], s[44:45], exec
	s_or_b64 s[42:43], s[42:43], s[44:45]
.LBB67_210:
	s_waitcnt vmcnt(0)
	v_cndmask_b32_e64 v1, 0, 1, s[16:17]
	v_lshlrev_b16_e32 v1, 8, v1
	v_cndmask_b32_e64 v2, 0, 1, s[6:7]
	v_or_b32_e32 v1, v2, v1
	v_cndmask_b32_e64 v2, 0, 1, s[4:5]
	v_lshlrev_b16_e32 v2, 8, v2
	v_cndmask_b32_e64 v3, 0, 1, s[0:1]
	v_or_b32_e32 v2, v3, v2
	;; [unrolled: 4-line block ×7, first 2 shown]
	v_cndmask_b32_e64 v8, 0, 1, s[38:39]
	v_lshlrev_b16_e32 v8, 8, v8
	v_cndmask_b32_e64 v9, 0, 1, s[36:37]
	s_add_u32 s0, s12, s2
	v_or_b32_e32 v8, v9, v8
	s_addc_u32 s1, s13, s3
	v_lshlrev_b32_e32 v9, 1, v0
	global_store_short v9, v2, s[0:1]
	global_store_short v9, v1, s[0:1] offset:512
	global_store_short v9, v4, s[0:1] offset:1024
	;; [unrolled: 1-line block ×7, first 2 shown]
	s_mov_b64 s[0:1], 0
.LBB67_211:
	s_and_b64 vcc, exec, s[0:1]
	s_cbranch_vccz .LBB67_519
; %bb.212:
	v_cmp_gt_i32_e64 s[0:1], s8, v0
	v_mov_b32_e32 v21, 0
	v_or_b32_e32 v1, s2, v0
	v_mov_b32_e32 v7, 0
	v_mov_b32_e32 v2, v0
	s_and_saveexec_b64 s[4:5], s[0:1]
	s_cbranch_execz .LBB67_214
; %bb.213:
	v_mov_b32_e32 v2, 0
	v_lshlrev_b64 v[2:3], 1, v[1:2]
	v_mov_b32_e32 v4, s15
	v_add_co_u32_e32 v2, vcc, s14, v2
	v_addc_co_u32_e32 v3, vcc, v4, v3, vcc
	global_load_ushort v7, v[2:3], off
	v_or_b32_e32 v2, 0x100, v0
.LBB67_214:
	s_or_b64 exec, exec, s[4:5]
	v_cmp_gt_i32_e32 vcc, s8, v2
	s_and_saveexec_b64 s[4:5], vcc
	s_cbranch_execz .LBB67_216
; %bb.215:
	v_add_u32_e32 v3, s2, v2
	v_mov_b32_e32 v4, 0
	v_lshlrev_b64 v[3:4], 1, v[3:4]
	v_mov_b32_e32 v5, s15
	v_add_co_u32_e32 v3, vcc, s14, v3
	v_addc_co_u32_e32 v4, vcc, v5, v4, vcc
	global_load_ushort v21, v[3:4], off
	v_add_u32_e32 v2, 0x100, v2
.LBB67_216:
	s_or_b64 exec, exec, s[4:5]
	v_cmp_gt_i32_e32 vcc, s8, v2
	v_mov_b32_e32 v19, 0
	v_mov_b32_e32 v20, 0
	s_and_saveexec_b64 s[4:5], vcc
	s_cbranch_execz .LBB67_218
; %bb.217:
	v_add_u32_e32 v3, s2, v2
	v_mov_b32_e32 v4, 0
	v_lshlrev_b64 v[3:4], 1, v[3:4]
	v_mov_b32_e32 v5, s15
	v_add_co_u32_e32 v3, vcc, s14, v3
	v_addc_co_u32_e32 v4, vcc, v5, v4, vcc
	global_load_ushort v20, v[3:4], off
	v_add_u32_e32 v2, 0x100, v2
.LBB67_218:
	s_or_b64 exec, exec, s[4:5]
	v_cmp_gt_i32_e32 vcc, s8, v2
	s_and_saveexec_b64 s[4:5], vcc
	s_cbranch_execz .LBB67_220
; %bb.219:
	v_add_u32_e32 v3, s2, v2
	v_mov_b32_e32 v4, 0
	v_lshlrev_b64 v[3:4], 1, v[3:4]
	v_mov_b32_e32 v5, s15
	v_add_co_u32_e32 v3, vcc, s14, v3
	v_addc_co_u32_e32 v4, vcc, v5, v4, vcc
	global_load_ushort v19, v[3:4], off
	v_add_u32_e32 v2, 0x100, v2
.LBB67_220:
	s_or_b64 exec, exec, s[4:5]
	v_cmp_gt_i32_e32 vcc, s8, v2
	v_mov_b32_e32 v17, 0
	v_mov_b32_e32 v18, 0
	s_and_saveexec_b64 s[4:5], vcc
	s_cbranch_execz .LBB67_222
; %bb.221:
	v_add_u32_e32 v3, s2, v2
	v_mov_b32_e32 v4, 0
	v_lshlrev_b64 v[3:4], 1, v[3:4]
	v_mov_b32_e32 v5, s15
	v_add_co_u32_e32 v3, vcc, s14, v3
	v_addc_co_u32_e32 v4, vcc, v5, v4, vcc
	global_load_ushort v18, v[3:4], off
	v_add_u32_e32 v2, 0x100, v2
.LBB67_222:
	;; [unrolled: 30-line block ×7, first 2 shown]
	s_or_b64 exec, exec, s[4:5]
	v_cmp_gt_i32_e32 vcc, s8, v2
	s_and_saveexec_b64 s[4:5], vcc
	s_cbranch_execz .LBB67_244
; %bb.243:
	v_add_u32_e32 v2, s2, v2
	v_mov_b32_e32 v3, 0
	v_lshlrev_b64 v[2:3], 1, v[2:3]
	v_mov_b32_e32 v4, s15
	v_add_co_u32_e32 v2, vcc, s14, v2
	v_addc_co_u32_e32 v3, vcc, v4, v3, vcc
	global_load_ushort v4, v[2:3], off
.LBB67_244:
	s_or_b64 exec, exec, s[4:5]
	v_mov_b32_e32 v6, 0
	v_mov_b32_e32 v5, v6
	v_mov_b32_e32 v3, v6
	v_mov_b32_e32 v2, v6
	s_and_saveexec_b64 s[4:5], s[0:1]
	s_cbranch_execz .LBB67_276
; %bb.245:
	s_cmp_lt_i32 s9, 1
	s_mov_b64 s[6:7], 0
	s_cbranch_scc1 .LBB67_250
; %bb.246:
	s_cmp_gt_i32 s9, 1
	s_cbranch_scc0 .LBB67_266
; %bb.247:
	s_cmp_eq_u32 s9, 2
	s_cbranch_scc0 .LBB67_267
; %bb.248:
	s_waitcnt vmcnt(0)
	v_cmp_ge_i16_e64 s[14:15], s10, v7
	s_mov_b64 s[16:17], 0
	s_branch .LBB67_268
.LBB67_249:
	s_waitcnt vmcnt(0)
	v_cmp_lt_i16_sdwa s[46:47], v1, s10 src0_sel:WORD_1 src1_sel:DWORD
	s_andn2_b64 s[42:43], s[42:43], exec
	s_and_b64 s[46:47], s[46:47], exec
	s_or_b64 s[42:43], s[42:43], s[46:47]
	s_cbranch_execz .LBB67_209
	s_branch .LBB67_210
.LBB67_250:
                                        ; implicit-def: $sgpr14_sgpr15
	s_mov_b64 s[16:17], 0
	s_cbranch_execnz .LBB67_271
	s_branch .LBB67_272
.LBB67_251:
	s_mov_b64 s[16:17], -1
                                        ; implicit-def: $sgpr4_sgpr5
	s_branch .LBB67_23
.LBB67_252:
	s_mov_b64 s[18:19], -1
                                        ; implicit-def: $sgpr6_sgpr7
	s_branch .LBB67_36
.LBB67_253:
	s_mov_b64 s[20:21], -1
                                        ; implicit-def: $sgpr16_sgpr17
	s_branch .LBB67_49
.LBB67_254:
	s_mov_b64 s[22:23], -1
                                        ; implicit-def: $sgpr18_sgpr19
	s_branch .LBB67_62
.LBB67_255:
	s_mov_b64 s[24:25], -1
                                        ; implicit-def: $sgpr20_sgpr21
	s_branch .LBB67_75
.LBB67_256:
	s_mov_b64 s[26:27], -1
                                        ; implicit-def: $sgpr22_sgpr23
	s_branch .LBB67_88
.LBB67_257:
	s_mov_b64 s[28:29], -1
                                        ; implicit-def: $sgpr24_sgpr25
	s_branch .LBB67_101
.LBB67_258:
	s_mov_b64 s[30:31], -1
                                        ; implicit-def: $sgpr26_sgpr27
	s_branch .LBB67_114
.LBB67_259:
	s_mov_b64 s[34:35], -1
                                        ; implicit-def: $sgpr28_sgpr29
	s_branch .LBB67_127
.LBB67_260:
	s_mov_b64 s[36:37], -1
                                        ; implicit-def: $sgpr30_sgpr31
	s_branch .LBB67_140
.LBB67_261:
	s_mov_b64 s[38:39], -1
                                        ; implicit-def: $sgpr34_sgpr35
	s_branch .LBB67_153
.LBB67_262:
	s_mov_b64 s[40:41], -1
                                        ; implicit-def: $sgpr36_sgpr37
	s_branch .LBB67_166
.LBB67_263:
	s_mov_b64 s[42:43], -1
                                        ; implicit-def: $sgpr38_sgpr39
	s_branch .LBB67_179
.LBB67_264:
	s_mov_b64 s[44:45], -1
                                        ; implicit-def: $sgpr40_sgpr41
	s_branch .LBB67_192
.LBB67_265:
	s_mov_b64 s[46:47], -1
                                        ; implicit-def: $sgpr42_sgpr43
	s_branch .LBB67_205
.LBB67_266:
	s_mov_b64 s[16:17], 0
                                        ; implicit-def: $sgpr14_sgpr15
	s_cbranch_execnz .LBB67_269
	s_branch .LBB67_270
.LBB67_267:
	s_mov_b64 s[16:17], -1
                                        ; implicit-def: $sgpr14_sgpr15
.LBB67_268:
	s_branch .LBB67_270
.LBB67_269:
	s_waitcnt vmcnt(0)
	v_cmp_lt_i16_e32 vcc, s10, v7
	s_andn2_b64 s[14:15], s[14:15], exec
	s_and_b64 s[18:19], vcc, exec
	s_or_b64 s[14:15], s[14:15], s[18:19]
.LBB67_270:
	s_branch .LBB67_272
.LBB67_271:
	s_cmp_lg_u32 s9, 0
	s_mov_b64 s[6:7], -1
	s_cselect_b64 s[16:17], -1, 0
.LBB67_272:
	s_andn2_b64 vcc, exec, s[16:17]
	s_cbranch_vccz .LBB67_281
; %bb.273:
	s_andn2_b64 vcc, exec, s[6:7]
	s_cbranch_vccnz .LBB67_275
.LBB67_274:
	s_waitcnt vmcnt(0)
	v_cmp_le_i16_e32 vcc, s10, v7
	s_andn2_b64 s[6:7], s[14:15], exec
	s_and_b64 s[14:15], vcc, exec
	s_or_b64 s[14:15], s[6:7], s[14:15]
.LBB67_275:
	v_cndmask_b32_e64 v2, 0, 1, s[14:15]
	v_mov_b32_e32 v5, 0
	v_and_b32_e32 v6, 0xffff, v2
	v_mov_b32_e32 v3, v5
	v_mov_b32_e32 v2, v5
.LBB67_276:
	s_or_b64 exec, exec, s[4:5]
	s_waitcnt vmcnt(0)
	v_or_b32_e32 v7, 0x100, v0
	v_cmp_gt_i32_e32 vcc, s8, v7
	s_and_saveexec_b64 s[4:5], vcc
	s_cbranch_execz .LBB67_291
; %bb.277:
	s_cmp_lt_i32 s9, 1
	s_mov_b64 s[6:7], 0
	s_cbranch_scc1 .LBB67_282
; %bb.278:
	s_cmp_gt_i32 s9, 1
	s_cbranch_scc0 .LBB67_283
; %bb.279:
	s_cmp_eq_u32 s9, 2
	s_cbranch_scc0 .LBB67_535
; %bb.280:
	v_cmp_ge_i16_e64 s[14:15], s10, v21
	s_mov_b64 s[16:17], 0
	s_branch .LBB67_285
.LBB67_281:
	s_waitcnt vmcnt(0)
	v_cmp_gt_i16_e32 vcc, s10, v7
	s_andn2_b64 s[14:15], s[14:15], exec
	s_and_b64 s[16:17], vcc, exec
	s_or_b64 s[14:15], s[14:15], s[16:17]
	s_cbranch_execz .LBB67_274
	s_branch .LBB67_275
.LBB67_282:
                                        ; implicit-def: $sgpr14_sgpr15
	s_mov_b64 s[16:17], 0
	s_cbranch_execnz .LBB67_286
	s_branch .LBB67_287
.LBB67_283:
	s_mov_b64 s[16:17], 0
                                        ; implicit-def: $sgpr14_sgpr15
	s_cbranch_execz .LBB67_285
; %bb.284:
	v_cmp_lt_i16_e32 vcc, s10, v21
	s_andn2_b64 s[14:15], s[14:15], exec
	s_and_b64 s[18:19], vcc, exec
	s_or_b64 s[14:15], s[14:15], s[18:19]
.LBB67_285:
	s_branch .LBB67_287
.LBB67_286:
	s_cmp_lg_u32 s9, 0
	s_mov_b64 s[6:7], -1
	s_cselect_b64 s[16:17], -1, 0
.LBB67_287:
	s_andn2_b64 vcc, exec, s[16:17]
	s_cbranch_vccz .LBB67_296
; %bb.288:
	s_andn2_b64 vcc, exec, s[6:7]
	s_cbranch_vccnz .LBB67_290
.LBB67_289:
	v_cmp_le_i16_e32 vcc, s10, v21
	s_andn2_b64 s[6:7], s[14:15], exec
	s_and_b64 s[14:15], vcc, exec
	s_or_b64 s[14:15], s[6:7], s[14:15]
.LBB67_290:
	v_cndmask_b32_e64 v21, 0, 1, s[14:15]
	v_lshlrev_b16_e32 v21, 8, v21
	v_or_b32_sdwa v21, v6, v21 dst_sel:DWORD dst_unused:UNUSED_PAD src0_sel:BYTE_0 src1_sel:DWORD
	v_and_b32_e32 v21, 0xffff, v21
	s_mov_b32 s3, 0xffff0000
	v_and_or_b32 v6, v6, s3, v21
.LBB67_291:
	s_or_b64 exec, exec, s[4:5]
	v_or_b32_e32 v21, 0x200, v0
	v_cmp_gt_i32_e32 vcc, s8, v21
	s_and_saveexec_b64 s[4:5], vcc
	s_cbranch_execz .LBB67_306
; %bb.292:
	s_cmp_lt_i32 s9, 1
	s_mov_b64 s[6:7], 0
	s_cbranch_scc1 .LBB67_297
; %bb.293:
	s_cmp_gt_i32 s9, 1
	s_cbranch_scc0 .LBB67_298
; %bb.294:
	s_cmp_eq_u32 s9, 2
	s_cbranch_scc0 .LBB67_536
; %bb.295:
	v_cmp_ge_i16_e64 s[14:15], s10, v20
	s_mov_b64 s[16:17], 0
	s_branch .LBB67_300
.LBB67_296:
	v_cmp_gt_i16_e32 vcc, s10, v21
	s_andn2_b64 s[14:15], s[14:15], exec
	s_and_b64 s[16:17], vcc, exec
	s_or_b64 s[14:15], s[14:15], s[16:17]
	s_cbranch_execz .LBB67_289
	s_branch .LBB67_290
.LBB67_297:
                                        ; implicit-def: $sgpr14_sgpr15
	s_mov_b64 s[16:17], 0
	s_cbranch_execnz .LBB67_301
	s_branch .LBB67_302
.LBB67_298:
	s_mov_b64 s[16:17], 0
                                        ; implicit-def: $sgpr14_sgpr15
	s_cbranch_execz .LBB67_300
; %bb.299:
	v_cmp_lt_i16_e32 vcc, s10, v20
	s_andn2_b64 s[14:15], s[14:15], exec
	s_and_b64 s[18:19], vcc, exec
	s_or_b64 s[14:15], s[14:15], s[18:19]
.LBB67_300:
	s_branch .LBB67_302
.LBB67_301:
	s_cmp_lg_u32 s9, 0
	s_mov_b64 s[6:7], -1
	s_cselect_b64 s[16:17], -1, 0
.LBB67_302:
	s_andn2_b64 vcc, exec, s[16:17]
	s_cbranch_vccz .LBB67_311
; %bb.303:
	s_andn2_b64 vcc, exec, s[6:7]
	s_cbranch_vccnz .LBB67_305
.LBB67_304:
	v_cmp_le_i16_e32 vcc, s10, v20
	s_andn2_b64 s[6:7], s[14:15], exec
	s_and_b64 s[14:15], vcc, exec
	s_or_b64 s[14:15], s[6:7], s[14:15]
.LBB67_305:
	s_movk_i32 s3, 0xff00
	v_and_b32_sdwa v20, v6, s3 dst_sel:DWORD dst_unused:UNUSED_PAD src0_sel:WORD_1 src1_sel:DWORD
	v_cndmask_b32_e64 v21, 0, 1, s[14:15]
	v_or_b32_sdwa v20, v21, v20 dst_sel:WORD_1 dst_unused:UNUSED_PAD src0_sel:DWORD src1_sel:DWORD
	s_mov_b32 s3, 0xffff
	v_and_or_b32 v6, v6, s3, v20
.LBB67_306:
	s_or_b64 exec, exec, s[4:5]
	v_or_b32_e32 v20, 0x300, v0
	v_cmp_gt_i32_e32 vcc, s8, v20
	s_and_saveexec_b64 s[4:5], vcc
	s_cbranch_execz .LBB67_321
; %bb.307:
	s_cmp_lt_i32 s9, 1
	s_mov_b64 s[6:7], 0
	s_cbranch_scc1 .LBB67_312
; %bb.308:
	s_cmp_gt_i32 s9, 1
	s_cbranch_scc0 .LBB67_313
; %bb.309:
	s_cmp_eq_u32 s9, 2
	s_cbranch_scc0 .LBB67_537
; %bb.310:
	v_cmp_ge_i16_e64 s[14:15], s10, v19
	s_mov_b64 s[16:17], 0
	s_branch .LBB67_315
.LBB67_311:
	v_cmp_gt_i16_e32 vcc, s10, v20
	s_andn2_b64 s[14:15], s[14:15], exec
	s_and_b64 s[16:17], vcc, exec
	s_or_b64 s[14:15], s[14:15], s[16:17]
	s_cbranch_execz .LBB67_304
	s_branch .LBB67_305
.LBB67_312:
                                        ; implicit-def: $sgpr14_sgpr15
	s_mov_b64 s[16:17], 0
	s_cbranch_execnz .LBB67_316
	s_branch .LBB67_317
.LBB67_313:
	s_mov_b64 s[16:17], 0
                                        ; implicit-def: $sgpr14_sgpr15
	s_cbranch_execz .LBB67_315
; %bb.314:
	v_cmp_lt_i16_e32 vcc, s10, v19
	s_andn2_b64 s[14:15], s[14:15], exec
	s_and_b64 s[18:19], vcc, exec
	s_or_b64 s[14:15], s[14:15], s[18:19]
.LBB67_315:
	s_branch .LBB67_317
.LBB67_316:
	s_cmp_lg_u32 s9, 0
	s_mov_b64 s[6:7], -1
	s_cselect_b64 s[16:17], -1, 0
.LBB67_317:
	s_andn2_b64 vcc, exec, s[16:17]
	s_cbranch_vccz .LBB67_326
; %bb.318:
	s_andn2_b64 vcc, exec, s[6:7]
	s_cbranch_vccnz .LBB67_320
.LBB67_319:
	v_cmp_le_i16_e32 vcc, s10, v19
	s_andn2_b64 s[6:7], s[14:15], exec
	s_and_b64 s[14:15], vcc, exec
	s_or_b64 s[14:15], s[6:7], s[14:15]
.LBB67_320:
	s_movk_i32 s3, 0xff
	v_cndmask_b32_e64 v20, 0, 1, s[14:15]
	v_and_b32_sdwa v19, v6, s3 dst_sel:DWORD dst_unused:UNUSED_PAD src0_sel:WORD_1 src1_sel:DWORD
	v_lshlrev_b16_e32 v20, 8, v20
	v_or_b32_sdwa v19, v19, v20 dst_sel:WORD_1 dst_unused:UNUSED_PAD src0_sel:DWORD src1_sel:DWORD
	s_mov_b32 s3, 0xffff
	v_and_or_b32 v6, v6, s3, v19
.LBB67_321:
	s_or_b64 exec, exec, s[4:5]
	v_or_b32_e32 v19, 0x400, v0
	v_cmp_gt_i32_e32 vcc, s8, v19
	s_and_saveexec_b64 s[4:5], vcc
	s_cbranch_execz .LBB67_336
; %bb.322:
	s_cmp_lt_i32 s9, 1
	s_mov_b64 s[6:7], 0
	s_cbranch_scc1 .LBB67_327
; %bb.323:
	s_cmp_gt_i32 s9, 1
	s_cbranch_scc0 .LBB67_328
; %bb.324:
	s_cmp_eq_u32 s9, 2
	s_cbranch_scc0 .LBB67_538
; %bb.325:
	v_cmp_ge_i16_e64 s[14:15], s10, v18
	s_mov_b64 s[16:17], 0
	s_branch .LBB67_330
.LBB67_326:
	v_cmp_gt_i16_e32 vcc, s10, v19
	s_andn2_b64 s[14:15], s[14:15], exec
	s_and_b64 s[16:17], vcc, exec
	s_or_b64 s[14:15], s[14:15], s[16:17]
	s_cbranch_execz .LBB67_319
	s_branch .LBB67_320
.LBB67_327:
                                        ; implicit-def: $sgpr14_sgpr15
	s_mov_b64 s[16:17], 0
	s_cbranch_execnz .LBB67_331
	s_branch .LBB67_332
.LBB67_328:
	s_mov_b64 s[16:17], 0
                                        ; implicit-def: $sgpr14_sgpr15
	s_cbranch_execz .LBB67_330
; %bb.329:
	v_cmp_lt_i16_e32 vcc, s10, v18
	s_andn2_b64 s[14:15], s[14:15], exec
	s_and_b64 s[18:19], vcc, exec
	s_or_b64 s[14:15], s[14:15], s[18:19]
.LBB67_330:
	s_branch .LBB67_332
.LBB67_331:
	s_cmp_lg_u32 s9, 0
	s_mov_b64 s[6:7], -1
	s_cselect_b64 s[16:17], -1, 0
.LBB67_332:
	s_andn2_b64 vcc, exec, s[16:17]
	s_cbranch_vccz .LBB67_341
; %bb.333:
	s_andn2_b64 vcc, exec, s[6:7]
	s_cbranch_vccnz .LBB67_335
.LBB67_334:
	v_cmp_le_i16_e32 vcc, s10, v18
	s_andn2_b64 s[6:7], s[14:15], exec
	s_and_b64 s[14:15], vcc, exec
	s_or_b64 s[14:15], s[6:7], s[14:15]
.LBB67_335:
	v_and_b32_e32 v18, 0xffffff00, v5
	v_cndmask_b32_e64 v19, 0, 1, s[14:15]
	v_or_b32_e32 v18, v19, v18
	v_and_b32_e32 v18, 0xffff, v18
	s_mov_b32 s3, 0xffff0000
	v_and_or_b32 v5, v5, s3, v18
.LBB67_336:
	s_or_b64 exec, exec, s[4:5]
	v_or_b32_e32 v18, 0x500, v0
	v_cmp_gt_i32_e32 vcc, s8, v18
	s_and_saveexec_b64 s[4:5], vcc
	s_cbranch_execz .LBB67_351
; %bb.337:
	s_cmp_lt_i32 s9, 1
	s_mov_b64 s[6:7], 0
	s_cbranch_scc1 .LBB67_342
; %bb.338:
	s_cmp_gt_i32 s9, 1
	s_cbranch_scc0 .LBB67_343
; %bb.339:
	s_cmp_eq_u32 s9, 2
	s_cbranch_scc0 .LBB67_539
; %bb.340:
	v_cmp_ge_i16_e64 s[14:15], s10, v17
	s_mov_b64 s[16:17], 0
	s_branch .LBB67_345
.LBB67_341:
	v_cmp_gt_i16_e32 vcc, s10, v18
	s_andn2_b64 s[14:15], s[14:15], exec
	s_and_b64 s[16:17], vcc, exec
	s_or_b64 s[14:15], s[14:15], s[16:17]
	s_cbranch_execz .LBB67_334
	s_branch .LBB67_335
.LBB67_342:
                                        ; implicit-def: $sgpr14_sgpr15
	s_mov_b64 s[16:17], 0
	s_cbranch_execnz .LBB67_346
	s_branch .LBB67_347
.LBB67_343:
	s_mov_b64 s[16:17], 0
                                        ; implicit-def: $sgpr14_sgpr15
	s_cbranch_execz .LBB67_345
; %bb.344:
	v_cmp_lt_i16_e32 vcc, s10, v17
	s_andn2_b64 s[14:15], s[14:15], exec
	s_and_b64 s[18:19], vcc, exec
	s_or_b64 s[14:15], s[14:15], s[18:19]
.LBB67_345:
	s_branch .LBB67_347
.LBB67_346:
	s_cmp_lg_u32 s9, 0
	s_mov_b64 s[6:7], -1
	s_cselect_b64 s[16:17], -1, 0
.LBB67_347:
	s_andn2_b64 vcc, exec, s[16:17]
	s_cbranch_vccz .LBB67_356
; %bb.348:
	s_andn2_b64 vcc, exec, s[6:7]
	s_cbranch_vccnz .LBB67_350
.LBB67_349:
	v_cmp_le_i16_e32 vcc, s10, v17
	s_andn2_b64 s[6:7], s[14:15], exec
	s_and_b64 s[14:15], vcc, exec
	s_or_b64 s[14:15], s[6:7], s[14:15]
.LBB67_350:
	v_cndmask_b32_e64 v17, 0, 1, s[14:15]
	v_lshlrev_b16_e32 v17, 8, v17
	v_or_b32_sdwa v17, v5, v17 dst_sel:DWORD dst_unused:UNUSED_PAD src0_sel:BYTE_0 src1_sel:DWORD
	v_and_b32_e32 v17, 0xffff, v17
	s_mov_b32 s3, 0xffff0000
	v_and_or_b32 v5, v5, s3, v17
.LBB67_351:
	s_or_b64 exec, exec, s[4:5]
	v_or_b32_e32 v17, 0x600, v0
	v_cmp_gt_i32_e32 vcc, s8, v17
	s_and_saveexec_b64 s[4:5], vcc
	s_cbranch_execz .LBB67_366
; %bb.352:
	s_cmp_lt_i32 s9, 1
	s_mov_b64 s[6:7], 0
	s_cbranch_scc1 .LBB67_357
; %bb.353:
	s_cmp_gt_i32 s9, 1
	s_cbranch_scc0 .LBB67_358
; %bb.354:
	s_cmp_eq_u32 s9, 2
	s_cbranch_scc0 .LBB67_540
; %bb.355:
	v_cmp_ge_i16_e64 s[14:15], s10, v16
	s_mov_b64 s[16:17], 0
	s_branch .LBB67_360
.LBB67_356:
	v_cmp_gt_i16_e32 vcc, s10, v17
	s_andn2_b64 s[14:15], s[14:15], exec
	s_and_b64 s[16:17], vcc, exec
	s_or_b64 s[14:15], s[14:15], s[16:17]
	s_cbranch_execz .LBB67_349
	s_branch .LBB67_350
.LBB67_357:
                                        ; implicit-def: $sgpr14_sgpr15
	s_mov_b64 s[16:17], 0
	s_cbranch_execnz .LBB67_361
	s_branch .LBB67_362
.LBB67_358:
	s_mov_b64 s[16:17], 0
                                        ; implicit-def: $sgpr14_sgpr15
	s_cbranch_execz .LBB67_360
; %bb.359:
	v_cmp_lt_i16_e32 vcc, s10, v16
	s_andn2_b64 s[14:15], s[14:15], exec
	s_and_b64 s[18:19], vcc, exec
	s_or_b64 s[14:15], s[14:15], s[18:19]
.LBB67_360:
	s_branch .LBB67_362
.LBB67_361:
	s_cmp_lg_u32 s9, 0
	s_mov_b64 s[6:7], -1
	s_cselect_b64 s[16:17], -1, 0
.LBB67_362:
	s_andn2_b64 vcc, exec, s[16:17]
	s_cbranch_vccz .LBB67_371
; %bb.363:
	s_andn2_b64 vcc, exec, s[6:7]
	s_cbranch_vccnz .LBB67_365
.LBB67_364:
	v_cmp_le_i16_e32 vcc, s10, v16
	s_andn2_b64 s[6:7], s[14:15], exec
	s_and_b64 s[14:15], vcc, exec
	s_or_b64 s[14:15], s[6:7], s[14:15]
.LBB67_365:
	s_movk_i32 s3, 0xff00
	v_and_b32_sdwa v16, v5, s3 dst_sel:DWORD dst_unused:UNUSED_PAD src0_sel:WORD_1 src1_sel:DWORD
	v_cndmask_b32_e64 v17, 0, 1, s[14:15]
	v_or_b32_sdwa v16, v17, v16 dst_sel:WORD_1 dst_unused:UNUSED_PAD src0_sel:DWORD src1_sel:DWORD
	s_mov_b32 s3, 0xffff
	v_and_or_b32 v5, v5, s3, v16
.LBB67_366:
	s_or_b64 exec, exec, s[4:5]
	v_or_b32_e32 v16, 0x700, v0
	v_cmp_gt_i32_e32 vcc, s8, v16
	s_and_saveexec_b64 s[4:5], vcc
	s_cbranch_execz .LBB67_381
; %bb.367:
	s_cmp_lt_i32 s9, 1
	s_mov_b64 s[6:7], 0
	s_cbranch_scc1 .LBB67_372
; %bb.368:
	s_cmp_gt_i32 s9, 1
	s_cbranch_scc0 .LBB67_373
; %bb.369:
	s_cmp_eq_u32 s9, 2
	s_cbranch_scc0 .LBB67_541
; %bb.370:
	v_cmp_ge_i16_e64 s[14:15], s10, v15
	s_mov_b64 s[16:17], 0
	s_branch .LBB67_375
.LBB67_371:
	v_cmp_gt_i16_e32 vcc, s10, v16
	s_andn2_b64 s[14:15], s[14:15], exec
	s_and_b64 s[16:17], vcc, exec
	s_or_b64 s[14:15], s[14:15], s[16:17]
	s_cbranch_execz .LBB67_364
	s_branch .LBB67_365
.LBB67_372:
                                        ; implicit-def: $sgpr14_sgpr15
	s_mov_b64 s[16:17], 0
	s_cbranch_execnz .LBB67_376
	s_branch .LBB67_377
.LBB67_373:
	s_mov_b64 s[16:17], 0
                                        ; implicit-def: $sgpr14_sgpr15
	s_cbranch_execz .LBB67_375
; %bb.374:
	v_cmp_lt_i16_e32 vcc, s10, v15
	s_andn2_b64 s[14:15], s[14:15], exec
	s_and_b64 s[18:19], vcc, exec
	s_or_b64 s[14:15], s[14:15], s[18:19]
.LBB67_375:
	s_branch .LBB67_377
.LBB67_376:
	s_cmp_lg_u32 s9, 0
	s_mov_b64 s[6:7], -1
	s_cselect_b64 s[16:17], -1, 0
.LBB67_377:
	s_andn2_b64 vcc, exec, s[16:17]
	s_cbranch_vccz .LBB67_386
; %bb.378:
	s_andn2_b64 vcc, exec, s[6:7]
	s_cbranch_vccnz .LBB67_380
.LBB67_379:
	v_cmp_le_i16_e32 vcc, s10, v15
	s_andn2_b64 s[6:7], s[14:15], exec
	s_and_b64 s[14:15], vcc, exec
	s_or_b64 s[14:15], s[6:7], s[14:15]
.LBB67_380:
	s_movk_i32 s3, 0xff
	v_cndmask_b32_e64 v16, 0, 1, s[14:15]
	v_and_b32_sdwa v15, v5, s3 dst_sel:DWORD dst_unused:UNUSED_PAD src0_sel:WORD_1 src1_sel:DWORD
	v_lshlrev_b16_e32 v16, 8, v16
	v_or_b32_sdwa v15, v15, v16 dst_sel:WORD_1 dst_unused:UNUSED_PAD src0_sel:DWORD src1_sel:DWORD
	s_mov_b32 s3, 0xffff
	v_and_or_b32 v5, v5, s3, v15
.LBB67_381:
	s_or_b64 exec, exec, s[4:5]
	v_or_b32_e32 v15, 0x800, v0
	v_cmp_gt_i32_e32 vcc, s8, v15
	s_and_saveexec_b64 s[4:5], vcc
	s_cbranch_execz .LBB67_396
; %bb.382:
	s_cmp_lt_i32 s9, 1
	s_mov_b64 s[6:7], 0
	s_cbranch_scc1 .LBB67_387
; %bb.383:
	s_cmp_gt_i32 s9, 1
	s_cbranch_scc0 .LBB67_388
; %bb.384:
	s_cmp_eq_u32 s9, 2
	s_cbranch_scc0 .LBB67_542
; %bb.385:
	v_cmp_ge_i16_e64 s[14:15], s10, v14
	s_mov_b64 s[16:17], 0
	s_branch .LBB67_390
.LBB67_386:
	v_cmp_gt_i16_e32 vcc, s10, v15
	s_andn2_b64 s[14:15], s[14:15], exec
	s_and_b64 s[16:17], vcc, exec
	s_or_b64 s[14:15], s[14:15], s[16:17]
	s_cbranch_execz .LBB67_379
	s_branch .LBB67_380
.LBB67_387:
                                        ; implicit-def: $sgpr14_sgpr15
	s_mov_b64 s[16:17], 0
	s_cbranch_execnz .LBB67_391
	s_branch .LBB67_392
.LBB67_388:
	s_mov_b64 s[16:17], 0
                                        ; implicit-def: $sgpr14_sgpr15
	s_cbranch_execz .LBB67_390
; %bb.389:
	v_cmp_lt_i16_e32 vcc, s10, v14
	s_andn2_b64 s[14:15], s[14:15], exec
	s_and_b64 s[18:19], vcc, exec
	s_or_b64 s[14:15], s[14:15], s[18:19]
.LBB67_390:
	s_branch .LBB67_392
.LBB67_391:
	s_cmp_lg_u32 s9, 0
	s_mov_b64 s[6:7], -1
	s_cselect_b64 s[16:17], -1, 0
.LBB67_392:
	s_andn2_b64 vcc, exec, s[16:17]
	s_cbranch_vccz .LBB67_401
; %bb.393:
	s_andn2_b64 vcc, exec, s[6:7]
	s_cbranch_vccnz .LBB67_395
.LBB67_394:
	v_cmp_le_i16_e32 vcc, s10, v14
	s_andn2_b64 s[6:7], s[14:15], exec
	s_and_b64 s[14:15], vcc, exec
	s_or_b64 s[14:15], s[6:7], s[14:15]
.LBB67_395:
	v_and_b32_e32 v14, 0xffffff00, v3
	v_cndmask_b32_e64 v15, 0, 1, s[14:15]
	v_or_b32_e32 v14, v15, v14
	v_and_b32_e32 v14, 0xffff, v14
	s_mov_b32 s3, 0xffff0000
	v_and_or_b32 v3, v3, s3, v14
.LBB67_396:
	s_or_b64 exec, exec, s[4:5]
	v_or_b32_e32 v14, 0x900, v0
	v_cmp_gt_i32_e32 vcc, s8, v14
	s_and_saveexec_b64 s[4:5], vcc
	s_cbranch_execz .LBB67_411
; %bb.397:
	s_cmp_lt_i32 s9, 1
	s_mov_b64 s[6:7], 0
	s_cbranch_scc1 .LBB67_402
; %bb.398:
	s_cmp_gt_i32 s9, 1
	s_cbranch_scc0 .LBB67_403
; %bb.399:
	s_cmp_eq_u32 s9, 2
	s_cbranch_scc0 .LBB67_543
; %bb.400:
	v_cmp_ge_i16_e64 s[14:15], s10, v13
	s_mov_b64 s[16:17], 0
	s_branch .LBB67_405
.LBB67_401:
	v_cmp_gt_i16_e32 vcc, s10, v14
	s_andn2_b64 s[14:15], s[14:15], exec
	s_and_b64 s[16:17], vcc, exec
	s_or_b64 s[14:15], s[14:15], s[16:17]
	s_cbranch_execz .LBB67_394
	s_branch .LBB67_395
.LBB67_402:
                                        ; implicit-def: $sgpr14_sgpr15
	s_mov_b64 s[16:17], 0
	s_cbranch_execnz .LBB67_406
	s_branch .LBB67_407
.LBB67_403:
	s_mov_b64 s[16:17], 0
                                        ; implicit-def: $sgpr14_sgpr15
	s_cbranch_execz .LBB67_405
; %bb.404:
	v_cmp_lt_i16_e32 vcc, s10, v13
	s_andn2_b64 s[14:15], s[14:15], exec
	s_and_b64 s[18:19], vcc, exec
	s_or_b64 s[14:15], s[14:15], s[18:19]
.LBB67_405:
	s_branch .LBB67_407
.LBB67_406:
	s_cmp_lg_u32 s9, 0
	s_mov_b64 s[6:7], -1
	s_cselect_b64 s[16:17], -1, 0
.LBB67_407:
	s_andn2_b64 vcc, exec, s[16:17]
	s_cbranch_vccz .LBB67_416
; %bb.408:
	s_andn2_b64 vcc, exec, s[6:7]
	s_cbranch_vccnz .LBB67_410
.LBB67_409:
	v_cmp_le_i16_e32 vcc, s10, v13
	s_andn2_b64 s[6:7], s[14:15], exec
	s_and_b64 s[14:15], vcc, exec
	s_or_b64 s[14:15], s[6:7], s[14:15]
.LBB67_410:
	v_cndmask_b32_e64 v13, 0, 1, s[14:15]
	v_lshlrev_b16_e32 v13, 8, v13
	v_or_b32_sdwa v13, v3, v13 dst_sel:DWORD dst_unused:UNUSED_PAD src0_sel:BYTE_0 src1_sel:DWORD
	v_and_b32_e32 v13, 0xffff, v13
	s_mov_b32 s3, 0xffff0000
	v_and_or_b32 v3, v3, s3, v13
.LBB67_411:
	s_or_b64 exec, exec, s[4:5]
	v_or_b32_e32 v13, 0xa00, v0
	v_cmp_gt_i32_e32 vcc, s8, v13
	s_and_saveexec_b64 s[4:5], vcc
	s_cbranch_execz .LBB67_426
; %bb.412:
	s_cmp_lt_i32 s9, 1
	s_mov_b64 s[6:7], 0
	s_cbranch_scc1 .LBB67_417
; %bb.413:
	s_cmp_gt_i32 s9, 1
	s_cbranch_scc0 .LBB67_418
; %bb.414:
	s_cmp_eq_u32 s9, 2
	s_cbranch_scc0 .LBB67_544
; %bb.415:
	v_cmp_ge_i16_e64 s[14:15], s10, v12
	s_mov_b64 s[16:17], 0
	s_branch .LBB67_420
.LBB67_416:
	v_cmp_gt_i16_e32 vcc, s10, v13
	s_andn2_b64 s[14:15], s[14:15], exec
	s_and_b64 s[16:17], vcc, exec
	s_or_b64 s[14:15], s[14:15], s[16:17]
	s_cbranch_execz .LBB67_409
	s_branch .LBB67_410
.LBB67_417:
                                        ; implicit-def: $sgpr14_sgpr15
	s_mov_b64 s[16:17], 0
	s_cbranch_execnz .LBB67_421
	s_branch .LBB67_422
.LBB67_418:
	s_mov_b64 s[16:17], 0
                                        ; implicit-def: $sgpr14_sgpr15
	s_cbranch_execz .LBB67_420
; %bb.419:
	v_cmp_lt_i16_e32 vcc, s10, v12
	s_andn2_b64 s[14:15], s[14:15], exec
	s_and_b64 s[18:19], vcc, exec
	s_or_b64 s[14:15], s[14:15], s[18:19]
.LBB67_420:
	s_branch .LBB67_422
.LBB67_421:
	s_cmp_lg_u32 s9, 0
	s_mov_b64 s[6:7], -1
	s_cselect_b64 s[16:17], -1, 0
.LBB67_422:
	s_andn2_b64 vcc, exec, s[16:17]
	s_cbranch_vccz .LBB67_431
; %bb.423:
	s_andn2_b64 vcc, exec, s[6:7]
	s_cbranch_vccnz .LBB67_425
.LBB67_424:
	v_cmp_le_i16_e32 vcc, s10, v12
	s_andn2_b64 s[6:7], s[14:15], exec
	s_and_b64 s[14:15], vcc, exec
	s_or_b64 s[14:15], s[6:7], s[14:15]
.LBB67_425:
	s_movk_i32 s3, 0xff00
	v_and_b32_sdwa v12, v3, s3 dst_sel:DWORD dst_unused:UNUSED_PAD src0_sel:WORD_1 src1_sel:DWORD
	v_cndmask_b32_e64 v13, 0, 1, s[14:15]
	v_or_b32_sdwa v12, v13, v12 dst_sel:WORD_1 dst_unused:UNUSED_PAD src0_sel:DWORD src1_sel:DWORD
	s_mov_b32 s3, 0xffff
	v_and_or_b32 v3, v3, s3, v12
.LBB67_426:
	s_or_b64 exec, exec, s[4:5]
	v_or_b32_e32 v12, 0xb00, v0
	v_cmp_gt_i32_e32 vcc, s8, v12
	s_and_saveexec_b64 s[4:5], vcc
	s_cbranch_execz .LBB67_441
; %bb.427:
	s_cmp_lt_i32 s9, 1
	s_mov_b64 s[6:7], 0
	s_cbranch_scc1 .LBB67_432
; %bb.428:
	s_cmp_gt_i32 s9, 1
	s_cbranch_scc0 .LBB67_433
; %bb.429:
	s_cmp_eq_u32 s9, 2
	s_cbranch_scc0 .LBB67_545
; %bb.430:
	v_cmp_ge_i16_e64 s[14:15], s10, v11
	s_mov_b64 s[16:17], 0
	s_branch .LBB67_435
.LBB67_431:
	v_cmp_gt_i16_e32 vcc, s10, v12
	s_andn2_b64 s[14:15], s[14:15], exec
	s_and_b64 s[16:17], vcc, exec
	s_or_b64 s[14:15], s[14:15], s[16:17]
	s_cbranch_execz .LBB67_424
	s_branch .LBB67_425
.LBB67_432:
                                        ; implicit-def: $sgpr14_sgpr15
	s_mov_b64 s[16:17], 0
	s_cbranch_execnz .LBB67_436
	s_branch .LBB67_437
.LBB67_433:
	s_mov_b64 s[16:17], 0
                                        ; implicit-def: $sgpr14_sgpr15
	s_cbranch_execz .LBB67_435
; %bb.434:
	v_cmp_lt_i16_e32 vcc, s10, v11
	s_andn2_b64 s[14:15], s[14:15], exec
	s_and_b64 s[18:19], vcc, exec
	s_or_b64 s[14:15], s[14:15], s[18:19]
.LBB67_435:
	s_branch .LBB67_437
.LBB67_436:
	s_cmp_lg_u32 s9, 0
	s_mov_b64 s[6:7], -1
	s_cselect_b64 s[16:17], -1, 0
.LBB67_437:
	s_andn2_b64 vcc, exec, s[16:17]
	s_cbranch_vccz .LBB67_446
; %bb.438:
	s_andn2_b64 vcc, exec, s[6:7]
	s_cbranch_vccnz .LBB67_440
.LBB67_439:
	v_cmp_le_i16_e32 vcc, s10, v11
	s_andn2_b64 s[6:7], s[14:15], exec
	s_and_b64 s[14:15], vcc, exec
	s_or_b64 s[14:15], s[6:7], s[14:15]
.LBB67_440:
	s_movk_i32 s3, 0xff
	v_cndmask_b32_e64 v12, 0, 1, s[14:15]
	v_and_b32_sdwa v11, v3, s3 dst_sel:DWORD dst_unused:UNUSED_PAD src0_sel:WORD_1 src1_sel:DWORD
	v_lshlrev_b16_e32 v12, 8, v12
	v_or_b32_sdwa v11, v11, v12 dst_sel:WORD_1 dst_unused:UNUSED_PAD src0_sel:DWORD src1_sel:DWORD
	s_mov_b32 s3, 0xffff
	v_and_or_b32 v3, v3, s3, v11
.LBB67_441:
	s_or_b64 exec, exec, s[4:5]
	v_or_b32_e32 v11, 0xc00, v0
	v_cmp_gt_i32_e32 vcc, s8, v11
	s_and_saveexec_b64 s[4:5], vcc
	s_cbranch_execz .LBB67_456
; %bb.442:
	s_cmp_lt_i32 s9, 1
	s_mov_b64 s[6:7], 0
	s_cbranch_scc1 .LBB67_447
; %bb.443:
	s_cmp_gt_i32 s9, 1
	s_cbranch_scc0 .LBB67_448
; %bb.444:
	s_cmp_eq_u32 s9, 2
	s_cbranch_scc0 .LBB67_546
; %bb.445:
	v_cmp_ge_i16_e64 s[14:15], s10, v10
	s_mov_b64 s[16:17], 0
	s_branch .LBB67_450
.LBB67_446:
	v_cmp_gt_i16_e32 vcc, s10, v11
	s_andn2_b64 s[14:15], s[14:15], exec
	s_and_b64 s[16:17], vcc, exec
	s_or_b64 s[14:15], s[14:15], s[16:17]
	s_cbranch_execz .LBB67_439
	s_branch .LBB67_440
.LBB67_447:
                                        ; implicit-def: $sgpr14_sgpr15
	s_mov_b64 s[16:17], 0
	s_cbranch_execnz .LBB67_451
	s_branch .LBB67_452
.LBB67_448:
	s_mov_b64 s[16:17], 0
                                        ; implicit-def: $sgpr14_sgpr15
	s_cbranch_execz .LBB67_450
; %bb.449:
	v_cmp_lt_i16_e32 vcc, s10, v10
	s_andn2_b64 s[14:15], s[14:15], exec
	s_and_b64 s[18:19], vcc, exec
	s_or_b64 s[14:15], s[14:15], s[18:19]
.LBB67_450:
	s_branch .LBB67_452
.LBB67_451:
	s_cmp_lg_u32 s9, 0
	s_mov_b64 s[6:7], -1
	s_cselect_b64 s[16:17], -1, 0
.LBB67_452:
	s_andn2_b64 vcc, exec, s[16:17]
	s_cbranch_vccz .LBB67_461
; %bb.453:
	s_andn2_b64 vcc, exec, s[6:7]
	s_cbranch_vccnz .LBB67_455
.LBB67_454:
	v_cmp_le_i16_e32 vcc, s10, v10
	s_andn2_b64 s[6:7], s[14:15], exec
	s_and_b64 s[14:15], vcc, exec
	s_or_b64 s[14:15], s[6:7], s[14:15]
.LBB67_455:
	v_and_b32_e32 v10, 0xffffff00, v2
	v_cndmask_b32_e64 v11, 0, 1, s[14:15]
	v_or_b32_e32 v10, v11, v10
	v_and_b32_e32 v10, 0xffff, v10
	s_mov_b32 s3, 0xffff0000
	v_and_or_b32 v2, v2, s3, v10
.LBB67_456:
	s_or_b64 exec, exec, s[4:5]
	v_or_b32_e32 v10, 0xd00, v0
	v_cmp_gt_i32_e32 vcc, s8, v10
	s_and_saveexec_b64 s[4:5], vcc
	s_cbranch_execz .LBB67_471
; %bb.457:
	s_cmp_lt_i32 s9, 1
	s_mov_b64 s[6:7], 0
	s_cbranch_scc1 .LBB67_462
; %bb.458:
	s_cmp_gt_i32 s9, 1
	s_cbranch_scc0 .LBB67_463
; %bb.459:
	s_cmp_eq_u32 s9, 2
	s_cbranch_scc0 .LBB67_547
; %bb.460:
	v_cmp_ge_i16_e64 s[14:15], s10, v9
	s_mov_b64 s[16:17], 0
	s_branch .LBB67_465
.LBB67_461:
	v_cmp_gt_i16_e32 vcc, s10, v10
	s_andn2_b64 s[14:15], s[14:15], exec
	s_and_b64 s[16:17], vcc, exec
	s_or_b64 s[14:15], s[14:15], s[16:17]
	s_cbranch_execz .LBB67_454
	s_branch .LBB67_455
.LBB67_462:
                                        ; implicit-def: $sgpr14_sgpr15
	s_mov_b64 s[16:17], 0
	s_cbranch_execnz .LBB67_466
	s_branch .LBB67_467
.LBB67_463:
	s_mov_b64 s[16:17], 0
                                        ; implicit-def: $sgpr14_sgpr15
	s_cbranch_execz .LBB67_465
; %bb.464:
	v_cmp_lt_i16_e32 vcc, s10, v9
	s_andn2_b64 s[14:15], s[14:15], exec
	s_and_b64 s[18:19], vcc, exec
	s_or_b64 s[14:15], s[14:15], s[18:19]
.LBB67_465:
	s_branch .LBB67_467
.LBB67_466:
	s_cmp_lg_u32 s9, 0
	s_mov_b64 s[6:7], -1
	s_cselect_b64 s[16:17], -1, 0
.LBB67_467:
	s_andn2_b64 vcc, exec, s[16:17]
	s_cbranch_vccz .LBB67_476
; %bb.468:
	s_andn2_b64 vcc, exec, s[6:7]
	s_cbranch_vccnz .LBB67_470
.LBB67_469:
	v_cmp_le_i16_e32 vcc, s10, v9
	s_andn2_b64 s[6:7], s[14:15], exec
	s_and_b64 s[14:15], vcc, exec
	s_or_b64 s[14:15], s[6:7], s[14:15]
.LBB67_470:
	v_cndmask_b32_e64 v9, 0, 1, s[14:15]
	v_lshlrev_b16_e32 v9, 8, v9
	v_or_b32_sdwa v9, v2, v9 dst_sel:DWORD dst_unused:UNUSED_PAD src0_sel:BYTE_0 src1_sel:DWORD
	v_and_b32_e32 v9, 0xffff, v9
	s_mov_b32 s3, 0xffff0000
	v_and_or_b32 v2, v2, s3, v9
.LBB67_471:
	s_or_b64 exec, exec, s[4:5]
	v_or_b32_e32 v9, 0xe00, v0
	v_cmp_gt_i32_e32 vcc, s8, v9
	s_and_saveexec_b64 s[4:5], vcc
	s_cbranch_execz .LBB67_486
; %bb.472:
	s_cmp_lt_i32 s9, 1
	s_mov_b64 s[6:7], 0
	s_cbranch_scc1 .LBB67_477
; %bb.473:
	s_cmp_gt_i32 s9, 1
	s_cbranch_scc0 .LBB67_478
; %bb.474:
	s_cmp_eq_u32 s9, 2
	s_cbranch_scc0 .LBB67_548
; %bb.475:
	v_cmp_ge_i16_e64 s[14:15], s10, v8
	s_mov_b64 s[16:17], 0
	s_branch .LBB67_480
.LBB67_476:
	v_cmp_gt_i16_e32 vcc, s10, v9
	s_andn2_b64 s[14:15], s[14:15], exec
	s_and_b64 s[16:17], vcc, exec
	s_or_b64 s[14:15], s[14:15], s[16:17]
	s_cbranch_execz .LBB67_469
	s_branch .LBB67_470
.LBB67_477:
                                        ; implicit-def: $sgpr14_sgpr15
	s_mov_b64 s[16:17], 0
	s_cbranch_execnz .LBB67_481
	s_branch .LBB67_482
.LBB67_478:
	s_mov_b64 s[16:17], 0
                                        ; implicit-def: $sgpr14_sgpr15
	s_cbranch_execz .LBB67_480
; %bb.479:
	v_cmp_lt_i16_e32 vcc, s10, v8
	s_andn2_b64 s[14:15], s[14:15], exec
	s_and_b64 s[18:19], vcc, exec
	s_or_b64 s[14:15], s[14:15], s[18:19]
.LBB67_480:
	s_branch .LBB67_482
.LBB67_481:
	s_cmp_lg_u32 s9, 0
	s_mov_b64 s[6:7], -1
	s_cselect_b64 s[16:17], -1, 0
.LBB67_482:
	s_andn2_b64 vcc, exec, s[16:17]
	s_cbranch_vccz .LBB67_491
; %bb.483:
	s_andn2_b64 vcc, exec, s[6:7]
	s_cbranch_vccnz .LBB67_485
.LBB67_484:
	v_cmp_le_i16_e32 vcc, s10, v8
	s_andn2_b64 s[6:7], s[14:15], exec
	s_and_b64 s[14:15], vcc, exec
	s_or_b64 s[14:15], s[6:7], s[14:15]
.LBB67_485:
	s_movk_i32 s3, 0xff00
	v_and_b32_sdwa v8, v2, s3 dst_sel:DWORD dst_unused:UNUSED_PAD src0_sel:WORD_1 src1_sel:DWORD
	v_cndmask_b32_e64 v9, 0, 1, s[14:15]
	v_or_b32_sdwa v8, v9, v8 dst_sel:WORD_1 dst_unused:UNUSED_PAD src0_sel:DWORD src1_sel:DWORD
	s_mov_b32 s3, 0xffff
	v_and_or_b32 v2, v2, s3, v8
.LBB67_486:
	s_or_b64 exec, exec, s[4:5]
	v_or_b32_e32 v8, 0xf00, v0
	v_cmp_gt_i32_e32 vcc, s8, v8
	s_and_saveexec_b64 s[4:5], vcc
	s_cbranch_execz .LBB67_501
; %bb.487:
	s_cmp_lt_i32 s9, 1
	s_mov_b64 s[6:7], 0
	s_cbranch_scc1 .LBB67_492
; %bb.488:
	s_cmp_gt_i32 s9, 1
	s_cbranch_scc0 .LBB67_493
; %bb.489:
	s_cmp_eq_u32 s9, 2
	s_cbranch_scc0 .LBB67_549
; %bb.490:
	v_cmp_ge_i16_e64 s[14:15], s10, v4
	s_mov_b64 s[16:17], 0
	s_branch .LBB67_495
.LBB67_491:
	v_cmp_gt_i16_e32 vcc, s10, v8
	s_andn2_b64 s[14:15], s[14:15], exec
	s_and_b64 s[16:17], vcc, exec
	s_or_b64 s[14:15], s[14:15], s[16:17]
	s_cbranch_execz .LBB67_484
	s_branch .LBB67_485
.LBB67_492:
                                        ; implicit-def: $sgpr14_sgpr15
	s_mov_b64 s[16:17], 0
	s_cbranch_execnz .LBB67_496
	s_branch .LBB67_497
.LBB67_493:
	s_mov_b64 s[16:17], 0
                                        ; implicit-def: $sgpr14_sgpr15
	s_cbranch_execz .LBB67_495
; %bb.494:
	v_cmp_lt_i16_e32 vcc, s10, v4
	s_andn2_b64 s[14:15], s[14:15], exec
	s_and_b64 s[18:19], vcc, exec
	s_or_b64 s[14:15], s[14:15], s[18:19]
.LBB67_495:
	s_branch .LBB67_497
.LBB67_496:
	s_cmp_lg_u32 s9, 0
	s_mov_b64 s[6:7], -1
	s_cselect_b64 s[16:17], -1, 0
.LBB67_497:
	s_andn2_b64 vcc, exec, s[16:17]
	s_cbranch_vccz .LBB67_534
; %bb.498:
	s_andn2_b64 vcc, exec, s[6:7]
	s_cbranch_vccnz .LBB67_500
.LBB67_499:
	v_cmp_le_i16_e32 vcc, s10, v4
	s_andn2_b64 s[6:7], s[14:15], exec
	s_and_b64 s[10:11], vcc, exec
	s_or_b64 s[14:15], s[6:7], s[10:11]
.LBB67_500:
	s_movk_i32 s3, 0xff
	v_cndmask_b32_e64 v8, 0, 1, s[14:15]
	v_and_b32_sdwa v4, v2, s3 dst_sel:DWORD dst_unused:UNUSED_PAD src0_sel:WORD_1 src1_sel:DWORD
	v_lshlrev_b16_e32 v8, 8, v8
	v_or_b32_sdwa v4, v4, v8 dst_sel:WORD_1 dst_unused:UNUSED_PAD src0_sel:DWORD src1_sel:DWORD
	s_mov_b32 s3, 0xffff
	v_and_or_b32 v2, v2, s3, v4
.LBB67_501:
	s_or_b64 exec, exec, s[4:5]
	s_and_saveexec_b64 s[4:5], s[0:1]
	s_xor_b64 s[0:1], exec, s[4:5]
	s_cbranch_execz .LBB67_503
; %bb.502:
	v_mov_b32_e32 v0, v7
	global_store_byte v1, v6, s[12:13]
.LBB67_503:
	s_or_b64 exec, exec, s[0:1]
	v_cmp_gt_i32_e32 vcc, s8, v0
	s_and_saveexec_b64 s[0:1], vcc
	s_cbranch_execnz .LBB67_520
; %bb.504:
	s_or_b64 exec, exec, s[0:1]
	v_cmp_gt_i32_e32 vcc, s8, v0
	s_and_saveexec_b64 s[0:1], vcc
	s_cbranch_execnz .LBB67_521
.LBB67_505:
	s_or_b64 exec, exec, s[0:1]
	v_cmp_gt_i32_e32 vcc, s8, v0
	s_and_saveexec_b64 s[0:1], vcc
	s_cbranch_execnz .LBB67_522
.LBB67_506:
	s_or_b64 exec, exec, s[0:1]
	v_cmp_gt_i32_e32 vcc, s8, v0
	s_and_saveexec_b64 s[0:1], vcc
	s_cbranch_execnz .LBB67_523
.LBB67_507:
	s_or_b64 exec, exec, s[0:1]
	v_cmp_gt_i32_e32 vcc, s8, v0
	s_and_saveexec_b64 s[0:1], vcc
	s_cbranch_execnz .LBB67_524
.LBB67_508:
	s_or_b64 exec, exec, s[0:1]
	v_cmp_gt_i32_e32 vcc, s8, v0
	s_and_saveexec_b64 s[0:1], vcc
	s_cbranch_execnz .LBB67_525
.LBB67_509:
	s_or_b64 exec, exec, s[0:1]
	v_cmp_gt_i32_e32 vcc, s8, v0
	s_and_saveexec_b64 s[0:1], vcc
	s_cbranch_execnz .LBB67_526
.LBB67_510:
	s_or_b64 exec, exec, s[0:1]
	v_cmp_gt_i32_e32 vcc, s8, v0
	s_and_saveexec_b64 s[0:1], vcc
	s_cbranch_execnz .LBB67_527
.LBB67_511:
	s_or_b64 exec, exec, s[0:1]
	v_cmp_gt_i32_e32 vcc, s8, v0
	s_and_saveexec_b64 s[0:1], vcc
	s_cbranch_execnz .LBB67_528
.LBB67_512:
	s_or_b64 exec, exec, s[0:1]
	v_cmp_gt_i32_e32 vcc, s8, v0
	s_and_saveexec_b64 s[0:1], vcc
	s_cbranch_execnz .LBB67_529
.LBB67_513:
	s_or_b64 exec, exec, s[0:1]
	v_cmp_gt_i32_e32 vcc, s8, v0
	s_and_saveexec_b64 s[0:1], vcc
	s_cbranch_execnz .LBB67_530
.LBB67_514:
	s_or_b64 exec, exec, s[0:1]
	v_cmp_gt_i32_e32 vcc, s8, v0
	s_and_saveexec_b64 s[0:1], vcc
	s_cbranch_execnz .LBB67_531
.LBB67_515:
	s_or_b64 exec, exec, s[0:1]
	v_cmp_gt_i32_e32 vcc, s8, v0
	s_and_saveexec_b64 s[0:1], vcc
	s_cbranch_execnz .LBB67_532
.LBB67_516:
	s_or_b64 exec, exec, s[0:1]
	v_cmp_gt_i32_e32 vcc, s8, v0
	s_and_saveexec_b64 s[0:1], vcc
	s_cbranch_execnz .LBB67_533
.LBB67_517:
	s_or_b64 exec, exec, s[0:1]
	v_cmp_gt_i32_e32 vcc, s8, v0
	s_and_saveexec_b64 s[0:1], vcc
	s_cbranch_execz .LBB67_519
.LBB67_518:
	v_lshrrev_b32_e32 v1, 24, v2
	v_add_u32_e32 v0, s2, v0
	global_store_byte v0, v1, s[12:13]
.LBB67_519:
	s_endpgm
.LBB67_520:
	v_lshrrev_b32_e32 v1, 8, v6
	v_add_u32_e32 v4, s2, v0
	v_add_u32_e32 v0, 0x100, v0
	global_store_byte v4, v1, s[12:13]
	s_or_b64 exec, exec, s[0:1]
	v_cmp_gt_i32_e32 vcc, s8, v0
	s_and_saveexec_b64 s[0:1], vcc
	s_cbranch_execz .LBB67_505
.LBB67_521:
	v_add_u32_e32 v1, s2, v0
	v_add_u32_e32 v0, 0x100, v0
	global_store_byte_d16_hi v1, v6, s[12:13]
	s_or_b64 exec, exec, s[0:1]
	v_cmp_gt_i32_e32 vcc, s8, v0
	s_and_saveexec_b64 s[0:1], vcc
	s_cbranch_execz .LBB67_506
.LBB67_522:
	v_lshrrev_b32_e32 v1, 24, v6
	v_add_u32_e32 v4, s2, v0
	v_add_u32_e32 v0, 0x100, v0
	global_store_byte v4, v1, s[12:13]
	s_or_b64 exec, exec, s[0:1]
	v_cmp_gt_i32_e32 vcc, s8, v0
	s_and_saveexec_b64 s[0:1], vcc
	s_cbranch_execz .LBB67_507
.LBB67_523:
	v_add_u32_e32 v1, s2, v0
	v_add_u32_e32 v0, 0x100, v0
	global_store_byte v1, v5, s[12:13]
	s_or_b64 exec, exec, s[0:1]
	v_cmp_gt_i32_e32 vcc, s8, v0
	s_and_saveexec_b64 s[0:1], vcc
	s_cbranch_execz .LBB67_508
.LBB67_524:
	v_lshrrev_b32_e32 v1, 8, v5
	v_add_u32_e32 v4, s2, v0
	v_add_u32_e32 v0, 0x100, v0
	global_store_byte v4, v1, s[12:13]
	s_or_b64 exec, exec, s[0:1]
	v_cmp_gt_i32_e32 vcc, s8, v0
	s_and_saveexec_b64 s[0:1], vcc
	s_cbranch_execz .LBB67_509
.LBB67_525:
	v_add_u32_e32 v1, s2, v0
	v_add_u32_e32 v0, 0x100, v0
	global_store_byte_d16_hi v1, v5, s[12:13]
	s_or_b64 exec, exec, s[0:1]
	v_cmp_gt_i32_e32 vcc, s8, v0
	s_and_saveexec_b64 s[0:1], vcc
	s_cbranch_execz .LBB67_510
.LBB67_526:
	v_lshrrev_b32_e32 v1, 24, v5
	v_add_u32_e32 v4, s2, v0
	v_add_u32_e32 v0, 0x100, v0
	global_store_byte v4, v1, s[12:13]
	s_or_b64 exec, exec, s[0:1]
	v_cmp_gt_i32_e32 vcc, s8, v0
	s_and_saveexec_b64 s[0:1], vcc
	s_cbranch_execz .LBB67_511
.LBB67_527:
	v_add_u32_e32 v1, s2, v0
	v_add_u32_e32 v0, 0x100, v0
	global_store_byte v1, v3, s[12:13]
	s_or_b64 exec, exec, s[0:1]
	v_cmp_gt_i32_e32 vcc, s8, v0
	s_and_saveexec_b64 s[0:1], vcc
	s_cbranch_execz .LBB67_512
.LBB67_528:
	v_lshrrev_b32_e32 v1, 8, v3
	v_add_u32_e32 v4, s2, v0
	v_add_u32_e32 v0, 0x100, v0
	global_store_byte v4, v1, s[12:13]
	s_or_b64 exec, exec, s[0:1]
	v_cmp_gt_i32_e32 vcc, s8, v0
	s_and_saveexec_b64 s[0:1], vcc
	s_cbranch_execz .LBB67_513
.LBB67_529:
	v_add_u32_e32 v1, s2, v0
	v_add_u32_e32 v0, 0x100, v0
	global_store_byte_d16_hi v1, v3, s[12:13]
	s_or_b64 exec, exec, s[0:1]
	v_cmp_gt_i32_e32 vcc, s8, v0
	s_and_saveexec_b64 s[0:1], vcc
	s_cbranch_execz .LBB67_514
.LBB67_530:
	v_lshrrev_b32_e32 v1, 24, v3
	v_add_u32_e32 v3, s2, v0
	v_add_u32_e32 v0, 0x100, v0
	global_store_byte v3, v1, s[12:13]
	s_or_b64 exec, exec, s[0:1]
	v_cmp_gt_i32_e32 vcc, s8, v0
	s_and_saveexec_b64 s[0:1], vcc
	s_cbranch_execz .LBB67_515
.LBB67_531:
	v_add_u32_e32 v1, s2, v0
	v_add_u32_e32 v0, 0x100, v0
	global_store_byte v1, v2, s[12:13]
	s_or_b64 exec, exec, s[0:1]
	v_cmp_gt_i32_e32 vcc, s8, v0
	s_and_saveexec_b64 s[0:1], vcc
	s_cbranch_execz .LBB67_516
.LBB67_532:
	v_lshrrev_b32_e32 v1, 8, v2
	v_add_u32_e32 v3, s2, v0
	v_add_u32_e32 v0, 0x100, v0
	global_store_byte v3, v1, s[12:13]
	s_or_b64 exec, exec, s[0:1]
	v_cmp_gt_i32_e32 vcc, s8, v0
	s_and_saveexec_b64 s[0:1], vcc
	s_cbranch_execz .LBB67_517
.LBB67_533:
	v_add_u32_e32 v1, s2, v0
	v_add_u32_e32 v0, 0x100, v0
	global_store_byte_d16_hi v1, v2, s[12:13]
	s_or_b64 exec, exec, s[0:1]
	v_cmp_gt_i32_e32 vcc, s8, v0
	s_and_saveexec_b64 s[0:1], vcc
	s_cbranch_execnz .LBB67_518
	s_branch .LBB67_519
.LBB67_534:
	v_cmp_gt_i16_e32 vcc, s10, v4
	s_andn2_b64 s[14:15], s[14:15], exec
	s_and_b64 s[16:17], vcc, exec
	s_or_b64 s[14:15], s[14:15], s[16:17]
	s_cbranch_execz .LBB67_499
	s_branch .LBB67_500
.LBB67_535:
	s_mov_b64 s[16:17], -1
                                        ; implicit-def: $sgpr14_sgpr15
	s_branch .LBB67_285
.LBB67_536:
	s_mov_b64 s[16:17], -1
                                        ; implicit-def: $sgpr14_sgpr15
	s_branch .LBB67_300
.LBB67_537:
	s_mov_b64 s[16:17], -1
                                        ; implicit-def: $sgpr14_sgpr15
	s_branch .LBB67_315
.LBB67_538:
	s_mov_b64 s[16:17], -1
                                        ; implicit-def: $sgpr14_sgpr15
	s_branch .LBB67_330
.LBB67_539:
	s_mov_b64 s[16:17], -1
                                        ; implicit-def: $sgpr14_sgpr15
	s_branch .LBB67_345
.LBB67_540:
	s_mov_b64 s[16:17], -1
                                        ; implicit-def: $sgpr14_sgpr15
	s_branch .LBB67_360
.LBB67_541:
	s_mov_b64 s[16:17], -1
                                        ; implicit-def: $sgpr14_sgpr15
	s_branch .LBB67_375
.LBB67_542:
	s_mov_b64 s[16:17], -1
                                        ; implicit-def: $sgpr14_sgpr15
	s_branch .LBB67_390
.LBB67_543:
	s_mov_b64 s[16:17], -1
                                        ; implicit-def: $sgpr14_sgpr15
	s_branch .LBB67_405
.LBB67_544:
	s_mov_b64 s[16:17], -1
                                        ; implicit-def: $sgpr14_sgpr15
	s_branch .LBB67_420
.LBB67_545:
	s_mov_b64 s[16:17], -1
                                        ; implicit-def: $sgpr14_sgpr15
	s_branch .LBB67_435
.LBB67_546:
	s_mov_b64 s[16:17], -1
                                        ; implicit-def: $sgpr14_sgpr15
	s_branch .LBB67_450
.LBB67_547:
	s_mov_b64 s[16:17], -1
                                        ; implicit-def: $sgpr14_sgpr15
	s_branch .LBB67_465
.LBB67_548:
	s_mov_b64 s[16:17], -1
                                        ; implicit-def: $sgpr14_sgpr15
	s_branch .LBB67_480
.LBB67_549:
	s_mov_b64 s[16:17], -1
                                        ; implicit-def: $sgpr14_sgpr15
	s_branch .LBB67_495
	.section	.rodata,"a",@progbits
	.p2align	6, 0x0
	.amdhsa_kernel _ZN2at6native29vectorized_elementwise_kernelILi2EZNS0_21compare_scalar_kernelIsEEvRNS_18TensorIteratorBaseENS0_12_GLOBAL__N_16OpTypeET_EUlsE_St5arrayIPcLm2EEEEviT0_T1_
		.amdhsa_group_segment_fixed_size 0
		.amdhsa_private_segment_fixed_size 0
		.amdhsa_kernarg_size 32
		.amdhsa_user_sgpr_count 6
		.amdhsa_user_sgpr_private_segment_buffer 1
		.amdhsa_user_sgpr_dispatch_ptr 0
		.amdhsa_user_sgpr_queue_ptr 0
		.amdhsa_user_sgpr_kernarg_segment_ptr 1
		.amdhsa_user_sgpr_dispatch_id 0
		.amdhsa_user_sgpr_flat_scratch_init 0
		.amdhsa_user_sgpr_private_segment_size 0
		.amdhsa_uses_dynamic_stack 0
		.amdhsa_system_sgpr_private_segment_wavefront_offset 0
		.amdhsa_system_sgpr_workgroup_id_x 1
		.amdhsa_system_sgpr_workgroup_id_y 0
		.amdhsa_system_sgpr_workgroup_id_z 0
		.amdhsa_system_sgpr_workgroup_info 0
		.amdhsa_system_vgpr_workitem_id 0
		.amdhsa_next_free_vgpr 22
		.amdhsa_next_free_sgpr 50
		.amdhsa_reserve_vcc 1
		.amdhsa_reserve_flat_scratch 0
		.amdhsa_float_round_mode_32 0
		.amdhsa_float_round_mode_16_64 0
		.amdhsa_float_denorm_mode_32 3
		.amdhsa_float_denorm_mode_16_64 3
		.amdhsa_dx10_clamp 1
		.amdhsa_ieee_mode 1
		.amdhsa_fp16_overflow 0
		.amdhsa_exception_fp_ieee_invalid_op 0
		.amdhsa_exception_fp_denorm_src 0
		.amdhsa_exception_fp_ieee_div_zero 0
		.amdhsa_exception_fp_ieee_overflow 0
		.amdhsa_exception_fp_ieee_underflow 0
		.amdhsa_exception_fp_ieee_inexact 0
		.amdhsa_exception_int_div_zero 0
	.end_amdhsa_kernel
	.section	.text._ZN2at6native29vectorized_elementwise_kernelILi2EZNS0_21compare_scalar_kernelIsEEvRNS_18TensorIteratorBaseENS0_12_GLOBAL__N_16OpTypeET_EUlsE_St5arrayIPcLm2EEEEviT0_T1_,"axG",@progbits,_ZN2at6native29vectorized_elementwise_kernelILi2EZNS0_21compare_scalar_kernelIsEEvRNS_18TensorIteratorBaseENS0_12_GLOBAL__N_16OpTypeET_EUlsE_St5arrayIPcLm2EEEEviT0_T1_,comdat
.Lfunc_end67:
	.size	_ZN2at6native29vectorized_elementwise_kernelILi2EZNS0_21compare_scalar_kernelIsEEvRNS_18TensorIteratorBaseENS0_12_GLOBAL__N_16OpTypeET_EUlsE_St5arrayIPcLm2EEEEviT0_T1_, .Lfunc_end67-_ZN2at6native29vectorized_elementwise_kernelILi2EZNS0_21compare_scalar_kernelIsEEvRNS_18TensorIteratorBaseENS0_12_GLOBAL__N_16OpTypeET_EUlsE_St5arrayIPcLm2EEEEviT0_T1_
                                        ; -- End function
	.set _ZN2at6native29vectorized_elementwise_kernelILi2EZNS0_21compare_scalar_kernelIsEEvRNS_18TensorIteratorBaseENS0_12_GLOBAL__N_16OpTypeET_EUlsE_St5arrayIPcLm2EEEEviT0_T1_.num_vgpr, 22
	.set _ZN2at6native29vectorized_elementwise_kernelILi2EZNS0_21compare_scalar_kernelIsEEvRNS_18TensorIteratorBaseENS0_12_GLOBAL__N_16OpTypeET_EUlsE_St5arrayIPcLm2EEEEviT0_T1_.num_agpr, 0
	.set _ZN2at6native29vectorized_elementwise_kernelILi2EZNS0_21compare_scalar_kernelIsEEvRNS_18TensorIteratorBaseENS0_12_GLOBAL__N_16OpTypeET_EUlsE_St5arrayIPcLm2EEEEviT0_T1_.numbered_sgpr, 50
	.set _ZN2at6native29vectorized_elementwise_kernelILi2EZNS0_21compare_scalar_kernelIsEEvRNS_18TensorIteratorBaseENS0_12_GLOBAL__N_16OpTypeET_EUlsE_St5arrayIPcLm2EEEEviT0_T1_.num_named_barrier, 0
	.set _ZN2at6native29vectorized_elementwise_kernelILi2EZNS0_21compare_scalar_kernelIsEEvRNS_18TensorIteratorBaseENS0_12_GLOBAL__N_16OpTypeET_EUlsE_St5arrayIPcLm2EEEEviT0_T1_.private_seg_size, 0
	.set _ZN2at6native29vectorized_elementwise_kernelILi2EZNS0_21compare_scalar_kernelIsEEvRNS_18TensorIteratorBaseENS0_12_GLOBAL__N_16OpTypeET_EUlsE_St5arrayIPcLm2EEEEviT0_T1_.uses_vcc, 1
	.set _ZN2at6native29vectorized_elementwise_kernelILi2EZNS0_21compare_scalar_kernelIsEEvRNS_18TensorIteratorBaseENS0_12_GLOBAL__N_16OpTypeET_EUlsE_St5arrayIPcLm2EEEEviT0_T1_.uses_flat_scratch, 0
	.set _ZN2at6native29vectorized_elementwise_kernelILi2EZNS0_21compare_scalar_kernelIsEEvRNS_18TensorIteratorBaseENS0_12_GLOBAL__N_16OpTypeET_EUlsE_St5arrayIPcLm2EEEEviT0_T1_.has_dyn_sized_stack, 0
	.set _ZN2at6native29vectorized_elementwise_kernelILi2EZNS0_21compare_scalar_kernelIsEEvRNS_18TensorIteratorBaseENS0_12_GLOBAL__N_16OpTypeET_EUlsE_St5arrayIPcLm2EEEEviT0_T1_.has_recursion, 0
	.set _ZN2at6native29vectorized_elementwise_kernelILi2EZNS0_21compare_scalar_kernelIsEEvRNS_18TensorIteratorBaseENS0_12_GLOBAL__N_16OpTypeET_EUlsE_St5arrayIPcLm2EEEEviT0_T1_.has_indirect_call, 0
	.section	.AMDGPU.csdata,"",@progbits
; Kernel info:
; codeLenInByte = 8980
; TotalNumSgprs: 54
; NumVgprs: 22
; ScratchSize: 0
; MemoryBound: 0
; FloatMode: 240
; IeeeMode: 1
; LDSByteSize: 0 bytes/workgroup (compile time only)
; SGPRBlocks: 6
; VGPRBlocks: 5
; NumSGPRsForWavesPerEU: 54
; NumVGPRsForWavesPerEU: 22
; Occupancy: 10
; WaveLimiterHint : 1
; COMPUTE_PGM_RSRC2:SCRATCH_EN: 0
; COMPUTE_PGM_RSRC2:USER_SGPR: 6
; COMPUTE_PGM_RSRC2:TRAP_HANDLER: 0
; COMPUTE_PGM_RSRC2:TGID_X_EN: 1
; COMPUTE_PGM_RSRC2:TGID_Y_EN: 0
; COMPUTE_PGM_RSRC2:TGID_Z_EN: 0
; COMPUTE_PGM_RSRC2:TIDIG_COMP_CNT: 0
	.section	.text._ZN2at6native27unrolled_elementwise_kernelIZNS0_21compare_scalar_kernelIsEEvRNS_18TensorIteratorBaseENS0_12_GLOBAL__N_16OpTypeET_EUlsE_St5arrayIPcLm2EELi4E23TrivialOffsetCalculatorILi1EjESD_NS0_6memory15LoadWithoutCastENSE_16StoreWithoutCastEEEviS7_T0_T2_T3_T4_T5_,"axG",@progbits,_ZN2at6native27unrolled_elementwise_kernelIZNS0_21compare_scalar_kernelIsEEvRNS_18TensorIteratorBaseENS0_12_GLOBAL__N_16OpTypeET_EUlsE_St5arrayIPcLm2EELi4E23TrivialOffsetCalculatorILi1EjESD_NS0_6memory15LoadWithoutCastENSE_16StoreWithoutCastEEEviS7_T0_T2_T3_T4_T5_,comdat
	.globl	_ZN2at6native27unrolled_elementwise_kernelIZNS0_21compare_scalar_kernelIsEEvRNS_18TensorIteratorBaseENS0_12_GLOBAL__N_16OpTypeET_EUlsE_St5arrayIPcLm2EELi4E23TrivialOffsetCalculatorILi1EjESD_NS0_6memory15LoadWithoutCastENSE_16StoreWithoutCastEEEviS7_T0_T2_T3_T4_T5_ ; -- Begin function _ZN2at6native27unrolled_elementwise_kernelIZNS0_21compare_scalar_kernelIsEEvRNS_18TensorIteratorBaseENS0_12_GLOBAL__N_16OpTypeET_EUlsE_St5arrayIPcLm2EELi4E23TrivialOffsetCalculatorILi1EjESD_NS0_6memory15LoadWithoutCastENSE_16StoreWithoutCastEEEviS7_T0_T2_T3_T4_T5_
	.p2align	8
	.type	_ZN2at6native27unrolled_elementwise_kernelIZNS0_21compare_scalar_kernelIsEEvRNS_18TensorIteratorBaseENS0_12_GLOBAL__N_16OpTypeET_EUlsE_St5arrayIPcLm2EELi4E23TrivialOffsetCalculatorILi1EjESD_NS0_6memory15LoadWithoutCastENSE_16StoreWithoutCastEEEviS7_T0_T2_T3_T4_T5_,@function
_ZN2at6native27unrolled_elementwise_kernelIZNS0_21compare_scalar_kernelIsEEvRNS_18TensorIteratorBaseENS0_12_GLOBAL__N_16OpTypeET_EUlsE_St5arrayIPcLm2EELi4E23TrivialOffsetCalculatorILi1EjESD_NS0_6memory15LoadWithoutCastENSE_16StoreWithoutCastEEEviS7_T0_T2_T3_T4_T5_: ; @_ZN2at6native27unrolled_elementwise_kernelIZNS0_21compare_scalar_kernelIsEEvRNS_18TensorIteratorBaseENS0_12_GLOBAL__N_16OpTypeET_EUlsE_St5arrayIPcLm2EELi4E23TrivialOffsetCalculatorILi1EjESD_NS0_6memory15LoadWithoutCastENSE_16StoreWithoutCastEEEviS7_T0_T2_T3_T4_T5_
; %bb.0:
	s_load_dwordx8 s[8:15], s[4:5], 0x0
	s_waitcnt lgkmcnt(0)
	s_lshl_b32 s11, s6, 10
	v_mov_b32_e32 v6, 0
	v_or_b32_e32 v1, s11, v0
	v_mov_b32_e32 v5, 0
	s_sub_i32 s8, s8, s11
	v_cmp_gt_i32_e64 s[0:1], s8, v0
	v_mov_b32_e32 v3, v0
	s_and_saveexec_b64 s[2:3], s[0:1]
	s_cbranch_execz .LBB68_2
; %bb.1:
	v_mov_b32_e32 v2, 0
	v_lshlrev_b64 v[2:3], 1, v[1:2]
	v_mov_b32_e32 v4, s15
	v_add_co_u32_e32 v2, vcc, s14, v2
	v_addc_co_u32_e32 v3, vcc, v4, v3, vcc
	global_load_ushort v5, v[2:3], off
	v_or_b32_e32 v3, 0x100, v0
.LBB68_2:
	s_or_b64 exec, exec, s[2:3]
	v_cmp_gt_i32_e32 vcc, s8, v3
	s_and_saveexec_b64 s[2:3], vcc
	s_cbranch_execz .LBB68_4
; %bb.3:
	v_add_u32_e32 v6, s11, v3
	v_mov_b32_e32 v7, 0
	v_lshlrev_b64 v[6:7], 1, v[6:7]
	v_mov_b32_e32 v2, s15
	v_add_co_u32_e32 v6, vcc, s14, v6
	v_addc_co_u32_e32 v7, vcc, v2, v7, vcc
	global_load_ushort v6, v[6:7], off
	v_add_u32_e32 v3, 0x100, v3
.LBB68_4:
	s_or_b64 exec, exec, s[2:3]
	v_cmp_gt_i32_e32 vcc, s8, v3
	v_mov_b32_e32 v2, 0
	v_mov_b32_e32 v4, 0
	s_and_saveexec_b64 s[2:3], vcc
	s_cbranch_execnz .LBB68_7
; %bb.5:
	s_or_b64 exec, exec, s[2:3]
	v_cmp_gt_i32_e32 vcc, s8, v3
	s_and_saveexec_b64 s[2:3], vcc
	s_cbranch_execnz .LBB68_8
.LBB68_6:
	s_or_b64 exec, exec, s[2:3]
	v_mov_b32_e32 v3, 0
	s_and_saveexec_b64 s[2:3], s[0:1]
	s_cbranch_execnz .LBB68_9
	s_branch .LBB68_24
.LBB68_7:
	v_add_u32_e32 v7, s11, v3
	v_mov_b32_e32 v8, 0
	v_lshlrev_b64 v[7:8], 1, v[7:8]
	v_mov_b32_e32 v4, s15
	v_add_co_u32_e32 v7, vcc, s14, v7
	v_addc_co_u32_e32 v8, vcc, v4, v8, vcc
	global_load_ushort v4, v[7:8], off
	v_add_u32_e32 v3, 0x100, v3
	s_or_b64 exec, exec, s[2:3]
	v_cmp_gt_i32_e32 vcc, s8, v3
	s_and_saveexec_b64 s[2:3], vcc
	s_cbranch_execz .LBB68_6
.LBB68_8:
	v_add_u32_e32 v2, s11, v3
	v_mov_b32_e32 v3, 0
	v_lshlrev_b64 v[2:3], 1, v[2:3]
	v_mov_b32_e32 v7, s15
	v_add_co_u32_e32 v2, vcc, s14, v2
	v_addc_co_u32_e32 v3, vcc, v7, v3, vcc
	global_load_ushort v2, v[2:3], off
	s_or_b64 exec, exec, s[2:3]
	v_mov_b32_e32 v3, 0
	s_and_saveexec_b64 s[2:3], s[0:1]
	s_cbranch_execz .LBB68_24
.LBB68_9:
	s_cmp_lt_i32 s9, 1
	s_mov_b64 s[4:5], 0
	s_cbranch_scc1 .LBB68_13
; %bb.10:
	s_cmp_gt_i32 s9, 1
	s_cbranch_scc0 .LBB68_14
; %bb.11:
	s_cmp_eq_u32 s9, 2
	s_cbranch_scc0 .LBB68_15
; %bb.12:
	s_waitcnt vmcnt(0)
	v_cmp_ge_i16_e64 s[6:7], s10, v5
	s_mov_b64 s[14:15], 0
	s_branch .LBB68_16
.LBB68_13:
                                        ; implicit-def: $sgpr6_sgpr7
	s_mov_b64 s[14:15], 0
	s_cbranch_execnz .LBB68_19
	s_branch .LBB68_20
.LBB68_14:
	s_mov_b64 s[14:15], 0
                                        ; implicit-def: $sgpr6_sgpr7
	s_cbranch_execnz .LBB68_17
	s_branch .LBB68_18
.LBB68_15:
	s_mov_b64 s[14:15], -1
                                        ; implicit-def: $sgpr6_sgpr7
.LBB68_16:
	s_branch .LBB68_18
.LBB68_17:
	s_waitcnt vmcnt(0)
	v_cmp_lt_i16_e32 vcc, s10, v5
	s_andn2_b64 s[6:7], s[6:7], exec
	s_and_b64 s[16:17], vcc, exec
	s_or_b64 s[6:7], s[6:7], s[16:17]
.LBB68_18:
	s_branch .LBB68_20
.LBB68_19:
	s_cmp_lg_u32 s9, 0
	s_mov_b64 s[4:5], -1
	s_cselect_b64 s[14:15], -1, 0
.LBB68_20:
	s_andn2_b64 vcc, exec, s[14:15]
	s_cbranch_vccz .LBB68_29
; %bb.21:
	s_andn2_b64 vcc, exec, s[4:5]
	s_cbranch_vccnz .LBB68_23
.LBB68_22:
	s_waitcnt vmcnt(0)
	v_cmp_le_i16_e32 vcc, s10, v5
	s_andn2_b64 s[4:5], s[6:7], exec
	s_and_b64 s[6:7], vcc, exec
	s_or_b64 s[6:7], s[4:5], s[6:7]
.LBB68_23:
	v_cndmask_b32_e64 v3, 0, 1, s[6:7]
.LBB68_24:
	s_or_b64 exec, exec, s[2:3]
	s_waitcnt vmcnt(0)
	v_or_b32_e32 v5, 0x100, v0
	v_cmp_gt_i32_e32 vcc, s8, v5
	s_and_saveexec_b64 s[2:3], vcc
	s_cbranch_execz .LBB68_39
; %bb.25:
	s_cmp_lt_i32 s9, 1
	s_mov_b64 s[4:5], 0
	s_cbranch_scc1 .LBB68_30
; %bb.26:
	s_cmp_gt_i32 s9, 1
	s_cbranch_scc0 .LBB68_31
; %bb.27:
	s_cmp_eq_u32 s9, 2
	s_cbranch_scc0 .LBB68_79
; %bb.28:
	v_cmp_ge_i16_e64 s[6:7], s10, v6
	s_mov_b64 s[14:15], 0
	s_branch .LBB68_33
.LBB68_29:
	s_waitcnt vmcnt(0)
	v_cmp_gt_i16_e32 vcc, s10, v5
	s_andn2_b64 s[6:7], s[6:7], exec
	s_and_b64 s[14:15], vcc, exec
	s_or_b64 s[6:7], s[6:7], s[14:15]
	s_cbranch_execz .LBB68_22
	s_branch .LBB68_23
.LBB68_30:
                                        ; implicit-def: $sgpr6_sgpr7
	s_mov_b64 s[14:15], 0
	s_cbranch_execnz .LBB68_34
	s_branch .LBB68_35
.LBB68_31:
	s_mov_b64 s[14:15], 0
                                        ; implicit-def: $sgpr6_sgpr7
	s_cbranch_execz .LBB68_33
; %bb.32:
	v_cmp_lt_i16_e32 vcc, s10, v6
	s_andn2_b64 s[6:7], s[6:7], exec
	s_and_b64 s[16:17], vcc, exec
	s_or_b64 s[6:7], s[6:7], s[16:17]
.LBB68_33:
	s_branch .LBB68_35
.LBB68_34:
	s_cmp_lg_u32 s9, 0
	s_mov_b64 s[4:5], -1
	s_cselect_b64 s[14:15], -1, 0
.LBB68_35:
	s_andn2_b64 vcc, exec, s[14:15]
	s_cbranch_vccz .LBB68_44
; %bb.36:
	s_andn2_b64 vcc, exec, s[4:5]
	s_cbranch_vccnz .LBB68_38
.LBB68_37:
	v_cmp_le_i16_e32 vcc, s10, v6
	s_andn2_b64 s[4:5], s[6:7], exec
	s_and_b64 s[6:7], vcc, exec
	s_or_b64 s[6:7], s[4:5], s[6:7]
.LBB68_38:
	v_cndmask_b32_e64 v6, 0, 1, s[6:7]
	v_lshlrev_b16_e32 v6, 8, v6
	v_or_b32_e32 v3, v3, v6
	v_and_b32_e32 v3, 0xffff, v3
.LBB68_39:
	s_or_b64 exec, exec, s[2:3]
	v_or_b32_e32 v6, 0x200, v0
	v_cmp_gt_i32_e32 vcc, s8, v6
	s_and_saveexec_b64 s[2:3], vcc
	s_cbranch_execz .LBB68_54
; %bb.40:
	s_cmp_lt_i32 s9, 1
	s_mov_b64 s[4:5], 0
	s_cbranch_scc1 .LBB68_45
; %bb.41:
	s_cmp_gt_i32 s9, 1
	s_cbranch_scc0 .LBB68_46
; %bb.42:
	s_cmp_eq_u32 s9, 2
	s_cbranch_scc0 .LBB68_80
; %bb.43:
	v_cmp_ge_i16_e64 s[6:7], s10, v4
	s_mov_b64 s[14:15], 0
	s_branch .LBB68_48
.LBB68_44:
	v_cmp_gt_i16_e32 vcc, s10, v6
	s_andn2_b64 s[6:7], s[6:7], exec
	s_and_b64 s[14:15], vcc, exec
	s_or_b64 s[6:7], s[6:7], s[14:15]
	s_cbranch_execz .LBB68_37
	s_branch .LBB68_38
.LBB68_45:
                                        ; implicit-def: $sgpr6_sgpr7
	s_mov_b64 s[14:15], 0
	s_cbranch_execnz .LBB68_49
	s_branch .LBB68_50
.LBB68_46:
	s_mov_b64 s[14:15], 0
                                        ; implicit-def: $sgpr6_sgpr7
	s_cbranch_execz .LBB68_48
; %bb.47:
	v_cmp_lt_i16_e32 vcc, s10, v4
	s_andn2_b64 s[6:7], s[6:7], exec
	s_and_b64 s[16:17], vcc, exec
	s_or_b64 s[6:7], s[6:7], s[16:17]
.LBB68_48:
	s_branch .LBB68_50
.LBB68_49:
	s_cmp_lg_u32 s9, 0
	s_mov_b64 s[4:5], -1
	s_cselect_b64 s[14:15], -1, 0
.LBB68_50:
	s_andn2_b64 vcc, exec, s[14:15]
	s_cbranch_vccz .LBB68_59
; %bb.51:
	s_andn2_b64 vcc, exec, s[4:5]
	s_cbranch_vccnz .LBB68_53
.LBB68_52:
	v_cmp_le_i16_e32 vcc, s10, v4
	s_andn2_b64 s[4:5], s[6:7], exec
	s_and_b64 s[6:7], vcc, exec
	s_or_b64 s[6:7], s[4:5], s[6:7]
.LBB68_53:
	v_cndmask_b32_e64 v4, 0, 1, s[6:7]
	v_lshl_or_b32 v3, v4, 16, v3
.LBB68_54:
	s_or_b64 exec, exec, s[2:3]
	v_or_b32_e32 v4, 0x300, v0
	v_cmp_gt_i32_e32 vcc, s8, v4
	s_and_saveexec_b64 s[2:3], vcc
	s_cbranch_execz .LBB68_69
; %bb.55:
	s_cmp_lt_i32 s9, 1
	s_mov_b64 s[4:5], 0
	s_cbranch_scc1 .LBB68_60
; %bb.56:
	s_cmp_gt_i32 s9, 1
	s_cbranch_scc0 .LBB68_61
; %bb.57:
	s_cmp_eq_u32 s9, 2
	s_cbranch_scc0 .LBB68_81
; %bb.58:
	v_cmp_ge_i16_e64 s[6:7], s10, v2
	s_mov_b64 s[14:15], 0
	s_branch .LBB68_63
.LBB68_59:
	v_cmp_gt_i16_e32 vcc, s10, v4
	s_andn2_b64 s[6:7], s[6:7], exec
	s_and_b64 s[14:15], vcc, exec
	s_or_b64 s[6:7], s[6:7], s[14:15]
	s_cbranch_execz .LBB68_52
	s_branch .LBB68_53
.LBB68_60:
                                        ; implicit-def: $sgpr6_sgpr7
	s_mov_b64 s[14:15], 0
	s_cbranch_execnz .LBB68_64
	s_branch .LBB68_65
.LBB68_61:
	s_mov_b64 s[14:15], 0
                                        ; implicit-def: $sgpr6_sgpr7
	s_cbranch_execz .LBB68_63
; %bb.62:
	v_cmp_lt_i16_e32 vcc, s10, v2
	s_andn2_b64 s[6:7], s[6:7], exec
	s_and_b64 s[16:17], vcc, exec
	s_or_b64 s[6:7], s[6:7], s[16:17]
.LBB68_63:
	s_branch .LBB68_65
.LBB68_64:
	s_cmp_lg_u32 s9, 0
	s_mov_b64 s[4:5], -1
	s_cselect_b64 s[14:15], -1, 0
.LBB68_65:
	s_andn2_b64 vcc, exec, s[14:15]
	s_cbranch_vccz .LBB68_78
; %bb.66:
	s_andn2_b64 vcc, exec, s[4:5]
	s_cbranch_vccnz .LBB68_68
.LBB68_67:
	v_cmp_le_i16_e32 vcc, s10, v2
	s_andn2_b64 s[4:5], s[6:7], exec
	s_and_b64 s[6:7], vcc, exec
	s_or_b64 s[6:7], s[4:5], s[6:7]
.LBB68_68:
	v_cndmask_b32_e64 v2, 0, 1, s[6:7]
	v_lshlrev_b16_e32 v2, 8, v2
	v_or_b32_sdwa v2, v3, v2 dst_sel:WORD_1 dst_unused:UNUSED_PAD src0_sel:WORD_1 src1_sel:DWORD
	s_mov_b32 s4, 0xffff
	v_and_or_b32 v3, v3, s4, v2
.LBB68_69:
	s_or_b64 exec, exec, s[2:3]
	s_and_saveexec_b64 s[2:3], s[0:1]
	s_xor_b64 s[0:1], exec, s[2:3]
	s_cbranch_execz .LBB68_71
; %bb.70:
	v_mov_b32_e32 v0, v5
	global_store_byte v1, v3, s[12:13]
.LBB68_71:
	s_or_b64 exec, exec, s[0:1]
	v_cmp_gt_i32_e32 vcc, s8, v0
	s_and_saveexec_b64 s[0:1], vcc
	s_cbranch_execnz .LBB68_75
; %bb.72:
	s_or_b64 exec, exec, s[0:1]
	v_cmp_gt_i32_e32 vcc, s8, v0
	s_and_saveexec_b64 s[0:1], vcc
	s_cbranch_execnz .LBB68_76
.LBB68_73:
	s_or_b64 exec, exec, s[0:1]
	v_cmp_gt_i32_e32 vcc, s8, v0
	s_and_saveexec_b64 s[0:1], vcc
	s_cbranch_execnz .LBB68_77
.LBB68_74:
	s_endpgm
.LBB68_75:
	v_add_u32_e32 v1, 0x100, v0
	v_add_u32_e32 v0, s11, v0
	v_lshrrev_b32_e32 v2, 8, v3
	global_store_byte v0, v2, s[12:13]
	v_mov_b32_e32 v0, v1
	s_or_b64 exec, exec, s[0:1]
	v_cmp_gt_i32_e32 vcc, s8, v0
	s_and_saveexec_b64 s[0:1], vcc
	s_cbranch_execz .LBB68_73
.LBB68_76:
	v_add_u32_e32 v1, 0x100, v0
	v_add_u32_e32 v0, s11, v0
	global_store_byte_d16_hi v0, v3, s[12:13]
	v_mov_b32_e32 v0, v1
	s_or_b64 exec, exec, s[0:1]
	v_cmp_gt_i32_e32 vcc, s8, v0
	s_and_saveexec_b64 s[0:1], vcc
	s_cbranch_execz .LBB68_74
.LBB68_77:
	v_add_u32_e32 v0, s11, v0
	v_lshrrev_b32_e32 v1, 24, v3
	global_store_byte v0, v1, s[12:13]
	s_endpgm
.LBB68_78:
	v_cmp_gt_i16_e32 vcc, s10, v2
	s_andn2_b64 s[6:7], s[6:7], exec
	s_and_b64 s[14:15], vcc, exec
	s_or_b64 s[6:7], s[6:7], s[14:15]
	s_cbranch_execz .LBB68_67
	s_branch .LBB68_68
.LBB68_79:
	s_mov_b64 s[14:15], -1
                                        ; implicit-def: $sgpr6_sgpr7
	s_branch .LBB68_33
.LBB68_80:
	s_mov_b64 s[14:15], -1
                                        ; implicit-def: $sgpr6_sgpr7
	s_branch .LBB68_48
.LBB68_81:
	s_mov_b64 s[14:15], -1
                                        ; implicit-def: $sgpr6_sgpr7
	s_branch .LBB68_63
	.section	.rodata,"a",@progbits
	.p2align	6, 0x0
	.amdhsa_kernel _ZN2at6native27unrolled_elementwise_kernelIZNS0_21compare_scalar_kernelIsEEvRNS_18TensorIteratorBaseENS0_12_GLOBAL__N_16OpTypeET_EUlsE_St5arrayIPcLm2EELi4E23TrivialOffsetCalculatorILi1EjESD_NS0_6memory15LoadWithoutCastENSE_16StoreWithoutCastEEEviS7_T0_T2_T3_T4_T5_
		.amdhsa_group_segment_fixed_size 0
		.amdhsa_private_segment_fixed_size 0
		.amdhsa_kernarg_size 36
		.amdhsa_user_sgpr_count 6
		.amdhsa_user_sgpr_private_segment_buffer 1
		.amdhsa_user_sgpr_dispatch_ptr 0
		.amdhsa_user_sgpr_queue_ptr 0
		.amdhsa_user_sgpr_kernarg_segment_ptr 1
		.amdhsa_user_sgpr_dispatch_id 0
		.amdhsa_user_sgpr_flat_scratch_init 0
		.amdhsa_user_sgpr_private_segment_size 0
		.amdhsa_uses_dynamic_stack 0
		.amdhsa_system_sgpr_private_segment_wavefront_offset 0
		.amdhsa_system_sgpr_workgroup_id_x 1
		.amdhsa_system_sgpr_workgroup_id_y 0
		.amdhsa_system_sgpr_workgroup_id_z 0
		.amdhsa_system_sgpr_workgroup_info 0
		.amdhsa_system_vgpr_workitem_id 0
		.amdhsa_next_free_vgpr 9
		.amdhsa_next_free_sgpr 18
		.amdhsa_reserve_vcc 1
		.amdhsa_reserve_flat_scratch 0
		.amdhsa_float_round_mode_32 0
		.amdhsa_float_round_mode_16_64 0
		.amdhsa_float_denorm_mode_32 3
		.amdhsa_float_denorm_mode_16_64 3
		.amdhsa_dx10_clamp 1
		.amdhsa_ieee_mode 1
		.amdhsa_fp16_overflow 0
		.amdhsa_exception_fp_ieee_invalid_op 0
		.amdhsa_exception_fp_denorm_src 0
		.amdhsa_exception_fp_ieee_div_zero 0
		.amdhsa_exception_fp_ieee_overflow 0
		.amdhsa_exception_fp_ieee_underflow 0
		.amdhsa_exception_fp_ieee_inexact 0
		.amdhsa_exception_int_div_zero 0
	.end_amdhsa_kernel
	.section	.text._ZN2at6native27unrolled_elementwise_kernelIZNS0_21compare_scalar_kernelIsEEvRNS_18TensorIteratorBaseENS0_12_GLOBAL__N_16OpTypeET_EUlsE_St5arrayIPcLm2EELi4E23TrivialOffsetCalculatorILi1EjESD_NS0_6memory15LoadWithoutCastENSE_16StoreWithoutCastEEEviS7_T0_T2_T3_T4_T5_,"axG",@progbits,_ZN2at6native27unrolled_elementwise_kernelIZNS0_21compare_scalar_kernelIsEEvRNS_18TensorIteratorBaseENS0_12_GLOBAL__N_16OpTypeET_EUlsE_St5arrayIPcLm2EELi4E23TrivialOffsetCalculatorILi1EjESD_NS0_6memory15LoadWithoutCastENSE_16StoreWithoutCastEEEviS7_T0_T2_T3_T4_T5_,comdat
.Lfunc_end68:
	.size	_ZN2at6native27unrolled_elementwise_kernelIZNS0_21compare_scalar_kernelIsEEvRNS_18TensorIteratorBaseENS0_12_GLOBAL__N_16OpTypeET_EUlsE_St5arrayIPcLm2EELi4E23TrivialOffsetCalculatorILi1EjESD_NS0_6memory15LoadWithoutCastENSE_16StoreWithoutCastEEEviS7_T0_T2_T3_T4_T5_, .Lfunc_end68-_ZN2at6native27unrolled_elementwise_kernelIZNS0_21compare_scalar_kernelIsEEvRNS_18TensorIteratorBaseENS0_12_GLOBAL__N_16OpTypeET_EUlsE_St5arrayIPcLm2EELi4E23TrivialOffsetCalculatorILi1EjESD_NS0_6memory15LoadWithoutCastENSE_16StoreWithoutCastEEEviS7_T0_T2_T3_T4_T5_
                                        ; -- End function
	.set _ZN2at6native27unrolled_elementwise_kernelIZNS0_21compare_scalar_kernelIsEEvRNS_18TensorIteratorBaseENS0_12_GLOBAL__N_16OpTypeET_EUlsE_St5arrayIPcLm2EELi4E23TrivialOffsetCalculatorILi1EjESD_NS0_6memory15LoadWithoutCastENSE_16StoreWithoutCastEEEviS7_T0_T2_T3_T4_T5_.num_vgpr, 9
	.set _ZN2at6native27unrolled_elementwise_kernelIZNS0_21compare_scalar_kernelIsEEvRNS_18TensorIteratorBaseENS0_12_GLOBAL__N_16OpTypeET_EUlsE_St5arrayIPcLm2EELi4E23TrivialOffsetCalculatorILi1EjESD_NS0_6memory15LoadWithoutCastENSE_16StoreWithoutCastEEEviS7_T0_T2_T3_T4_T5_.num_agpr, 0
	.set _ZN2at6native27unrolled_elementwise_kernelIZNS0_21compare_scalar_kernelIsEEvRNS_18TensorIteratorBaseENS0_12_GLOBAL__N_16OpTypeET_EUlsE_St5arrayIPcLm2EELi4E23TrivialOffsetCalculatorILi1EjESD_NS0_6memory15LoadWithoutCastENSE_16StoreWithoutCastEEEviS7_T0_T2_T3_T4_T5_.numbered_sgpr, 18
	.set _ZN2at6native27unrolled_elementwise_kernelIZNS0_21compare_scalar_kernelIsEEvRNS_18TensorIteratorBaseENS0_12_GLOBAL__N_16OpTypeET_EUlsE_St5arrayIPcLm2EELi4E23TrivialOffsetCalculatorILi1EjESD_NS0_6memory15LoadWithoutCastENSE_16StoreWithoutCastEEEviS7_T0_T2_T3_T4_T5_.num_named_barrier, 0
	.set _ZN2at6native27unrolled_elementwise_kernelIZNS0_21compare_scalar_kernelIsEEvRNS_18TensorIteratorBaseENS0_12_GLOBAL__N_16OpTypeET_EUlsE_St5arrayIPcLm2EELi4E23TrivialOffsetCalculatorILi1EjESD_NS0_6memory15LoadWithoutCastENSE_16StoreWithoutCastEEEviS7_T0_T2_T3_T4_T5_.private_seg_size, 0
	.set _ZN2at6native27unrolled_elementwise_kernelIZNS0_21compare_scalar_kernelIsEEvRNS_18TensorIteratorBaseENS0_12_GLOBAL__N_16OpTypeET_EUlsE_St5arrayIPcLm2EELi4E23TrivialOffsetCalculatorILi1EjESD_NS0_6memory15LoadWithoutCastENSE_16StoreWithoutCastEEEviS7_T0_T2_T3_T4_T5_.uses_vcc, 1
	.set _ZN2at6native27unrolled_elementwise_kernelIZNS0_21compare_scalar_kernelIsEEvRNS_18TensorIteratorBaseENS0_12_GLOBAL__N_16OpTypeET_EUlsE_St5arrayIPcLm2EELi4E23TrivialOffsetCalculatorILi1EjESD_NS0_6memory15LoadWithoutCastENSE_16StoreWithoutCastEEEviS7_T0_T2_T3_T4_T5_.uses_flat_scratch, 0
	.set _ZN2at6native27unrolled_elementwise_kernelIZNS0_21compare_scalar_kernelIsEEvRNS_18TensorIteratorBaseENS0_12_GLOBAL__N_16OpTypeET_EUlsE_St5arrayIPcLm2EELi4E23TrivialOffsetCalculatorILi1EjESD_NS0_6memory15LoadWithoutCastENSE_16StoreWithoutCastEEEviS7_T0_T2_T3_T4_T5_.has_dyn_sized_stack, 0
	.set _ZN2at6native27unrolled_elementwise_kernelIZNS0_21compare_scalar_kernelIsEEvRNS_18TensorIteratorBaseENS0_12_GLOBAL__N_16OpTypeET_EUlsE_St5arrayIPcLm2EELi4E23TrivialOffsetCalculatorILi1EjESD_NS0_6memory15LoadWithoutCastENSE_16StoreWithoutCastEEEviS7_T0_T2_T3_T4_T5_.has_recursion, 0
	.set _ZN2at6native27unrolled_elementwise_kernelIZNS0_21compare_scalar_kernelIsEEvRNS_18TensorIteratorBaseENS0_12_GLOBAL__N_16OpTypeET_EUlsE_St5arrayIPcLm2EELi4E23TrivialOffsetCalculatorILi1EjESD_NS0_6memory15LoadWithoutCastENSE_16StoreWithoutCastEEEviS7_T0_T2_T3_T4_T5_.has_indirect_call, 0
	.section	.AMDGPU.csdata,"",@progbits
; Kernel info:
; codeLenInByte = 1328
; TotalNumSgprs: 22
; NumVgprs: 9
; ScratchSize: 0
; MemoryBound: 0
; FloatMode: 240
; IeeeMode: 1
; LDSByteSize: 0 bytes/workgroup (compile time only)
; SGPRBlocks: 2
; VGPRBlocks: 2
; NumSGPRsForWavesPerEU: 22
; NumVGPRsForWavesPerEU: 9
; Occupancy: 10
; WaveLimiterHint : 0
; COMPUTE_PGM_RSRC2:SCRATCH_EN: 0
; COMPUTE_PGM_RSRC2:USER_SGPR: 6
; COMPUTE_PGM_RSRC2:TRAP_HANDLER: 0
; COMPUTE_PGM_RSRC2:TGID_X_EN: 1
; COMPUTE_PGM_RSRC2:TGID_Y_EN: 0
; COMPUTE_PGM_RSRC2:TGID_Z_EN: 0
; COMPUTE_PGM_RSRC2:TIDIG_COMP_CNT: 0
	.section	.text._ZN2at6native32elementwise_kernel_manual_unrollILi128ELi8EZNS0_22gpu_kernel_impl_nocastIZNS0_21compare_scalar_kernelIsEEvRNS_18TensorIteratorBaseENS0_12_GLOBAL__N_16OpTypeET_EUlsE_EEvS5_RKS8_EUlibE_EEviT1_,"axG",@progbits,_ZN2at6native32elementwise_kernel_manual_unrollILi128ELi8EZNS0_22gpu_kernel_impl_nocastIZNS0_21compare_scalar_kernelIsEEvRNS_18TensorIteratorBaseENS0_12_GLOBAL__N_16OpTypeET_EUlsE_EEvS5_RKS8_EUlibE_EEviT1_,comdat
	.globl	_ZN2at6native32elementwise_kernel_manual_unrollILi128ELi8EZNS0_22gpu_kernel_impl_nocastIZNS0_21compare_scalar_kernelIsEEvRNS_18TensorIteratorBaseENS0_12_GLOBAL__N_16OpTypeET_EUlsE_EEvS5_RKS8_EUlibE_EEviT1_ ; -- Begin function _ZN2at6native32elementwise_kernel_manual_unrollILi128ELi8EZNS0_22gpu_kernel_impl_nocastIZNS0_21compare_scalar_kernelIsEEvRNS_18TensorIteratorBaseENS0_12_GLOBAL__N_16OpTypeET_EUlsE_EEvS5_RKS8_EUlibE_EEviT1_
	.p2align	8
	.type	_ZN2at6native32elementwise_kernel_manual_unrollILi128ELi8EZNS0_22gpu_kernel_impl_nocastIZNS0_21compare_scalar_kernelIsEEvRNS_18TensorIteratorBaseENS0_12_GLOBAL__N_16OpTypeET_EUlsE_EEvS5_RKS8_EUlibE_EEviT1_,@function
_ZN2at6native32elementwise_kernel_manual_unrollILi128ELi8EZNS0_22gpu_kernel_impl_nocastIZNS0_21compare_scalar_kernelIsEEvRNS_18TensorIteratorBaseENS0_12_GLOBAL__N_16OpTypeET_EUlsE_EEvS5_RKS8_EUlibE_EEviT1_: ; @_ZN2at6native32elementwise_kernel_manual_unrollILi128ELi8EZNS0_22gpu_kernel_impl_nocastIZNS0_21compare_scalar_kernelIsEEvRNS_18TensorIteratorBaseENS0_12_GLOBAL__N_16OpTypeET_EUlsE_EEvS5_RKS8_EUlibE_EEviT1_
; %bb.0:
	s_load_dword s57, s[4:5], 0x0
	s_load_dword s33, s[4:5], 0x8
	s_add_u32 s34, s4, 8
	s_addc_u32 s35, s5, 0
	v_lshl_or_b32 v15, s6, 10, v0
	v_or_b32_e32 v22, 0x380, v15
	s_waitcnt lgkmcnt(0)
	s_add_i32 s56, s33, -1
	s_cmp_gt_u32 s56, 1
	v_cmp_le_i32_e32 vcc, s57, v22
	s_cselect_b64 s[36:37], -1, 0
	s_and_saveexec_b64 s[0:1], vcc
	s_xor_b64 s[38:39], exec, s[0:1]
	s_cbranch_execz .LBB69_235
; %bb.1:
	s_load_dwordx4 s[24:27], s[34:35], 0x4
	s_load_dwordx2 s[42:43], s[34:35], 0x14
	s_load_dwordx4 s[20:23], s[34:35], 0xc4
	s_load_dwordx4 s[16:19], s[34:35], 0x148
	s_load_dwordx2 s[40:41], s[34:35], 0x158
	s_cmp_lg_u32 s33, 0
	s_cselect_b64 s[48:49], -1, 0
	s_add_u32 s46, s34, 0xc4
	s_addc_u32 s47, s35, 0
	s_min_u32 s58, s56, 15
	s_cmp_gt_u32 s33, 1
	s_cselect_b64 s[44:45], -1, 0
	v_cmp_gt_i32_e32 vcc, s57, v15
	s_and_saveexec_b64 s[50:51], vcc
	s_cbranch_execnz .LBB69_9
; %bb.2:
	s_or_b64 exec, exec, s[50:51]
	v_cmp_gt_i32_e32 vcc, s57, v15
	s_and_saveexec_b64 s[50:51], vcc
	s_cbranch_execnz .LBB69_38
.LBB69_3:
	s_or_b64 exec, exec, s[50:51]
	v_cmp_gt_i32_e32 vcc, s57, v15
	s_and_saveexec_b64 s[50:51], vcc
	s_cbranch_execnz .LBB69_66
.LBB69_4:
	s_or_b64 exec, exec, s[50:51]
	v_cmp_gt_i32_e32 vcc, s57, v15
	s_and_saveexec_b64 s[50:51], vcc
	s_cbranch_execnz .LBB69_94
.LBB69_5:
	s_or_b64 exec, exec, s[50:51]
	v_cmp_gt_i32_e32 vcc, s57, v15
	s_and_saveexec_b64 s[50:51], vcc
	s_cbranch_execnz .LBB69_122
.LBB69_6:
	s_or_b64 exec, exec, s[50:51]
	v_cmp_gt_i32_e32 vcc, s57, v15
	s_and_saveexec_b64 s[50:51], vcc
	s_cbranch_execnz .LBB69_150
.LBB69_7:
	s_or_b64 exec, exec, s[50:51]
	v_cmp_gt_i32_e32 vcc, s57, v15
	s_and_saveexec_b64 s[50:51], vcc
	s_cbranch_execnz .LBB69_178
.LBB69_8:
	s_or_b64 exec, exec, s[50:51]
	v_cmp_gt_i32_e32 vcc, s57, v15
	s_and_saveexec_b64 s[50:51], vcc
	s_cbranch_execnz .LBB69_206
	s_branch .LBB69_234
.LBB69_9:
	s_andn2_b64 vcc, exec, s[36:37]
	s_cbranch_vccnz .LBB69_14
; %bb.10:
	s_andn2_b64 vcc, exec, s[48:49]
	s_cbranch_vccnz .LBB69_15
; %bb.11:
	s_add_i32 s60, s58, 1
	s_cmp_eq_u32 s56, 2
	s_cbranch_scc1 .LBB69_16
; %bb.12:
	s_and_b32 s59, s60, 28
	v_mov_b32_e32 v2, 0
	s_mov_b32 s61, 0
	s_mov_b64 s[52:53], s[34:35]
	s_mov_b64 s[54:55], s[46:47]
	v_mov_b32_e32 v0, 0
	v_mov_b32_e32 v1, v15
.LBB69_13:                              ; =>This Inner Loop Header: Depth=1
	s_load_dwordx8 s[8:15], s[52:53], 0x4
	s_load_dwordx4 s[28:31], s[52:53], 0x24
	s_load_dwordx8 s[0:7], s[54:55], 0x0
	s_add_u32 s52, s52, 48
	s_addc_u32 s53, s53, 0
	s_waitcnt lgkmcnt(0)
	v_mul_hi_u32 v3, s9, v1
	s_add_i32 s61, s61, 4
	s_add_u32 s54, s54, 32
	s_addc_u32 s55, s55, 0
	v_add_u32_e32 v3, v1, v3
	v_lshrrev_b32_e32 v3, s10, v3
	v_mul_lo_u32 v4, v3, s8
	v_mul_hi_u32 v5, s12, v3
	s_cmp_lg_u32 s59, s61
	v_sub_u32_e32 v1, v1, v4
	v_add_u32_e32 v4, v3, v5
	v_mul_lo_u32 v5, v1, s0
	v_mul_lo_u32 v6, v1, s1
	v_lshrrev_b32_e32 v1, s13, v4
	v_mul_lo_u32 v4, v1, s11
	v_mul_hi_u32 v7, s15, v1
	v_sub_u32_e32 v3, v3, v4
	v_add_u32_e32 v4, v1, v7
	v_lshrrev_b32_e32 v4, s28, v4
	v_mul_hi_u32 v8, s30, v4
	v_mul_lo_u32 v9, v4, s14
	v_mul_lo_u32 v7, v3, s2
	;; [unrolled: 1-line block ×3, first 2 shown]
	v_sub_u32_e32 v9, v1, v9
	v_add_u32_e32 v1, v4, v8
	v_lshrrev_b32_e32 v1, s31, v1
	v_mul_lo_u32 v8, v1, s29
	v_mul_lo_u32 v10, v9, s4
	;; [unrolled: 1-line block ×3, first 2 shown]
	v_add3_u32 v0, v5, v0, v7
	v_sub_u32_e32 v4, v4, v8
	v_mul_lo_u32 v8, v4, s6
	v_mul_lo_u32 v4, v4, s7
	v_add3_u32 v2, v6, v2, v3
	v_add3_u32 v0, v10, v0, v8
	;; [unrolled: 1-line block ×3, first 2 shown]
	s_cbranch_scc1 .LBB69_13
	s_branch .LBB69_17
.LBB69_14:
                                        ; implicit-def: $vgpr0
                                        ; implicit-def: $vgpr2
	s_branch .LBB69_21
.LBB69_15:
	v_mov_b32_e32 v0, 0
	v_mov_b32_e32 v2, 0
	s_branch .LBB69_20
.LBB69_16:
	s_mov_b32 s59, 0
	v_mov_b32_e32 v0, 0
	v_mov_b32_e32 v2, 0
	;; [unrolled: 1-line block ×3, first 2 shown]
.LBB69_17:
	s_and_b32 s4, s60, 3
	s_cmp_eq_u32 s4, 0
	s_cbranch_scc1 .LBB69_20
; %bb.18:
	s_lshl_b32 s0, s59, 3
	s_add_u32 s0, s34, s0
	s_addc_u32 s1, s35, 0
	s_add_u32 s0, s0, 0xc4
	s_addc_u32 s1, s1, 0
	s_mul_i32 s2, s59, 12
	s_add_u32 s2, s34, s2
	s_addc_u32 s3, s35, 0
.LBB69_19:                              ; =>This Inner Loop Header: Depth=1
	s_load_dwordx2 s[6:7], s[2:3], 0x4
	s_load_dword s5, s[2:3], 0xc
	s_load_dwordx2 s[8:9], s[0:1], 0x0
	s_add_u32 s2, s2, 12
	s_addc_u32 s3, s3, 0
	s_waitcnt lgkmcnt(0)
	v_mul_hi_u32 v3, s7, v1
	s_add_u32 s0, s0, 8
	s_addc_u32 s1, s1, 0
	s_add_i32 s4, s4, -1
	v_add_u32_e32 v3, v1, v3
	v_lshrrev_b32_e32 v4, s5, v3
	v_mul_lo_u32 v3, v4, s6
	s_cmp_lg_u32 s4, 0
	v_sub_u32_e32 v3, v1, v3
	v_mad_u64_u32 v[0:1], s[6:7], v3, s8, v[0:1]
	v_mad_u64_u32 v[2:3], s[6:7], v3, s9, v[2:3]
	v_mov_b32_e32 v1, v4
	s_cbranch_scc1 .LBB69_19
.LBB69_20:
	s_cbranch_execnz .LBB69_23
.LBB69_21:
	s_waitcnt lgkmcnt(0)
	v_mul_hi_u32 v0, s25, v15
	s_andn2_b64 vcc, exec, s[44:45]
	v_add_u32_e32 v0, v15, v0
	v_lshrrev_b32_e32 v1, s26, v0
	v_mul_lo_u32 v0, v1, s24
	v_sub_u32_e32 v2, v15, v0
	v_mul_lo_u32 v0, v2, s20
	v_mul_lo_u32 v2, v2, s21
	s_cbranch_vccnz .LBB69_23
; %bb.22:
	v_mul_hi_u32 v3, s42, v1
	v_add_u32_e32 v3, v1, v3
	v_lshrrev_b32_e32 v3, s43, v3
	v_mul_lo_u32 v3, v3, s27
	v_sub_u32_e32 v3, v1, v3
	v_mad_u64_u32 v[0:1], s[0:1], v3, s22, v[0:1]
	v_mad_u64_u32 v[2:3], s[0:1], v3, s23, v[2:3]
.LBB69_23:
	s_waitcnt lgkmcnt(0)
	global_load_ushort v1, v2, s[18:19]
	s_cmp_lt_i32 s40, 1
	s_mov_b64 s[0:1], 0
	s_cbranch_scc1 .LBB69_27
; %bb.24:
	s_cmp_gt_i32 s40, 1
	s_cbranch_scc0 .LBB69_28
; %bb.25:
	s_cmp_eq_u32 s40, 2
	s_cbranch_scc0 .LBB69_29
; %bb.26:
	s_waitcnt vmcnt(0)
	v_cmp_ge_i16_e64 s[2:3], s41, v1
	s_mov_b64 s[4:5], 0
	s_branch .LBB69_30
.LBB69_27:
                                        ; implicit-def: $sgpr2_sgpr3
	s_mov_b64 s[4:5], 0
	s_cbranch_execnz .LBB69_33
	s_branch .LBB69_34
.LBB69_28:
	s_mov_b64 s[4:5], 0
                                        ; implicit-def: $sgpr2_sgpr3
	s_cbranch_execnz .LBB69_31
	s_branch .LBB69_32
.LBB69_29:
	s_mov_b64 s[4:5], -1
                                        ; implicit-def: $sgpr2_sgpr3
.LBB69_30:
	s_branch .LBB69_32
.LBB69_31:
	s_waitcnt vmcnt(0)
	v_cmp_lt_i16_e32 vcc, s41, v1
	s_andn2_b64 s[2:3], s[2:3], exec
	s_and_b64 s[6:7], vcc, exec
	s_or_b64 s[2:3], s[2:3], s[6:7]
.LBB69_32:
	s_branch .LBB69_34
.LBB69_33:
	s_cmp_lg_u32 s40, 0
	s_mov_b64 s[0:1], -1
	s_cselect_b64 s[4:5], -1, 0
.LBB69_34:
	s_andn2_b64 vcc, exec, s[4:5]
	s_cbranch_vccz .LBB69_43
; %bb.35:
	s_andn2_b64 vcc, exec, s[0:1]
	s_cbranch_vccnz .LBB69_37
.LBB69_36:
	s_waitcnt vmcnt(0)
	v_cmp_le_i16_e32 vcc, s41, v1
	s_andn2_b64 s[0:1], s[2:3], exec
	s_and_b64 s[2:3], vcc, exec
	s_or_b64 s[2:3], s[0:1], s[2:3]
.LBB69_37:
	s_waitcnt vmcnt(0)
	v_cndmask_b32_e64 v1, 0, 1, s[2:3]
	v_add_u32_e32 v15, 0x80, v15
	global_store_byte v0, v1, s[16:17]
	s_or_b64 exec, exec, s[50:51]
	v_cmp_gt_i32_e32 vcc, s57, v15
	s_and_saveexec_b64 s[50:51], vcc
	s_cbranch_execz .LBB69_3
.LBB69_38:
	s_andn2_b64 vcc, exec, s[36:37]
	s_cbranch_vccnz .LBB69_44
; %bb.39:
	s_andn2_b64 vcc, exec, s[48:49]
	s_cbranch_vccnz .LBB69_45
; %bb.40:
	s_add_i32 s60, s58, 1
	s_cmp_eq_u32 s56, 2
	s_cbranch_scc1 .LBB69_46
; %bb.41:
	s_and_b32 s59, s60, 28
	v_mov_b32_e32 v2, 0
	s_mov_b32 s61, 0
	s_mov_b64 s[52:53], s[34:35]
	s_mov_b64 s[54:55], s[46:47]
	v_mov_b32_e32 v0, 0
	v_mov_b32_e32 v1, v15
.LBB69_42:                              ; =>This Inner Loop Header: Depth=1
	s_load_dwordx8 s[8:15], s[52:53], 0x4
	s_load_dwordx4 s[28:31], s[52:53], 0x24
	s_load_dwordx8 s[0:7], s[54:55], 0x0
	s_add_u32 s52, s52, 48
	s_addc_u32 s53, s53, 0
	s_waitcnt lgkmcnt(0)
	v_mul_hi_u32 v3, s9, v1
	s_add_i32 s61, s61, 4
	s_add_u32 s54, s54, 32
	s_addc_u32 s55, s55, 0
	v_add_u32_e32 v3, v1, v3
	v_lshrrev_b32_e32 v3, s10, v3
	v_mul_lo_u32 v4, v3, s8
	v_mul_hi_u32 v5, s12, v3
	s_cmp_eq_u32 s59, s61
	v_sub_u32_e32 v1, v1, v4
	v_add_u32_e32 v4, v3, v5
	v_mul_lo_u32 v5, v1, s0
	v_mul_lo_u32 v6, v1, s1
	v_lshrrev_b32_e32 v1, s13, v4
	v_mul_lo_u32 v4, v1, s11
	v_mul_hi_u32 v7, s15, v1
	v_sub_u32_e32 v3, v3, v4
	v_add_u32_e32 v4, v1, v7
	v_lshrrev_b32_e32 v4, s28, v4
	v_mul_hi_u32 v8, s30, v4
	v_mul_lo_u32 v9, v4, s14
	v_mul_lo_u32 v7, v3, s2
	;; [unrolled: 1-line block ×3, first 2 shown]
	v_sub_u32_e32 v9, v1, v9
	v_add_u32_e32 v1, v4, v8
	v_lshrrev_b32_e32 v1, s31, v1
	v_mul_lo_u32 v8, v1, s29
	v_mul_lo_u32 v10, v9, s4
	;; [unrolled: 1-line block ×3, first 2 shown]
	v_add3_u32 v0, v5, v0, v7
	v_sub_u32_e32 v4, v4, v8
	v_mul_lo_u32 v8, v4, s6
	v_mul_lo_u32 v4, v4, s7
	v_add3_u32 v2, v6, v2, v3
	v_add3_u32 v0, v10, v0, v8
	;; [unrolled: 1-line block ×3, first 2 shown]
	s_cbranch_scc0 .LBB69_42
	s_branch .LBB69_47
.LBB69_43:
	s_waitcnt vmcnt(0)
	v_cmp_gt_i16_e32 vcc, s41, v1
	s_andn2_b64 s[2:3], s[2:3], exec
	s_and_b64 s[4:5], vcc, exec
	s_or_b64 s[2:3], s[2:3], s[4:5]
	s_cbranch_execz .LBB69_36
	s_branch .LBB69_37
.LBB69_44:
                                        ; implicit-def: $vgpr0
                                        ; implicit-def: $vgpr2
	s_branch .LBB69_51
.LBB69_45:
	v_mov_b32_e32 v0, 0
	v_mov_b32_e32 v2, 0
	s_branch .LBB69_50
.LBB69_46:
	s_mov_b32 s59, 0
	v_mov_b32_e32 v0, 0
	v_mov_b32_e32 v2, 0
	;; [unrolled: 1-line block ×3, first 2 shown]
.LBB69_47:
	s_and_b32 s4, s60, 3
	s_cmp_eq_u32 s4, 0
	s_cbranch_scc1 .LBB69_50
; %bb.48:
	s_lshl_b32 s0, s59, 3
	s_add_u32 s0, s34, s0
	s_addc_u32 s1, s35, 0
	s_add_u32 s0, s0, 0xc4
	s_addc_u32 s1, s1, 0
	s_mul_i32 s2, s59, 12
	s_add_u32 s2, s34, s2
	s_addc_u32 s3, s35, 0
.LBB69_49:                              ; =>This Inner Loop Header: Depth=1
	s_load_dwordx2 s[6:7], s[2:3], 0x4
	s_load_dword s5, s[2:3], 0xc
	s_load_dwordx2 s[8:9], s[0:1], 0x0
	s_add_u32 s2, s2, 12
	s_addc_u32 s3, s3, 0
	s_waitcnt lgkmcnt(0)
	v_mul_hi_u32 v3, s7, v1
	s_add_u32 s0, s0, 8
	s_addc_u32 s1, s1, 0
	s_add_i32 s4, s4, -1
	v_add_u32_e32 v3, v1, v3
	v_lshrrev_b32_e32 v4, s5, v3
	v_mul_lo_u32 v3, v4, s6
	s_cmp_lg_u32 s4, 0
	v_sub_u32_e32 v3, v1, v3
	v_mad_u64_u32 v[0:1], s[6:7], v3, s8, v[0:1]
	v_mad_u64_u32 v[2:3], s[6:7], v3, s9, v[2:3]
	v_mov_b32_e32 v1, v4
	s_cbranch_scc1 .LBB69_49
.LBB69_50:
	s_cbranch_execnz .LBB69_53
.LBB69_51:
	s_waitcnt lgkmcnt(0)
	v_mul_hi_u32 v0, s25, v15
	s_andn2_b64 vcc, exec, s[44:45]
	v_add_u32_e32 v0, v15, v0
	v_lshrrev_b32_e32 v1, s26, v0
	v_mul_lo_u32 v0, v1, s24
	v_sub_u32_e32 v2, v15, v0
	v_mul_lo_u32 v0, v2, s20
	v_mul_lo_u32 v2, v2, s21
	s_cbranch_vccnz .LBB69_53
; %bb.52:
	v_mul_hi_u32 v3, s42, v1
	v_add_u32_e32 v3, v1, v3
	v_lshrrev_b32_e32 v3, s43, v3
	v_mul_lo_u32 v3, v3, s27
	v_sub_u32_e32 v3, v1, v3
	v_mad_u64_u32 v[0:1], s[0:1], v3, s22, v[0:1]
	v_mad_u64_u32 v[2:3], s[0:1], v3, s23, v[2:3]
.LBB69_53:
	s_waitcnt lgkmcnt(0)
	global_load_ushort v1, v2, s[18:19]
	s_cmp_lt_i32 s40, 1
	s_mov_b64 s[0:1], 0
	s_cbranch_scc1 .LBB69_57
; %bb.54:
	s_cmp_gt_i32 s40, 1
	s_cbranch_scc0 .LBB69_58
; %bb.55:
	s_cmp_eq_u32 s40, 2
	s_cbranch_scc0 .LBB69_471
; %bb.56:
	s_waitcnt vmcnt(0)
	v_cmp_ge_i16_e64 s[2:3], s41, v1
	s_mov_b64 s[4:5], 0
	s_branch .LBB69_60
.LBB69_57:
                                        ; implicit-def: $sgpr2_sgpr3
	s_mov_b64 s[4:5], 0
	s_cbranch_execnz .LBB69_61
	s_branch .LBB69_62
.LBB69_58:
	s_mov_b64 s[4:5], 0
                                        ; implicit-def: $sgpr2_sgpr3
	s_cbranch_execz .LBB69_60
; %bb.59:
	s_waitcnt vmcnt(0)
	v_cmp_lt_i16_e32 vcc, s41, v1
	s_andn2_b64 s[2:3], s[2:3], exec
	s_and_b64 s[6:7], vcc, exec
	s_or_b64 s[2:3], s[2:3], s[6:7]
.LBB69_60:
	s_branch .LBB69_62
.LBB69_61:
	s_cmp_lg_u32 s40, 0
	s_mov_b64 s[0:1], -1
	s_cselect_b64 s[4:5], -1, 0
.LBB69_62:
	s_andn2_b64 vcc, exec, s[4:5]
	s_cbranch_vccz .LBB69_71
; %bb.63:
	s_andn2_b64 vcc, exec, s[0:1]
	s_cbranch_vccnz .LBB69_65
.LBB69_64:
	s_waitcnt vmcnt(0)
	v_cmp_le_i16_e32 vcc, s41, v1
	s_andn2_b64 s[0:1], s[2:3], exec
	s_and_b64 s[2:3], vcc, exec
	s_or_b64 s[2:3], s[0:1], s[2:3]
.LBB69_65:
	s_waitcnt vmcnt(0)
	v_cndmask_b32_e64 v1, 0, 1, s[2:3]
	v_add_u32_e32 v15, 0x80, v15
	global_store_byte v0, v1, s[16:17]
	s_or_b64 exec, exec, s[50:51]
	v_cmp_gt_i32_e32 vcc, s57, v15
	s_and_saveexec_b64 s[50:51], vcc
	s_cbranch_execz .LBB69_4
.LBB69_66:
	s_andn2_b64 vcc, exec, s[36:37]
	s_cbranch_vccnz .LBB69_72
; %bb.67:
	s_andn2_b64 vcc, exec, s[48:49]
	s_cbranch_vccnz .LBB69_73
; %bb.68:
	s_add_i32 s60, s58, 1
	s_cmp_eq_u32 s56, 2
	s_cbranch_scc1 .LBB69_74
; %bb.69:
	s_and_b32 s59, s60, 28
	v_mov_b32_e32 v2, 0
	s_mov_b32 s61, 0
	s_mov_b64 s[52:53], s[34:35]
	s_mov_b64 s[54:55], s[46:47]
	v_mov_b32_e32 v0, 0
	v_mov_b32_e32 v1, v15
.LBB69_70:                              ; =>This Inner Loop Header: Depth=1
	s_load_dwordx8 s[8:15], s[52:53], 0x4
	s_load_dwordx4 s[28:31], s[52:53], 0x24
	s_load_dwordx8 s[0:7], s[54:55], 0x0
	s_add_u32 s52, s52, 48
	s_addc_u32 s53, s53, 0
	s_waitcnt lgkmcnt(0)
	v_mul_hi_u32 v3, s9, v1
	s_add_i32 s61, s61, 4
	s_add_u32 s54, s54, 32
	s_addc_u32 s55, s55, 0
	v_add_u32_e32 v3, v1, v3
	v_lshrrev_b32_e32 v3, s10, v3
	v_mul_lo_u32 v4, v3, s8
	v_mul_hi_u32 v5, s12, v3
	s_cmp_eq_u32 s59, s61
	v_sub_u32_e32 v1, v1, v4
	v_add_u32_e32 v4, v3, v5
	v_mul_lo_u32 v5, v1, s0
	v_mul_lo_u32 v6, v1, s1
	v_lshrrev_b32_e32 v1, s13, v4
	v_mul_lo_u32 v4, v1, s11
	v_mul_hi_u32 v7, s15, v1
	v_sub_u32_e32 v3, v3, v4
	v_add_u32_e32 v4, v1, v7
	v_lshrrev_b32_e32 v4, s28, v4
	v_mul_hi_u32 v8, s30, v4
	v_mul_lo_u32 v9, v4, s14
	v_mul_lo_u32 v7, v3, s2
	;; [unrolled: 1-line block ×3, first 2 shown]
	v_sub_u32_e32 v9, v1, v9
	v_add_u32_e32 v1, v4, v8
	v_lshrrev_b32_e32 v1, s31, v1
	v_mul_lo_u32 v8, v1, s29
	v_mul_lo_u32 v10, v9, s4
	;; [unrolled: 1-line block ×3, first 2 shown]
	v_add3_u32 v0, v5, v0, v7
	v_sub_u32_e32 v4, v4, v8
	v_mul_lo_u32 v8, v4, s6
	v_mul_lo_u32 v4, v4, s7
	v_add3_u32 v2, v6, v2, v3
	v_add3_u32 v0, v10, v0, v8
	;; [unrolled: 1-line block ×3, first 2 shown]
	s_cbranch_scc0 .LBB69_70
	s_branch .LBB69_75
.LBB69_71:
	s_waitcnt vmcnt(0)
	v_cmp_gt_i16_e32 vcc, s41, v1
	s_andn2_b64 s[2:3], s[2:3], exec
	s_and_b64 s[4:5], vcc, exec
	s_or_b64 s[2:3], s[2:3], s[4:5]
	s_cbranch_execz .LBB69_64
	s_branch .LBB69_65
.LBB69_72:
                                        ; implicit-def: $vgpr0
                                        ; implicit-def: $vgpr2
	s_branch .LBB69_79
.LBB69_73:
	v_mov_b32_e32 v0, 0
	v_mov_b32_e32 v2, 0
	s_branch .LBB69_78
.LBB69_74:
	s_mov_b32 s59, 0
	v_mov_b32_e32 v0, 0
	v_mov_b32_e32 v2, 0
	;; [unrolled: 1-line block ×3, first 2 shown]
.LBB69_75:
	s_and_b32 s4, s60, 3
	s_cmp_eq_u32 s4, 0
	s_cbranch_scc1 .LBB69_78
; %bb.76:
	s_lshl_b32 s0, s59, 3
	s_add_u32 s0, s34, s0
	s_addc_u32 s1, s35, 0
	s_add_u32 s0, s0, 0xc4
	s_addc_u32 s1, s1, 0
	s_mul_i32 s2, s59, 12
	s_add_u32 s2, s34, s2
	s_addc_u32 s3, s35, 0
.LBB69_77:                              ; =>This Inner Loop Header: Depth=1
	s_load_dwordx2 s[6:7], s[2:3], 0x4
	s_load_dword s5, s[2:3], 0xc
	s_load_dwordx2 s[8:9], s[0:1], 0x0
	s_add_u32 s2, s2, 12
	s_addc_u32 s3, s3, 0
	s_waitcnt lgkmcnt(0)
	v_mul_hi_u32 v3, s7, v1
	s_add_u32 s0, s0, 8
	s_addc_u32 s1, s1, 0
	s_add_i32 s4, s4, -1
	v_add_u32_e32 v3, v1, v3
	v_lshrrev_b32_e32 v4, s5, v3
	v_mul_lo_u32 v3, v4, s6
	s_cmp_lg_u32 s4, 0
	v_sub_u32_e32 v3, v1, v3
	v_mad_u64_u32 v[0:1], s[6:7], v3, s8, v[0:1]
	v_mad_u64_u32 v[2:3], s[6:7], v3, s9, v[2:3]
	v_mov_b32_e32 v1, v4
	s_cbranch_scc1 .LBB69_77
.LBB69_78:
	s_cbranch_execnz .LBB69_81
.LBB69_79:
	s_waitcnt lgkmcnt(0)
	v_mul_hi_u32 v0, s25, v15
	s_andn2_b64 vcc, exec, s[44:45]
	v_add_u32_e32 v0, v15, v0
	v_lshrrev_b32_e32 v1, s26, v0
	v_mul_lo_u32 v0, v1, s24
	v_sub_u32_e32 v2, v15, v0
	v_mul_lo_u32 v0, v2, s20
	v_mul_lo_u32 v2, v2, s21
	s_cbranch_vccnz .LBB69_81
; %bb.80:
	v_mul_hi_u32 v3, s42, v1
	v_add_u32_e32 v3, v1, v3
	v_lshrrev_b32_e32 v3, s43, v3
	v_mul_lo_u32 v3, v3, s27
	v_sub_u32_e32 v3, v1, v3
	v_mad_u64_u32 v[0:1], s[0:1], v3, s22, v[0:1]
	v_mad_u64_u32 v[2:3], s[0:1], v3, s23, v[2:3]
.LBB69_81:
	s_waitcnt lgkmcnt(0)
	global_load_ushort v1, v2, s[18:19]
	s_cmp_lt_i32 s40, 1
	s_mov_b64 s[0:1], 0
	s_cbranch_scc1 .LBB69_85
; %bb.82:
	s_cmp_gt_i32 s40, 1
	s_cbranch_scc0 .LBB69_86
; %bb.83:
	s_cmp_eq_u32 s40, 2
	s_cbranch_scc0 .LBB69_472
; %bb.84:
	s_waitcnt vmcnt(0)
	v_cmp_ge_i16_e64 s[2:3], s41, v1
	s_mov_b64 s[4:5], 0
	s_branch .LBB69_88
.LBB69_85:
                                        ; implicit-def: $sgpr2_sgpr3
	s_mov_b64 s[4:5], 0
	s_cbranch_execnz .LBB69_89
	s_branch .LBB69_90
.LBB69_86:
	s_mov_b64 s[4:5], 0
                                        ; implicit-def: $sgpr2_sgpr3
	s_cbranch_execz .LBB69_88
; %bb.87:
	s_waitcnt vmcnt(0)
	v_cmp_lt_i16_e32 vcc, s41, v1
	s_andn2_b64 s[2:3], s[2:3], exec
	s_and_b64 s[6:7], vcc, exec
	s_or_b64 s[2:3], s[2:3], s[6:7]
.LBB69_88:
	s_branch .LBB69_90
.LBB69_89:
	s_cmp_lg_u32 s40, 0
	s_mov_b64 s[0:1], -1
	s_cselect_b64 s[4:5], -1, 0
.LBB69_90:
	s_andn2_b64 vcc, exec, s[4:5]
	s_cbranch_vccz .LBB69_99
; %bb.91:
	s_andn2_b64 vcc, exec, s[0:1]
	s_cbranch_vccnz .LBB69_93
.LBB69_92:
	s_waitcnt vmcnt(0)
	v_cmp_le_i16_e32 vcc, s41, v1
	s_andn2_b64 s[0:1], s[2:3], exec
	s_and_b64 s[2:3], vcc, exec
	s_or_b64 s[2:3], s[0:1], s[2:3]
.LBB69_93:
	s_waitcnt vmcnt(0)
	v_cndmask_b32_e64 v1, 0, 1, s[2:3]
	v_add_u32_e32 v15, 0x80, v15
	global_store_byte v0, v1, s[16:17]
	s_or_b64 exec, exec, s[50:51]
	v_cmp_gt_i32_e32 vcc, s57, v15
	s_and_saveexec_b64 s[50:51], vcc
	s_cbranch_execz .LBB69_5
.LBB69_94:
	s_andn2_b64 vcc, exec, s[36:37]
	s_cbranch_vccnz .LBB69_100
; %bb.95:
	s_andn2_b64 vcc, exec, s[48:49]
	s_cbranch_vccnz .LBB69_101
; %bb.96:
	s_add_i32 s60, s58, 1
	s_cmp_eq_u32 s56, 2
	s_cbranch_scc1 .LBB69_102
; %bb.97:
	s_and_b32 s59, s60, 28
	v_mov_b32_e32 v2, 0
	s_mov_b32 s61, 0
	s_mov_b64 s[52:53], s[34:35]
	s_mov_b64 s[54:55], s[46:47]
	v_mov_b32_e32 v0, 0
	v_mov_b32_e32 v1, v15
.LBB69_98:                              ; =>This Inner Loop Header: Depth=1
	s_load_dwordx8 s[8:15], s[52:53], 0x4
	s_load_dwordx4 s[28:31], s[52:53], 0x24
	s_load_dwordx8 s[0:7], s[54:55], 0x0
	s_add_u32 s52, s52, 48
	s_addc_u32 s53, s53, 0
	s_waitcnt lgkmcnt(0)
	v_mul_hi_u32 v3, s9, v1
	s_add_i32 s61, s61, 4
	s_add_u32 s54, s54, 32
	s_addc_u32 s55, s55, 0
	v_add_u32_e32 v3, v1, v3
	v_lshrrev_b32_e32 v3, s10, v3
	v_mul_lo_u32 v4, v3, s8
	v_mul_hi_u32 v5, s12, v3
	s_cmp_eq_u32 s59, s61
	v_sub_u32_e32 v1, v1, v4
	v_add_u32_e32 v4, v3, v5
	v_mul_lo_u32 v5, v1, s0
	v_mul_lo_u32 v6, v1, s1
	v_lshrrev_b32_e32 v1, s13, v4
	v_mul_lo_u32 v4, v1, s11
	v_mul_hi_u32 v7, s15, v1
	v_sub_u32_e32 v3, v3, v4
	v_add_u32_e32 v4, v1, v7
	v_lshrrev_b32_e32 v4, s28, v4
	v_mul_hi_u32 v8, s30, v4
	v_mul_lo_u32 v9, v4, s14
	v_mul_lo_u32 v7, v3, s2
	;; [unrolled: 1-line block ×3, first 2 shown]
	v_sub_u32_e32 v9, v1, v9
	v_add_u32_e32 v1, v4, v8
	v_lshrrev_b32_e32 v1, s31, v1
	v_mul_lo_u32 v8, v1, s29
	v_mul_lo_u32 v10, v9, s4
	;; [unrolled: 1-line block ×3, first 2 shown]
	v_add3_u32 v0, v5, v0, v7
	v_sub_u32_e32 v4, v4, v8
	v_mul_lo_u32 v8, v4, s6
	v_mul_lo_u32 v4, v4, s7
	v_add3_u32 v2, v6, v2, v3
	v_add3_u32 v0, v10, v0, v8
	;; [unrolled: 1-line block ×3, first 2 shown]
	s_cbranch_scc0 .LBB69_98
	s_branch .LBB69_103
.LBB69_99:
	s_waitcnt vmcnt(0)
	v_cmp_gt_i16_e32 vcc, s41, v1
	s_andn2_b64 s[2:3], s[2:3], exec
	s_and_b64 s[4:5], vcc, exec
	s_or_b64 s[2:3], s[2:3], s[4:5]
	s_cbranch_execz .LBB69_92
	s_branch .LBB69_93
.LBB69_100:
                                        ; implicit-def: $vgpr0
                                        ; implicit-def: $vgpr2
	s_branch .LBB69_107
.LBB69_101:
	v_mov_b32_e32 v0, 0
	v_mov_b32_e32 v2, 0
	s_branch .LBB69_106
.LBB69_102:
	s_mov_b32 s59, 0
	v_mov_b32_e32 v0, 0
	v_mov_b32_e32 v2, 0
	v_mov_b32_e32 v1, v15
.LBB69_103:
	s_and_b32 s4, s60, 3
	s_cmp_eq_u32 s4, 0
	s_cbranch_scc1 .LBB69_106
; %bb.104:
	s_lshl_b32 s0, s59, 3
	s_add_u32 s0, s34, s0
	s_addc_u32 s1, s35, 0
	s_add_u32 s0, s0, 0xc4
	s_addc_u32 s1, s1, 0
	s_mul_i32 s2, s59, 12
	s_add_u32 s2, s34, s2
	s_addc_u32 s3, s35, 0
.LBB69_105:                             ; =>This Inner Loop Header: Depth=1
	s_load_dwordx2 s[6:7], s[2:3], 0x4
	s_load_dword s5, s[2:3], 0xc
	s_load_dwordx2 s[8:9], s[0:1], 0x0
	s_add_u32 s2, s2, 12
	s_addc_u32 s3, s3, 0
	s_waitcnt lgkmcnt(0)
	v_mul_hi_u32 v3, s7, v1
	s_add_u32 s0, s0, 8
	s_addc_u32 s1, s1, 0
	s_add_i32 s4, s4, -1
	v_add_u32_e32 v3, v1, v3
	v_lshrrev_b32_e32 v4, s5, v3
	v_mul_lo_u32 v3, v4, s6
	s_cmp_lg_u32 s4, 0
	v_sub_u32_e32 v3, v1, v3
	v_mad_u64_u32 v[0:1], s[6:7], v3, s8, v[0:1]
	v_mad_u64_u32 v[2:3], s[6:7], v3, s9, v[2:3]
	v_mov_b32_e32 v1, v4
	s_cbranch_scc1 .LBB69_105
.LBB69_106:
	s_cbranch_execnz .LBB69_109
.LBB69_107:
	s_waitcnt lgkmcnt(0)
	v_mul_hi_u32 v0, s25, v15
	s_andn2_b64 vcc, exec, s[44:45]
	v_add_u32_e32 v0, v15, v0
	v_lshrrev_b32_e32 v1, s26, v0
	v_mul_lo_u32 v0, v1, s24
	v_sub_u32_e32 v2, v15, v0
	v_mul_lo_u32 v0, v2, s20
	v_mul_lo_u32 v2, v2, s21
	s_cbranch_vccnz .LBB69_109
; %bb.108:
	v_mul_hi_u32 v3, s42, v1
	v_add_u32_e32 v3, v1, v3
	v_lshrrev_b32_e32 v3, s43, v3
	v_mul_lo_u32 v3, v3, s27
	v_sub_u32_e32 v3, v1, v3
	v_mad_u64_u32 v[0:1], s[0:1], v3, s22, v[0:1]
	v_mad_u64_u32 v[2:3], s[0:1], v3, s23, v[2:3]
.LBB69_109:
	s_waitcnt lgkmcnt(0)
	global_load_ushort v1, v2, s[18:19]
	s_cmp_lt_i32 s40, 1
	s_mov_b64 s[0:1], 0
	s_cbranch_scc1 .LBB69_113
; %bb.110:
	s_cmp_gt_i32 s40, 1
	s_cbranch_scc0 .LBB69_114
; %bb.111:
	s_cmp_eq_u32 s40, 2
	s_cbranch_scc0 .LBB69_473
; %bb.112:
	s_waitcnt vmcnt(0)
	v_cmp_ge_i16_e64 s[2:3], s41, v1
	s_mov_b64 s[4:5], 0
	s_branch .LBB69_116
.LBB69_113:
                                        ; implicit-def: $sgpr2_sgpr3
	s_mov_b64 s[4:5], 0
	s_cbranch_execnz .LBB69_117
	s_branch .LBB69_118
.LBB69_114:
	s_mov_b64 s[4:5], 0
                                        ; implicit-def: $sgpr2_sgpr3
	s_cbranch_execz .LBB69_116
; %bb.115:
	s_waitcnt vmcnt(0)
	v_cmp_lt_i16_e32 vcc, s41, v1
	s_andn2_b64 s[2:3], s[2:3], exec
	s_and_b64 s[6:7], vcc, exec
	s_or_b64 s[2:3], s[2:3], s[6:7]
.LBB69_116:
	s_branch .LBB69_118
.LBB69_117:
	s_cmp_lg_u32 s40, 0
	s_mov_b64 s[0:1], -1
	s_cselect_b64 s[4:5], -1, 0
.LBB69_118:
	s_andn2_b64 vcc, exec, s[4:5]
	s_cbranch_vccz .LBB69_127
; %bb.119:
	s_andn2_b64 vcc, exec, s[0:1]
	s_cbranch_vccnz .LBB69_121
.LBB69_120:
	s_waitcnt vmcnt(0)
	v_cmp_le_i16_e32 vcc, s41, v1
	s_andn2_b64 s[0:1], s[2:3], exec
	s_and_b64 s[2:3], vcc, exec
	s_or_b64 s[2:3], s[0:1], s[2:3]
.LBB69_121:
	s_waitcnt vmcnt(0)
	v_cndmask_b32_e64 v1, 0, 1, s[2:3]
	v_add_u32_e32 v15, 0x80, v15
	global_store_byte v0, v1, s[16:17]
	s_or_b64 exec, exec, s[50:51]
	v_cmp_gt_i32_e32 vcc, s57, v15
	s_and_saveexec_b64 s[50:51], vcc
	s_cbranch_execz .LBB69_6
.LBB69_122:
	s_andn2_b64 vcc, exec, s[36:37]
	s_cbranch_vccnz .LBB69_128
; %bb.123:
	s_andn2_b64 vcc, exec, s[48:49]
	s_cbranch_vccnz .LBB69_129
; %bb.124:
	s_add_i32 s60, s58, 1
	s_cmp_eq_u32 s56, 2
	s_cbranch_scc1 .LBB69_130
; %bb.125:
	s_and_b32 s59, s60, 28
	v_mov_b32_e32 v2, 0
	s_mov_b32 s61, 0
	s_mov_b64 s[52:53], s[34:35]
	s_mov_b64 s[54:55], s[46:47]
	v_mov_b32_e32 v0, 0
	v_mov_b32_e32 v1, v15
.LBB69_126:                             ; =>This Inner Loop Header: Depth=1
	s_load_dwordx8 s[8:15], s[52:53], 0x4
	s_load_dwordx4 s[28:31], s[52:53], 0x24
	s_load_dwordx8 s[0:7], s[54:55], 0x0
	s_add_u32 s52, s52, 48
	s_addc_u32 s53, s53, 0
	s_waitcnt lgkmcnt(0)
	v_mul_hi_u32 v3, s9, v1
	s_add_i32 s61, s61, 4
	s_add_u32 s54, s54, 32
	s_addc_u32 s55, s55, 0
	v_add_u32_e32 v3, v1, v3
	v_lshrrev_b32_e32 v3, s10, v3
	v_mul_lo_u32 v4, v3, s8
	v_mul_hi_u32 v5, s12, v3
	s_cmp_eq_u32 s59, s61
	v_sub_u32_e32 v1, v1, v4
	v_add_u32_e32 v4, v3, v5
	v_mul_lo_u32 v5, v1, s0
	v_mul_lo_u32 v6, v1, s1
	v_lshrrev_b32_e32 v1, s13, v4
	v_mul_lo_u32 v4, v1, s11
	v_mul_hi_u32 v7, s15, v1
	v_sub_u32_e32 v3, v3, v4
	v_add_u32_e32 v4, v1, v7
	v_lshrrev_b32_e32 v4, s28, v4
	v_mul_hi_u32 v8, s30, v4
	v_mul_lo_u32 v9, v4, s14
	v_mul_lo_u32 v7, v3, s2
	;; [unrolled: 1-line block ×3, first 2 shown]
	v_sub_u32_e32 v9, v1, v9
	v_add_u32_e32 v1, v4, v8
	v_lshrrev_b32_e32 v1, s31, v1
	v_mul_lo_u32 v8, v1, s29
	v_mul_lo_u32 v10, v9, s4
	;; [unrolled: 1-line block ×3, first 2 shown]
	v_add3_u32 v0, v5, v0, v7
	v_sub_u32_e32 v4, v4, v8
	v_mul_lo_u32 v8, v4, s6
	v_mul_lo_u32 v4, v4, s7
	v_add3_u32 v2, v6, v2, v3
	v_add3_u32 v0, v10, v0, v8
	;; [unrolled: 1-line block ×3, first 2 shown]
	s_cbranch_scc0 .LBB69_126
	s_branch .LBB69_131
.LBB69_127:
	s_waitcnt vmcnt(0)
	v_cmp_gt_i16_e32 vcc, s41, v1
	s_andn2_b64 s[2:3], s[2:3], exec
	s_and_b64 s[4:5], vcc, exec
	s_or_b64 s[2:3], s[2:3], s[4:5]
	s_cbranch_execz .LBB69_120
	s_branch .LBB69_121
.LBB69_128:
                                        ; implicit-def: $vgpr0
                                        ; implicit-def: $vgpr2
	s_branch .LBB69_135
.LBB69_129:
	v_mov_b32_e32 v0, 0
	v_mov_b32_e32 v2, 0
	s_branch .LBB69_134
.LBB69_130:
	s_mov_b32 s59, 0
	v_mov_b32_e32 v0, 0
	v_mov_b32_e32 v2, 0
	;; [unrolled: 1-line block ×3, first 2 shown]
.LBB69_131:
	s_and_b32 s4, s60, 3
	s_cmp_eq_u32 s4, 0
	s_cbranch_scc1 .LBB69_134
; %bb.132:
	s_lshl_b32 s0, s59, 3
	s_add_u32 s0, s34, s0
	s_addc_u32 s1, s35, 0
	s_add_u32 s0, s0, 0xc4
	s_addc_u32 s1, s1, 0
	s_mul_i32 s2, s59, 12
	s_add_u32 s2, s34, s2
	s_addc_u32 s3, s35, 0
.LBB69_133:                             ; =>This Inner Loop Header: Depth=1
	s_load_dwordx2 s[6:7], s[2:3], 0x4
	s_load_dword s5, s[2:3], 0xc
	s_load_dwordx2 s[8:9], s[0:1], 0x0
	s_add_u32 s2, s2, 12
	s_addc_u32 s3, s3, 0
	s_waitcnt lgkmcnt(0)
	v_mul_hi_u32 v3, s7, v1
	s_add_u32 s0, s0, 8
	s_addc_u32 s1, s1, 0
	s_add_i32 s4, s4, -1
	v_add_u32_e32 v3, v1, v3
	v_lshrrev_b32_e32 v4, s5, v3
	v_mul_lo_u32 v3, v4, s6
	s_cmp_lg_u32 s4, 0
	v_sub_u32_e32 v3, v1, v3
	v_mad_u64_u32 v[0:1], s[6:7], v3, s8, v[0:1]
	v_mad_u64_u32 v[2:3], s[6:7], v3, s9, v[2:3]
	v_mov_b32_e32 v1, v4
	s_cbranch_scc1 .LBB69_133
.LBB69_134:
	s_cbranch_execnz .LBB69_137
.LBB69_135:
	s_waitcnt lgkmcnt(0)
	v_mul_hi_u32 v0, s25, v15
	s_andn2_b64 vcc, exec, s[44:45]
	v_add_u32_e32 v0, v15, v0
	v_lshrrev_b32_e32 v1, s26, v0
	v_mul_lo_u32 v0, v1, s24
	v_sub_u32_e32 v2, v15, v0
	v_mul_lo_u32 v0, v2, s20
	v_mul_lo_u32 v2, v2, s21
	s_cbranch_vccnz .LBB69_137
; %bb.136:
	v_mul_hi_u32 v3, s42, v1
	v_add_u32_e32 v3, v1, v3
	v_lshrrev_b32_e32 v3, s43, v3
	v_mul_lo_u32 v3, v3, s27
	v_sub_u32_e32 v3, v1, v3
	v_mad_u64_u32 v[0:1], s[0:1], v3, s22, v[0:1]
	v_mad_u64_u32 v[2:3], s[0:1], v3, s23, v[2:3]
.LBB69_137:
	s_waitcnt lgkmcnt(0)
	global_load_ushort v1, v2, s[18:19]
	s_cmp_lt_i32 s40, 1
	s_mov_b64 s[0:1], 0
	s_cbranch_scc1 .LBB69_141
; %bb.138:
	s_cmp_gt_i32 s40, 1
	s_cbranch_scc0 .LBB69_142
; %bb.139:
	s_cmp_eq_u32 s40, 2
	s_cbranch_scc0 .LBB69_474
; %bb.140:
	s_waitcnt vmcnt(0)
	v_cmp_ge_i16_e64 s[2:3], s41, v1
	s_mov_b64 s[4:5], 0
	s_branch .LBB69_144
.LBB69_141:
                                        ; implicit-def: $sgpr2_sgpr3
	s_mov_b64 s[4:5], 0
	s_cbranch_execnz .LBB69_145
	s_branch .LBB69_146
.LBB69_142:
	s_mov_b64 s[4:5], 0
                                        ; implicit-def: $sgpr2_sgpr3
	s_cbranch_execz .LBB69_144
; %bb.143:
	s_waitcnt vmcnt(0)
	v_cmp_lt_i16_e32 vcc, s41, v1
	s_andn2_b64 s[2:3], s[2:3], exec
	s_and_b64 s[6:7], vcc, exec
	s_or_b64 s[2:3], s[2:3], s[6:7]
.LBB69_144:
	s_branch .LBB69_146
.LBB69_145:
	s_cmp_lg_u32 s40, 0
	s_mov_b64 s[0:1], -1
	s_cselect_b64 s[4:5], -1, 0
.LBB69_146:
	s_andn2_b64 vcc, exec, s[4:5]
	s_cbranch_vccz .LBB69_155
; %bb.147:
	s_andn2_b64 vcc, exec, s[0:1]
	s_cbranch_vccnz .LBB69_149
.LBB69_148:
	s_waitcnt vmcnt(0)
	v_cmp_le_i16_e32 vcc, s41, v1
	s_andn2_b64 s[0:1], s[2:3], exec
	s_and_b64 s[2:3], vcc, exec
	s_or_b64 s[2:3], s[0:1], s[2:3]
.LBB69_149:
	s_waitcnt vmcnt(0)
	v_cndmask_b32_e64 v1, 0, 1, s[2:3]
	v_add_u32_e32 v15, 0x80, v15
	global_store_byte v0, v1, s[16:17]
	s_or_b64 exec, exec, s[50:51]
	v_cmp_gt_i32_e32 vcc, s57, v15
	s_and_saveexec_b64 s[50:51], vcc
	s_cbranch_execz .LBB69_7
.LBB69_150:
	s_andn2_b64 vcc, exec, s[36:37]
	s_cbranch_vccnz .LBB69_156
; %bb.151:
	s_andn2_b64 vcc, exec, s[48:49]
	s_cbranch_vccnz .LBB69_157
; %bb.152:
	s_add_i32 s60, s58, 1
	s_cmp_eq_u32 s56, 2
	s_cbranch_scc1 .LBB69_158
; %bb.153:
	s_and_b32 s59, s60, 28
	v_mov_b32_e32 v2, 0
	s_mov_b32 s61, 0
	s_mov_b64 s[52:53], s[34:35]
	s_mov_b64 s[54:55], s[46:47]
	v_mov_b32_e32 v0, 0
	v_mov_b32_e32 v1, v15
.LBB69_154:                             ; =>This Inner Loop Header: Depth=1
	s_load_dwordx8 s[8:15], s[52:53], 0x4
	s_load_dwordx4 s[28:31], s[52:53], 0x24
	s_load_dwordx8 s[0:7], s[54:55], 0x0
	s_add_u32 s52, s52, 48
	s_addc_u32 s53, s53, 0
	s_waitcnt lgkmcnt(0)
	v_mul_hi_u32 v3, s9, v1
	s_add_i32 s61, s61, 4
	s_add_u32 s54, s54, 32
	s_addc_u32 s55, s55, 0
	v_add_u32_e32 v3, v1, v3
	v_lshrrev_b32_e32 v3, s10, v3
	v_mul_lo_u32 v4, v3, s8
	v_mul_hi_u32 v5, s12, v3
	s_cmp_eq_u32 s59, s61
	v_sub_u32_e32 v1, v1, v4
	v_add_u32_e32 v4, v3, v5
	v_mul_lo_u32 v5, v1, s0
	v_mul_lo_u32 v6, v1, s1
	v_lshrrev_b32_e32 v1, s13, v4
	v_mul_lo_u32 v4, v1, s11
	v_mul_hi_u32 v7, s15, v1
	v_sub_u32_e32 v3, v3, v4
	v_add_u32_e32 v4, v1, v7
	v_lshrrev_b32_e32 v4, s28, v4
	v_mul_hi_u32 v8, s30, v4
	v_mul_lo_u32 v9, v4, s14
	v_mul_lo_u32 v7, v3, s2
	;; [unrolled: 1-line block ×3, first 2 shown]
	v_sub_u32_e32 v9, v1, v9
	v_add_u32_e32 v1, v4, v8
	v_lshrrev_b32_e32 v1, s31, v1
	v_mul_lo_u32 v8, v1, s29
	v_mul_lo_u32 v10, v9, s4
	;; [unrolled: 1-line block ×3, first 2 shown]
	v_add3_u32 v0, v5, v0, v7
	v_sub_u32_e32 v4, v4, v8
	v_mul_lo_u32 v8, v4, s6
	v_mul_lo_u32 v4, v4, s7
	v_add3_u32 v2, v6, v2, v3
	v_add3_u32 v0, v10, v0, v8
	;; [unrolled: 1-line block ×3, first 2 shown]
	s_cbranch_scc0 .LBB69_154
	s_branch .LBB69_159
.LBB69_155:
	s_waitcnt vmcnt(0)
	v_cmp_gt_i16_e32 vcc, s41, v1
	s_andn2_b64 s[2:3], s[2:3], exec
	s_and_b64 s[4:5], vcc, exec
	s_or_b64 s[2:3], s[2:3], s[4:5]
	s_cbranch_execz .LBB69_148
	s_branch .LBB69_149
.LBB69_156:
                                        ; implicit-def: $vgpr0
                                        ; implicit-def: $vgpr2
	s_branch .LBB69_163
.LBB69_157:
	v_mov_b32_e32 v0, 0
	v_mov_b32_e32 v2, 0
	s_branch .LBB69_162
.LBB69_158:
	s_mov_b32 s59, 0
	v_mov_b32_e32 v0, 0
	v_mov_b32_e32 v2, 0
	;; [unrolled: 1-line block ×3, first 2 shown]
.LBB69_159:
	s_and_b32 s4, s60, 3
	s_cmp_eq_u32 s4, 0
	s_cbranch_scc1 .LBB69_162
; %bb.160:
	s_lshl_b32 s0, s59, 3
	s_add_u32 s0, s34, s0
	s_addc_u32 s1, s35, 0
	s_add_u32 s0, s0, 0xc4
	s_addc_u32 s1, s1, 0
	s_mul_i32 s2, s59, 12
	s_add_u32 s2, s34, s2
	s_addc_u32 s3, s35, 0
.LBB69_161:                             ; =>This Inner Loop Header: Depth=1
	s_load_dwordx2 s[6:7], s[2:3], 0x4
	s_load_dword s5, s[2:3], 0xc
	s_load_dwordx2 s[8:9], s[0:1], 0x0
	s_add_u32 s2, s2, 12
	s_addc_u32 s3, s3, 0
	s_waitcnt lgkmcnt(0)
	v_mul_hi_u32 v3, s7, v1
	s_add_u32 s0, s0, 8
	s_addc_u32 s1, s1, 0
	s_add_i32 s4, s4, -1
	v_add_u32_e32 v3, v1, v3
	v_lshrrev_b32_e32 v4, s5, v3
	v_mul_lo_u32 v3, v4, s6
	s_cmp_lg_u32 s4, 0
	v_sub_u32_e32 v3, v1, v3
	v_mad_u64_u32 v[0:1], s[6:7], v3, s8, v[0:1]
	v_mad_u64_u32 v[2:3], s[6:7], v3, s9, v[2:3]
	v_mov_b32_e32 v1, v4
	s_cbranch_scc1 .LBB69_161
.LBB69_162:
	s_cbranch_execnz .LBB69_165
.LBB69_163:
	s_waitcnt lgkmcnt(0)
	v_mul_hi_u32 v0, s25, v15
	s_andn2_b64 vcc, exec, s[44:45]
	v_add_u32_e32 v0, v15, v0
	v_lshrrev_b32_e32 v1, s26, v0
	v_mul_lo_u32 v0, v1, s24
	v_sub_u32_e32 v2, v15, v0
	v_mul_lo_u32 v0, v2, s20
	v_mul_lo_u32 v2, v2, s21
	s_cbranch_vccnz .LBB69_165
; %bb.164:
	v_mul_hi_u32 v3, s42, v1
	v_add_u32_e32 v3, v1, v3
	v_lshrrev_b32_e32 v3, s43, v3
	v_mul_lo_u32 v3, v3, s27
	v_sub_u32_e32 v3, v1, v3
	v_mad_u64_u32 v[0:1], s[0:1], v3, s22, v[0:1]
	v_mad_u64_u32 v[2:3], s[0:1], v3, s23, v[2:3]
.LBB69_165:
	s_waitcnt lgkmcnt(0)
	global_load_ushort v1, v2, s[18:19]
	s_cmp_lt_i32 s40, 1
	s_mov_b64 s[0:1], 0
	s_cbranch_scc1 .LBB69_169
; %bb.166:
	s_cmp_gt_i32 s40, 1
	s_cbranch_scc0 .LBB69_170
; %bb.167:
	s_cmp_eq_u32 s40, 2
	s_cbranch_scc0 .LBB69_475
; %bb.168:
	s_waitcnt vmcnt(0)
	v_cmp_ge_i16_e64 s[2:3], s41, v1
	s_mov_b64 s[4:5], 0
	s_branch .LBB69_172
.LBB69_169:
                                        ; implicit-def: $sgpr2_sgpr3
	s_mov_b64 s[4:5], 0
	s_cbranch_execnz .LBB69_173
	s_branch .LBB69_174
.LBB69_170:
	s_mov_b64 s[4:5], 0
                                        ; implicit-def: $sgpr2_sgpr3
	s_cbranch_execz .LBB69_172
; %bb.171:
	s_waitcnt vmcnt(0)
	v_cmp_lt_i16_e32 vcc, s41, v1
	s_andn2_b64 s[2:3], s[2:3], exec
	s_and_b64 s[6:7], vcc, exec
	s_or_b64 s[2:3], s[2:3], s[6:7]
.LBB69_172:
	s_branch .LBB69_174
.LBB69_173:
	s_cmp_lg_u32 s40, 0
	s_mov_b64 s[0:1], -1
	s_cselect_b64 s[4:5], -1, 0
.LBB69_174:
	s_andn2_b64 vcc, exec, s[4:5]
	s_cbranch_vccz .LBB69_183
; %bb.175:
	s_andn2_b64 vcc, exec, s[0:1]
	s_cbranch_vccnz .LBB69_177
.LBB69_176:
	s_waitcnt vmcnt(0)
	v_cmp_le_i16_e32 vcc, s41, v1
	s_andn2_b64 s[0:1], s[2:3], exec
	s_and_b64 s[2:3], vcc, exec
	s_or_b64 s[2:3], s[0:1], s[2:3]
.LBB69_177:
	s_waitcnt vmcnt(0)
	v_cndmask_b32_e64 v1, 0, 1, s[2:3]
	v_add_u32_e32 v15, 0x80, v15
	global_store_byte v0, v1, s[16:17]
	s_or_b64 exec, exec, s[50:51]
	v_cmp_gt_i32_e32 vcc, s57, v15
	s_and_saveexec_b64 s[50:51], vcc
	s_cbranch_execz .LBB69_8
.LBB69_178:
	s_andn2_b64 vcc, exec, s[36:37]
	s_cbranch_vccnz .LBB69_184
; %bb.179:
	s_andn2_b64 vcc, exec, s[48:49]
	s_cbranch_vccnz .LBB69_185
; %bb.180:
	s_add_i32 s60, s58, 1
	s_cmp_eq_u32 s56, 2
	s_cbranch_scc1 .LBB69_186
; %bb.181:
	s_and_b32 s59, s60, 28
	v_mov_b32_e32 v2, 0
	s_mov_b32 s61, 0
	s_mov_b64 s[52:53], s[34:35]
	s_mov_b64 s[54:55], s[46:47]
	v_mov_b32_e32 v0, 0
	v_mov_b32_e32 v1, v15
.LBB69_182:                             ; =>This Inner Loop Header: Depth=1
	s_load_dwordx8 s[8:15], s[52:53], 0x4
	s_load_dwordx4 s[28:31], s[52:53], 0x24
	s_load_dwordx8 s[0:7], s[54:55], 0x0
	s_add_u32 s52, s52, 48
	s_addc_u32 s53, s53, 0
	s_waitcnt lgkmcnt(0)
	v_mul_hi_u32 v3, s9, v1
	s_add_i32 s61, s61, 4
	s_add_u32 s54, s54, 32
	s_addc_u32 s55, s55, 0
	v_add_u32_e32 v3, v1, v3
	v_lshrrev_b32_e32 v3, s10, v3
	v_mul_lo_u32 v4, v3, s8
	v_mul_hi_u32 v5, s12, v3
	s_cmp_eq_u32 s59, s61
	v_sub_u32_e32 v1, v1, v4
	v_add_u32_e32 v4, v3, v5
	v_mul_lo_u32 v5, v1, s0
	v_mul_lo_u32 v6, v1, s1
	v_lshrrev_b32_e32 v1, s13, v4
	v_mul_lo_u32 v4, v1, s11
	v_mul_hi_u32 v7, s15, v1
	v_sub_u32_e32 v3, v3, v4
	v_add_u32_e32 v4, v1, v7
	v_lshrrev_b32_e32 v4, s28, v4
	v_mul_hi_u32 v8, s30, v4
	v_mul_lo_u32 v9, v4, s14
	v_mul_lo_u32 v7, v3, s2
	;; [unrolled: 1-line block ×3, first 2 shown]
	v_sub_u32_e32 v9, v1, v9
	v_add_u32_e32 v1, v4, v8
	v_lshrrev_b32_e32 v1, s31, v1
	v_mul_lo_u32 v8, v1, s29
	v_mul_lo_u32 v10, v9, s4
	;; [unrolled: 1-line block ×3, first 2 shown]
	v_add3_u32 v0, v5, v0, v7
	v_sub_u32_e32 v4, v4, v8
	v_mul_lo_u32 v8, v4, s6
	v_mul_lo_u32 v4, v4, s7
	v_add3_u32 v2, v6, v2, v3
	v_add3_u32 v0, v10, v0, v8
	;; [unrolled: 1-line block ×3, first 2 shown]
	s_cbranch_scc0 .LBB69_182
	s_branch .LBB69_187
.LBB69_183:
	s_waitcnt vmcnt(0)
	v_cmp_gt_i16_e32 vcc, s41, v1
	s_andn2_b64 s[2:3], s[2:3], exec
	s_and_b64 s[4:5], vcc, exec
	s_or_b64 s[2:3], s[2:3], s[4:5]
	s_cbranch_execz .LBB69_176
	s_branch .LBB69_177
.LBB69_184:
                                        ; implicit-def: $vgpr0
                                        ; implicit-def: $vgpr2
	s_branch .LBB69_191
.LBB69_185:
	v_mov_b32_e32 v0, 0
	v_mov_b32_e32 v2, 0
	s_branch .LBB69_190
.LBB69_186:
	s_mov_b32 s59, 0
	v_mov_b32_e32 v0, 0
	v_mov_b32_e32 v2, 0
	;; [unrolled: 1-line block ×3, first 2 shown]
.LBB69_187:
	s_and_b32 s4, s60, 3
	s_cmp_eq_u32 s4, 0
	s_cbranch_scc1 .LBB69_190
; %bb.188:
	s_lshl_b32 s0, s59, 3
	s_add_u32 s0, s34, s0
	s_addc_u32 s1, s35, 0
	s_add_u32 s0, s0, 0xc4
	s_addc_u32 s1, s1, 0
	s_mul_i32 s2, s59, 12
	s_add_u32 s2, s34, s2
	s_addc_u32 s3, s35, 0
.LBB69_189:                             ; =>This Inner Loop Header: Depth=1
	s_load_dwordx2 s[6:7], s[2:3], 0x4
	s_load_dword s5, s[2:3], 0xc
	s_load_dwordx2 s[8:9], s[0:1], 0x0
	s_add_u32 s2, s2, 12
	s_addc_u32 s3, s3, 0
	s_waitcnt lgkmcnt(0)
	v_mul_hi_u32 v3, s7, v1
	s_add_u32 s0, s0, 8
	s_addc_u32 s1, s1, 0
	s_add_i32 s4, s4, -1
	v_add_u32_e32 v3, v1, v3
	v_lshrrev_b32_e32 v4, s5, v3
	v_mul_lo_u32 v3, v4, s6
	s_cmp_lg_u32 s4, 0
	v_sub_u32_e32 v3, v1, v3
	v_mad_u64_u32 v[0:1], s[6:7], v3, s8, v[0:1]
	v_mad_u64_u32 v[2:3], s[6:7], v3, s9, v[2:3]
	v_mov_b32_e32 v1, v4
	s_cbranch_scc1 .LBB69_189
.LBB69_190:
	s_cbranch_execnz .LBB69_193
.LBB69_191:
	s_waitcnt lgkmcnt(0)
	v_mul_hi_u32 v0, s25, v15
	s_andn2_b64 vcc, exec, s[44:45]
	v_add_u32_e32 v0, v15, v0
	v_lshrrev_b32_e32 v1, s26, v0
	v_mul_lo_u32 v0, v1, s24
	v_sub_u32_e32 v2, v15, v0
	v_mul_lo_u32 v0, v2, s20
	v_mul_lo_u32 v2, v2, s21
	s_cbranch_vccnz .LBB69_193
; %bb.192:
	v_mul_hi_u32 v3, s42, v1
	v_add_u32_e32 v3, v1, v3
	v_lshrrev_b32_e32 v3, s43, v3
	v_mul_lo_u32 v3, v3, s27
	v_sub_u32_e32 v3, v1, v3
	v_mad_u64_u32 v[0:1], s[0:1], v3, s22, v[0:1]
	v_mad_u64_u32 v[2:3], s[0:1], v3, s23, v[2:3]
.LBB69_193:
	s_waitcnt lgkmcnt(0)
	global_load_ushort v1, v2, s[18:19]
	s_cmp_lt_i32 s40, 1
	s_mov_b64 s[0:1], 0
	s_cbranch_scc1 .LBB69_197
; %bb.194:
	s_cmp_gt_i32 s40, 1
	s_cbranch_scc0 .LBB69_198
; %bb.195:
	s_cmp_eq_u32 s40, 2
	s_cbranch_scc0 .LBB69_476
; %bb.196:
	s_waitcnt vmcnt(0)
	v_cmp_ge_i16_e64 s[2:3], s41, v1
	s_mov_b64 s[4:5], 0
	s_branch .LBB69_200
.LBB69_197:
                                        ; implicit-def: $sgpr2_sgpr3
	s_mov_b64 s[4:5], 0
	s_cbranch_execnz .LBB69_201
	s_branch .LBB69_202
.LBB69_198:
	s_mov_b64 s[4:5], 0
                                        ; implicit-def: $sgpr2_sgpr3
	s_cbranch_execz .LBB69_200
; %bb.199:
	s_waitcnt vmcnt(0)
	v_cmp_lt_i16_e32 vcc, s41, v1
	s_andn2_b64 s[2:3], s[2:3], exec
	s_and_b64 s[6:7], vcc, exec
	s_or_b64 s[2:3], s[2:3], s[6:7]
.LBB69_200:
	s_branch .LBB69_202
.LBB69_201:
	s_cmp_lg_u32 s40, 0
	s_mov_b64 s[0:1], -1
	s_cselect_b64 s[4:5], -1, 0
.LBB69_202:
	s_andn2_b64 vcc, exec, s[4:5]
	s_cbranch_vccz .LBB69_211
; %bb.203:
	s_andn2_b64 vcc, exec, s[0:1]
	s_cbranch_vccnz .LBB69_205
.LBB69_204:
	s_waitcnt vmcnt(0)
	v_cmp_le_i16_e32 vcc, s41, v1
	s_andn2_b64 s[0:1], s[2:3], exec
	s_and_b64 s[2:3], vcc, exec
	s_or_b64 s[2:3], s[0:1], s[2:3]
.LBB69_205:
	s_waitcnt vmcnt(0)
	v_cndmask_b32_e64 v1, 0, 1, s[2:3]
	v_add_u32_e32 v15, 0x80, v15
	global_store_byte v0, v1, s[16:17]
	s_or_b64 exec, exec, s[50:51]
	v_cmp_gt_i32_e32 vcc, s57, v15
	s_and_saveexec_b64 s[50:51], vcc
	s_cbranch_execz .LBB69_234
.LBB69_206:
	s_andn2_b64 vcc, exec, s[36:37]
	s_cbranch_vccnz .LBB69_212
; %bb.207:
	s_andn2_b64 vcc, exec, s[48:49]
	s_cbranch_vccnz .LBB69_213
; %bb.208:
	s_add_i32 s58, s58, 1
	s_cmp_eq_u32 s56, 2
	s_cbranch_scc1 .LBB69_214
; %bb.209:
	s_and_b32 s52, s58, 28
	v_mov_b32_e32 v2, 0
	s_mov_b32 s53, 0
	s_mov_b64 s[48:49], s[34:35]
	v_mov_b32_e32 v0, 0
	v_mov_b32_e32 v1, v15
.LBB69_210:                             ; =>This Inner Loop Header: Depth=1
	s_load_dwordx8 s[8:15], s[48:49], 0x4
	s_load_dwordx4 s[28:31], s[48:49], 0x24
	s_load_dwordx8 s[0:7], s[46:47], 0x0
	s_add_u32 s48, s48, 48
	s_addc_u32 s49, s49, 0
	s_waitcnt lgkmcnt(0)
	v_mul_hi_u32 v3, s9, v1
	s_add_i32 s53, s53, 4
	s_add_u32 s46, s46, 32
	s_addc_u32 s47, s47, 0
	v_add_u32_e32 v3, v1, v3
	v_lshrrev_b32_e32 v3, s10, v3
	v_mul_lo_u32 v4, v3, s8
	v_mul_hi_u32 v5, s12, v3
	s_cmp_eq_u32 s52, s53
	v_sub_u32_e32 v1, v1, v4
	v_add_u32_e32 v4, v3, v5
	v_mul_lo_u32 v5, v1, s0
	v_mul_lo_u32 v6, v1, s1
	v_lshrrev_b32_e32 v1, s13, v4
	v_mul_lo_u32 v4, v1, s11
	v_mul_hi_u32 v7, s15, v1
	v_sub_u32_e32 v3, v3, v4
	v_add_u32_e32 v4, v1, v7
	v_lshrrev_b32_e32 v4, s28, v4
	v_mul_hi_u32 v8, s30, v4
	v_mul_lo_u32 v9, v4, s14
	v_mul_lo_u32 v7, v3, s2
	;; [unrolled: 1-line block ×3, first 2 shown]
	v_sub_u32_e32 v9, v1, v9
	v_add_u32_e32 v1, v4, v8
	v_lshrrev_b32_e32 v1, s31, v1
	v_mul_lo_u32 v8, v1, s29
	v_mul_lo_u32 v10, v9, s4
	;; [unrolled: 1-line block ×3, first 2 shown]
	v_add3_u32 v0, v5, v0, v7
	v_sub_u32_e32 v4, v4, v8
	v_mul_lo_u32 v8, v4, s6
	v_mul_lo_u32 v4, v4, s7
	v_add3_u32 v2, v6, v2, v3
	v_add3_u32 v0, v10, v0, v8
	v_add3_u32 v2, v9, v2, v4
	s_cbranch_scc0 .LBB69_210
	s_branch .LBB69_215
.LBB69_211:
	s_waitcnt vmcnt(0)
	v_cmp_gt_i16_e32 vcc, s41, v1
	s_andn2_b64 s[2:3], s[2:3], exec
	s_and_b64 s[4:5], vcc, exec
	s_or_b64 s[2:3], s[2:3], s[4:5]
	s_cbranch_execz .LBB69_204
	s_branch .LBB69_205
.LBB69_212:
                                        ; implicit-def: $vgpr0
                                        ; implicit-def: $vgpr2
	s_branch .LBB69_219
.LBB69_213:
	v_mov_b32_e32 v0, 0
	v_mov_b32_e32 v2, 0
	s_branch .LBB69_218
.LBB69_214:
	s_mov_b32 s52, 0
	v_mov_b32_e32 v0, 0
	v_mov_b32_e32 v2, 0
	;; [unrolled: 1-line block ×3, first 2 shown]
.LBB69_215:
	s_and_b32 s4, s58, 3
	s_cmp_eq_u32 s4, 0
	s_cbranch_scc1 .LBB69_218
; %bb.216:
	s_lshl_b32 s0, s52, 3
	s_add_u32 s0, s34, s0
	s_addc_u32 s1, s35, 0
	s_add_u32 s0, s0, 0xc4
	s_addc_u32 s1, s1, 0
	s_mul_i32 s2, s52, 12
	s_add_u32 s2, s34, s2
	s_addc_u32 s3, s35, 0
.LBB69_217:                             ; =>This Inner Loop Header: Depth=1
	s_load_dwordx2 s[6:7], s[2:3], 0x4
	s_load_dword s5, s[2:3], 0xc
	s_load_dwordx2 s[8:9], s[0:1], 0x0
	s_add_u32 s2, s2, 12
	s_addc_u32 s3, s3, 0
	s_waitcnt lgkmcnt(0)
	v_mul_hi_u32 v3, s7, v1
	s_add_u32 s0, s0, 8
	s_addc_u32 s1, s1, 0
	s_add_i32 s4, s4, -1
	v_add_u32_e32 v3, v1, v3
	v_lshrrev_b32_e32 v4, s5, v3
	v_mul_lo_u32 v3, v4, s6
	s_cmp_lg_u32 s4, 0
	v_sub_u32_e32 v3, v1, v3
	v_mad_u64_u32 v[0:1], s[6:7], v3, s8, v[0:1]
	v_mad_u64_u32 v[2:3], s[6:7], v3, s9, v[2:3]
	v_mov_b32_e32 v1, v4
	s_cbranch_scc1 .LBB69_217
.LBB69_218:
	s_cbranch_execnz .LBB69_221
.LBB69_219:
	s_waitcnt lgkmcnt(0)
	v_mul_hi_u32 v0, s25, v15
	s_andn2_b64 vcc, exec, s[44:45]
	v_add_u32_e32 v0, v15, v0
	v_lshrrev_b32_e32 v1, s26, v0
	v_mul_lo_u32 v0, v1, s24
	v_sub_u32_e32 v2, v15, v0
	v_mul_lo_u32 v0, v2, s20
	v_mul_lo_u32 v2, v2, s21
	s_cbranch_vccnz .LBB69_221
; %bb.220:
	v_mul_hi_u32 v3, s42, v1
	v_add_u32_e32 v3, v1, v3
	v_lshrrev_b32_e32 v3, s43, v3
	v_mul_lo_u32 v3, v3, s27
	v_sub_u32_e32 v3, v1, v3
	v_mad_u64_u32 v[0:1], s[0:1], v3, s22, v[0:1]
	v_mad_u64_u32 v[2:3], s[0:1], v3, s23, v[2:3]
.LBB69_221:
	s_waitcnt lgkmcnt(0)
	global_load_ushort v1, v2, s[18:19]
	s_cmp_lt_i32 s40, 1
	s_mov_b64 s[0:1], 0
	s_cbranch_scc1 .LBB69_225
; %bb.222:
	s_cmp_gt_i32 s40, 1
	s_cbranch_scc0 .LBB69_226
; %bb.223:
	s_cmp_eq_u32 s40, 2
	s_cbranch_scc0 .LBB69_477
; %bb.224:
	s_waitcnt vmcnt(0)
	v_cmp_ge_i16_e64 s[2:3], s41, v1
	s_mov_b64 s[4:5], 0
	s_branch .LBB69_228
.LBB69_225:
                                        ; implicit-def: $sgpr2_sgpr3
	s_mov_b64 s[4:5], 0
	s_cbranch_execnz .LBB69_229
	s_branch .LBB69_230
.LBB69_226:
	s_mov_b64 s[4:5], 0
                                        ; implicit-def: $sgpr2_sgpr3
	s_cbranch_execz .LBB69_228
; %bb.227:
	s_waitcnt vmcnt(0)
	v_cmp_lt_i16_e32 vcc, s41, v1
	s_andn2_b64 s[2:3], s[2:3], exec
	s_and_b64 s[6:7], vcc, exec
	s_or_b64 s[2:3], s[2:3], s[6:7]
.LBB69_228:
	s_branch .LBB69_230
.LBB69_229:
	s_cmp_lg_u32 s40, 0
	s_mov_b64 s[0:1], -1
	s_cselect_b64 s[4:5], -1, 0
.LBB69_230:
	s_andn2_b64 vcc, exec, s[4:5]
	s_cbranch_vccz .LBB69_244
; %bb.231:
	s_andn2_b64 vcc, exec, s[0:1]
	s_cbranch_vccnz .LBB69_233
.LBB69_232:
	s_waitcnt vmcnt(0)
	v_cmp_le_i16_e32 vcc, s41, v1
	s_andn2_b64 s[0:1], s[2:3], exec
	s_and_b64 s[2:3], vcc, exec
	s_or_b64 s[2:3], s[0:1], s[2:3]
.LBB69_233:
	s_waitcnt vmcnt(0)
	v_cndmask_b32_e64 v1, 0, 1, s[2:3]
	global_store_byte v0, v1, s[16:17]
.LBB69_234:
	s_or_b64 exec, exec, s[50:51]
                                        ; implicit-def: $vgpr22
                                        ; implicit-def: $vgpr15
.LBB69_235:
	s_andn2_saveexec_b64 s[0:1], s[38:39]
	s_cbranch_execz .LBB69_242
; %bb.236:
	v_cndmask_b32_e64 v0, 0, 1, s[36:37]
	v_cmp_ne_u32_e64 s[0:1], 1, v0
	s_andn2_b64 vcc, exec, s[36:37]
	s_cbranch_vccnz .LBB69_243
; %bb.237:
	s_cmp_lg_u32 s33, 0
	s_waitcnt lgkmcnt(0)
	s_mov_b32 s26, 0
	s_cbranch_scc0 .LBB69_245
; %bb.238:
	s_min_u32 s27, s56, 15
	s_add_i32 s27, s27, 1
	s_cmp_eq_u32 s56, 2
	s_cbranch_scc1 .LBB69_246
; %bb.239:
	s_and_b32 s26, s27, 28
	s_add_u32 s2, s34, 0xc4
	s_addc_u32 s3, s35, 0
	v_mov_b32_e32 v5, 0
	s_mov_b32 s28, 0
	s_mov_b64 s[24:25], s[34:35]
	v_mov_b32_e32 v0, 0
	v_mov_b32_e32 v1, v15
.LBB69_240:                             ; =>This Inner Loop Header: Depth=1
	s_load_dwordx8 s[12:19], s[24:25], 0x4
	s_load_dwordx4 s[20:23], s[24:25], 0x24
	s_load_dwordx8 s[4:11], s[2:3], 0x0
	s_add_u32 s24, s24, 48
	s_addc_u32 s25, s25, 0
	s_waitcnt lgkmcnt(0)
	v_mul_hi_u32 v2, s13, v1
	s_add_i32 s28, s28, 4
	s_add_u32 s2, s2, 32
	s_addc_u32 s3, s3, 0
	v_add_u32_e32 v2, v1, v2
	v_lshrrev_b32_e32 v2, s14, v2
	v_mul_lo_u32 v3, v2, s12
	v_mul_hi_u32 v4, s16, v2
	s_cmp_lg_u32 s26, s28
	v_sub_u32_e32 v1, v1, v3
	v_add_u32_e32 v3, v2, v4
	v_mul_lo_u32 v4, v1, s4
	v_mul_lo_u32 v6, v1, s5
	v_lshrrev_b32_e32 v1, s17, v3
	v_mul_lo_u32 v3, v1, s15
	v_mul_hi_u32 v7, s19, v1
	v_sub_u32_e32 v2, v2, v3
	v_add_u32_e32 v3, v1, v7
	v_lshrrev_b32_e32 v3, s20, v3
	v_mul_hi_u32 v8, s22, v3
	v_mul_lo_u32 v9, v3, s18
	v_mul_lo_u32 v7, v2, s6
	;; [unrolled: 1-line block ×3, first 2 shown]
	v_sub_u32_e32 v9, v1, v9
	v_add_u32_e32 v1, v3, v8
	v_lshrrev_b32_e32 v1, s23, v1
	v_mul_lo_u32 v8, v1, s21
	v_mul_lo_u32 v10, v9, s8
	;; [unrolled: 1-line block ×3, first 2 shown]
	v_add3_u32 v0, v4, v0, v7
	v_sub_u32_e32 v3, v3, v8
	v_mul_lo_u32 v8, v3, s10
	v_mul_lo_u32 v3, v3, s11
	v_add3_u32 v2, v6, v5, v2
	v_add3_u32 v0, v10, v0, v8
	;; [unrolled: 1-line block ×3, first 2 shown]
	s_cbranch_scc1 .LBB69_240
; %bb.241:
	s_and_b32 s6, s27, 3
	s_cmp_eq_u32 s6, 0
	s_cbranch_scc0 .LBB69_247
	s_branch .LBB69_249
.LBB69_242:
	s_endpgm
.LBB69_243:
                                        ; implicit-def: $vgpr0
                                        ; implicit-def: $vgpr5
	s_branch .LBB69_250
.LBB69_244:
	s_waitcnt vmcnt(0)
	v_cmp_gt_i16_e32 vcc, s41, v1
	s_andn2_b64 s[2:3], s[2:3], exec
	s_and_b64 s[4:5], vcc, exec
	s_or_b64 s[2:3], s[2:3], s[4:5]
	s_cbranch_execz .LBB69_232
	s_branch .LBB69_233
.LBB69_245:
	v_mov_b32_e32 v0, 0
	v_mov_b32_e32 v5, 0
	s_branch .LBB69_249
.LBB69_246:
	v_mov_b32_e32 v0, 0
	v_mov_b32_e32 v5, 0
	;; [unrolled: 1-line block ×3, first 2 shown]
	s_and_b32 s6, s27, 3
	s_cmp_eq_u32 s6, 0
	s_cbranch_scc1 .LBB69_249
.LBB69_247:
	s_lshl_b32 s2, s26, 3
	s_add_u32 s2, s34, s2
	s_addc_u32 s3, s35, 0
	s_add_u32 s2, s2, 0xc4
	s_addc_u32 s3, s3, 0
	s_mul_i32 s4, s26, 12
	s_add_u32 s4, s34, s4
	s_addc_u32 s5, s35, 0
.LBB69_248:                             ; =>This Inner Loop Header: Depth=1
	s_load_dwordx2 s[8:9], s[4:5], 0x4
	s_load_dword s7, s[4:5], 0xc
	s_load_dwordx2 s[10:11], s[2:3], 0x0
	s_add_u32 s4, s4, 12
	s_addc_u32 s5, s5, 0
	s_waitcnt lgkmcnt(0)
	v_mul_hi_u32 v2, s9, v1
	s_add_u32 s2, s2, 8
	s_addc_u32 s3, s3, 0
	s_add_i32 s6, s6, -1
	v_add_u32_e32 v2, v1, v2
	v_lshrrev_b32_e32 v2, s7, v2
	v_mul_lo_u32 v3, v2, s8
	s_cmp_lg_u32 s6, 0
	v_sub_u32_e32 v3, v1, v3
	v_mad_u64_u32 v[0:1], s[8:9], v3, s10, v[0:1]
	v_mad_u64_u32 v[5:6], s[8:9], v3, s11, v[5:6]
	v_mov_b32_e32 v1, v2
	s_cbranch_scc1 .LBB69_248
.LBB69_249:
	s_cbranch_execnz .LBB69_252
.LBB69_250:
	s_load_dwordx4 s[4:7], s[34:35], 0x4
	s_load_dwordx2 s[2:3], s[34:35], 0xc4
	s_cmp_lt_u32 s33, 2
	s_waitcnt lgkmcnt(0)
	v_mul_hi_u32 v0, s5, v15
	v_add_u32_e32 v0, v15, v0
	v_lshrrev_b32_e32 v1, s6, v0
	v_mul_lo_u32 v0, v1, s4
	v_sub_u32_e32 v2, v15, v0
	v_mul_lo_u32 v0, v2, s2
	v_mul_lo_u32 v5, v2, s3
	s_cbranch_scc1 .LBB69_252
; %bb.251:
	s_load_dwordx4 s[4:7], s[34:35], 0x10
	s_load_dwordx2 s[2:3], s[34:35], 0xcc
	s_waitcnt lgkmcnt(0)
	v_mul_hi_u32 v2, s5, v1
	v_add_u32_e32 v2, v1, v2
	v_lshrrev_b32_e32 v2, s6, v2
	v_mul_lo_u32 v2, v2, s4
	v_sub_u32_e32 v2, v1, v2
	v_mad_u64_u32 v[0:1], s[4:5], v2, s2, v[0:1]
	v_mad_u64_u32 v[5:6], s[2:3], v2, s3, v[5:6]
.LBB69_252:
	s_and_b64 vcc, exec, s[0:1]
	v_add_u32_e32 v3, 0x80, v15
	s_cbranch_vccnz .LBB69_258
; %bb.253:
	s_cmp_lg_u32 s33, 0
	s_waitcnt lgkmcnt(0)
	s_mov_b32 s26, 0
	s_cbranch_scc0 .LBB69_259
; %bb.254:
	s_min_u32 s27, s56, 15
	s_add_i32 s27, s27, 1
	s_cmp_eq_u32 s56, 2
	s_cbranch_scc1 .LBB69_260
; %bb.255:
	s_and_b32 s26, s27, 28
	s_add_u32 s2, s34, 0xc4
	s_addc_u32 s3, s35, 0
	v_mov_b32_e32 v6, 0
	s_mov_b32 s28, 0
	s_mov_b64 s[24:25], s[34:35]
	v_mov_b32_e32 v1, 0
	v_mov_b32_e32 v2, v3
.LBB69_256:                             ; =>This Inner Loop Header: Depth=1
	s_load_dwordx8 s[12:19], s[24:25], 0x4
	s_load_dwordx4 s[20:23], s[24:25], 0x24
	s_load_dwordx8 s[4:11], s[2:3], 0x0
	s_add_u32 s24, s24, 48
	s_addc_u32 s25, s25, 0
	s_waitcnt lgkmcnt(0)
	v_mul_hi_u32 v4, s13, v2
	s_add_i32 s28, s28, 4
	s_add_u32 s2, s2, 32
	s_addc_u32 s3, s3, 0
	v_add_u32_e32 v4, v2, v4
	v_lshrrev_b32_e32 v4, s14, v4
	v_mul_lo_u32 v7, v4, s12
	v_mul_hi_u32 v8, s16, v4
	s_cmp_lg_u32 s26, s28
	v_sub_u32_e32 v2, v2, v7
	v_add_u32_e32 v7, v4, v8
	v_mul_lo_u32 v8, v2, s4
	v_mul_lo_u32 v9, v2, s5
	v_lshrrev_b32_e32 v2, s17, v7
	v_mul_lo_u32 v7, v2, s15
	v_mul_hi_u32 v10, s19, v2
	v_sub_u32_e32 v4, v4, v7
	v_add_u32_e32 v7, v2, v10
	v_lshrrev_b32_e32 v7, s20, v7
	v_mul_hi_u32 v11, s22, v7
	v_mul_lo_u32 v12, v7, s18
	v_mul_lo_u32 v10, v4, s6
	;; [unrolled: 1-line block ×3, first 2 shown]
	v_sub_u32_e32 v12, v2, v12
	v_add_u32_e32 v2, v7, v11
	v_lshrrev_b32_e32 v2, s23, v2
	v_mul_lo_u32 v11, v2, s21
	v_mul_lo_u32 v13, v12, s8
	;; [unrolled: 1-line block ×3, first 2 shown]
	v_add3_u32 v1, v8, v1, v10
	v_sub_u32_e32 v7, v7, v11
	v_mul_lo_u32 v11, v7, s10
	v_mul_lo_u32 v7, v7, s11
	v_add3_u32 v4, v9, v6, v4
	v_add3_u32 v1, v13, v1, v11
	;; [unrolled: 1-line block ×3, first 2 shown]
	s_cbranch_scc1 .LBB69_256
; %bb.257:
	s_and_b32 s6, s27, 3
	s_cmp_eq_u32 s6, 0
	s_cbranch_scc0 .LBB69_261
	s_branch .LBB69_263
.LBB69_258:
                                        ; implicit-def: $vgpr1
                                        ; implicit-def: $vgpr6
	s_branch .LBB69_264
.LBB69_259:
	v_mov_b32_e32 v1, 0
	v_mov_b32_e32 v6, 0
	s_branch .LBB69_263
.LBB69_260:
	v_mov_b32_e32 v1, 0
	v_mov_b32_e32 v6, 0
	;; [unrolled: 1-line block ×3, first 2 shown]
	s_and_b32 s6, s27, 3
	s_cmp_eq_u32 s6, 0
	s_cbranch_scc1 .LBB69_263
.LBB69_261:
	s_lshl_b32 s2, s26, 3
	s_add_u32 s2, s34, s2
	s_addc_u32 s3, s35, 0
	s_add_u32 s2, s2, 0xc4
	s_addc_u32 s3, s3, 0
	s_mul_i32 s4, s26, 12
	s_add_u32 s4, s34, s4
	s_addc_u32 s5, s35, 0
.LBB69_262:                             ; =>This Inner Loop Header: Depth=1
	s_load_dwordx2 s[8:9], s[4:5], 0x4
	s_load_dword s7, s[4:5], 0xc
	s_load_dwordx2 s[10:11], s[2:3], 0x0
	s_add_u32 s4, s4, 12
	s_addc_u32 s5, s5, 0
	s_waitcnt lgkmcnt(0)
	v_mul_hi_u32 v4, s9, v2
	s_add_u32 s2, s2, 8
	s_addc_u32 s3, s3, 0
	s_add_i32 s6, s6, -1
	v_add_u32_e32 v4, v2, v4
	v_lshrrev_b32_e32 v4, s7, v4
	v_mul_lo_u32 v7, v4, s8
	s_cmp_lg_u32 s6, 0
	v_sub_u32_e32 v7, v2, v7
	v_mad_u64_u32 v[1:2], s[8:9], v7, s10, v[1:2]
	v_mad_u64_u32 v[6:7], s[8:9], v7, s11, v[6:7]
	v_mov_b32_e32 v2, v4
	s_cbranch_scc1 .LBB69_262
.LBB69_263:
	s_cbranch_execnz .LBB69_266
.LBB69_264:
	s_load_dwordx4 s[4:7], s[34:35], 0x4
	s_load_dwordx2 s[2:3], s[34:35], 0xc4
	s_cmp_lt_u32 s33, 2
	s_waitcnt lgkmcnt(0)
	v_mul_hi_u32 v1, s5, v3
	v_add_u32_e32 v1, v3, v1
	v_lshrrev_b32_e32 v2, s6, v1
	v_mul_lo_u32 v1, v2, s4
	v_sub_u32_e32 v3, v3, v1
	v_mul_lo_u32 v1, v3, s2
	v_mul_lo_u32 v6, v3, s3
	s_cbranch_scc1 .LBB69_266
; %bb.265:
	s_load_dwordx4 s[4:7], s[34:35], 0x10
	s_load_dwordx2 s[2:3], s[34:35], 0xcc
	s_waitcnt lgkmcnt(0)
	v_mul_hi_u32 v3, s5, v2
	v_add_u32_e32 v3, v2, v3
	v_lshrrev_b32_e32 v3, s6, v3
	v_mul_lo_u32 v3, v3, s4
	v_sub_u32_e32 v3, v2, v3
	v_mad_u64_u32 v[1:2], s[4:5], v3, s2, v[1:2]
	v_mad_u64_u32 v[6:7], s[2:3], v3, s3, v[6:7]
.LBB69_266:
	s_and_b64 vcc, exec, s[0:1]
	v_add_u32_e32 v4, 0x100, v15
	s_cbranch_vccnz .LBB69_272
; %bb.267:
	s_cmp_lg_u32 s33, 0
	s_waitcnt lgkmcnt(0)
	s_mov_b32 s26, 0
	s_cbranch_scc0 .LBB69_273
; %bb.268:
	s_min_u32 s27, s56, 15
	s_add_i32 s27, s27, 1
	s_cmp_eq_u32 s56, 2
	s_cbranch_scc1 .LBB69_274
; %bb.269:
	s_and_b32 s26, s27, 28
	s_add_u32 s2, s34, 0xc4
	s_addc_u32 s3, s35, 0
	v_mov_b32_e32 v9, 0
	s_mov_b32 s28, 0
	s_mov_b64 s[24:25], s[34:35]
	v_mov_b32_e32 v2, 0
	v_mov_b32_e32 v3, v4
.LBB69_270:                             ; =>This Inner Loop Header: Depth=1
	s_load_dwordx8 s[12:19], s[24:25], 0x4
	s_load_dwordx4 s[20:23], s[24:25], 0x24
	s_load_dwordx8 s[4:11], s[2:3], 0x0
	s_add_u32 s24, s24, 48
	s_addc_u32 s25, s25, 0
	s_waitcnt lgkmcnt(0)
	v_mul_hi_u32 v7, s13, v3
	s_add_i32 s28, s28, 4
	s_add_u32 s2, s2, 32
	s_addc_u32 s3, s3, 0
	v_add_u32_e32 v7, v3, v7
	v_lshrrev_b32_e32 v7, s14, v7
	v_mul_lo_u32 v8, v7, s12
	v_mul_hi_u32 v10, s16, v7
	s_cmp_lg_u32 s26, s28
	v_sub_u32_e32 v3, v3, v8
	v_add_u32_e32 v8, v7, v10
	v_mul_lo_u32 v10, v3, s4
	v_mul_lo_u32 v11, v3, s5
	v_lshrrev_b32_e32 v3, s17, v8
	v_mul_lo_u32 v8, v3, s15
	v_mul_hi_u32 v12, s19, v3
	v_sub_u32_e32 v7, v7, v8
	v_add_u32_e32 v8, v3, v12
	v_lshrrev_b32_e32 v8, s20, v8
	v_mul_hi_u32 v13, s22, v8
	v_mul_lo_u32 v14, v8, s18
	v_mul_lo_u32 v12, v7, s6
	;; [unrolled: 1-line block ×3, first 2 shown]
	v_sub_u32_e32 v14, v3, v14
	v_add_u32_e32 v3, v8, v13
	v_lshrrev_b32_e32 v3, s23, v3
	v_mul_lo_u32 v13, v3, s21
	v_mul_lo_u32 v16, v14, s8
	;; [unrolled: 1-line block ×3, first 2 shown]
	v_add3_u32 v2, v10, v2, v12
	v_sub_u32_e32 v8, v8, v13
	v_mul_lo_u32 v13, v8, s10
	v_mul_lo_u32 v8, v8, s11
	v_add3_u32 v7, v11, v9, v7
	v_add3_u32 v2, v16, v2, v13
	v_add3_u32 v9, v14, v7, v8
	s_cbranch_scc1 .LBB69_270
; %bb.271:
	s_and_b32 s6, s27, 3
	s_cmp_eq_u32 s6, 0
	s_cbranch_scc0 .LBB69_275
	s_branch .LBB69_277
.LBB69_272:
                                        ; implicit-def: $vgpr2
                                        ; implicit-def: $vgpr9
	s_branch .LBB69_278
.LBB69_273:
	v_mov_b32_e32 v2, 0
	v_mov_b32_e32 v9, 0
	s_branch .LBB69_277
.LBB69_274:
	v_mov_b32_e32 v2, 0
	v_mov_b32_e32 v9, 0
	;; [unrolled: 1-line block ×3, first 2 shown]
	s_and_b32 s6, s27, 3
	s_cmp_eq_u32 s6, 0
	s_cbranch_scc1 .LBB69_277
.LBB69_275:
	s_lshl_b32 s2, s26, 3
	s_add_u32 s2, s34, s2
	s_addc_u32 s3, s35, 0
	s_add_u32 s2, s2, 0xc4
	s_addc_u32 s3, s3, 0
	s_mul_i32 s4, s26, 12
	s_add_u32 s4, s34, s4
	s_addc_u32 s5, s35, 0
.LBB69_276:                             ; =>This Inner Loop Header: Depth=1
	s_load_dwordx2 s[8:9], s[4:5], 0x4
	s_load_dword s7, s[4:5], 0xc
	s_load_dwordx2 s[10:11], s[2:3], 0x0
	s_add_u32 s4, s4, 12
	s_addc_u32 s5, s5, 0
	s_waitcnt lgkmcnt(0)
	v_mul_hi_u32 v7, s9, v3
	s_add_u32 s2, s2, 8
	s_addc_u32 s3, s3, 0
	s_add_i32 s6, s6, -1
	v_add_u32_e32 v7, v3, v7
	v_lshrrev_b32_e32 v7, s7, v7
	v_mul_lo_u32 v8, v7, s8
	s_cmp_lg_u32 s6, 0
	v_sub_u32_e32 v8, v3, v8
	v_mad_u64_u32 v[2:3], s[8:9], v8, s10, v[2:3]
	v_mad_u64_u32 v[9:10], s[8:9], v8, s11, v[9:10]
	v_mov_b32_e32 v3, v7
	s_cbranch_scc1 .LBB69_276
.LBB69_277:
	s_cbranch_execnz .LBB69_280
.LBB69_278:
	s_load_dwordx4 s[4:7], s[34:35], 0x4
	s_load_dwordx2 s[2:3], s[34:35], 0xc4
	s_cmp_lt_u32 s33, 2
	s_waitcnt lgkmcnt(0)
	v_mul_hi_u32 v2, s5, v4
	v_add_u32_e32 v2, v4, v2
	v_lshrrev_b32_e32 v3, s6, v2
	v_mul_lo_u32 v2, v3, s4
	v_sub_u32_e32 v4, v4, v2
	v_mul_lo_u32 v2, v4, s2
	v_mul_lo_u32 v9, v4, s3
	s_cbranch_scc1 .LBB69_280
; %bb.279:
	s_load_dwordx4 s[4:7], s[34:35], 0x10
	s_load_dwordx2 s[2:3], s[34:35], 0xcc
	s_waitcnt lgkmcnt(0)
	v_mul_hi_u32 v4, s5, v3
	v_add_u32_e32 v4, v3, v4
	v_lshrrev_b32_e32 v4, s6, v4
	v_mul_lo_u32 v4, v4, s4
	v_sub_u32_e32 v4, v3, v4
	v_mad_u64_u32 v[2:3], s[4:5], v4, s2, v[2:3]
	v_mad_u64_u32 v[9:10], s[2:3], v4, s3, v[9:10]
.LBB69_280:
	s_and_b64 vcc, exec, s[0:1]
	v_add_u32_e32 v7, 0x180, v15
	s_cbranch_vccnz .LBB69_286
; %bb.281:
	s_cmp_lg_u32 s33, 0
	s_waitcnt lgkmcnt(0)
	s_mov_b32 s26, 0
	s_cbranch_scc0 .LBB69_287
; %bb.282:
	s_min_u32 s27, s56, 15
	s_add_i32 s27, s27, 1
	s_cmp_eq_u32 s56, 2
	s_cbranch_scc1 .LBB69_288
; %bb.283:
	s_and_b32 s26, s27, 28
	s_add_u32 s2, s34, 0xc4
	s_addc_u32 s3, s35, 0
	v_mov_b32_e32 v12, 0
	s_mov_b32 s28, 0
	s_mov_b64 s[24:25], s[34:35]
	v_mov_b32_e32 v3, 0
	v_mov_b32_e32 v4, v7
.LBB69_284:                             ; =>This Inner Loop Header: Depth=1
	s_load_dwordx8 s[12:19], s[24:25], 0x4
	s_load_dwordx4 s[20:23], s[24:25], 0x24
	s_load_dwordx8 s[4:11], s[2:3], 0x0
	s_add_u32 s24, s24, 48
	s_addc_u32 s25, s25, 0
	s_waitcnt lgkmcnt(0)
	v_mul_hi_u32 v8, s13, v4
	s_add_i32 s28, s28, 4
	s_add_u32 s2, s2, 32
	s_addc_u32 s3, s3, 0
	v_add_u32_e32 v8, v4, v8
	v_lshrrev_b32_e32 v8, s14, v8
	v_mul_lo_u32 v10, v8, s12
	v_mul_hi_u32 v11, s16, v8
	s_cmp_lg_u32 s26, s28
	v_sub_u32_e32 v4, v4, v10
	v_add_u32_e32 v10, v8, v11
	v_mul_lo_u32 v11, v4, s4
	v_mul_lo_u32 v13, v4, s5
	v_lshrrev_b32_e32 v4, s17, v10
	v_mul_lo_u32 v10, v4, s15
	v_mul_hi_u32 v14, s19, v4
	v_sub_u32_e32 v8, v8, v10
	v_add_u32_e32 v10, v4, v14
	v_lshrrev_b32_e32 v10, s20, v10
	v_mul_hi_u32 v16, s22, v10
	v_mul_lo_u32 v17, v10, s18
	v_mul_lo_u32 v14, v8, s6
	;; [unrolled: 1-line block ×3, first 2 shown]
	v_sub_u32_e32 v17, v4, v17
	v_add_u32_e32 v4, v10, v16
	v_lshrrev_b32_e32 v4, s23, v4
	v_mul_lo_u32 v16, v4, s21
	v_mul_lo_u32 v18, v17, s8
	;; [unrolled: 1-line block ×3, first 2 shown]
	v_add3_u32 v3, v11, v3, v14
	v_sub_u32_e32 v10, v10, v16
	v_mul_lo_u32 v16, v10, s10
	v_mul_lo_u32 v10, v10, s11
	v_add3_u32 v8, v13, v12, v8
	v_add3_u32 v3, v18, v3, v16
	;; [unrolled: 1-line block ×3, first 2 shown]
	s_cbranch_scc1 .LBB69_284
; %bb.285:
	s_and_b32 s6, s27, 3
	s_cmp_eq_u32 s6, 0
	s_cbranch_scc0 .LBB69_289
	s_branch .LBB69_291
.LBB69_286:
                                        ; implicit-def: $vgpr3
                                        ; implicit-def: $vgpr12
	s_branch .LBB69_292
.LBB69_287:
	v_mov_b32_e32 v3, 0
	v_mov_b32_e32 v12, 0
	s_branch .LBB69_291
.LBB69_288:
	v_mov_b32_e32 v3, 0
	v_mov_b32_e32 v12, 0
	;; [unrolled: 1-line block ×3, first 2 shown]
	s_and_b32 s6, s27, 3
	s_cmp_eq_u32 s6, 0
	s_cbranch_scc1 .LBB69_291
.LBB69_289:
	s_lshl_b32 s2, s26, 3
	s_add_u32 s2, s34, s2
	s_addc_u32 s3, s35, 0
	s_add_u32 s2, s2, 0xc4
	s_addc_u32 s3, s3, 0
	s_mul_i32 s4, s26, 12
	s_add_u32 s4, s34, s4
	s_addc_u32 s5, s35, 0
.LBB69_290:                             ; =>This Inner Loop Header: Depth=1
	s_load_dwordx2 s[8:9], s[4:5], 0x4
	s_load_dword s7, s[4:5], 0xc
	s_load_dwordx2 s[10:11], s[2:3], 0x0
	s_add_u32 s4, s4, 12
	s_addc_u32 s5, s5, 0
	s_waitcnt lgkmcnt(0)
	v_mul_hi_u32 v8, s9, v4
	s_add_u32 s2, s2, 8
	s_addc_u32 s3, s3, 0
	s_add_i32 s6, s6, -1
	v_add_u32_e32 v8, v4, v8
	v_lshrrev_b32_e32 v8, s7, v8
	v_mul_lo_u32 v10, v8, s8
	s_cmp_lg_u32 s6, 0
	v_sub_u32_e32 v10, v4, v10
	v_mad_u64_u32 v[3:4], s[8:9], v10, s10, v[3:4]
	v_mad_u64_u32 v[12:13], s[8:9], v10, s11, v[12:13]
	v_mov_b32_e32 v4, v8
	s_cbranch_scc1 .LBB69_290
.LBB69_291:
	s_cbranch_execnz .LBB69_294
.LBB69_292:
	s_load_dwordx4 s[4:7], s[34:35], 0x4
	s_load_dwordx2 s[2:3], s[34:35], 0xc4
	s_cmp_lt_u32 s33, 2
	s_waitcnt lgkmcnt(0)
	v_mul_hi_u32 v3, s5, v7
	v_add_u32_e32 v3, v7, v3
	v_lshrrev_b32_e32 v4, s6, v3
	v_mul_lo_u32 v3, v4, s4
	v_sub_u32_e32 v7, v7, v3
	v_mul_lo_u32 v3, v7, s2
	v_mul_lo_u32 v12, v7, s3
	s_cbranch_scc1 .LBB69_294
; %bb.293:
	s_load_dwordx4 s[4:7], s[34:35], 0x10
	s_load_dwordx2 s[2:3], s[34:35], 0xcc
	s_waitcnt lgkmcnt(0)
	v_mul_hi_u32 v7, s5, v4
	v_add_u32_e32 v7, v4, v7
	v_lshrrev_b32_e32 v7, s6, v7
	v_mul_lo_u32 v7, v7, s4
	v_sub_u32_e32 v7, v4, v7
	v_mad_u64_u32 v[3:4], s[4:5], v7, s2, v[3:4]
	v_mad_u64_u32 v[12:13], s[2:3], v7, s3, v[12:13]
.LBB69_294:
	s_and_b64 vcc, exec, s[0:1]
	v_add_u32_e32 v4, 0x200, v15
	s_cbranch_vccnz .LBB69_300
; %bb.295:
	s_cmp_lg_u32 s33, 0
	s_waitcnt lgkmcnt(0)
	s_mov_b32 s26, 0
	s_cbranch_scc0 .LBB69_301
; %bb.296:
	s_min_u32 s27, s56, 15
	s_add_i32 s27, s27, 1
	s_cmp_eq_u32 s56, 2
	s_cbranch_scc1 .LBB69_302
; %bb.297:
	s_and_b32 s26, s27, 28
	s_add_u32 s2, s34, 0xc4
	s_addc_u32 s3, s35, 0
	v_mov_b32_e32 v13, 0
	s_mov_b32 s28, 0
	s_mov_b64 s[24:25], s[34:35]
	v_mov_b32_e32 v7, 0
	v_mov_b32_e32 v8, v4
.LBB69_298:                             ; =>This Inner Loop Header: Depth=1
	s_load_dwordx8 s[12:19], s[24:25], 0x4
	s_load_dwordx4 s[20:23], s[24:25], 0x24
	s_load_dwordx8 s[4:11], s[2:3], 0x0
	s_add_u32 s24, s24, 48
	s_addc_u32 s25, s25, 0
	s_waitcnt lgkmcnt(0)
	v_mul_hi_u32 v10, s13, v8
	s_add_i32 s28, s28, 4
	s_add_u32 s2, s2, 32
	s_addc_u32 s3, s3, 0
	v_add_u32_e32 v10, v8, v10
	v_lshrrev_b32_e32 v10, s14, v10
	v_mul_lo_u32 v11, v10, s12
	v_mul_hi_u32 v14, s16, v10
	s_cmp_lg_u32 s26, s28
	v_sub_u32_e32 v8, v8, v11
	v_add_u32_e32 v11, v10, v14
	v_mul_lo_u32 v14, v8, s4
	v_mul_lo_u32 v16, v8, s5
	v_lshrrev_b32_e32 v8, s17, v11
	v_mul_lo_u32 v11, v8, s15
	v_mul_hi_u32 v17, s19, v8
	v_sub_u32_e32 v10, v10, v11
	v_add_u32_e32 v11, v8, v17
	v_lshrrev_b32_e32 v11, s20, v11
	v_mul_hi_u32 v18, s22, v11
	v_mul_lo_u32 v19, v11, s18
	v_mul_lo_u32 v17, v10, s6
	;; [unrolled: 1-line block ×3, first 2 shown]
	v_sub_u32_e32 v19, v8, v19
	v_add_u32_e32 v8, v11, v18
	v_lshrrev_b32_e32 v8, s23, v8
	v_mul_lo_u32 v18, v8, s21
	v_mul_lo_u32 v20, v19, s8
	;; [unrolled: 1-line block ×3, first 2 shown]
	v_add3_u32 v7, v14, v7, v17
	v_sub_u32_e32 v11, v11, v18
	v_mul_lo_u32 v18, v11, s10
	v_mul_lo_u32 v11, v11, s11
	v_add3_u32 v10, v16, v13, v10
	v_add3_u32 v7, v20, v7, v18
	;; [unrolled: 1-line block ×3, first 2 shown]
	s_cbranch_scc1 .LBB69_298
; %bb.299:
	s_and_b32 s6, s27, 3
	s_cmp_eq_u32 s6, 0
	s_cbranch_scc0 .LBB69_303
	s_branch .LBB69_305
.LBB69_300:
                                        ; implicit-def: $vgpr7
                                        ; implicit-def: $vgpr13
	s_branch .LBB69_306
.LBB69_301:
	v_mov_b32_e32 v7, 0
	v_mov_b32_e32 v13, 0
	s_branch .LBB69_305
.LBB69_302:
	v_mov_b32_e32 v7, 0
	v_mov_b32_e32 v13, 0
	;; [unrolled: 1-line block ×3, first 2 shown]
	s_and_b32 s6, s27, 3
	s_cmp_eq_u32 s6, 0
	s_cbranch_scc1 .LBB69_305
.LBB69_303:
	s_lshl_b32 s2, s26, 3
	s_add_u32 s2, s34, s2
	s_addc_u32 s3, s35, 0
	s_add_u32 s2, s2, 0xc4
	s_addc_u32 s3, s3, 0
	s_mul_i32 s4, s26, 12
	s_add_u32 s4, s34, s4
	s_addc_u32 s5, s35, 0
.LBB69_304:                             ; =>This Inner Loop Header: Depth=1
	s_load_dwordx2 s[8:9], s[4:5], 0x4
	s_load_dword s7, s[4:5], 0xc
	s_load_dwordx2 s[10:11], s[2:3], 0x0
	s_add_u32 s4, s4, 12
	s_addc_u32 s5, s5, 0
	s_waitcnt lgkmcnt(0)
	v_mul_hi_u32 v10, s9, v8
	s_add_u32 s2, s2, 8
	s_addc_u32 s3, s3, 0
	s_add_i32 s6, s6, -1
	v_add_u32_e32 v10, v8, v10
	v_lshrrev_b32_e32 v10, s7, v10
	v_mul_lo_u32 v11, v10, s8
	s_cmp_lg_u32 s6, 0
	v_sub_u32_e32 v11, v8, v11
	v_mad_u64_u32 v[7:8], s[8:9], v11, s10, v[7:8]
	v_mad_u64_u32 v[13:14], s[8:9], v11, s11, v[13:14]
	v_mov_b32_e32 v8, v10
	s_cbranch_scc1 .LBB69_304
.LBB69_305:
	s_cbranch_execnz .LBB69_308
.LBB69_306:
	s_load_dwordx4 s[4:7], s[34:35], 0x4
	s_load_dwordx2 s[2:3], s[34:35], 0xc4
	s_cmp_lt_u32 s33, 2
	s_waitcnt lgkmcnt(0)
	v_mul_hi_u32 v7, s5, v4
	v_add_u32_e32 v7, v4, v7
	v_lshrrev_b32_e32 v8, s6, v7
	v_mul_lo_u32 v7, v8, s4
	v_sub_u32_e32 v4, v4, v7
	v_mul_lo_u32 v7, v4, s2
	v_mul_lo_u32 v13, v4, s3
	s_cbranch_scc1 .LBB69_308
; %bb.307:
	s_load_dwordx4 s[4:7], s[34:35], 0x10
	s_load_dwordx2 s[2:3], s[34:35], 0xcc
	s_waitcnt lgkmcnt(0)
	v_mul_hi_u32 v4, s5, v8
	v_add_u32_e32 v4, v8, v4
	v_lshrrev_b32_e32 v4, s6, v4
	v_mul_lo_u32 v4, v4, s4
	v_sub_u32_e32 v4, v8, v4
	v_mad_u64_u32 v[7:8], s[4:5], v4, s2, v[7:8]
	v_mad_u64_u32 v[13:14], s[2:3], v4, s3, v[13:14]
.LBB69_308:
	s_and_b64 vcc, exec, s[0:1]
	v_add_u32_e32 v4, 0x280, v15
	s_cbranch_vccnz .LBB69_314
; %bb.309:
	s_cmp_lg_u32 s33, 0
	s_waitcnt lgkmcnt(0)
	s_mov_b32 s26, 0
	s_cbranch_scc0 .LBB69_315
; %bb.310:
	s_min_u32 s27, s56, 15
	s_add_i32 s27, s27, 1
	s_cmp_eq_u32 s56, 2
	s_cbranch_scc1 .LBB69_316
; %bb.311:
	s_and_b32 s26, s27, 28
	s_add_u32 s2, s34, 0xc4
	s_addc_u32 s3, s35, 0
	v_mov_b32_e32 v16, 0
	s_mov_b32 s28, 0
	s_mov_b64 s[24:25], s[34:35]
	v_mov_b32_e32 v10, 0
	v_mov_b32_e32 v8, v4
.LBB69_312:                             ; =>This Inner Loop Header: Depth=1
	s_load_dwordx8 s[12:19], s[24:25], 0x4
	s_load_dwordx4 s[20:23], s[24:25], 0x24
	s_load_dwordx8 s[4:11], s[2:3], 0x0
	s_add_u32 s24, s24, 48
	s_addc_u32 s25, s25, 0
	s_waitcnt lgkmcnt(0)
	v_mul_hi_u32 v11, s13, v8
	s_add_i32 s28, s28, 4
	s_add_u32 s2, s2, 32
	s_addc_u32 s3, s3, 0
	v_add_u32_e32 v11, v8, v11
	v_lshrrev_b32_e32 v11, s14, v11
	v_mul_lo_u32 v14, v11, s12
	v_mul_hi_u32 v17, s16, v11
	s_cmp_lg_u32 s26, s28
	v_sub_u32_e32 v8, v8, v14
	v_add_u32_e32 v14, v11, v17
	v_mul_lo_u32 v17, v8, s4
	v_mul_lo_u32 v18, v8, s5
	v_lshrrev_b32_e32 v8, s17, v14
	v_mul_lo_u32 v14, v8, s15
	v_mul_hi_u32 v19, s19, v8
	v_sub_u32_e32 v11, v11, v14
	v_add_u32_e32 v14, v8, v19
	v_lshrrev_b32_e32 v14, s20, v14
	v_mul_hi_u32 v20, s22, v14
	v_mul_lo_u32 v21, v14, s18
	v_mul_lo_u32 v19, v11, s6
	;; [unrolled: 1-line block ×3, first 2 shown]
	v_sub_u32_e32 v21, v8, v21
	v_add_u32_e32 v8, v14, v20
	v_lshrrev_b32_e32 v8, s23, v8
	v_mul_lo_u32 v20, v8, s21
	v_mul_lo_u32 v23, v21, s8
	;; [unrolled: 1-line block ×3, first 2 shown]
	v_add3_u32 v10, v17, v10, v19
	v_sub_u32_e32 v14, v14, v20
	v_mul_lo_u32 v20, v14, s10
	v_mul_lo_u32 v14, v14, s11
	v_add3_u32 v11, v18, v16, v11
	v_add3_u32 v10, v23, v10, v20
	;; [unrolled: 1-line block ×3, first 2 shown]
	s_cbranch_scc1 .LBB69_312
; %bb.313:
	s_and_b32 s6, s27, 3
	s_cmp_eq_u32 s6, 0
	s_cbranch_scc0 .LBB69_317
	s_branch .LBB69_319
.LBB69_314:
                                        ; implicit-def: $vgpr10
                                        ; implicit-def: $vgpr16
	s_branch .LBB69_320
.LBB69_315:
	v_mov_b32_e32 v10, 0
	v_mov_b32_e32 v16, 0
	s_branch .LBB69_319
.LBB69_316:
	v_mov_b32_e32 v10, 0
	v_mov_b32_e32 v16, 0
	;; [unrolled: 1-line block ×3, first 2 shown]
	s_and_b32 s6, s27, 3
	s_cmp_eq_u32 s6, 0
	s_cbranch_scc1 .LBB69_319
.LBB69_317:
	s_lshl_b32 s2, s26, 3
	s_add_u32 s2, s34, s2
	s_addc_u32 s3, s35, 0
	s_add_u32 s2, s2, 0xc4
	s_addc_u32 s3, s3, 0
	s_mul_i32 s4, s26, 12
	s_add_u32 s4, s34, s4
	s_addc_u32 s5, s35, 0
.LBB69_318:                             ; =>This Inner Loop Header: Depth=1
	s_load_dwordx2 s[8:9], s[4:5], 0x4
	s_load_dword s7, s[4:5], 0xc
	s_load_dwordx2 s[10:11], s[2:3], 0x0
	s_add_u32 s4, s4, 12
	s_addc_u32 s5, s5, 0
	s_waitcnt lgkmcnt(0)
	v_mul_hi_u32 v11, s9, v8
	s_add_u32 s2, s2, 8
	s_addc_u32 s3, s3, 0
	s_add_i32 s6, s6, -1
	v_add_u32_e32 v11, v8, v11
	v_lshrrev_b32_e32 v14, s7, v11
	v_mul_lo_u32 v11, v14, s8
	s_cmp_lg_u32 s6, 0
	v_sub_u32_e32 v8, v8, v11
	v_mad_u64_u32 v[10:11], s[8:9], v8, s10, v[10:11]
	v_mad_u64_u32 v[16:17], s[8:9], v8, s11, v[16:17]
	v_mov_b32_e32 v8, v14
	s_cbranch_scc1 .LBB69_318
.LBB69_319:
	s_cbranch_execnz .LBB69_322
.LBB69_320:
	s_load_dwordx4 s[4:7], s[34:35], 0x4
	s_load_dwordx2 s[2:3], s[34:35], 0xc4
	s_cmp_lt_u32 s33, 2
	s_waitcnt lgkmcnt(0)
	v_mul_hi_u32 v8, s5, v4
	v_add_u32_e32 v8, v4, v8
	v_lshrrev_b32_e32 v8, s6, v8
	v_mul_lo_u32 v10, v8, s4
	v_sub_u32_e32 v4, v4, v10
	v_mul_lo_u32 v10, v4, s2
	v_mul_lo_u32 v16, v4, s3
	s_cbranch_scc1 .LBB69_322
; %bb.321:
	s_load_dwordx4 s[4:7], s[34:35], 0x10
	s_load_dwordx2 s[2:3], s[34:35], 0xcc
	s_waitcnt lgkmcnt(0)
	v_mul_hi_u32 v4, s5, v8
	v_add_u32_e32 v4, v8, v4
	v_lshrrev_b32_e32 v4, s6, v4
	v_mul_lo_u32 v4, v4, s4
	v_sub_u32_e32 v4, v8, v4
	v_mad_u64_u32 v[10:11], s[4:5], v4, s2, v[10:11]
	v_mad_u64_u32 v[16:17], s[2:3], v4, s3, v[16:17]
.LBB69_322:
	s_and_b64 vcc, exec, s[0:1]
	v_add_u32_e32 v4, 0x300, v15
	s_cbranch_vccnz .LBB69_328
; %bb.323:
	s_cmp_lg_u32 s33, 0
	s_waitcnt lgkmcnt(0)
	s_mov_b32 s26, 0
	s_cbranch_scc0 .LBB69_329
; %bb.324:
	s_min_u32 s27, s56, 15
	s_add_i32 s27, s27, 1
	s_cmp_eq_u32 s56, 2
	s_cbranch_scc1 .LBB69_330
; %bb.325:
	s_and_b32 s26, s27, 28
	s_add_u32 s2, s34, 0xc4
	s_addc_u32 s3, s35, 0
	v_mov_b32_e32 v17, 0
	s_mov_b32 s28, 0
	s_mov_b64 s[24:25], s[34:35]
	v_mov_b32_e32 v14, 0
	v_mov_b32_e32 v8, v4
.LBB69_326:                             ; =>This Inner Loop Header: Depth=1
	s_load_dwordx8 s[12:19], s[24:25], 0x4
	s_load_dwordx4 s[20:23], s[24:25], 0x24
	s_load_dwordx8 s[4:11], s[2:3], 0x0
	s_add_u32 s24, s24, 48
	s_addc_u32 s25, s25, 0
	s_waitcnt lgkmcnt(0)
	v_mul_hi_u32 v11, s13, v8
	s_add_i32 s28, s28, 4
	s_add_u32 s2, s2, 32
	s_addc_u32 s3, s3, 0
	v_add_u32_e32 v11, v8, v11
	v_lshrrev_b32_e32 v11, s14, v11
	v_mul_lo_u32 v15, v11, s12
	v_mul_hi_u32 v18, s16, v11
	s_cmp_lg_u32 s26, s28
	v_sub_u32_e32 v8, v8, v15
	v_add_u32_e32 v15, v11, v18
	v_mul_lo_u32 v18, v8, s4
	v_mul_lo_u32 v19, v8, s5
	v_lshrrev_b32_e32 v8, s17, v15
	v_mul_lo_u32 v15, v8, s15
	v_mul_hi_u32 v20, s19, v8
	v_sub_u32_e32 v11, v11, v15
	v_add_u32_e32 v15, v8, v20
	v_lshrrev_b32_e32 v15, s20, v15
	v_mul_hi_u32 v21, s22, v15
	v_mul_lo_u32 v23, v15, s18
	v_mul_lo_u32 v20, v11, s6
	;; [unrolled: 1-line block ×3, first 2 shown]
	v_sub_u32_e32 v23, v8, v23
	v_add_u32_e32 v8, v15, v21
	v_lshrrev_b32_e32 v8, s23, v8
	v_mul_lo_u32 v21, v8, s21
	v_mul_lo_u32 v24, v23, s8
	;; [unrolled: 1-line block ×3, first 2 shown]
	v_add3_u32 v14, v18, v14, v20
	v_sub_u32_e32 v15, v15, v21
	v_mul_lo_u32 v21, v15, s10
	v_mul_lo_u32 v15, v15, s11
	v_add3_u32 v11, v19, v17, v11
	v_add3_u32 v14, v24, v14, v21
	;; [unrolled: 1-line block ×3, first 2 shown]
	s_cbranch_scc1 .LBB69_326
; %bb.327:
	s_and_b32 s6, s27, 3
	s_cmp_eq_u32 s6, 0
	s_cbranch_scc0 .LBB69_331
	s_branch .LBB69_333
.LBB69_328:
                                        ; implicit-def: $vgpr14
                                        ; implicit-def: $vgpr17
	s_branch .LBB69_334
.LBB69_329:
	v_mov_b32_e32 v14, 0
	v_mov_b32_e32 v17, 0
	s_branch .LBB69_333
.LBB69_330:
	v_mov_b32_e32 v14, 0
	v_mov_b32_e32 v17, 0
	;; [unrolled: 1-line block ×3, first 2 shown]
	s_and_b32 s6, s27, 3
	s_cmp_eq_u32 s6, 0
	s_cbranch_scc1 .LBB69_333
.LBB69_331:
	s_lshl_b32 s2, s26, 3
	s_add_u32 s2, s34, s2
	s_addc_u32 s3, s35, 0
	s_add_u32 s2, s2, 0xc4
	s_addc_u32 s3, s3, 0
	s_mul_i32 s4, s26, 12
	s_add_u32 s4, s34, s4
	s_addc_u32 s5, s35, 0
.LBB69_332:                             ; =>This Inner Loop Header: Depth=1
	s_load_dwordx2 s[8:9], s[4:5], 0x4
	s_load_dword s7, s[4:5], 0xc
	s_load_dwordx2 s[10:11], s[2:3], 0x0
	s_add_u32 s4, s4, 12
	s_addc_u32 s5, s5, 0
	s_waitcnt lgkmcnt(0)
	v_mul_hi_u32 v11, s9, v8
	s_add_u32 s2, s2, 8
	s_addc_u32 s3, s3, 0
	s_add_i32 s6, s6, -1
	v_add_u32_e32 v11, v8, v11
	v_lshrrev_b32_e32 v11, s7, v11
	v_mul_lo_u32 v15, v11, s8
	s_cmp_lg_u32 s6, 0
	v_sub_u32_e32 v8, v8, v15
	v_mad_u64_u32 v[14:15], s[8:9], v8, s10, v[14:15]
	v_mad_u64_u32 v[17:18], s[8:9], v8, s11, v[17:18]
	v_mov_b32_e32 v8, v11
	s_cbranch_scc1 .LBB69_332
.LBB69_333:
	s_cbranch_execnz .LBB69_336
.LBB69_334:
	s_load_dwordx4 s[4:7], s[34:35], 0x4
	s_load_dwordx2 s[2:3], s[34:35], 0xc4
	s_cmp_lt_u32 s33, 2
	s_waitcnt lgkmcnt(0)
	v_mul_hi_u32 v8, s5, v4
	v_add_u32_e32 v8, v4, v8
	v_lshrrev_b32_e32 v8, s6, v8
	v_mul_lo_u32 v11, v8, s4
	v_sub_u32_e32 v4, v4, v11
	v_mul_lo_u32 v14, v4, s2
	v_mul_lo_u32 v17, v4, s3
	s_cbranch_scc1 .LBB69_336
; %bb.335:
	s_load_dwordx4 s[4:7], s[34:35], 0x10
	s_load_dwordx2 s[2:3], s[34:35], 0xcc
	s_waitcnt lgkmcnt(0)
	v_mul_hi_u32 v4, s5, v8
	v_add_u32_e32 v4, v8, v4
	v_lshrrev_b32_e32 v4, s6, v4
	v_mul_lo_u32 v4, v4, s4
	v_sub_u32_e32 v4, v8, v4
	v_mad_u64_u32 v[14:15], s[4:5], v4, s2, v[14:15]
	v_mad_u64_u32 v[17:18], s[2:3], v4, s3, v[17:18]
.LBB69_336:
	s_and_b64 vcc, exec, s[0:1]
	s_cbranch_vccnz .LBB69_342
; %bb.337:
	s_cmp_lg_u32 s33, 0
	s_waitcnt lgkmcnt(0)
	s_mov_b32 s24, 0
	s_cbranch_scc0 .LBB69_343
; %bb.338:
	s_min_u32 s25, s56, 15
	s_add_i32 s25, s25, 1
	s_cmp_eq_u32 s56, 2
	s_cbranch_scc1 .LBB69_344
; %bb.339:
	s_and_b32 s24, s25, 28
	s_add_u32 s20, s34, 0xc4
	s_addc_u32 s21, s35, 0
	v_mov_b32_e32 v20, 0
	s_mov_b32 s26, 0
	s_mov_b64 s[22:23], s[34:35]
	v_mov_b32_e32 v18, 0
	v_mov_b32_e32 v4, v22
.LBB69_340:                             ; =>This Inner Loop Header: Depth=1
	s_load_dwordx8 s[8:15], s[22:23], 0x4
	s_load_dwordx4 s[16:19], s[22:23], 0x24
	s_load_dwordx8 s[0:7], s[20:21], 0x0
	s_add_u32 s22, s22, 48
	s_addc_u32 s23, s23, 0
	s_waitcnt lgkmcnt(0)
	v_mul_hi_u32 v8, s9, v4
	s_add_i32 s26, s26, 4
	s_add_u32 s20, s20, 32
	s_addc_u32 s21, s21, 0
	v_add_u32_e32 v8, v4, v8
	v_lshrrev_b32_e32 v8, s10, v8
	v_mul_lo_u32 v11, v8, s8
	v_mul_hi_u32 v15, s12, v8
	s_cmp_lg_u32 s24, s26
	v_sub_u32_e32 v4, v4, v11
	v_add_u32_e32 v11, v8, v15
	v_mul_lo_u32 v15, v4, s0
	v_mul_lo_u32 v19, v4, s1
	v_lshrrev_b32_e32 v4, s13, v11
	v_mul_lo_u32 v11, v4, s11
	v_mul_hi_u32 v21, s15, v4
	v_sub_u32_e32 v8, v8, v11
	v_add_u32_e32 v11, v4, v21
	v_lshrrev_b32_e32 v11, s16, v11
	v_mul_hi_u32 v23, s18, v11
	v_mul_lo_u32 v24, v11, s14
	v_mul_lo_u32 v21, v8, s2
	;; [unrolled: 1-line block ×3, first 2 shown]
	v_sub_u32_e32 v24, v4, v24
	v_add_u32_e32 v4, v11, v23
	v_lshrrev_b32_e32 v4, s19, v4
	v_mul_lo_u32 v23, v4, s17
	v_mul_lo_u32 v25, v24, s4
	v_mul_lo_u32 v24, v24, s5
	v_add3_u32 v15, v15, v18, v21
	v_sub_u32_e32 v11, v11, v23
	v_mul_lo_u32 v23, v11, s6
	v_mul_lo_u32 v11, v11, s7
	v_add3_u32 v8, v19, v20, v8
	v_add3_u32 v18, v25, v15, v23
	;; [unrolled: 1-line block ×3, first 2 shown]
	s_cbranch_scc1 .LBB69_340
; %bb.341:
	s_and_b32 s4, s25, 3
	s_cmp_eq_u32 s4, 0
	s_cbranch_scc0 .LBB69_345
	s_branch .LBB69_347
.LBB69_342:
                                        ; implicit-def: $vgpr18
                                        ; implicit-def: $vgpr20
	s_branch .LBB69_348
.LBB69_343:
	v_mov_b32_e32 v18, 0
	v_mov_b32_e32 v20, 0
	s_branch .LBB69_347
.LBB69_344:
	v_mov_b32_e32 v18, 0
	v_mov_b32_e32 v20, 0
	;; [unrolled: 1-line block ×3, first 2 shown]
	s_and_b32 s4, s25, 3
	s_cmp_eq_u32 s4, 0
	s_cbranch_scc1 .LBB69_347
.LBB69_345:
	s_lshl_b32 s0, s24, 3
	s_add_u32 s0, s34, s0
	s_addc_u32 s1, s35, 0
	s_add_u32 s0, s0, 0xc4
	s_addc_u32 s1, s1, 0
	s_mul_i32 s2, s24, 12
	s_add_u32 s2, s34, s2
	s_addc_u32 s3, s35, 0
.LBB69_346:                             ; =>This Inner Loop Header: Depth=1
	s_load_dwordx2 s[6:7], s[2:3], 0x4
	s_load_dword s5, s[2:3], 0xc
	s_load_dwordx2 s[8:9], s[0:1], 0x0
	s_add_u32 s2, s2, 12
	s_addc_u32 s3, s3, 0
	s_waitcnt lgkmcnt(0)
	v_mul_hi_u32 v8, s7, v4
	s_add_u32 s0, s0, 8
	s_addc_u32 s1, s1, 0
	s_add_i32 s4, s4, -1
	v_add_u32_e32 v8, v4, v8
	v_lshrrev_b32_e32 v8, s5, v8
	v_mul_lo_u32 v11, v8, s6
	s_cmp_lg_u32 s4, 0
	v_sub_u32_e32 v4, v4, v11
	v_mad_u64_u32 v[18:19], s[6:7], v4, s8, v[18:19]
	v_mad_u64_u32 v[20:21], s[6:7], v4, s9, v[20:21]
	v_mov_b32_e32 v4, v8
	s_cbranch_scc1 .LBB69_346
.LBB69_347:
	s_cbranch_execnz .LBB69_350
.LBB69_348:
	s_load_dwordx4 s[0:3], s[34:35], 0x4
	s_load_dwordx2 s[4:5], s[34:35], 0xc4
	s_cmp_lt_u32 s33, 2
	s_waitcnt lgkmcnt(0)
	v_mul_hi_u32 v4, s1, v22
	v_add_u32_e32 v4, v22, v4
	v_lshrrev_b32_e32 v4, s2, v4
	v_mul_lo_u32 v8, v4, s0
	v_sub_u32_e32 v8, v22, v8
	v_mul_lo_u32 v18, v8, s4
	v_mul_lo_u32 v20, v8, s5
	s_cbranch_scc1 .LBB69_350
; %bb.349:
	s_load_dwordx4 s[0:3], s[34:35], 0x10
	s_load_dwordx2 s[4:5], s[34:35], 0xcc
	s_waitcnt lgkmcnt(0)
	v_mul_hi_u32 v8, s1, v4
	v_add_u32_e32 v8, v4, v8
	v_lshrrev_b32_e32 v8, s2, v8
	v_mul_lo_u32 v8, v8, s0
	v_sub_u32_e32 v4, v4, v8
	v_mad_u64_u32 v[18:19], s[0:1], v4, s4, v[18:19]
	v_mad_u64_u32 v[20:21], s[0:1], v4, s5, v[20:21]
.LBB69_350:
	s_load_dwordx4 s[0:3], s[34:35], 0x148
	s_load_dwordx2 s[4:5], s[34:35], 0x158
	s_mov_b64 s[8:9], 0
	s_waitcnt lgkmcnt(0)
	global_load_ushort v4, v5, s[2:3]
	s_cmp_lt_i32 s4, 1
	s_cbranch_scc1 .LBB69_354
; %bb.351:
	s_cmp_gt_i32 s4, 1
	s_cbranch_scc0 .LBB69_355
; %bb.352:
	s_cmp_eq_u32 s4, 2
	s_cbranch_scc0 .LBB69_356
; %bb.353:
	s_waitcnt vmcnt(0)
	v_cmp_ge_i16_e64 s[6:7], s5, v4
	s_mov_b64 s[10:11], 0
	s_branch .LBB69_357
.LBB69_354:
                                        ; implicit-def: $sgpr6_sgpr7
	s_mov_b64 s[10:11], 0
	s_cbranch_execnz .LBB69_360
	s_branch .LBB69_361
.LBB69_355:
	s_mov_b64 s[10:11], 0
                                        ; implicit-def: $sgpr6_sgpr7
	s_cbranch_execnz .LBB69_358
	s_branch .LBB69_359
.LBB69_356:
	s_mov_b64 s[10:11], -1
                                        ; implicit-def: $sgpr6_sgpr7
.LBB69_357:
	s_branch .LBB69_359
.LBB69_358:
	s_waitcnt vmcnt(0)
	v_cmp_lt_i16_e32 vcc, s5, v4
	s_andn2_b64 s[6:7], s[6:7], exec
	s_and_b64 s[12:13], vcc, exec
	s_or_b64 s[6:7], s[6:7], s[12:13]
.LBB69_359:
	s_branch .LBB69_361
.LBB69_360:
	s_cmp_lg_u32 s4, 0
	s_mov_b64 s[8:9], -1
	s_cselect_b64 s[10:11], -1, 0
.LBB69_361:
	s_andn2_b64 vcc, exec, s[10:11]
	s_cbranch_vccz .LBB69_367
; %bb.362:
	s_andn2_b64 vcc, exec, s[8:9]
	s_cbranch_vccz .LBB69_368
.LBB69_363:
	global_load_ushort v4, v6, s[2:3]
	s_cmp_lt_i32 s4, 1
	s_mov_b64 s[10:11], 0
	s_cbranch_scc1 .LBB69_369
.LBB69_364:
	s_cmp_gt_i32 s4, 1
	s_cbranch_scc0 .LBB69_370
; %bb.365:
	s_cmp_eq_u32 s4, 2
	s_cbranch_scc0 .LBB69_371
; %bb.366:
	s_waitcnt vmcnt(0)
	v_cmp_ge_i16_e64 s[8:9], s5, v4
	s_mov_b64 s[12:13], 0
	s_branch .LBB69_372
.LBB69_367:
	s_waitcnt vmcnt(0)
	v_cmp_gt_i16_e32 vcc, s5, v4
	s_andn2_b64 s[6:7], s[6:7], exec
	s_and_b64 s[10:11], vcc, exec
	s_or_b64 s[6:7], s[6:7], s[10:11]
	s_cbranch_execnz .LBB69_363
.LBB69_368:
	s_waitcnt vmcnt(0)
	v_cmp_le_i16_e32 vcc, s5, v4
	s_andn2_b64 s[6:7], s[6:7], exec
	s_and_b64 s[8:9], vcc, exec
	s_or_b64 s[6:7], s[6:7], s[8:9]
	global_load_ushort v4, v6, s[2:3]
	s_cmp_lt_i32 s4, 1
	s_mov_b64 s[10:11], 0
	s_cbranch_scc0 .LBB69_364
.LBB69_369:
                                        ; implicit-def: $sgpr8_sgpr9
	s_mov_b64 s[12:13], 0
	s_cbranch_execnz .LBB69_375
	s_branch .LBB69_376
.LBB69_370:
	s_mov_b64 s[12:13], 0
                                        ; implicit-def: $sgpr8_sgpr9
	s_cbranch_execnz .LBB69_373
	s_branch .LBB69_374
.LBB69_371:
	s_mov_b64 s[12:13], -1
                                        ; implicit-def: $sgpr8_sgpr9
.LBB69_372:
	s_branch .LBB69_374
.LBB69_373:
	s_waitcnt vmcnt(0)
	v_cmp_lt_i16_e32 vcc, s5, v4
	s_andn2_b64 s[8:9], s[8:9], exec
	s_and_b64 s[14:15], vcc, exec
	s_or_b64 s[8:9], s[8:9], s[14:15]
.LBB69_374:
	s_branch .LBB69_376
.LBB69_375:
	s_cmp_lg_u32 s4, 0
	s_mov_b64 s[10:11], -1
	s_cselect_b64 s[12:13], -1, 0
.LBB69_376:
	s_andn2_b64 vcc, exec, s[12:13]
	s_cbranch_vccz .LBB69_382
; %bb.377:
	s_andn2_b64 vcc, exec, s[10:11]
	s_cbranch_vccz .LBB69_383
.LBB69_378:
	global_load_ushort v4, v9, s[2:3]
	s_cmp_lt_i32 s4, 1
	s_mov_b64 s[12:13], 0
	s_cbranch_scc1 .LBB69_384
.LBB69_379:
	s_cmp_gt_i32 s4, 1
	s_cbranch_scc0 .LBB69_385
; %bb.380:
	s_cmp_eq_u32 s4, 2
	s_cbranch_scc0 .LBB69_386
; %bb.381:
	s_waitcnt vmcnt(0)
	v_cmp_ge_i16_e64 s[10:11], s5, v4
	s_mov_b64 s[14:15], 0
	s_branch .LBB69_387
.LBB69_382:
	s_waitcnt vmcnt(0)
	v_cmp_gt_i16_e32 vcc, s5, v4
	s_andn2_b64 s[8:9], s[8:9], exec
	s_and_b64 s[12:13], vcc, exec
	s_or_b64 s[8:9], s[8:9], s[12:13]
	s_cbranch_execnz .LBB69_378
.LBB69_383:
	s_waitcnt vmcnt(0)
	v_cmp_le_i16_e32 vcc, s5, v4
	s_andn2_b64 s[8:9], s[8:9], exec
	s_and_b64 s[10:11], vcc, exec
	s_or_b64 s[8:9], s[8:9], s[10:11]
	global_load_ushort v4, v9, s[2:3]
	s_cmp_lt_i32 s4, 1
	s_mov_b64 s[12:13], 0
	s_cbranch_scc0 .LBB69_379
.LBB69_384:
                                        ; implicit-def: $sgpr10_sgpr11
	s_mov_b64 s[14:15], 0
	s_cbranch_execnz .LBB69_390
	s_branch .LBB69_391
.LBB69_385:
	s_mov_b64 s[14:15], 0
                                        ; implicit-def: $sgpr10_sgpr11
	s_cbranch_execnz .LBB69_388
	s_branch .LBB69_389
.LBB69_386:
	s_mov_b64 s[14:15], -1
                                        ; implicit-def: $sgpr10_sgpr11
.LBB69_387:
	s_branch .LBB69_389
.LBB69_388:
	s_waitcnt vmcnt(0)
	v_cmp_lt_i16_e32 vcc, s5, v4
	s_andn2_b64 s[10:11], s[10:11], exec
	s_and_b64 s[16:17], vcc, exec
	s_or_b64 s[10:11], s[10:11], s[16:17]
.LBB69_389:
	s_branch .LBB69_391
.LBB69_390:
	s_cmp_lg_u32 s4, 0
	s_mov_b64 s[12:13], -1
	s_cselect_b64 s[14:15], -1, 0
.LBB69_391:
	s_andn2_b64 vcc, exec, s[14:15]
	s_cbranch_vccz .LBB69_397
; %bb.392:
	s_andn2_b64 vcc, exec, s[12:13]
	s_cbranch_vccz .LBB69_398
.LBB69_393:
	global_load_ushort v4, v12, s[2:3]
	s_cmp_lt_i32 s4, 1
	s_mov_b64 s[14:15], 0
	s_cbranch_scc1 .LBB69_399
.LBB69_394:
	s_cmp_gt_i32 s4, 1
	s_cbranch_scc0 .LBB69_400
; %bb.395:
	s_cmp_eq_u32 s4, 2
	s_cbranch_scc0 .LBB69_401
; %bb.396:
	s_waitcnt vmcnt(0)
	v_cmp_ge_i16_e64 s[12:13], s5, v4
	s_mov_b64 s[16:17], 0
	s_branch .LBB69_402
.LBB69_397:
	s_waitcnt vmcnt(0)
	v_cmp_gt_i16_e32 vcc, s5, v4
	s_andn2_b64 s[10:11], s[10:11], exec
	s_and_b64 s[14:15], vcc, exec
	s_or_b64 s[10:11], s[10:11], s[14:15]
	s_cbranch_execnz .LBB69_393
.LBB69_398:
	s_waitcnt vmcnt(0)
	v_cmp_le_i16_e32 vcc, s5, v4
	s_andn2_b64 s[10:11], s[10:11], exec
	s_and_b64 s[12:13], vcc, exec
	s_or_b64 s[10:11], s[10:11], s[12:13]
	global_load_ushort v4, v12, s[2:3]
	s_cmp_lt_i32 s4, 1
	s_mov_b64 s[14:15], 0
	s_cbranch_scc0 .LBB69_394
.LBB69_399:
                                        ; implicit-def: $sgpr12_sgpr13
	s_mov_b64 s[16:17], 0
	s_cbranch_execnz .LBB69_405
	s_branch .LBB69_406
.LBB69_400:
	s_mov_b64 s[16:17], 0
                                        ; implicit-def: $sgpr12_sgpr13
	s_cbranch_execnz .LBB69_403
	s_branch .LBB69_404
.LBB69_401:
	s_mov_b64 s[16:17], -1
                                        ; implicit-def: $sgpr12_sgpr13
.LBB69_402:
	s_branch .LBB69_404
.LBB69_403:
	s_waitcnt vmcnt(0)
	v_cmp_lt_i16_e32 vcc, s5, v4
	s_andn2_b64 s[12:13], s[12:13], exec
	s_and_b64 s[18:19], vcc, exec
	s_or_b64 s[12:13], s[12:13], s[18:19]
.LBB69_404:
	s_branch .LBB69_406
.LBB69_405:
	s_cmp_lg_u32 s4, 0
	s_mov_b64 s[14:15], -1
	s_cselect_b64 s[16:17], -1, 0
.LBB69_406:
	s_andn2_b64 vcc, exec, s[16:17]
	s_cbranch_vccz .LBB69_412
; %bb.407:
	s_andn2_b64 vcc, exec, s[14:15]
	s_cbranch_vccz .LBB69_413
.LBB69_408:
	global_load_ushort v4, v13, s[2:3]
	s_cmp_lt_i32 s4, 1
	s_mov_b64 s[16:17], 0
	s_cbranch_scc1 .LBB69_414
.LBB69_409:
	s_cmp_gt_i32 s4, 1
	s_cbranch_scc0 .LBB69_415
; %bb.410:
	s_cmp_eq_u32 s4, 2
	s_cbranch_scc0 .LBB69_416
; %bb.411:
	s_waitcnt vmcnt(0)
	v_cmp_ge_i16_e64 s[14:15], s5, v4
	s_mov_b64 s[18:19], 0
	s_branch .LBB69_417
.LBB69_412:
	s_waitcnt vmcnt(0)
	v_cmp_gt_i16_e32 vcc, s5, v4
	s_andn2_b64 s[12:13], s[12:13], exec
	s_and_b64 s[16:17], vcc, exec
	s_or_b64 s[12:13], s[12:13], s[16:17]
	s_cbranch_execnz .LBB69_408
.LBB69_413:
	s_waitcnt vmcnt(0)
	v_cmp_le_i16_e32 vcc, s5, v4
	s_andn2_b64 s[12:13], s[12:13], exec
	s_and_b64 s[14:15], vcc, exec
	s_or_b64 s[12:13], s[12:13], s[14:15]
	global_load_ushort v4, v13, s[2:3]
	s_cmp_lt_i32 s4, 1
	s_mov_b64 s[16:17], 0
	s_cbranch_scc0 .LBB69_409
.LBB69_414:
                                        ; implicit-def: $sgpr14_sgpr15
	s_mov_b64 s[18:19], 0
	s_cbranch_execnz .LBB69_420
	s_branch .LBB69_421
.LBB69_415:
	s_mov_b64 s[18:19], 0
                                        ; implicit-def: $sgpr14_sgpr15
	s_cbranch_execnz .LBB69_418
	s_branch .LBB69_419
.LBB69_416:
	s_mov_b64 s[18:19], -1
                                        ; implicit-def: $sgpr14_sgpr15
.LBB69_417:
	s_branch .LBB69_419
.LBB69_418:
	s_waitcnt vmcnt(0)
	v_cmp_lt_i16_e32 vcc, s5, v4
	s_andn2_b64 s[14:15], s[14:15], exec
	s_and_b64 s[20:21], vcc, exec
	s_or_b64 s[14:15], s[14:15], s[20:21]
.LBB69_419:
	s_branch .LBB69_421
.LBB69_420:
	s_cmp_lg_u32 s4, 0
	s_mov_b64 s[16:17], -1
	s_cselect_b64 s[18:19], -1, 0
.LBB69_421:
	s_andn2_b64 vcc, exec, s[18:19]
	s_cbranch_vccz .LBB69_427
; %bb.422:
	s_andn2_b64 vcc, exec, s[16:17]
	s_cbranch_vccz .LBB69_428
.LBB69_423:
	global_load_ushort v4, v16, s[2:3]
	s_cmp_lt_i32 s4, 1
	s_mov_b64 s[18:19], 0
	s_cbranch_scc1 .LBB69_429
.LBB69_424:
	s_cmp_gt_i32 s4, 1
	s_cbranch_scc0 .LBB69_430
; %bb.425:
	s_cmp_eq_u32 s4, 2
	s_cbranch_scc0 .LBB69_431
; %bb.426:
	s_waitcnt vmcnt(0)
	v_cmp_ge_i16_e64 s[16:17], s5, v4
	s_mov_b64 s[20:21], 0
	s_branch .LBB69_432
.LBB69_427:
	s_waitcnt vmcnt(0)
	v_cmp_gt_i16_e32 vcc, s5, v4
	s_andn2_b64 s[14:15], s[14:15], exec
	s_and_b64 s[18:19], vcc, exec
	s_or_b64 s[14:15], s[14:15], s[18:19]
	s_cbranch_execnz .LBB69_423
.LBB69_428:
	s_waitcnt vmcnt(0)
	v_cmp_le_i16_e32 vcc, s5, v4
	s_andn2_b64 s[14:15], s[14:15], exec
	s_and_b64 s[16:17], vcc, exec
	s_or_b64 s[14:15], s[14:15], s[16:17]
	global_load_ushort v4, v16, s[2:3]
	s_cmp_lt_i32 s4, 1
	s_mov_b64 s[18:19], 0
	s_cbranch_scc0 .LBB69_424
.LBB69_429:
                                        ; implicit-def: $sgpr16_sgpr17
	s_mov_b64 s[20:21], 0
	s_cbranch_execnz .LBB69_435
	s_branch .LBB69_436
.LBB69_430:
	s_mov_b64 s[20:21], 0
                                        ; implicit-def: $sgpr16_sgpr17
	s_cbranch_execnz .LBB69_433
	s_branch .LBB69_434
.LBB69_431:
	s_mov_b64 s[20:21], -1
                                        ; implicit-def: $sgpr16_sgpr17
.LBB69_432:
	s_branch .LBB69_434
.LBB69_433:
	s_waitcnt vmcnt(0)
	v_cmp_lt_i16_e32 vcc, s5, v4
	s_andn2_b64 s[16:17], s[16:17], exec
	s_and_b64 s[22:23], vcc, exec
	s_or_b64 s[16:17], s[16:17], s[22:23]
.LBB69_434:
	s_branch .LBB69_436
.LBB69_435:
	s_cmp_lg_u32 s4, 0
	s_mov_b64 s[18:19], -1
	s_cselect_b64 s[20:21], -1, 0
.LBB69_436:
	s_andn2_b64 vcc, exec, s[20:21]
	s_cbranch_vccz .LBB69_442
; %bb.437:
	s_andn2_b64 vcc, exec, s[18:19]
	s_cbranch_vccz .LBB69_443
.LBB69_438:
	global_load_ushort v4, v17, s[2:3]
	s_cmp_lt_i32 s4, 1
	s_mov_b64 s[20:21], 0
	s_cbranch_scc1 .LBB69_444
.LBB69_439:
	s_cmp_gt_i32 s4, 1
	s_cbranch_scc0 .LBB69_445
; %bb.440:
	s_cmp_eq_u32 s4, 2
	s_cbranch_scc0 .LBB69_446
; %bb.441:
	s_waitcnt vmcnt(0)
	v_cmp_ge_i16_e64 s[18:19], s5, v4
	s_mov_b64 s[22:23], 0
	s_branch .LBB69_447
.LBB69_442:
	s_waitcnt vmcnt(0)
	v_cmp_gt_i16_e32 vcc, s5, v4
	s_andn2_b64 s[16:17], s[16:17], exec
	s_and_b64 s[20:21], vcc, exec
	s_or_b64 s[16:17], s[16:17], s[20:21]
	s_cbranch_execnz .LBB69_438
.LBB69_443:
	s_waitcnt vmcnt(0)
	v_cmp_le_i16_e32 vcc, s5, v4
	s_andn2_b64 s[16:17], s[16:17], exec
	s_and_b64 s[18:19], vcc, exec
	s_or_b64 s[16:17], s[16:17], s[18:19]
	global_load_ushort v4, v17, s[2:3]
	s_cmp_lt_i32 s4, 1
	s_mov_b64 s[20:21], 0
	s_cbranch_scc0 .LBB69_439
.LBB69_444:
                                        ; implicit-def: $sgpr18_sgpr19
	s_mov_b64 s[22:23], 0
	s_cbranch_execnz .LBB69_450
	s_branch .LBB69_451
.LBB69_445:
	s_mov_b64 s[22:23], 0
                                        ; implicit-def: $sgpr18_sgpr19
	s_cbranch_execnz .LBB69_448
	s_branch .LBB69_449
.LBB69_446:
	s_mov_b64 s[22:23], -1
                                        ; implicit-def: $sgpr18_sgpr19
.LBB69_447:
	s_branch .LBB69_449
.LBB69_448:
	s_waitcnt vmcnt(0)
	v_cmp_lt_i16_e32 vcc, s5, v4
	s_andn2_b64 s[18:19], s[18:19], exec
	s_and_b64 s[24:25], vcc, exec
	s_or_b64 s[18:19], s[18:19], s[24:25]
.LBB69_449:
	s_branch .LBB69_451
.LBB69_450:
	s_cmp_lg_u32 s4, 0
	s_mov_b64 s[20:21], -1
	s_cselect_b64 s[22:23], -1, 0
.LBB69_451:
	s_andn2_b64 vcc, exec, s[22:23]
	s_cbranch_vccz .LBB69_457
; %bb.452:
	s_andn2_b64 vcc, exec, s[20:21]
	s_cbranch_vccz .LBB69_458
.LBB69_453:
	global_load_ushort v4, v20, s[2:3]
	s_cmp_lt_i32 s4, 1
	s_mov_b64 s[20:21], 0
	s_cbranch_scc1 .LBB69_459
.LBB69_454:
	s_cmp_gt_i32 s4, 1
	s_cbranch_scc0 .LBB69_460
; %bb.455:
	s_cmp_eq_u32 s4, 2
	s_cbranch_scc0 .LBB69_461
; %bb.456:
	s_waitcnt vmcnt(0)
	v_cmp_ge_i16_e64 s[2:3], s5, v4
	s_mov_b64 s[22:23], 0
	s_branch .LBB69_462
.LBB69_457:
	s_waitcnt vmcnt(0)
	v_cmp_gt_i16_e32 vcc, s5, v4
	s_andn2_b64 s[18:19], s[18:19], exec
	s_and_b64 s[22:23], vcc, exec
	s_or_b64 s[18:19], s[18:19], s[22:23]
	s_cbranch_execnz .LBB69_453
.LBB69_458:
	s_waitcnt vmcnt(0)
	v_cmp_le_i16_e32 vcc, s5, v4
	s_andn2_b64 s[18:19], s[18:19], exec
	s_and_b64 s[20:21], vcc, exec
	s_or_b64 s[18:19], s[18:19], s[20:21]
	global_load_ushort v4, v20, s[2:3]
	s_cmp_lt_i32 s4, 1
	s_mov_b64 s[20:21], 0
	s_cbranch_scc0 .LBB69_454
.LBB69_459:
                                        ; implicit-def: $sgpr2_sgpr3
	s_mov_b64 s[22:23], 0
	s_cbranch_execnz .LBB69_465
	s_branch .LBB69_466
.LBB69_460:
	s_mov_b64 s[22:23], 0
                                        ; implicit-def: $sgpr2_sgpr3
	s_cbranch_execnz .LBB69_463
	s_branch .LBB69_464
.LBB69_461:
	s_mov_b64 s[22:23], -1
                                        ; implicit-def: $sgpr2_sgpr3
.LBB69_462:
	s_branch .LBB69_464
.LBB69_463:
	s_waitcnt vmcnt(0)
	v_cmp_lt_i16_e32 vcc, s5, v4
	s_andn2_b64 s[2:3], s[2:3], exec
	s_and_b64 s[24:25], vcc, exec
	s_or_b64 s[2:3], s[2:3], s[24:25]
.LBB69_464:
	s_branch .LBB69_466
.LBB69_465:
	s_cmp_lg_u32 s4, 0
	s_mov_b64 s[20:21], -1
	s_cselect_b64 s[22:23], -1, 0
.LBB69_466:
	s_andn2_b64 vcc, exec, s[22:23]
	s_cbranch_vccz .LBB69_470
; %bb.467:
	s_andn2_b64 vcc, exec, s[20:21]
	s_cbranch_vccnz .LBB69_469
.LBB69_468:
	s_waitcnt vmcnt(0)
	v_cmp_le_i16_e32 vcc, s5, v4
	s_andn2_b64 s[2:3], s[2:3], exec
	s_and_b64 s[4:5], vcc, exec
	s_or_b64 s[2:3], s[2:3], s[4:5]
.LBB69_469:
	v_cndmask_b32_e64 v12, 0, 1, s[6:7]
	s_waitcnt vmcnt(0)
	v_cndmask_b32_e64 v4, 0, 1, s[18:19]
	v_cndmask_b32_e64 v5, 0, 1, s[16:17]
	;; [unrolled: 1-line block ×7, first 2 shown]
	global_store_byte v0, v12, s[0:1]
	global_store_byte v1, v11, s[0:1]
	;; [unrolled: 1-line block ×8, first 2 shown]
	s_endpgm
.LBB69_470:
	s_waitcnt vmcnt(0)
	v_cmp_gt_i16_e32 vcc, s5, v4
	s_andn2_b64 s[2:3], s[2:3], exec
	s_and_b64 s[22:23], vcc, exec
	s_or_b64 s[2:3], s[2:3], s[22:23]
	s_cbranch_execz .LBB69_468
	s_branch .LBB69_469
.LBB69_471:
	s_mov_b64 s[4:5], -1
                                        ; implicit-def: $sgpr2_sgpr3
	s_branch .LBB69_60
.LBB69_472:
	s_mov_b64 s[4:5], -1
                                        ; implicit-def: $sgpr2_sgpr3
	s_branch .LBB69_88
.LBB69_473:
	s_mov_b64 s[4:5], -1
                                        ; implicit-def: $sgpr2_sgpr3
	s_branch .LBB69_116
.LBB69_474:
	s_mov_b64 s[4:5], -1
                                        ; implicit-def: $sgpr2_sgpr3
	s_branch .LBB69_144
.LBB69_475:
	s_mov_b64 s[4:5], -1
                                        ; implicit-def: $sgpr2_sgpr3
	s_branch .LBB69_172
.LBB69_476:
	s_mov_b64 s[4:5], -1
                                        ; implicit-def: $sgpr2_sgpr3
	s_branch .LBB69_200
.LBB69_477:
	s_mov_b64 s[4:5], -1
                                        ; implicit-def: $sgpr2_sgpr3
	s_branch .LBB69_228
	.section	.rodata,"a",@progbits
	.p2align	6, 0x0
	.amdhsa_kernel _ZN2at6native32elementwise_kernel_manual_unrollILi128ELi8EZNS0_22gpu_kernel_impl_nocastIZNS0_21compare_scalar_kernelIsEEvRNS_18TensorIteratorBaseENS0_12_GLOBAL__N_16OpTypeET_EUlsE_EEvS5_RKS8_EUlibE_EEviT1_
		.amdhsa_group_segment_fixed_size 0
		.amdhsa_private_segment_fixed_size 0
		.amdhsa_kernarg_size 360
		.amdhsa_user_sgpr_count 6
		.amdhsa_user_sgpr_private_segment_buffer 1
		.amdhsa_user_sgpr_dispatch_ptr 0
		.amdhsa_user_sgpr_queue_ptr 0
		.amdhsa_user_sgpr_kernarg_segment_ptr 1
		.amdhsa_user_sgpr_dispatch_id 0
		.amdhsa_user_sgpr_flat_scratch_init 0
		.amdhsa_user_sgpr_private_segment_size 0
		.amdhsa_uses_dynamic_stack 0
		.amdhsa_system_sgpr_private_segment_wavefront_offset 0
		.amdhsa_system_sgpr_workgroup_id_x 1
		.amdhsa_system_sgpr_workgroup_id_y 0
		.amdhsa_system_sgpr_workgroup_id_z 0
		.amdhsa_system_sgpr_workgroup_info 0
		.amdhsa_system_vgpr_workitem_id 0
		.amdhsa_next_free_vgpr 26
		.amdhsa_next_free_sgpr 62
		.amdhsa_reserve_vcc 1
		.amdhsa_reserve_flat_scratch 0
		.amdhsa_float_round_mode_32 0
		.amdhsa_float_round_mode_16_64 0
		.amdhsa_float_denorm_mode_32 3
		.amdhsa_float_denorm_mode_16_64 3
		.amdhsa_dx10_clamp 1
		.amdhsa_ieee_mode 1
		.amdhsa_fp16_overflow 0
		.amdhsa_exception_fp_ieee_invalid_op 0
		.amdhsa_exception_fp_denorm_src 0
		.amdhsa_exception_fp_ieee_div_zero 0
		.amdhsa_exception_fp_ieee_overflow 0
		.amdhsa_exception_fp_ieee_underflow 0
		.amdhsa_exception_fp_ieee_inexact 0
		.amdhsa_exception_int_div_zero 0
	.end_amdhsa_kernel
	.section	.text._ZN2at6native32elementwise_kernel_manual_unrollILi128ELi8EZNS0_22gpu_kernel_impl_nocastIZNS0_21compare_scalar_kernelIsEEvRNS_18TensorIteratorBaseENS0_12_GLOBAL__N_16OpTypeET_EUlsE_EEvS5_RKS8_EUlibE_EEviT1_,"axG",@progbits,_ZN2at6native32elementwise_kernel_manual_unrollILi128ELi8EZNS0_22gpu_kernel_impl_nocastIZNS0_21compare_scalar_kernelIsEEvRNS_18TensorIteratorBaseENS0_12_GLOBAL__N_16OpTypeET_EUlsE_EEvS5_RKS8_EUlibE_EEviT1_,comdat
.Lfunc_end69:
	.size	_ZN2at6native32elementwise_kernel_manual_unrollILi128ELi8EZNS0_22gpu_kernel_impl_nocastIZNS0_21compare_scalar_kernelIsEEvRNS_18TensorIteratorBaseENS0_12_GLOBAL__N_16OpTypeET_EUlsE_EEvS5_RKS8_EUlibE_EEviT1_, .Lfunc_end69-_ZN2at6native32elementwise_kernel_manual_unrollILi128ELi8EZNS0_22gpu_kernel_impl_nocastIZNS0_21compare_scalar_kernelIsEEvRNS_18TensorIteratorBaseENS0_12_GLOBAL__N_16OpTypeET_EUlsE_EEvS5_RKS8_EUlibE_EEviT1_
                                        ; -- End function
	.set _ZN2at6native32elementwise_kernel_manual_unrollILi128ELi8EZNS0_22gpu_kernel_impl_nocastIZNS0_21compare_scalar_kernelIsEEvRNS_18TensorIteratorBaseENS0_12_GLOBAL__N_16OpTypeET_EUlsE_EEvS5_RKS8_EUlibE_EEviT1_.num_vgpr, 26
	.set _ZN2at6native32elementwise_kernel_manual_unrollILi128ELi8EZNS0_22gpu_kernel_impl_nocastIZNS0_21compare_scalar_kernelIsEEvRNS_18TensorIteratorBaseENS0_12_GLOBAL__N_16OpTypeET_EUlsE_EEvS5_RKS8_EUlibE_EEviT1_.num_agpr, 0
	.set _ZN2at6native32elementwise_kernel_manual_unrollILi128ELi8EZNS0_22gpu_kernel_impl_nocastIZNS0_21compare_scalar_kernelIsEEvRNS_18TensorIteratorBaseENS0_12_GLOBAL__N_16OpTypeET_EUlsE_EEvS5_RKS8_EUlibE_EEviT1_.numbered_sgpr, 62
	.set _ZN2at6native32elementwise_kernel_manual_unrollILi128ELi8EZNS0_22gpu_kernel_impl_nocastIZNS0_21compare_scalar_kernelIsEEvRNS_18TensorIteratorBaseENS0_12_GLOBAL__N_16OpTypeET_EUlsE_EEvS5_RKS8_EUlibE_EEviT1_.num_named_barrier, 0
	.set _ZN2at6native32elementwise_kernel_manual_unrollILi128ELi8EZNS0_22gpu_kernel_impl_nocastIZNS0_21compare_scalar_kernelIsEEvRNS_18TensorIteratorBaseENS0_12_GLOBAL__N_16OpTypeET_EUlsE_EEvS5_RKS8_EUlibE_EEviT1_.private_seg_size, 0
	.set _ZN2at6native32elementwise_kernel_manual_unrollILi128ELi8EZNS0_22gpu_kernel_impl_nocastIZNS0_21compare_scalar_kernelIsEEvRNS_18TensorIteratorBaseENS0_12_GLOBAL__N_16OpTypeET_EUlsE_EEvS5_RKS8_EUlibE_EEviT1_.uses_vcc, 1
	.set _ZN2at6native32elementwise_kernel_manual_unrollILi128ELi8EZNS0_22gpu_kernel_impl_nocastIZNS0_21compare_scalar_kernelIsEEvRNS_18TensorIteratorBaseENS0_12_GLOBAL__N_16OpTypeET_EUlsE_EEvS5_RKS8_EUlibE_EEviT1_.uses_flat_scratch, 0
	.set _ZN2at6native32elementwise_kernel_manual_unrollILi128ELi8EZNS0_22gpu_kernel_impl_nocastIZNS0_21compare_scalar_kernelIsEEvRNS_18TensorIteratorBaseENS0_12_GLOBAL__N_16OpTypeET_EUlsE_EEvS5_RKS8_EUlibE_EEviT1_.has_dyn_sized_stack, 0
	.set _ZN2at6native32elementwise_kernel_manual_unrollILi128ELi8EZNS0_22gpu_kernel_impl_nocastIZNS0_21compare_scalar_kernelIsEEvRNS_18TensorIteratorBaseENS0_12_GLOBAL__N_16OpTypeET_EUlsE_EEvS5_RKS8_EUlibE_EEviT1_.has_recursion, 0
	.set _ZN2at6native32elementwise_kernel_manual_unrollILi128ELi8EZNS0_22gpu_kernel_impl_nocastIZNS0_21compare_scalar_kernelIsEEvRNS_18TensorIteratorBaseENS0_12_GLOBAL__N_16OpTypeET_EUlsE_EEvS5_RKS8_EUlibE_EEviT1_.has_indirect_call, 0
	.section	.AMDGPU.csdata,"",@progbits
; Kernel info:
; codeLenInByte = 14260
; TotalNumSgprs: 66
; NumVgprs: 26
; ScratchSize: 0
; MemoryBound: 0
; FloatMode: 240
; IeeeMode: 1
; LDSByteSize: 0 bytes/workgroup (compile time only)
; SGPRBlocks: 8
; VGPRBlocks: 6
; NumSGPRsForWavesPerEU: 66
; NumVGPRsForWavesPerEU: 26
; Occupancy: 9
; WaveLimiterHint : 1
; COMPUTE_PGM_RSRC2:SCRATCH_EN: 0
; COMPUTE_PGM_RSRC2:USER_SGPR: 6
; COMPUTE_PGM_RSRC2:TRAP_HANDLER: 0
; COMPUTE_PGM_RSRC2:TGID_X_EN: 1
; COMPUTE_PGM_RSRC2:TGID_Y_EN: 0
; COMPUTE_PGM_RSRC2:TGID_Z_EN: 0
; COMPUTE_PGM_RSRC2:TIDIG_COMP_CNT: 0
	.section	.text._ZN2at6native32elementwise_kernel_manual_unrollILi128ELi4EZNS0_15gpu_kernel_implIZNS0_21compare_scalar_kernelIsEEvRNS_18TensorIteratorBaseENS0_12_GLOBAL__N_16OpTypeET_EUlsE_EEvS5_RKS8_EUlibE_EEviT1_,"axG",@progbits,_ZN2at6native32elementwise_kernel_manual_unrollILi128ELi4EZNS0_15gpu_kernel_implIZNS0_21compare_scalar_kernelIsEEvRNS_18TensorIteratorBaseENS0_12_GLOBAL__N_16OpTypeET_EUlsE_EEvS5_RKS8_EUlibE_EEviT1_,comdat
	.globl	_ZN2at6native32elementwise_kernel_manual_unrollILi128ELi4EZNS0_15gpu_kernel_implIZNS0_21compare_scalar_kernelIsEEvRNS_18TensorIteratorBaseENS0_12_GLOBAL__N_16OpTypeET_EUlsE_EEvS5_RKS8_EUlibE_EEviT1_ ; -- Begin function _ZN2at6native32elementwise_kernel_manual_unrollILi128ELi4EZNS0_15gpu_kernel_implIZNS0_21compare_scalar_kernelIsEEvRNS_18TensorIteratorBaseENS0_12_GLOBAL__N_16OpTypeET_EUlsE_EEvS5_RKS8_EUlibE_EEviT1_
	.p2align	8
	.type	_ZN2at6native32elementwise_kernel_manual_unrollILi128ELi4EZNS0_15gpu_kernel_implIZNS0_21compare_scalar_kernelIsEEvRNS_18TensorIteratorBaseENS0_12_GLOBAL__N_16OpTypeET_EUlsE_EEvS5_RKS8_EUlibE_EEviT1_,@function
_ZN2at6native32elementwise_kernel_manual_unrollILi128ELi4EZNS0_15gpu_kernel_implIZNS0_21compare_scalar_kernelIsEEvRNS_18TensorIteratorBaseENS0_12_GLOBAL__N_16OpTypeET_EUlsE_EEvS5_RKS8_EUlibE_EEviT1_: ; @_ZN2at6native32elementwise_kernel_manual_unrollILi128ELi4EZNS0_15gpu_kernel_implIZNS0_21compare_scalar_kernelIsEEvRNS_18TensorIteratorBaseENS0_12_GLOBAL__N_16OpTypeET_EUlsE_EEvS5_RKS8_EUlibE_EEviT1_
; %bb.0:
	s_load_dwordx2 s[2:3], s[4:5], 0x24
	s_load_dword s33, s[4:5], 0x0
	s_load_dwordx8 s[8:15], s[4:5], 0x8
	v_lshl_or_b32 v4, s6, 9, v0
	v_or_b32_e32 v0, 0x180, v4
	s_waitcnt lgkmcnt(0)
	s_bfe_u32 s15, s3, 0x80008
	v_cmp_le_i32_e32 vcc, s33, v0
	s_mov_b64 s[4:5], 0
	s_mov_b64 s[16:17], 0
	s_and_saveexec_b64 s[0:1], vcc
	s_xor_b64 s[6:7], exec, s[0:1]
	s_cbranch_execz .LBB70_1076
; %bb.1:
	v_cmp_gt_i32_e32 vcc, s33, v4
	s_mov_b64 s[22:23], -1
	s_mov_b64 s[24:25], 0
	s_mov_b64 s[18:19], 0
	s_and_saveexec_b64 s[20:21], vcc
	s_cbranch_execz .LBB70_264
; %bb.2:
	v_mul_lo_u32 v0, v4, s13
	v_mov_b32_e32 v1, s11
	s_and_b32 s22, 0xffff, s15
	s_cmp_lt_i32 s22, 11
	v_ashrrev_i32_e32 v2, 31, v0
	v_add_co_u32_e32 v0, vcc, s10, v0
	v_addc_co_u32_e32 v1, vcc, v1, v2, vcc
	s_cbranch_scc1 .LBB70_9
; %bb.3:
	s_cmp_gt_i32 s22, 25
	s_cbranch_scc0 .LBB70_15
; %bb.4:
	s_cmp_gt_i32 s22, 28
	s_cbranch_scc0 .LBB70_17
	;; [unrolled: 3-line block ×4, first 2 shown]
; %bb.7:
	s_cmp_eq_u32 s22, 46
	s_cbranch_scc0 .LBB70_44
; %bb.8:
	global_load_dword v2, v[0:1], off
	s_mov_b64 s[0:1], -1
	s_waitcnt vmcnt(0)
	v_lshlrev_b32_e32 v2, 16, v2
	v_cvt_i32_f32_e32 v2, v2
	s_branch .LBB70_46
.LBB70_9:
                                        ; implicit-def: $vgpr2
	s_mov_b64 s[0:1], 0
	s_cbranch_execnz .LBB70_215
.LBB70_10:
	s_andn2_b64 vcc, exec, s[0:1]
	s_cbranch_vccnz .LBB70_262
.LBB70_11:
	s_cmp_lt_i32 s14, 1
	s_mov_b64 s[0:1], 0
	s_cbranch_scc1 .LBB70_16
; %bb.12:
	s_cmp_gt_i32 s14, 1
	s_cbranch_scc0 .LBB70_18
; %bb.13:
	s_cmp_eq_u32 s14, 2
	s_cbranch_scc0 .LBB70_20
; %bb.14:
	s_waitcnt vmcnt(0)
	v_cmp_ge_i16_e64 s[16:17], s2, v2
	s_mov_b64 s[22:23], 0
	s_branch .LBB70_21
.LBB70_15:
	s_mov_b64 s[0:1], 0
                                        ; implicit-def: $vgpr2
	s_cbranch_execnz .LBB70_182
	s_branch .LBB70_214
.LBB70_16:
                                        ; implicit-def: $sgpr16_sgpr17
	s_mov_b64 s[22:23], 0
	s_cbranch_execnz .LBB70_25
	s_branch .LBB70_26
.LBB70_17:
	s_mov_b64 s[16:17], -1
	s_mov_b64 s[0:1], 0
                                        ; implicit-def: $vgpr2
	s_branch .LBB70_165
.LBB70_18:
	s_mov_b64 s[26:27], -1
	s_mov_b64 s[22:23], 0
                                        ; implicit-def: $sgpr16_sgpr17
	s_branch .LBB70_22
.LBB70_19:
	s_mov_b64 s[16:17], -1
	s_mov_b64 s[0:1], 0
                                        ; implicit-def: $vgpr2
	s_branch .LBB70_160
.LBB70_20:
	s_mov_b64 s[22:23], -1
                                        ; implicit-def: $sgpr16_sgpr17
.LBB70_21:
	s_mov_b64 s[26:27], 0
.LBB70_22:
	s_and_b64 vcc, exec, s[26:27]
	s_cbranch_vccz .LBB70_24
; %bb.23:
	s_waitcnt vmcnt(0)
	v_cmp_lt_i16_e32 vcc, s2, v2
	s_andn2_b64 s[16:17], s[16:17], exec
	s_and_b64 s[26:27], vcc, exec
	s_or_b64 s[16:17], s[16:17], s[26:27]
.LBB70_24:
	s_branch .LBB70_26
.LBB70_25:
	s_cmp_lg_u32 s14, 0
	s_mov_b64 s[0:1], -1
	s_cselect_b64 s[22:23], -1, 0
.LBB70_26:
	s_andn2_b64 vcc, exec, s[22:23]
	s_cbranch_vccnz .LBB70_28
; %bb.27:
	s_waitcnt vmcnt(0)
	v_cmp_gt_i16_e32 vcc, s2, v2
	s_andn2_b64 s[16:17], s[16:17], exec
	s_and_b64 s[22:23], vcc, exec
	s_or_b64 s[16:17], s[16:17], s[22:23]
	s_cbranch_execz .LBB70_29
	s_branch .LBB70_30
.LBB70_28:
	s_andn2_b64 vcc, exec, s[0:1]
	s_cbranch_vccnz .LBB70_30
.LBB70_29:
	s_waitcnt vmcnt(0)
	v_cmp_le_i16_e32 vcc, s2, v2
	s_andn2_b64 s[0:1], s[16:17], exec
	s_and_b64 s[16:17], vcc, exec
	s_or_b64 s[16:17], s[0:1], s[16:17]
.LBB70_30:
	v_mul_lo_u32 v0, v4, s12
	v_mov_b32_e32 v1, s9
	s_and_b32 s30, s3, 0xff
	s_cmp_lt_i32 s30, 11
	s_waitcnt vmcnt(0)
	v_ashrrev_i32_e32 v2, 31, v0
	v_add_co_u32_e32 v0, vcc, s8, v0
	v_addc_co_u32_e32 v1, vcc, v1, v2, vcc
	s_cbranch_scc1 .LBB70_37
; %bb.31:
	s_and_b32 s31, 0xffff, s30
	s_cmp_gt_i32 s31, 25
	s_cbranch_scc0 .LBB70_40
; %bb.32:
	s_cmp_gt_i32 s31, 28
	s_cbranch_scc0 .LBB70_41
; %bb.33:
	;; [unrolled: 3-line block ×4, first 2 shown]
	s_mov_b64 s[26:27], 0
	s_mov_b64 s[0:1], -1
	s_cmp_eq_u32 s31, 46
	s_mov_b64 s[22:23], 0
	s_cbranch_scc0 .LBB70_50
; %bb.36:
	v_cndmask_b32_e64 v2, 0, 1.0, s[16:17]
	v_bfe_u32 v3, v2, 16, 1
	s_movk_i32 s0, 0x7fff
	v_add3_u32 v2, v2, v3, s0
	v_lshrrev_b32_e32 v2, 16, v2
	global_store_dword v[0:1], v2, off
	s_mov_b64 s[22:23], -1
	s_mov_b64 s[0:1], 0
	s_branch .LBB70_50
.LBB70_37:
	s_mov_b64 s[0:1], 0
	s_mov_b64 s[22:23], 0
	s_cbranch_execnz .LBB70_119
.LBB70_38:
	s_andn2_b64 vcc, exec, s[22:23]
	s_cbranch_vccnz .LBB70_157
.LBB70_39:
	v_add_u32_e32 v4, 0x80, v4
	s_mov_b64 s[22:23], -1
	s_branch .LBB70_263
.LBB70_40:
	s_mov_b64 s[26:27], -1
	s_mov_b64 s[0:1], 0
	s_mov_b64 s[22:23], 0
	s_branch .LBB70_77
.LBB70_41:
	s_mov_b64 s[26:27], -1
	s_mov_b64 s[0:1], 0
	s_mov_b64 s[22:23], 0
	s_branch .LBB70_60
.LBB70_42:
	s_mov_b64 s[16:17], -1
	s_branch .LBB70_45
.LBB70_43:
	s_mov_b64 s[26:27], -1
	s_mov_b64 s[0:1], 0
	s_mov_b64 s[22:23], 0
	s_branch .LBB70_56
.LBB70_44:
	s_mov_b64 s[18:19], -1
.LBB70_45:
	s_mov_b64 s[0:1], 0
                                        ; implicit-def: $vgpr2
.LBB70_46:
	s_and_b64 vcc, exec, s[16:17]
	s_cbranch_vccz .LBB70_159
; %bb.47:
	s_cmp_eq_u32 s22, 44
	s_cbranch_scc0 .LBB70_158
; %bb.48:
	global_load_ubyte v2, v[0:1], off
	s_mov_b64 s[0:1], -1
	s_mov_b64 s[18:19], 0
	s_waitcnt vmcnt(0)
	v_lshlrev_b32_e32 v3, 23, v2
	v_cvt_i32_f32_e32 v3, v3
	v_cmp_ne_u32_e32 vcc, 0, v2
	v_cndmask_b32_e32 v2, 0, v3, vcc
	s_branch .LBB70_159
.LBB70_49:
	s_mov_b64 s[26:27], -1
	s_mov_b64 s[0:1], 0
	s_mov_b64 s[22:23], 0
.LBB70_50:
	s_and_b64 vcc, exec, s[26:27]
	s_cbranch_vccz .LBB70_55
; %bb.51:
	s_cmp_eq_u32 s31, 44
	s_mov_b64 s[0:1], -1
	s_cbranch_scc0 .LBB70_55
; %bb.52:
	v_cndmask_b32_e64 v3, 0, 1.0, s[16:17]
	v_lshrrev_b32_e32 v2, 23, v3
	s_movk_i32 s0, 0xff
	v_cmp_ne_u32_e32 vcc, s0, v2
	v_mov_b32_e32 v5, 0xff
	s_and_saveexec_b64 s[22:23], vcc
; %bb.53:
	s_mov_b32 s0, 0x3fffff
	v_and_b32_e32 v5, 0x400000, v3
	v_and_or_b32 v3, v3, s0, v2
	v_cmp_ne_u32_e32 vcc, 0, v5
	v_cmp_ne_u32_e64 s[0:1], 0, v3
	s_and_b64 s[0:1], vcc, s[0:1]
	v_cndmask_b32_e64 v3, 0, 1, s[0:1]
	v_add_u32_e32 v5, v2, v3
; %bb.54:
	s_or_b64 exec, exec, s[22:23]
	s_mov_b64 s[22:23], -1
	s_mov_b64 s[0:1], 0
	global_store_byte v[0:1], v5, off
.LBB70_55:
	s_mov_b64 s[26:27], 0
.LBB70_56:
	s_and_b64 vcc, exec, s[26:27]
	s_cbranch_vccz .LBB70_59
; %bb.57:
	s_cmp_eq_u32 s31, 29
	s_mov_b64 s[0:1], -1
	s_cbranch_scc0 .LBB70_59
; %bb.58:
	s_mov_b32 s0, 0
	v_cndmask_b32_e64 v2, 0, 1, s[16:17]
	v_mov_b32_e32 v3, s0
	global_store_dwordx2 v[0:1], v[2:3], off
	s_mov_b64 s[22:23], -1
	s_mov_b64 s[0:1], 0
.LBB70_59:
	s_mov_b64 s[26:27], 0
.LBB70_60:
	s_and_b64 vcc, exec, s[26:27]
	s_cbranch_vccz .LBB70_76
; %bb.61:
	s_cmp_lt_i32 s31, 27
	s_mov_b64 s[22:23], -1
	s_cbranch_scc1 .LBB70_67
; %bb.62:
	s_cmp_gt_i32 s31, 27
	s_cbranch_scc0 .LBB70_64
; %bb.63:
	v_cndmask_b32_e64 v2, 0, 1, s[16:17]
	s_mov_b64 s[22:23], 0
	global_store_dword v[0:1], v2, off
.LBB70_64:
	s_andn2_b64 vcc, exec, s[22:23]
	s_cbranch_vccnz .LBB70_66
; %bb.65:
	v_cndmask_b32_e64 v2, 0, 1, s[16:17]
	global_store_short v[0:1], v2, off
.LBB70_66:
	s_mov_b64 s[22:23], 0
.LBB70_67:
	s_andn2_b64 vcc, exec, s[22:23]
	s_cbranch_vccnz .LBB70_75
; %bb.68:
	v_cndmask_b32_e64 v3, 0, 1.0, s[16:17]
	s_mov_b32 s22, 0x43800000
	v_cmp_gt_u32_e32 vcc, s22, v3
	v_mov_b32_e32 v5, 0x80
	s_and_saveexec_b64 s[22:23], vcc
	s_cbranch_execz .LBB70_74
; %bb.69:
	s_mov_b32 s26, 0x3bffffff
	v_cmp_lt_u32_e32 vcc, s26, v3
	s_mov_b64 s[26:27], 0
                                        ; implicit-def: $vgpr2
	s_and_saveexec_b64 s[28:29], vcc
	s_xor_b64 s[28:29], exec, s[28:29]
	s_cbranch_execz .LBB70_307
; %bb.70:
	v_bfe_u32 v2, v3, 20, 1
	s_mov_b32 s34, 0x487ffff
	v_add3_u32 v2, v3, v2, s34
	s_mov_b64 s[26:27], exec
	v_lshrrev_b32_e32 v2, 20, v2
                                        ; implicit-def: $vgpr3
	s_andn2_saveexec_b64 s[28:29], s[28:29]
	s_cbranch_execnz .LBB70_308
.LBB70_71:
	s_or_b64 exec, exec, s[28:29]
	v_mov_b32_e32 v5, 0
	s_and_saveexec_b64 s[28:29], s[26:27]
.LBB70_72:
	v_mov_b32_e32 v5, v2
.LBB70_73:
	s_or_b64 exec, exec, s[28:29]
.LBB70_74:
	s_or_b64 exec, exec, s[22:23]
	global_store_byte v[0:1], v5, off
.LBB70_75:
	s_mov_b64 s[22:23], -1
.LBB70_76:
	s_mov_b64 s[26:27], 0
.LBB70_77:
	s_and_b64 vcc, exec, s[26:27]
	s_cbranch_vccz .LBB70_118
; %bb.78:
	s_cmp_gt_i32 s31, 22
	s_mov_b64 s[26:27], -1
	s_cbranch_scc0 .LBB70_110
; %bb.79:
	s_cmp_lt_i32 s31, 24
	s_mov_b64 s[22:23], -1
	s_cbranch_scc1 .LBB70_99
; %bb.80:
	s_cmp_gt_i32 s31, 24
	s_cbranch_scc0 .LBB70_88
; %bb.81:
	v_cndmask_b32_e64 v3, 0, 1.0, s[16:17]
	s_mov_b32 s22, 0x47800000
	v_cmp_gt_u32_e32 vcc, s22, v3
	v_mov_b32_e32 v5, 0x80
	s_and_saveexec_b64 s[22:23], vcc
	s_cbranch_execz .LBB70_87
; %bb.82:
	s_mov_b32 s26, 0x37ffffff
	v_cmp_lt_u32_e32 vcc, s26, v3
	s_mov_b64 s[26:27], 0
                                        ; implicit-def: $vgpr2
	s_and_saveexec_b64 s[28:29], vcc
	s_xor_b64 s[28:29], exec, s[28:29]
	s_cbranch_execz .LBB70_311
; %bb.83:
	v_bfe_u32 v2, v3, 21, 1
	s_mov_b32 s34, 0x88fffff
	v_add3_u32 v2, v3, v2, s34
	s_mov_b64 s[26:27], exec
	v_lshrrev_b32_e32 v2, 21, v2
                                        ; implicit-def: $vgpr3
	s_andn2_saveexec_b64 s[28:29], s[28:29]
	s_cbranch_execnz .LBB70_312
.LBB70_84:
	s_or_b64 exec, exec, s[28:29]
	v_mov_b32_e32 v5, 0
	s_and_saveexec_b64 s[28:29], s[26:27]
.LBB70_85:
	v_mov_b32_e32 v5, v2
.LBB70_86:
	s_or_b64 exec, exec, s[28:29]
.LBB70_87:
	s_or_b64 exec, exec, s[22:23]
	s_mov_b64 s[22:23], 0
	global_store_byte v[0:1], v5, off
.LBB70_88:
	s_and_b64 vcc, exec, s[22:23]
	s_cbranch_vccz .LBB70_98
; %bb.89:
	v_cndmask_b32_e64 v2, 0, 1.0, s[16:17]
	s_mov_b32 s22, 0x43f00000
	v_cmp_gt_u32_e32 vcc, s22, v2
                                        ; implicit-def: $vgpr3
	s_and_saveexec_b64 s[22:23], vcc
	s_xor_b64 s[22:23], exec, s[22:23]
	s_cbranch_execz .LBB70_95
; %bb.90:
	s_mov_b32 s26, 0x3c7fffff
	v_cmp_lt_u32_e32 vcc, s26, v2
                                        ; implicit-def: $vgpr3
	s_and_saveexec_b64 s[26:27], vcc
	s_xor_b64 s[26:27], exec, s[26:27]
; %bb.91:
	v_bfe_u32 v3, v2, 20, 1
	s_mov_b32 s28, 0x407ffff
	v_add3_u32 v2, v2, v3, s28
	v_lshrrev_b32_e32 v3, 20, v2
	v_and_b32_e32 v2, 0xff00000, v2
	s_mov_b32 s28, 0x7f00000
	v_mov_b32_e32 v5, 0x7e
	v_cmp_ne_u32_e32 vcc, s28, v2
	v_cndmask_b32_e32 v3, v5, v3, vcc
                                        ; implicit-def: $vgpr2
; %bb.92:
	s_andn2_saveexec_b64 s[26:27], s[26:27]
; %bb.93:
	v_add_f32_e32 v3, 0x46800000, v2
; %bb.94:
	s_or_b64 exec, exec, s[26:27]
                                        ; implicit-def: $vgpr2
.LBB70_95:
	s_andn2_saveexec_b64 s[22:23], s[22:23]
; %bb.96:
	s_mov_b32 s26, 0x7f800000
	v_mov_b32_e32 v3, 0x7e
	v_mov_b32_e32 v5, 0x7f
	v_cmp_lt_u32_e32 vcc, s26, v2
	v_cndmask_b32_e32 v3, v3, v5, vcc
; %bb.97:
	s_or_b64 exec, exec, s[22:23]
	global_store_byte v[0:1], v3, off
.LBB70_98:
	s_mov_b64 s[22:23], 0
.LBB70_99:
	s_andn2_b64 vcc, exec, s[22:23]
	s_cbranch_vccnz .LBB70_109
; %bb.100:
	v_cndmask_b32_e64 v2, 0, 1.0, s[16:17]
	s_mov_b32 s22, 0x47800000
	v_cmp_gt_u32_e32 vcc, s22, v2
                                        ; implicit-def: $vgpr3
	s_and_saveexec_b64 s[22:23], vcc
	s_xor_b64 s[22:23], exec, s[22:23]
	s_cbranch_execz .LBB70_106
; %bb.101:
	s_mov_b32 s26, 0x387fffff
	v_cmp_lt_u32_e32 vcc, s26, v2
                                        ; implicit-def: $vgpr3
	s_and_saveexec_b64 s[26:27], vcc
	s_xor_b64 s[26:27], exec, s[26:27]
; %bb.102:
	v_bfe_u32 v3, v2, 21, 1
	s_mov_b32 s28, 0x80fffff
	v_add3_u32 v2, v2, v3, s28
	v_lshrrev_b32_e32 v3, 21, v2
                                        ; implicit-def: $vgpr2
; %bb.103:
	s_andn2_saveexec_b64 s[26:27], s[26:27]
; %bb.104:
	v_add_f32_e32 v3, 0x43000000, v2
; %bb.105:
	s_or_b64 exec, exec, s[26:27]
                                        ; implicit-def: $vgpr2
.LBB70_106:
	s_andn2_saveexec_b64 s[22:23], s[22:23]
; %bb.107:
	s_mov_b32 s26, 0x7f800000
	v_mov_b32_e32 v3, 0x7c
	v_mov_b32_e32 v5, 0x7f
	v_cmp_lt_u32_e32 vcc, s26, v2
	v_cndmask_b32_e32 v3, v3, v5, vcc
; %bb.108:
	s_or_b64 exec, exec, s[22:23]
	global_store_byte v[0:1], v3, off
.LBB70_109:
	s_mov_b64 s[26:27], 0
	s_mov_b64 s[22:23], -1
.LBB70_110:
	s_andn2_b64 vcc, exec, s[26:27]
	s_cbranch_vccnz .LBB70_118
; %bb.111:
	s_cmp_gt_i32 s31, 14
	s_mov_b64 s[26:27], -1
	s_cbranch_scc0 .LBB70_115
; %bb.112:
	s_cmp_eq_u32 s31, 15
	s_mov_b64 s[0:1], -1
	s_cbranch_scc0 .LBB70_114
; %bb.113:
	v_cndmask_b32_e64 v2, 0, 1.0, s[16:17]
	v_bfe_u32 v3, v2, 16, 1
	s_movk_i32 s0, 0x7fff
	v_add3_u32 v2, v2, v3, s0
	global_store_short_d16_hi v[0:1], v2, off
	s_mov_b64 s[22:23], -1
	s_mov_b64 s[0:1], 0
.LBB70_114:
	s_mov_b64 s[26:27], 0
.LBB70_115:
	s_and_b64 vcc, exec, s[26:27]
	s_cbranch_vccz .LBB70_118
; %bb.116:
	s_cmp_eq_u32 s31, 11
	s_mov_b64 s[0:1], -1
	s_cbranch_scc0 .LBB70_118
; %bb.117:
	v_cndmask_b32_e64 v2, 0, 1, s[16:17]
	s_mov_b64 s[22:23], -1
	s_mov_b64 s[0:1], 0
	global_store_byte v[0:1], v2, off
.LBB70_118:
	s_branch .LBB70_38
.LBB70_119:
	s_and_b32 s26, 0xffff, s30
	s_cmp_lt_i32 s26, 5
	s_mov_b64 s[22:23], -1
	s_cbranch_scc1 .LBB70_140
; %bb.120:
	s_cmp_lt_i32 s26, 8
	s_cbranch_scc1 .LBB70_130
; %bb.121:
	s_cmp_lt_i32 s26, 9
	s_cbranch_scc1 .LBB70_127
; %bb.122:
	s_cmp_gt_i32 s26, 9
	s_cbranch_scc0 .LBB70_124
; %bb.123:
	v_cndmask_b32_e64 v2, 0, 1, s[16:17]
	v_cvt_f64_u32_e32 v[5:6], v2
	v_mov_b32_e32 v7, 0
	v_mov_b32_e32 v8, v7
	s_mov_b64 s[22:23], 0
	global_store_dwordx4 v[0:1], v[5:8], off
.LBB70_124:
	s_andn2_b64 vcc, exec, s[22:23]
	s_cbranch_vccnz .LBB70_126
; %bb.125:
	v_cndmask_b32_e64 v2, 0, 1.0, s[16:17]
	v_mov_b32_e32 v3, 0
	global_store_dwordx2 v[0:1], v[2:3], off
.LBB70_126:
	s_mov_b64 s[22:23], 0
.LBB70_127:
	s_andn2_b64 vcc, exec, s[22:23]
	s_cbranch_vccnz .LBB70_129
; %bb.128:
	v_cndmask_b32_e64 v2, 0, 1.0, s[16:17]
	v_cvt_f16_f32_e32 v2, v2
	global_store_dword v[0:1], v2, off
.LBB70_129:
	s_mov_b64 s[22:23], 0
.LBB70_130:
	s_andn2_b64 vcc, exec, s[22:23]
	s_cbranch_vccnz .LBB70_139
; %bb.131:
	s_cmp_lt_i32 s26, 6
	s_mov_b64 s[22:23], -1
	s_cbranch_scc1 .LBB70_137
; %bb.132:
	s_cmp_gt_i32 s26, 6
	s_cbranch_scc0 .LBB70_134
; %bb.133:
	v_cndmask_b32_e64 v2, 0, 1, s[16:17]
	v_cvt_f64_u32_e32 v[2:3], v2
	s_mov_b64 s[22:23], 0
	global_store_dwordx2 v[0:1], v[2:3], off
.LBB70_134:
	s_andn2_b64 vcc, exec, s[22:23]
	s_cbranch_vccnz .LBB70_136
; %bb.135:
	v_cndmask_b32_e64 v2, 0, 1.0, s[16:17]
	global_store_dword v[0:1], v2, off
.LBB70_136:
	s_mov_b64 s[22:23], 0
.LBB70_137:
	s_andn2_b64 vcc, exec, s[22:23]
	s_cbranch_vccnz .LBB70_139
; %bb.138:
	v_cndmask_b32_e64 v2, 0, 1.0, s[16:17]
	v_cvt_f16_f32_e32 v2, v2
	global_store_short v[0:1], v2, off
.LBB70_139:
	s_mov_b64 s[22:23], 0
.LBB70_140:
	s_andn2_b64 vcc, exec, s[22:23]
	s_cbranch_vccnz .LBB70_156
; %bb.141:
	s_cmp_lt_i32 s26, 2
	s_mov_b64 s[22:23], -1
	s_cbranch_scc1 .LBB70_151
; %bb.142:
	s_cmp_lt_i32 s26, 3
	s_cbranch_scc1 .LBB70_148
; %bb.143:
	s_cmp_gt_i32 s26, 3
	s_cbranch_scc0 .LBB70_145
; %bb.144:
	s_mov_b32 s22, 0
	v_cndmask_b32_e64 v2, 0, 1, s[16:17]
	v_mov_b32_e32 v3, s22
	global_store_dwordx2 v[0:1], v[2:3], off
	s_mov_b64 s[22:23], 0
.LBB70_145:
	s_andn2_b64 vcc, exec, s[22:23]
	s_cbranch_vccnz .LBB70_147
; %bb.146:
	v_cndmask_b32_e64 v2, 0, 1, s[16:17]
	global_store_dword v[0:1], v2, off
.LBB70_147:
	s_mov_b64 s[22:23], 0
.LBB70_148:
	s_andn2_b64 vcc, exec, s[22:23]
	s_cbranch_vccnz .LBB70_150
; %bb.149:
	v_cndmask_b32_e64 v2, 0, 1, s[16:17]
	global_store_short v[0:1], v2, off
.LBB70_150:
	s_mov_b64 s[22:23], 0
.LBB70_151:
	s_andn2_b64 vcc, exec, s[22:23]
	s_cbranch_vccnz .LBB70_156
; %bb.152:
	s_mov_b64 s[22:23], -1
	s_cmp_gt_i32 s26, 0
	v_cndmask_b32_e64 v2, 0, 1, s[16:17]
	s_cbranch_scc0 .LBB70_154
; %bb.153:
	global_store_byte v[0:1], v2, off
	s_mov_b64 s[22:23], 0
.LBB70_154:
	s_andn2_b64 vcc, exec, s[22:23]
	s_cbranch_vccnz .LBB70_156
; %bb.155:
	global_store_byte v[0:1], v2, off
.LBB70_156:
	s_branch .LBB70_39
.LBB70_157:
	s_mov_b64 s[22:23], 0
                                        ; implicit-def: $vgpr4
	s_branch .LBB70_263
.LBB70_158:
	s_mov_b64 s[18:19], -1
                                        ; implicit-def: $vgpr2
.LBB70_159:
	s_mov_b64 s[16:17], 0
.LBB70_160:
	s_and_b64 vcc, exec, s[16:17]
	s_cbranch_vccz .LBB70_164
; %bb.161:
	s_cmp_eq_u32 s22, 29
	s_cbranch_scc0 .LBB70_163
; %bb.162:
	global_load_dwordx2 v[2:3], v[0:1], off
	s_mov_b64 s[0:1], -1
	s_mov_b64 s[18:19], 0
	s_branch .LBB70_164
.LBB70_163:
	s_mov_b64 s[18:19], -1
                                        ; implicit-def: $vgpr2
.LBB70_164:
	s_mov_b64 s[16:17], 0
.LBB70_165:
	s_and_b64 vcc, exec, s[16:17]
	s_cbranch_vccz .LBB70_181
; %bb.166:
	s_cmp_lt_i32 s22, 27
	s_cbranch_scc1 .LBB70_169
; %bb.167:
	s_cmp_gt_i32 s22, 27
	s_cbranch_scc0 .LBB70_170
; %bb.168:
	global_load_dword v2, v[0:1], off
	s_mov_b64 s[0:1], 0
	s_branch .LBB70_171
.LBB70_169:
	s_mov_b64 s[0:1], -1
                                        ; implicit-def: $vgpr2
	s_branch .LBB70_174
.LBB70_170:
	s_mov_b64 s[0:1], -1
                                        ; implicit-def: $vgpr2
.LBB70_171:
	s_andn2_b64 vcc, exec, s[0:1]
	s_cbranch_vccnz .LBB70_173
; %bb.172:
	global_load_ushort v2, v[0:1], off
.LBB70_173:
	s_mov_b64 s[0:1], 0
.LBB70_174:
	s_andn2_b64 vcc, exec, s[0:1]
	s_cbranch_vccnz .LBB70_180
; %bb.175:
	global_load_ubyte v3, v[0:1], off
	s_movk_i32 s0, 0x7f
	s_mov_b64 s[16:17], 0
	s_waitcnt vmcnt(0)
	v_cmp_lt_i16_e32 vcc, s0, v3
	s_and_saveexec_b64 s[0:1], vcc
	s_xor_b64 s[0:1], exec, s[0:1]
	s_cbranch_execz .LBB70_191
; %bb.176:
	s_movk_i32 s16, 0x80
	v_cmp_ne_u16_e32 vcc, s16, v3
	s_and_b64 s[16:17], vcc, exec
	s_andn2_saveexec_b64 s[0:1], s[0:1]
	s_cbranch_execnz .LBB70_192
.LBB70_177:
	s_or_b64 exec, exec, s[0:1]
	v_mov_b32_e32 v2, 0
	s_and_saveexec_b64 s[0:1], s[16:17]
	s_cbranch_execz .LBB70_179
.LBB70_178:
	v_lshlrev_b32_e32 v2, 24, v3
	v_and_b32_e32 v3, 0xffff, v3
	v_and_b32_e32 v5, 7, v3
	v_ffbh_u32_e32 v7, v5
	v_min_u32_e32 v7, 32, v7
	v_subrev_u32_e32 v8, 28, v7
	v_bfe_u32 v6, v3, 3, 4
	v_lshlrev_b32_e32 v3, v8, v3
	v_sub_u32_e32 v7, 29, v7
	v_and_b32_e32 v3, 7, v3
	v_cmp_eq_u32_e32 vcc, 0, v6
	v_cndmask_b32_e32 v6, v6, v7, vcc
	v_cndmask_b32_e32 v3, v5, v3, vcc
	v_mov_b32_e32 v5, 0x3b800000
	v_lshlrev_b32_e32 v3, 20, v3
	v_and_b32_e32 v2, 0x80000000, v2
	v_lshl_add_u32 v5, v6, 23, v5
	v_or3_b32 v2, v2, v5, v3
	v_cvt_i32_f32_e32 v2, v2
.LBB70_179:
	s_or_b64 exec, exec, s[0:1]
.LBB70_180:
	s_mov_b64 s[0:1], -1
.LBB70_181:
	s_branch .LBB70_214
.LBB70_182:
	s_cmp_gt_i32 s22, 22
	s_cbranch_scc0 .LBB70_190
; %bb.183:
	s_cmp_lt_i32 s22, 24
	s_cbranch_scc1 .LBB70_193
; %bb.184:
	s_cmp_gt_i32 s22, 24
	s_cbranch_scc0 .LBB70_194
; %bb.185:
	global_load_ubyte v3, v[0:1], off
	s_movk_i32 s0, 0x7f
	s_mov_b64 s[16:17], 0
	s_waitcnt vmcnt(0)
	v_cmp_lt_i16_e32 vcc, s0, v3
	s_and_saveexec_b64 s[0:1], vcc
	s_xor_b64 s[0:1], exec, s[0:1]
	s_cbranch_execz .LBB70_206
; %bb.186:
	s_movk_i32 s16, 0x80
	v_cmp_ne_u16_e32 vcc, s16, v3
	s_and_b64 s[16:17], vcc, exec
	s_andn2_saveexec_b64 s[0:1], s[0:1]
	s_cbranch_execnz .LBB70_207
.LBB70_187:
	s_or_b64 exec, exec, s[0:1]
	v_mov_b32_e32 v2, 0
	s_and_saveexec_b64 s[0:1], s[16:17]
	s_cbranch_execz .LBB70_189
.LBB70_188:
	v_lshlrev_b32_e32 v2, 24, v3
	v_and_b32_e32 v3, 0xffff, v3
	v_and_b32_e32 v5, 3, v3
	v_ffbh_u32_e32 v7, v5
	v_min_u32_e32 v7, 32, v7
	v_subrev_u32_e32 v8, 29, v7
	v_bfe_u32 v6, v3, 2, 5
	v_lshlrev_b32_e32 v3, v8, v3
	v_sub_u32_e32 v7, 30, v7
	v_and_b32_e32 v3, 3, v3
	v_cmp_eq_u32_e32 vcc, 0, v6
	v_cndmask_b32_e32 v6, v6, v7, vcc
	v_cndmask_b32_e32 v3, v5, v3, vcc
	v_mov_b32_e32 v5, 0x37800000
	v_lshlrev_b32_e32 v3, 21, v3
	v_and_b32_e32 v2, 0x80000000, v2
	v_lshl_add_u32 v5, v6, 23, v5
	v_or3_b32 v2, v2, v5, v3
	v_cvt_i32_f32_e32 v2, v2
.LBB70_189:
	s_or_b64 exec, exec, s[0:1]
	s_mov_b64 s[0:1], 0
	s_branch .LBB70_195
.LBB70_190:
	s_mov_b64 s[16:17], -1
                                        ; implicit-def: $vgpr2
	s_branch .LBB70_201
.LBB70_191:
	s_andn2_saveexec_b64 s[0:1], s[0:1]
	s_cbranch_execz .LBB70_177
.LBB70_192:
	v_cmp_ne_u16_e32 vcc, 0, v3
	s_andn2_b64 s[16:17], s[16:17], exec
	s_and_b64 s[26:27], vcc, exec
	s_or_b64 s[16:17], s[16:17], s[26:27]
	s_or_b64 exec, exec, s[0:1]
	v_mov_b32_e32 v2, 0
	s_and_saveexec_b64 s[0:1], s[16:17]
	s_cbranch_execnz .LBB70_178
	s_branch .LBB70_179
.LBB70_193:
	s_mov_b64 s[0:1], -1
                                        ; implicit-def: $vgpr2
	s_branch .LBB70_198
.LBB70_194:
	s_mov_b64 s[0:1], -1
                                        ; implicit-def: $vgpr2
.LBB70_195:
	s_and_b64 vcc, exec, s[0:1]
	s_cbranch_vccz .LBB70_197
; %bb.196:
	global_load_ubyte v2, v[0:1], off
	s_mov_b32 s0, 0x7f800000
	s_waitcnt vmcnt(0)
	v_lshlrev_b32_e32 v2, 24, v2
	v_and_b32_e32 v3, 0x7f000000, v2
	v_ffbh_u32_e32 v5, v3
	v_min_u32_e32 v5, 32, v5
	v_sub_u32_e64 v5, v5, 4 clamp
	v_lshlrev_b32_e32 v7, v5, v3
	v_lshlrev_b32_e32 v5, 23, v5
	v_lshrrev_b32_e32 v7, 4, v7
	v_add_u32_e32 v6, 0x1000000, v3
	v_sub_u32_e32 v5, v7, v5
	v_ashrrev_i32_e32 v6, 8, v6
	v_add_u32_e32 v5, 0x3c000000, v5
	v_and_or_b32 v5, v6, s0, v5
	v_cmp_ne_u32_e32 vcc, 0, v3
	v_cndmask_b32_e32 v3, 0, v5, vcc
	s_brev_b32 s0, 1
	v_and_or_b32 v2, v2, s0, v3
	v_cvt_i32_f32_e32 v2, v2
.LBB70_197:
	s_mov_b64 s[0:1], 0
.LBB70_198:
	s_andn2_b64 vcc, exec, s[0:1]
	s_cbranch_vccnz .LBB70_200
; %bb.199:
	global_load_ubyte v2, v[0:1], off
	s_movk_i32 s0, 0x7f00
	s_brev_b32 s1, 16
	s_waitcnt vmcnt(0)
	v_lshlrev_b16_e32 v3, 8, v2
	v_lshlrev_b32_e32 v2, 25, v2
	v_lshrrev_b32_e32 v5, 4, v2
	v_and_or_b32 v6, v3, s0, 0.5
	v_or_b32_e32 v5, 0x70000000, v5
	v_add_f32_e32 v6, -0.5, v6
	v_mul_f32_e32 v5, 0x7800000, v5
	v_cmp_gt_u32_e32 vcc, s1, v2
	v_bfe_i32 v3, v3, 0, 16
	v_cndmask_b32_e32 v2, v5, v6, vcc
	s_brev_b32 s0, 1
	v_and_or_b32 v2, v3, s0, v2
	v_cvt_i32_f32_e32 v2, v2
.LBB70_200:
	s_mov_b64 s[16:17], 0
	s_mov_b64 s[0:1], -1
.LBB70_201:
	s_andn2_b64 vcc, exec, s[16:17]
	s_cbranch_vccnz .LBB70_214
; %bb.202:
	s_cmp_gt_i32 s22, 14
	s_cbranch_scc0 .LBB70_205
; %bb.203:
	s_cmp_eq_u32 s22, 15
	s_cbranch_scc0 .LBB70_208
; %bb.204:
	global_load_ushort v2, v[0:1], off
	s_mov_b64 s[0:1], -1
	s_mov_b64 s[18:19], 0
	s_waitcnt vmcnt(0)
	v_lshlrev_b32_e32 v2, 16, v2
	v_cvt_i32_f32_e32 v2, v2
	s_branch .LBB70_209
.LBB70_205:
	s_mov_b64 s[16:17], -1
                                        ; implicit-def: $vgpr2
	s_branch .LBB70_210
.LBB70_206:
	s_andn2_saveexec_b64 s[0:1], s[0:1]
	s_cbranch_execz .LBB70_187
.LBB70_207:
	v_cmp_ne_u16_e32 vcc, 0, v3
	s_andn2_b64 s[16:17], s[16:17], exec
	s_and_b64 s[26:27], vcc, exec
	s_or_b64 s[16:17], s[16:17], s[26:27]
	s_or_b64 exec, exec, s[0:1]
	v_mov_b32_e32 v2, 0
	s_and_saveexec_b64 s[0:1], s[16:17]
	s_cbranch_execnz .LBB70_188
	s_branch .LBB70_189
.LBB70_208:
	s_mov_b64 s[18:19], -1
                                        ; implicit-def: $vgpr2
.LBB70_209:
	s_mov_b64 s[16:17], 0
.LBB70_210:
	s_and_b64 vcc, exec, s[16:17]
	s_cbranch_vccz .LBB70_214
; %bb.211:
	s_cmp_eq_u32 s22, 11
	s_cbranch_scc0 .LBB70_213
; %bb.212:
	global_load_ubyte v2, v[0:1], off
	s_mov_b64 s[0:1], -1
	s_mov_b64 s[18:19], 0
	s_waitcnt vmcnt(0)
	v_cmp_ne_u16_e32 vcc, 0, v2
	v_cndmask_b32_e64 v2, 0, 1, vcc
	s_branch .LBB70_214
.LBB70_213:
	s_mov_b64 s[18:19], -1
                                        ; implicit-def: $vgpr2
.LBB70_214:
	s_branch .LBB70_10
.LBB70_215:
	s_cmp_lt_i32 s22, 5
	s_cbranch_scc1 .LBB70_220
; %bb.216:
	s_cmp_lt_i32 s22, 8
	s_cbranch_scc1 .LBB70_221
; %bb.217:
	;; [unrolled: 3-line block ×3, first 2 shown]
	s_cmp_gt_i32 s22, 9
	s_cbranch_scc0 .LBB70_223
; %bb.219:
	global_load_dwordx2 v[2:3], v[0:1], off
	s_mov_b64 s[0:1], 0
	s_waitcnt vmcnt(0)
	v_cvt_i32_f64_e32 v2, v[2:3]
	s_branch .LBB70_224
.LBB70_220:
                                        ; implicit-def: $vgpr2
	s_branch .LBB70_242
.LBB70_221:
	s_mov_b64 s[0:1], -1
                                        ; implicit-def: $vgpr2
	s_branch .LBB70_230
.LBB70_222:
	s_mov_b64 s[0:1], -1
                                        ; implicit-def: $vgpr2
	s_branch .LBB70_227
.LBB70_223:
	s_mov_b64 s[0:1], -1
                                        ; implicit-def: $vgpr2
.LBB70_224:
	s_andn2_b64 vcc, exec, s[0:1]
	s_cbranch_vccnz .LBB70_226
; %bb.225:
	global_load_dword v2, v[0:1], off
	s_waitcnt vmcnt(0)
	v_cvt_i32_f32_e32 v2, v2
.LBB70_226:
	s_mov_b64 s[0:1], 0
.LBB70_227:
	s_andn2_b64 vcc, exec, s[0:1]
	s_cbranch_vccnz .LBB70_229
; %bb.228:
	global_load_dword v2, v[0:1], off
	s_waitcnt vmcnt(0)
	v_cvt_i16_f16_e32 v2, v2
.LBB70_229:
	s_mov_b64 s[0:1], 0
.LBB70_230:
	s_andn2_b64 vcc, exec, s[0:1]
	s_cbranch_vccnz .LBB70_241
; %bb.231:
	s_cmp_lt_i32 s22, 6
	s_cbranch_scc1 .LBB70_234
; %bb.232:
	s_cmp_gt_i32 s22, 6
	s_cbranch_scc0 .LBB70_235
; %bb.233:
	global_load_dwordx2 v[2:3], v[0:1], off
	s_mov_b64 s[0:1], 0
	s_waitcnt vmcnt(0)
	v_cvt_i32_f64_e32 v2, v[2:3]
	s_branch .LBB70_236
.LBB70_234:
	s_mov_b64 s[0:1], -1
                                        ; implicit-def: $vgpr2
	s_branch .LBB70_239
.LBB70_235:
	s_mov_b64 s[0:1], -1
                                        ; implicit-def: $vgpr2
.LBB70_236:
	s_andn2_b64 vcc, exec, s[0:1]
	s_cbranch_vccnz .LBB70_238
; %bb.237:
	global_load_dword v2, v[0:1], off
	s_waitcnt vmcnt(0)
	v_cvt_i32_f32_e32 v2, v2
.LBB70_238:
	s_mov_b64 s[0:1], 0
.LBB70_239:
	s_andn2_b64 vcc, exec, s[0:1]
	s_cbranch_vccnz .LBB70_241
; %bb.240:
	global_load_ushort v2, v[0:1], off
	s_waitcnt vmcnt(0)
	v_cvt_i16_f16_e32 v2, v2
.LBB70_241:
	s_cbranch_execnz .LBB70_261
.LBB70_242:
	s_cmp_lt_i32 s22, 2
	s_cbranch_scc1 .LBB70_246
; %bb.243:
	s_cmp_lt_i32 s22, 3
	s_cbranch_scc1 .LBB70_247
; %bb.244:
	s_cmp_gt_i32 s22, 3
	s_cbranch_scc0 .LBB70_248
; %bb.245:
	global_load_dwordx2 v[2:3], v[0:1], off
	s_mov_b64 s[0:1], 0
	s_branch .LBB70_249
.LBB70_246:
	s_mov_b64 s[0:1], -1
                                        ; implicit-def: $vgpr2
	s_branch .LBB70_255
.LBB70_247:
	s_mov_b64 s[0:1], -1
                                        ; implicit-def: $vgpr2
	s_branch .LBB70_252
.LBB70_248:
	s_mov_b64 s[0:1], -1
                                        ; implicit-def: $vgpr2
.LBB70_249:
	s_andn2_b64 vcc, exec, s[0:1]
	s_cbranch_vccnz .LBB70_251
; %bb.250:
	global_load_dword v2, v[0:1], off
.LBB70_251:
	s_mov_b64 s[0:1], 0
.LBB70_252:
	s_andn2_b64 vcc, exec, s[0:1]
	s_cbranch_vccnz .LBB70_254
; %bb.253:
	global_load_ushort v2, v[0:1], off
.LBB70_254:
	s_mov_b64 s[0:1], 0
.LBB70_255:
	s_andn2_b64 vcc, exec, s[0:1]
	s_cbranch_vccnz .LBB70_261
; %bb.256:
	s_cmp_gt_i32 s22, 0
	s_cbranch_scc0 .LBB70_258
; %bb.257:
	global_load_sbyte v2, v[0:1], off
	s_mov_b64 s[0:1], 0
	s_branch .LBB70_259
.LBB70_258:
	s_mov_b64 s[0:1], -1
                                        ; implicit-def: $vgpr2
.LBB70_259:
	s_andn2_b64 vcc, exec, s[0:1]
	s_cbranch_vccnz .LBB70_261
; %bb.260:
	global_load_ubyte v2, v[0:1], off
.LBB70_261:
	s_branch .LBB70_11
.LBB70_262:
	s_mov_b64 s[0:1], 0
                                        ; implicit-def: $vgpr4
	s_mov_b64 s[22:23], 0
.LBB70_263:
	s_and_b64 s[16:17], s[0:1], exec
	s_and_b64 s[18:19], s[18:19], exec
	s_orn2_b64 s[22:23], s[22:23], exec
.LBB70_264:
	s_or_b64 exec, exec, s[20:21]
	s_mov_b64 s[26:27], 0
	s_mov_b64 s[0:1], 0
                                        ; implicit-def: $vgpr0_vgpr1
                                        ; implicit-def: $vgpr2
	s_and_saveexec_b64 s[20:21], s[22:23]
	s_cbranch_execz .LBB70_273
; %bb.265:
	v_cmp_gt_i32_e32 vcc, s33, v4
	s_mov_b64 s[0:1], -1
	s_mov_b64 s[22:23], s[18:19]
	s_mov_b64 s[24:25], s[16:17]
	s_and_saveexec_b64 s[26:27], vcc
	s_cbranch_execz .LBB70_537
; %bb.266:
	v_mul_lo_u32 v0, v4, s13
	v_mov_b32_e32 v1, s11
	s_and_b32 s28, 0xffff, s15
	s_cmp_lt_i32 s28, 11
	s_waitcnt vmcnt(0)
	v_ashrrev_i32_e32 v2, 31, v0
	v_add_co_u32_e32 v0, vcc, s10, v0
	v_addc_co_u32_e32 v1, vcc, v1, v2, vcc
	s_cbranch_scc1 .LBB70_276
; %bb.267:
	s_cmp_gt_i32 s28, 25
	s_cbranch_scc0 .LBB70_282
; %bb.268:
	s_cmp_gt_i32 s28, 28
	s_cbranch_scc0 .LBB70_286
	;; [unrolled: 3-line block ×4, first 2 shown]
; %bb.271:
	s_cmp_eq_u32 s28, 46
	s_mov_b64 s[24:25], 0
	s_cbranch_scc0 .LBB70_313
; %bb.272:
	global_load_dword v2, v[0:1], off
	s_mov_b64 s[22:23], 0
	s_waitcnt vmcnt(0)
	v_lshlrev_b32_e32 v2, 16, v2
	v_cvt_i32_f32_e32 v2, v2
	s_branch .LBB70_314
.LBB70_273:
	s_or_b64 exec, exec, s[20:21]
	s_mov_b64 s[20:21], 0
	s_and_saveexec_b64 s[22:23], s[18:19]
	s_cbranch_execnz .LBB70_892
.LBB70_274:
	s_or_b64 exec, exec, s[22:23]
	s_and_saveexec_b64 s[18:19], s[24:25]
	s_xor_b64 s[18:19], exec, s[18:19]
	s_cbranch_execz .LBB70_893
.LBB70_275:
	global_load_ubyte v2, v[0:1], off
	s_or_b64 s[0:1], s[0:1], exec
	s_waitcnt vmcnt(0)
	v_cmp_ne_u16_e32 vcc, 0, v2
	v_cndmask_b32_e64 v2, 0, 1, vcc
	s_or_b64 exec, exec, s[18:19]
	s_and_saveexec_b64 s[18:19], s[26:27]
	s_cbranch_execz .LBB70_939
	s_branch .LBB70_894
.LBB70_276:
	s_mov_b64 s[0:1], 0
                                        ; implicit-def: $vgpr2
	s_mov_b64 s[22:23], s[18:19]
	s_cbranch_execnz .LBB70_487
.LBB70_277:
	s_andn2_b64 vcc, exec, s[0:1]
	s_cbranch_vccnz .LBB70_535
.LBB70_278:
	s_cmp_lt_i32 s14, 1
	s_mov_b64 s[0:1], 0
	s_cbranch_scc1 .LBB70_283
; %bb.279:
	s_cmp_gt_i32 s14, 1
	s_cbranch_scc0 .LBB70_287
; %bb.280:
	s_cmp_eq_u32 s14, 2
	s_cbranch_scc0 .LBB70_289
; %bb.281:
	s_waitcnt vmcnt(0)
	v_cmp_ge_i16_e64 s[24:25], s2, v2
	s_mov_b64 s[28:29], 0
	s_branch .LBB70_290
.LBB70_282:
	s_mov_b64 s[24:25], -1
	s_mov_b64 s[0:1], 0
	s_mov_b64 s[22:23], s[18:19]
                                        ; implicit-def: $vgpr2
	s_branch .LBB70_453
.LBB70_283:
                                        ; implicit-def: $sgpr24_sgpr25
	s_mov_b64 s[28:29], 0
	s_cbranch_execnz .LBB70_294
.LBB70_284:
	s_andn2_b64 vcc, exec, s[28:29]
	s_cbranch_vccnz .LBB70_295
.LBB70_285:
	s_waitcnt vmcnt(0)
	v_cmp_gt_i16_e32 vcc, s2, v2
	s_andn2_b64 s[24:25], s[24:25], exec
	s_and_b64 s[28:29], vcc, exec
	s_or_b64 s[24:25], s[24:25], s[28:29]
	s_cbranch_execz .LBB70_296
	s_branch .LBB70_297
.LBB70_286:
	s_mov_b64 s[24:25], -1
	s_mov_b64 s[0:1], 0
	s_mov_b64 s[22:23], s[18:19]
                                        ; implicit-def: $vgpr2
	s_branch .LBB70_436
.LBB70_287:
	s_mov_b64 s[30:31], -1
	s_mov_b64 s[28:29], 0
                                        ; implicit-def: $sgpr24_sgpr25
	s_branch .LBB70_291
.LBB70_288:
	s_mov_b64 s[24:25], -1
	s_mov_b64 s[0:1], 0
	s_mov_b64 s[22:23], s[18:19]
                                        ; implicit-def: $vgpr2
	s_branch .LBB70_431
.LBB70_289:
	s_mov_b64 s[28:29], -1
                                        ; implicit-def: $sgpr24_sgpr25
.LBB70_290:
	s_mov_b64 s[30:31], 0
.LBB70_291:
	s_and_b64 vcc, exec, s[30:31]
	s_cbranch_vccz .LBB70_293
; %bb.292:
	s_waitcnt vmcnt(0)
	v_cmp_lt_i16_e32 vcc, s2, v2
	s_andn2_b64 s[24:25], s[24:25], exec
	s_and_b64 s[30:31], vcc, exec
	s_or_b64 s[24:25], s[24:25], s[30:31]
.LBB70_293:
	s_branch .LBB70_284
.LBB70_294:
	s_cmp_lg_u32 s14, 0
	s_mov_b64 s[0:1], -1
	s_cselect_b64 s[28:29], -1, 0
	s_andn2_b64 vcc, exec, s[28:29]
	s_cbranch_vccz .LBB70_285
.LBB70_295:
	s_andn2_b64 vcc, exec, s[0:1]
	s_cbranch_vccnz .LBB70_297
.LBB70_296:
	s_waitcnt vmcnt(0)
	v_cmp_le_i16_e32 vcc, s2, v2
	s_andn2_b64 s[0:1], s[24:25], exec
	s_and_b64 s[24:25], vcc, exec
	s_or_b64 s[24:25], s[0:1], s[24:25]
.LBB70_297:
	v_mul_lo_u32 v0, v4, s12
	v_mov_b32_e32 v1, s9
	s_and_b32 s36, s3, 0xff
	s_cmp_lt_i32 s36, 11
	s_waitcnt vmcnt(0)
	v_ashrrev_i32_e32 v2, 31, v0
	v_add_co_u32_e32 v0, vcc, s8, v0
	v_addc_co_u32_e32 v1, vcc, v1, v2, vcc
	s_cbranch_scc1 .LBB70_304
; %bb.298:
	s_and_b32 s37, 0xffff, s36
	s_cmp_gt_i32 s37, 25
	s_cbranch_scc0 .LBB70_305
; %bb.299:
	s_cmp_gt_i32 s37, 28
	s_cbranch_scc0 .LBB70_306
; %bb.300:
	;; [unrolled: 3-line block ×4, first 2 shown]
	s_mov_b64 s[30:31], 0
	s_mov_b64 s[0:1], -1
	s_cmp_eq_u32 s37, 46
	s_mov_b64 s[28:29], 0
	s_cbranch_scc0 .LBB70_318
; %bb.303:
	v_cndmask_b32_e64 v2, 0, 1.0, s[24:25]
	v_bfe_u32 v3, v2, 16, 1
	s_movk_i32 s0, 0x7fff
	v_add3_u32 v2, v2, v3, s0
	v_lshrrev_b32_e32 v2, 16, v2
	global_store_dword v[0:1], v2, off
	s_mov_b64 s[28:29], -1
	s_mov_b64 s[0:1], 0
	s_branch .LBB70_318
.LBB70_304:
	s_mov_b64 s[30:31], -1
	s_mov_b64 s[28:29], 0
	s_mov_b64 s[0:1], s[16:17]
	s_branch .LBB70_387
.LBB70_305:
	s_mov_b64 s[30:31], -1
	s_mov_b64 s[28:29], 0
	s_mov_b64 s[0:1], s[16:17]
	s_branch .LBB70_345
.LBB70_306:
	s_mov_b64 s[30:31], -1
	s_mov_b64 s[28:29], 0
	s_mov_b64 s[0:1], s[16:17]
	s_branch .LBB70_328
.LBB70_307:
	s_andn2_saveexec_b64 s[28:29], s[28:29]
	s_cbranch_execz .LBB70_71
.LBB70_308:
	v_add_f32_e32 v2, 0x46000000, v3
	v_and_b32_e32 v2, 0xff, v2
	v_cmp_ne_u32_e32 vcc, 0, v2
	s_andn2_b64 s[26:27], s[26:27], exec
	s_and_b64 s[34:35], vcc, exec
	s_or_b64 s[26:27], s[26:27], s[34:35]
	s_or_b64 exec, exec, s[28:29]
	v_mov_b32_e32 v5, 0
	s_and_saveexec_b64 s[28:29], s[26:27]
	s_cbranch_execnz .LBB70_72
	s_branch .LBB70_73
.LBB70_309:
	s_mov_b64 s[24:25], -1
	s_mov_b64 s[0:1], 0
	s_mov_b64 s[22:23], s[18:19]
                                        ; implicit-def: $vgpr2
	s_branch .LBB70_314
.LBB70_310:
	s_mov_b64 s[30:31], -1
	s_mov_b64 s[28:29], 0
	s_mov_b64 s[0:1], s[16:17]
	s_branch .LBB70_324
.LBB70_311:
	s_andn2_saveexec_b64 s[28:29], s[28:29]
	s_cbranch_execz .LBB70_84
.LBB70_312:
	v_add_f32_e32 v2, 0x42800000, v3
	v_and_b32_e32 v2, 0xff, v2
	v_cmp_ne_u32_e32 vcc, 0, v2
	s_andn2_b64 s[26:27], s[26:27], exec
	s_and_b64 s[34:35], vcc, exec
	s_or_b64 s[26:27], s[26:27], s[34:35]
	s_or_b64 exec, exec, s[28:29]
	v_mov_b32_e32 v5, 0
	s_and_saveexec_b64 s[28:29], s[26:27]
	s_cbranch_execnz .LBB70_85
	s_branch .LBB70_86
.LBB70_313:
	s_mov_b64 s[22:23], -1
                                        ; implicit-def: $vgpr2
	s_mov_b64 s[0:1], 0
.LBB70_314:
	s_and_b64 vcc, exec, s[24:25]
	s_cbranch_vccz .LBB70_430
; %bb.315:
	s_cmp_eq_u32 s28, 44
	s_cbranch_scc0 .LBB70_429
; %bb.316:
	global_load_ubyte v2, v[0:1], off
	s_mov_b64 s[0:1], -1
	s_mov_b64 s[22:23], 0
	s_waitcnt vmcnt(0)
	v_lshlrev_b32_e32 v3, 23, v2
	v_cvt_i32_f32_e32 v3, v3
	v_cmp_ne_u32_e32 vcc, 0, v2
	v_cndmask_b32_e32 v2, 0, v3, vcc
	s_branch .LBB70_430
.LBB70_317:
	s_mov_b64 s[30:31], -1
	s_mov_b64 s[28:29], 0
	s_mov_b64 s[0:1], s[16:17]
.LBB70_318:
	s_and_b64 vcc, exec, s[30:31]
	s_cbranch_vccz .LBB70_323
; %bb.319:
	s_cmp_eq_u32 s37, 44
	s_mov_b64 s[0:1], -1
	s_cbranch_scc0 .LBB70_323
; %bb.320:
	v_cndmask_b32_e64 v3, 0, 1.0, s[24:25]
	v_lshrrev_b32_e32 v2, 23, v3
	s_movk_i32 s0, 0xff
	v_cmp_ne_u32_e32 vcc, s0, v2
	v_mov_b32_e32 v5, 0xff
	s_and_saveexec_b64 s[28:29], vcc
; %bb.321:
	s_mov_b32 s0, 0x3fffff
	v_and_b32_e32 v5, 0x400000, v3
	v_and_or_b32 v3, v3, s0, v2
	v_cmp_ne_u32_e32 vcc, 0, v5
	v_cmp_ne_u32_e64 s[0:1], 0, v3
	s_and_b64 s[0:1], vcc, s[0:1]
	v_cndmask_b32_e64 v3, 0, 1, s[0:1]
	v_add_u32_e32 v5, v2, v3
; %bb.322:
	s_or_b64 exec, exec, s[28:29]
	s_mov_b64 s[28:29], -1
	s_mov_b64 s[0:1], 0
	global_store_byte v[0:1], v5, off
.LBB70_323:
	s_mov_b64 s[30:31], 0
.LBB70_324:
	s_and_b64 vcc, exec, s[30:31]
	s_cbranch_vccz .LBB70_327
; %bb.325:
	s_cmp_eq_u32 s37, 29
	s_mov_b64 s[0:1], -1
	s_cbranch_scc0 .LBB70_327
; %bb.326:
	s_mov_b32 s0, 0
	v_cndmask_b32_e64 v2, 0, 1, s[24:25]
	v_mov_b32_e32 v3, s0
	global_store_dwordx2 v[0:1], v[2:3], off
	s_mov_b64 s[28:29], -1
	s_mov_b64 s[0:1], 0
.LBB70_327:
	s_mov_b64 s[30:31], 0
.LBB70_328:
	s_and_b64 vcc, exec, s[30:31]
	s_cbranch_vccz .LBB70_344
; %bb.329:
	s_cmp_lt_i32 s37, 27
	s_mov_b64 s[28:29], -1
	s_cbranch_scc1 .LBB70_335
; %bb.330:
	s_cmp_gt_i32 s37, 27
	s_cbranch_scc0 .LBB70_332
; %bb.331:
	v_cndmask_b32_e64 v2, 0, 1, s[24:25]
	s_mov_b64 s[28:29], 0
	global_store_dword v[0:1], v2, off
.LBB70_332:
	s_andn2_b64 vcc, exec, s[28:29]
	s_cbranch_vccnz .LBB70_334
; %bb.333:
	v_cndmask_b32_e64 v2, 0, 1, s[24:25]
	global_store_short v[0:1], v2, off
.LBB70_334:
	s_mov_b64 s[28:29], 0
.LBB70_335:
	s_andn2_b64 vcc, exec, s[28:29]
	s_cbranch_vccnz .LBB70_343
; %bb.336:
	v_cndmask_b32_e64 v3, 0, 1.0, s[24:25]
	s_mov_b32 s28, 0x43800000
	v_cmp_gt_u32_e32 vcc, s28, v3
	v_mov_b32_e32 v5, 0x80
	s_and_saveexec_b64 s[28:29], vcc
	s_cbranch_execz .LBB70_342
; %bb.337:
	s_mov_b32 s30, 0x3bffffff
	v_cmp_lt_u32_e32 vcc, s30, v3
	s_mov_b64 s[30:31], 0
                                        ; implicit-def: $vgpr2
	s_and_saveexec_b64 s[34:35], vcc
	s_xor_b64 s[34:35], exec, s[34:35]
	s_cbranch_execz .LBB70_550
; %bb.338:
	v_bfe_u32 v2, v3, 20, 1
	s_mov_b32 s38, 0x487ffff
	v_add3_u32 v2, v3, v2, s38
	s_mov_b64 s[30:31], exec
	v_lshrrev_b32_e32 v2, 20, v2
                                        ; implicit-def: $vgpr3
	s_andn2_saveexec_b64 s[34:35], s[34:35]
	s_cbranch_execnz .LBB70_551
.LBB70_339:
	s_or_b64 exec, exec, s[34:35]
	v_mov_b32_e32 v5, 0
	s_and_saveexec_b64 s[34:35], s[30:31]
.LBB70_340:
	v_mov_b32_e32 v5, v2
.LBB70_341:
	s_or_b64 exec, exec, s[34:35]
.LBB70_342:
	s_or_b64 exec, exec, s[28:29]
	global_store_byte v[0:1], v5, off
.LBB70_343:
	s_mov_b64 s[28:29], -1
.LBB70_344:
	s_mov_b64 s[30:31], 0
.LBB70_345:
	s_and_b64 vcc, exec, s[30:31]
	s_cbranch_vccz .LBB70_386
; %bb.346:
	s_cmp_gt_i32 s37, 22
	s_mov_b64 s[30:31], -1
	s_cbranch_scc0 .LBB70_378
; %bb.347:
	s_cmp_lt_i32 s37, 24
	s_mov_b64 s[28:29], -1
	s_cbranch_scc1 .LBB70_367
; %bb.348:
	s_cmp_gt_i32 s37, 24
	s_cbranch_scc0 .LBB70_356
; %bb.349:
	v_cndmask_b32_e64 v3, 0, 1.0, s[24:25]
	s_mov_b32 s28, 0x47800000
	v_cmp_gt_u32_e32 vcc, s28, v3
	v_mov_b32_e32 v5, 0x80
	s_and_saveexec_b64 s[28:29], vcc
	s_cbranch_execz .LBB70_355
; %bb.350:
	s_mov_b32 s30, 0x37ffffff
	v_cmp_lt_u32_e32 vcc, s30, v3
	s_mov_b64 s[30:31], 0
                                        ; implicit-def: $vgpr2
	s_and_saveexec_b64 s[34:35], vcc
	s_xor_b64 s[34:35], exec, s[34:35]
	s_cbranch_execz .LBB70_553
; %bb.351:
	v_bfe_u32 v2, v3, 21, 1
	s_mov_b32 s38, 0x88fffff
	v_add3_u32 v2, v3, v2, s38
	s_mov_b64 s[30:31], exec
	v_lshrrev_b32_e32 v2, 21, v2
                                        ; implicit-def: $vgpr3
	s_andn2_saveexec_b64 s[34:35], s[34:35]
	s_cbranch_execnz .LBB70_554
.LBB70_352:
	s_or_b64 exec, exec, s[34:35]
	v_mov_b32_e32 v5, 0
	s_and_saveexec_b64 s[34:35], s[30:31]
.LBB70_353:
	v_mov_b32_e32 v5, v2
.LBB70_354:
	s_or_b64 exec, exec, s[34:35]
.LBB70_355:
	s_or_b64 exec, exec, s[28:29]
	s_mov_b64 s[28:29], 0
	global_store_byte v[0:1], v5, off
.LBB70_356:
	s_and_b64 vcc, exec, s[28:29]
	s_cbranch_vccz .LBB70_366
; %bb.357:
	v_cndmask_b32_e64 v2, 0, 1.0, s[24:25]
	s_mov_b32 s28, 0x43f00000
	v_cmp_gt_u32_e32 vcc, s28, v2
                                        ; implicit-def: $vgpr3
	s_and_saveexec_b64 s[28:29], vcc
	s_xor_b64 s[28:29], exec, s[28:29]
	s_cbranch_execz .LBB70_363
; %bb.358:
	s_mov_b32 s30, 0x3c7fffff
	v_cmp_lt_u32_e32 vcc, s30, v2
                                        ; implicit-def: $vgpr3
	s_and_saveexec_b64 s[30:31], vcc
	s_xor_b64 s[30:31], exec, s[30:31]
; %bb.359:
	v_bfe_u32 v3, v2, 20, 1
	s_mov_b32 s34, 0x407ffff
	v_add3_u32 v2, v2, v3, s34
	v_lshrrev_b32_e32 v3, 20, v2
	v_and_b32_e32 v2, 0xff00000, v2
	s_mov_b32 s34, 0x7f00000
	v_mov_b32_e32 v5, 0x7e
	v_cmp_ne_u32_e32 vcc, s34, v2
	v_cndmask_b32_e32 v3, v5, v3, vcc
                                        ; implicit-def: $vgpr2
; %bb.360:
	s_andn2_saveexec_b64 s[30:31], s[30:31]
; %bb.361:
	v_add_f32_e32 v3, 0x46800000, v2
; %bb.362:
	s_or_b64 exec, exec, s[30:31]
                                        ; implicit-def: $vgpr2
.LBB70_363:
	s_andn2_saveexec_b64 s[28:29], s[28:29]
; %bb.364:
	s_mov_b32 s30, 0x7f800000
	v_mov_b32_e32 v3, 0x7e
	v_mov_b32_e32 v5, 0x7f
	v_cmp_lt_u32_e32 vcc, s30, v2
	v_cndmask_b32_e32 v3, v3, v5, vcc
; %bb.365:
	s_or_b64 exec, exec, s[28:29]
	global_store_byte v[0:1], v3, off
.LBB70_366:
	s_mov_b64 s[28:29], 0
.LBB70_367:
	s_andn2_b64 vcc, exec, s[28:29]
	s_cbranch_vccnz .LBB70_377
; %bb.368:
	v_cndmask_b32_e64 v2, 0, 1.0, s[24:25]
	s_mov_b32 s28, 0x47800000
	v_cmp_gt_u32_e32 vcc, s28, v2
                                        ; implicit-def: $vgpr3
	s_and_saveexec_b64 s[28:29], vcc
	s_xor_b64 s[28:29], exec, s[28:29]
	s_cbranch_execz .LBB70_374
; %bb.369:
	s_mov_b32 s30, 0x387fffff
	v_cmp_lt_u32_e32 vcc, s30, v2
                                        ; implicit-def: $vgpr3
	s_and_saveexec_b64 s[30:31], vcc
	s_xor_b64 s[30:31], exec, s[30:31]
; %bb.370:
	v_bfe_u32 v3, v2, 21, 1
	s_mov_b32 s34, 0x80fffff
	v_add3_u32 v2, v2, v3, s34
	v_lshrrev_b32_e32 v3, 21, v2
                                        ; implicit-def: $vgpr2
; %bb.371:
	s_andn2_saveexec_b64 s[30:31], s[30:31]
; %bb.372:
	v_add_f32_e32 v3, 0x43000000, v2
; %bb.373:
	s_or_b64 exec, exec, s[30:31]
                                        ; implicit-def: $vgpr2
.LBB70_374:
	s_andn2_saveexec_b64 s[28:29], s[28:29]
; %bb.375:
	s_mov_b32 s30, 0x7f800000
	v_mov_b32_e32 v3, 0x7c
	v_mov_b32_e32 v5, 0x7f
	v_cmp_lt_u32_e32 vcc, s30, v2
	v_cndmask_b32_e32 v3, v3, v5, vcc
; %bb.376:
	s_or_b64 exec, exec, s[28:29]
	global_store_byte v[0:1], v3, off
.LBB70_377:
	s_mov_b64 s[30:31], 0
	s_mov_b64 s[28:29], -1
.LBB70_378:
	s_andn2_b64 vcc, exec, s[30:31]
	s_cbranch_vccnz .LBB70_386
; %bb.379:
	s_cmp_gt_i32 s37, 14
	s_mov_b64 s[30:31], -1
	s_cbranch_scc0 .LBB70_383
; %bb.380:
	s_cmp_eq_u32 s37, 15
	s_mov_b64 s[0:1], -1
	s_cbranch_scc0 .LBB70_382
; %bb.381:
	v_cndmask_b32_e64 v2, 0, 1.0, s[24:25]
	v_bfe_u32 v3, v2, 16, 1
	s_movk_i32 s0, 0x7fff
	v_add3_u32 v2, v2, v3, s0
	global_store_short_d16_hi v[0:1], v2, off
	s_mov_b64 s[28:29], -1
	s_mov_b64 s[0:1], 0
.LBB70_382:
	s_mov_b64 s[30:31], 0
.LBB70_383:
	s_and_b64 vcc, exec, s[30:31]
	s_cbranch_vccz .LBB70_386
; %bb.384:
	s_cmp_eq_u32 s37, 11
	s_mov_b64 s[0:1], -1
	s_cbranch_scc0 .LBB70_386
; %bb.385:
	v_cndmask_b32_e64 v2, 0, 1, s[24:25]
	s_mov_b64 s[28:29], -1
	s_mov_b64 s[0:1], 0
	global_store_byte v[0:1], v2, off
.LBB70_386:
	s_mov_b64 s[30:31], 0
.LBB70_387:
	s_and_b64 vcc, exec, s[30:31]
	s_cbranch_vccz .LBB70_426
; %bb.388:
	s_and_b32 s30, 0xffff, s36
	s_cmp_lt_i32 s30, 5
	s_mov_b64 s[28:29], -1
	s_cbranch_scc1 .LBB70_409
; %bb.389:
	s_cmp_lt_i32 s30, 8
	s_cbranch_scc1 .LBB70_399
; %bb.390:
	s_cmp_lt_i32 s30, 9
	s_cbranch_scc1 .LBB70_396
; %bb.391:
	s_cmp_gt_i32 s30, 9
	s_cbranch_scc0 .LBB70_393
; %bb.392:
	v_cndmask_b32_e64 v2, 0, 1, s[24:25]
	v_cvt_f64_u32_e32 v[5:6], v2
	v_mov_b32_e32 v7, 0
	v_mov_b32_e32 v8, v7
	s_mov_b64 s[28:29], 0
	global_store_dwordx4 v[0:1], v[5:8], off
.LBB70_393:
	s_andn2_b64 vcc, exec, s[28:29]
	s_cbranch_vccnz .LBB70_395
; %bb.394:
	v_cndmask_b32_e64 v2, 0, 1.0, s[24:25]
	v_mov_b32_e32 v3, 0
	global_store_dwordx2 v[0:1], v[2:3], off
.LBB70_395:
	s_mov_b64 s[28:29], 0
.LBB70_396:
	s_andn2_b64 vcc, exec, s[28:29]
	s_cbranch_vccnz .LBB70_398
; %bb.397:
	v_cndmask_b32_e64 v2, 0, 1.0, s[24:25]
	v_cvt_f16_f32_e32 v2, v2
	global_store_dword v[0:1], v2, off
.LBB70_398:
	s_mov_b64 s[28:29], 0
.LBB70_399:
	s_andn2_b64 vcc, exec, s[28:29]
	s_cbranch_vccnz .LBB70_408
; %bb.400:
	s_cmp_lt_i32 s30, 6
	s_mov_b64 s[28:29], -1
	s_cbranch_scc1 .LBB70_406
; %bb.401:
	s_cmp_gt_i32 s30, 6
	s_cbranch_scc0 .LBB70_403
; %bb.402:
	v_cndmask_b32_e64 v2, 0, 1, s[24:25]
	v_cvt_f64_u32_e32 v[2:3], v2
	s_mov_b64 s[28:29], 0
	global_store_dwordx2 v[0:1], v[2:3], off
.LBB70_403:
	s_andn2_b64 vcc, exec, s[28:29]
	s_cbranch_vccnz .LBB70_405
; %bb.404:
	v_cndmask_b32_e64 v2, 0, 1.0, s[24:25]
	global_store_dword v[0:1], v2, off
.LBB70_405:
	s_mov_b64 s[28:29], 0
.LBB70_406:
	s_andn2_b64 vcc, exec, s[28:29]
	s_cbranch_vccnz .LBB70_408
; %bb.407:
	v_cndmask_b32_e64 v2, 0, 1.0, s[24:25]
	v_cvt_f16_f32_e32 v2, v2
	global_store_short v[0:1], v2, off
.LBB70_408:
	s_mov_b64 s[28:29], 0
.LBB70_409:
	s_andn2_b64 vcc, exec, s[28:29]
	s_cbranch_vccnz .LBB70_425
; %bb.410:
	s_cmp_lt_i32 s30, 2
	s_mov_b64 s[28:29], -1
	s_cbranch_scc1 .LBB70_420
; %bb.411:
	s_cmp_lt_i32 s30, 3
	s_cbranch_scc1 .LBB70_417
; %bb.412:
	s_cmp_gt_i32 s30, 3
	s_cbranch_scc0 .LBB70_414
; %bb.413:
	s_mov_b32 s28, 0
	v_cndmask_b32_e64 v2, 0, 1, s[24:25]
	v_mov_b32_e32 v3, s28
	s_mov_b64 s[28:29], 0
	global_store_dwordx2 v[0:1], v[2:3], off
.LBB70_414:
	s_andn2_b64 vcc, exec, s[28:29]
	s_cbranch_vccnz .LBB70_416
; %bb.415:
	v_cndmask_b32_e64 v2, 0, 1, s[24:25]
	global_store_dword v[0:1], v2, off
.LBB70_416:
	s_mov_b64 s[28:29], 0
.LBB70_417:
	s_andn2_b64 vcc, exec, s[28:29]
	s_cbranch_vccnz .LBB70_419
; %bb.418:
	v_cndmask_b32_e64 v2, 0, 1, s[24:25]
	global_store_short v[0:1], v2, off
.LBB70_419:
	s_mov_b64 s[28:29], 0
.LBB70_420:
	s_andn2_b64 vcc, exec, s[28:29]
	s_cbranch_vccnz .LBB70_425
; %bb.421:
	s_mov_b64 s[28:29], -1
	s_cmp_gt_i32 s30, 0
	v_cndmask_b32_e64 v2, 0, 1, s[24:25]
	s_cbranch_scc0 .LBB70_423
; %bb.422:
	s_mov_b64 s[28:29], 0
	global_store_byte v[0:1], v2, off
.LBB70_423:
	s_andn2_b64 vcc, exec, s[28:29]
	s_cbranch_vccnz .LBB70_425
; %bb.424:
	global_store_byte v[0:1], v2, off
.LBB70_425:
	s_mov_b64 s[28:29], -1
.LBB70_426:
	s_andn2_b64 vcc, exec, s[28:29]
	s_cbranch_vccnz .LBB70_428
; %bb.427:
	v_add_u32_e32 v4, 0x80, v4
	s_mov_b64 s[28:29], -1
	s_branch .LBB70_536
.LBB70_428:
	s_mov_b64 s[28:29], 0
                                        ; implicit-def: $vgpr4
	s_branch .LBB70_536
.LBB70_429:
	s_mov_b64 s[22:23], -1
                                        ; implicit-def: $vgpr2
.LBB70_430:
	s_mov_b64 s[24:25], 0
.LBB70_431:
	s_and_b64 vcc, exec, s[24:25]
	s_cbranch_vccz .LBB70_435
; %bb.432:
	s_cmp_eq_u32 s28, 29
	s_cbranch_scc0 .LBB70_434
; %bb.433:
	global_load_dwordx2 v[2:3], v[0:1], off
	s_mov_b64 s[0:1], -1
	s_mov_b64 s[22:23], 0
	s_branch .LBB70_435
.LBB70_434:
	s_mov_b64 s[22:23], -1
                                        ; implicit-def: $vgpr2
.LBB70_435:
	s_mov_b64 s[24:25], 0
.LBB70_436:
	s_and_b64 vcc, exec, s[24:25]
	s_cbranch_vccz .LBB70_452
; %bb.437:
	s_cmp_lt_i32 s28, 27
	s_cbranch_scc1 .LBB70_440
; %bb.438:
	s_cmp_gt_i32 s28, 27
	s_cbranch_scc0 .LBB70_441
; %bb.439:
	global_load_dword v2, v[0:1], off
	s_mov_b64 s[0:1], 0
	s_branch .LBB70_442
.LBB70_440:
	s_mov_b64 s[0:1], -1
                                        ; implicit-def: $vgpr2
	s_branch .LBB70_445
.LBB70_441:
	s_mov_b64 s[0:1], -1
                                        ; implicit-def: $vgpr2
.LBB70_442:
	s_andn2_b64 vcc, exec, s[0:1]
	s_cbranch_vccnz .LBB70_444
; %bb.443:
	global_load_ushort v2, v[0:1], off
.LBB70_444:
	s_mov_b64 s[0:1], 0
.LBB70_445:
	s_andn2_b64 vcc, exec, s[0:1]
	s_cbranch_vccnz .LBB70_451
; %bb.446:
	global_load_ubyte v3, v[0:1], off
	s_movk_i32 s0, 0x7f
	s_mov_b64 s[24:25], 0
	s_waitcnt vmcnt(0)
	v_cmp_lt_i16_e32 vcc, s0, v3
	s_and_saveexec_b64 s[0:1], vcc
	s_xor_b64 s[0:1], exec, s[0:1]
	s_cbranch_execz .LBB70_463
; %bb.447:
	s_movk_i32 s24, 0x80
	v_cmp_ne_u16_e32 vcc, s24, v3
	s_and_b64 s[24:25], vcc, exec
	s_andn2_saveexec_b64 s[0:1], s[0:1]
	s_cbranch_execnz .LBB70_464
.LBB70_448:
	s_or_b64 exec, exec, s[0:1]
	v_mov_b32_e32 v2, 0
	s_and_saveexec_b64 s[0:1], s[24:25]
	s_cbranch_execz .LBB70_450
.LBB70_449:
	v_lshlrev_b32_e32 v2, 24, v3
	v_and_b32_e32 v3, 0xffff, v3
	v_and_b32_e32 v5, 7, v3
	v_ffbh_u32_e32 v7, v5
	v_min_u32_e32 v7, 32, v7
	v_subrev_u32_e32 v8, 28, v7
	v_bfe_u32 v6, v3, 3, 4
	v_lshlrev_b32_e32 v3, v8, v3
	v_sub_u32_e32 v7, 29, v7
	v_and_b32_e32 v3, 7, v3
	v_cmp_eq_u32_e32 vcc, 0, v6
	v_cndmask_b32_e32 v6, v6, v7, vcc
	v_cndmask_b32_e32 v3, v5, v3, vcc
	v_mov_b32_e32 v5, 0x3b800000
	v_lshlrev_b32_e32 v3, 20, v3
	v_and_b32_e32 v2, 0x80000000, v2
	v_lshl_add_u32 v5, v6, 23, v5
	v_or3_b32 v2, v2, v5, v3
	v_cvt_i32_f32_e32 v2, v2
.LBB70_450:
	s_or_b64 exec, exec, s[0:1]
.LBB70_451:
	s_mov_b64 s[0:1], -1
.LBB70_452:
	s_mov_b64 s[24:25], 0
.LBB70_453:
	s_and_b64 vcc, exec, s[24:25]
	s_cbranch_vccz .LBB70_486
; %bb.454:
	s_cmp_gt_i32 s28, 22
	s_cbranch_scc0 .LBB70_462
; %bb.455:
	s_cmp_lt_i32 s28, 24
	s_cbranch_scc1 .LBB70_465
; %bb.456:
	s_cmp_gt_i32 s28, 24
	s_cbranch_scc0 .LBB70_466
; %bb.457:
	global_load_ubyte v3, v[0:1], off
	s_movk_i32 s0, 0x7f
	s_mov_b64 s[24:25], 0
	s_waitcnt vmcnt(0)
	v_cmp_lt_i16_e32 vcc, s0, v3
	s_and_saveexec_b64 s[0:1], vcc
	s_xor_b64 s[0:1], exec, s[0:1]
	s_cbranch_execz .LBB70_478
; %bb.458:
	s_movk_i32 s24, 0x80
	v_cmp_ne_u16_e32 vcc, s24, v3
	s_and_b64 s[24:25], vcc, exec
	s_andn2_saveexec_b64 s[0:1], s[0:1]
	s_cbranch_execnz .LBB70_479
.LBB70_459:
	s_or_b64 exec, exec, s[0:1]
	v_mov_b32_e32 v2, 0
	s_and_saveexec_b64 s[0:1], s[24:25]
	s_cbranch_execz .LBB70_461
.LBB70_460:
	v_lshlrev_b32_e32 v2, 24, v3
	v_and_b32_e32 v3, 0xffff, v3
	v_and_b32_e32 v5, 3, v3
	v_ffbh_u32_e32 v7, v5
	v_min_u32_e32 v7, 32, v7
	v_subrev_u32_e32 v8, 29, v7
	v_bfe_u32 v6, v3, 2, 5
	v_lshlrev_b32_e32 v3, v8, v3
	v_sub_u32_e32 v7, 30, v7
	v_and_b32_e32 v3, 3, v3
	v_cmp_eq_u32_e32 vcc, 0, v6
	v_cndmask_b32_e32 v6, v6, v7, vcc
	v_cndmask_b32_e32 v3, v5, v3, vcc
	v_mov_b32_e32 v5, 0x37800000
	v_lshlrev_b32_e32 v3, 21, v3
	v_and_b32_e32 v2, 0x80000000, v2
	v_lshl_add_u32 v5, v6, 23, v5
	v_or3_b32 v2, v2, v5, v3
	v_cvt_i32_f32_e32 v2, v2
.LBB70_461:
	s_or_b64 exec, exec, s[0:1]
	s_mov_b64 s[0:1], 0
	s_branch .LBB70_467
.LBB70_462:
	s_mov_b64 s[24:25], -1
                                        ; implicit-def: $vgpr2
	s_branch .LBB70_473
.LBB70_463:
	s_andn2_saveexec_b64 s[0:1], s[0:1]
	s_cbranch_execz .LBB70_448
.LBB70_464:
	v_cmp_ne_u16_e32 vcc, 0, v3
	s_andn2_b64 s[24:25], s[24:25], exec
	s_and_b64 s[30:31], vcc, exec
	s_or_b64 s[24:25], s[24:25], s[30:31]
	s_or_b64 exec, exec, s[0:1]
	v_mov_b32_e32 v2, 0
	s_and_saveexec_b64 s[0:1], s[24:25]
	s_cbranch_execnz .LBB70_449
	s_branch .LBB70_450
.LBB70_465:
	s_mov_b64 s[0:1], -1
                                        ; implicit-def: $vgpr2
	s_branch .LBB70_470
.LBB70_466:
	s_mov_b64 s[0:1], -1
                                        ; implicit-def: $vgpr2
.LBB70_467:
	s_and_b64 vcc, exec, s[0:1]
	s_cbranch_vccz .LBB70_469
; %bb.468:
	global_load_ubyte v2, v[0:1], off
	s_mov_b32 s0, 0x7f800000
	s_waitcnt vmcnt(0)
	v_lshlrev_b32_e32 v2, 24, v2
	v_and_b32_e32 v3, 0x7f000000, v2
	v_ffbh_u32_e32 v5, v3
	v_min_u32_e32 v5, 32, v5
	v_sub_u32_e64 v5, v5, 4 clamp
	v_lshlrev_b32_e32 v7, v5, v3
	v_lshlrev_b32_e32 v5, 23, v5
	v_lshrrev_b32_e32 v7, 4, v7
	v_add_u32_e32 v6, 0x1000000, v3
	v_sub_u32_e32 v5, v7, v5
	v_ashrrev_i32_e32 v6, 8, v6
	v_add_u32_e32 v5, 0x3c000000, v5
	v_and_or_b32 v5, v6, s0, v5
	v_cmp_ne_u32_e32 vcc, 0, v3
	v_cndmask_b32_e32 v3, 0, v5, vcc
	s_brev_b32 s0, 1
	v_and_or_b32 v2, v2, s0, v3
	v_cvt_i32_f32_e32 v2, v2
.LBB70_469:
	s_mov_b64 s[0:1], 0
.LBB70_470:
	s_andn2_b64 vcc, exec, s[0:1]
	s_cbranch_vccnz .LBB70_472
; %bb.471:
	global_load_ubyte v2, v[0:1], off
	s_movk_i32 s0, 0x7f00
	s_brev_b32 s1, 16
	s_waitcnt vmcnt(0)
	v_lshlrev_b16_e32 v3, 8, v2
	v_lshlrev_b32_e32 v2, 25, v2
	v_lshrrev_b32_e32 v5, 4, v2
	v_and_or_b32 v6, v3, s0, 0.5
	v_or_b32_e32 v5, 0x70000000, v5
	v_add_f32_e32 v6, -0.5, v6
	v_mul_f32_e32 v5, 0x7800000, v5
	v_cmp_gt_u32_e32 vcc, s1, v2
	v_bfe_i32 v3, v3, 0, 16
	v_cndmask_b32_e32 v2, v5, v6, vcc
	s_brev_b32 s0, 1
	v_and_or_b32 v2, v3, s0, v2
	v_cvt_i32_f32_e32 v2, v2
.LBB70_472:
	s_mov_b64 s[24:25], 0
	s_mov_b64 s[0:1], -1
.LBB70_473:
	s_andn2_b64 vcc, exec, s[24:25]
	s_cbranch_vccnz .LBB70_486
; %bb.474:
	s_cmp_gt_i32 s28, 14
	s_cbranch_scc0 .LBB70_477
; %bb.475:
	s_cmp_eq_u32 s28, 15
	s_cbranch_scc0 .LBB70_480
; %bb.476:
	global_load_ushort v2, v[0:1], off
	s_mov_b64 s[0:1], -1
	s_mov_b64 s[22:23], 0
	s_waitcnt vmcnt(0)
	v_lshlrev_b32_e32 v2, 16, v2
	v_cvt_i32_f32_e32 v2, v2
	s_branch .LBB70_481
.LBB70_477:
	s_mov_b64 s[24:25], -1
                                        ; implicit-def: $vgpr2
	s_branch .LBB70_482
.LBB70_478:
	s_andn2_saveexec_b64 s[0:1], s[0:1]
	s_cbranch_execz .LBB70_459
.LBB70_479:
	v_cmp_ne_u16_e32 vcc, 0, v3
	s_andn2_b64 s[24:25], s[24:25], exec
	s_and_b64 s[30:31], vcc, exec
	s_or_b64 s[24:25], s[24:25], s[30:31]
	s_or_b64 exec, exec, s[0:1]
	v_mov_b32_e32 v2, 0
	s_and_saveexec_b64 s[0:1], s[24:25]
	s_cbranch_execnz .LBB70_460
	s_branch .LBB70_461
.LBB70_480:
	s_mov_b64 s[22:23], -1
                                        ; implicit-def: $vgpr2
.LBB70_481:
	s_mov_b64 s[24:25], 0
.LBB70_482:
	s_and_b64 vcc, exec, s[24:25]
	s_cbranch_vccz .LBB70_486
; %bb.483:
	s_cmp_eq_u32 s28, 11
	s_cbranch_scc0 .LBB70_485
; %bb.484:
	global_load_ubyte v2, v[0:1], off
	s_mov_b64 s[0:1], -1
	s_mov_b64 s[22:23], 0
	s_waitcnt vmcnt(0)
	v_cmp_ne_u16_e32 vcc, 0, v2
	v_cndmask_b32_e64 v2, 0, 1, vcc
	s_branch .LBB70_486
.LBB70_485:
	s_mov_b64 s[22:23], -1
                                        ; implicit-def: $vgpr2
.LBB70_486:
	s_branch .LBB70_277
.LBB70_487:
	s_cmp_lt_i32 s28, 5
	s_cbranch_scc1 .LBB70_492
; %bb.488:
	s_cmp_lt_i32 s28, 8
	s_cbranch_scc1 .LBB70_493
; %bb.489:
	;; [unrolled: 3-line block ×3, first 2 shown]
	s_cmp_gt_i32 s28, 9
	s_cbranch_scc0 .LBB70_495
; %bb.491:
	global_load_dwordx2 v[2:3], v[0:1], off
	s_mov_b64 s[0:1], 0
	s_waitcnt vmcnt(0)
	v_cvt_i32_f64_e32 v2, v[2:3]
	s_branch .LBB70_496
.LBB70_492:
	s_mov_b64 s[0:1], -1
                                        ; implicit-def: $vgpr2
	s_branch .LBB70_514
.LBB70_493:
	s_mov_b64 s[0:1], -1
                                        ; implicit-def: $vgpr2
	s_branch .LBB70_502
.LBB70_494:
	s_mov_b64 s[0:1], -1
                                        ; implicit-def: $vgpr2
	s_branch .LBB70_499
.LBB70_495:
	s_mov_b64 s[0:1], -1
                                        ; implicit-def: $vgpr2
.LBB70_496:
	s_andn2_b64 vcc, exec, s[0:1]
	s_cbranch_vccnz .LBB70_498
; %bb.497:
	global_load_dword v2, v[0:1], off
	s_waitcnt vmcnt(0)
	v_cvt_i32_f32_e32 v2, v2
.LBB70_498:
	s_mov_b64 s[0:1], 0
.LBB70_499:
	s_andn2_b64 vcc, exec, s[0:1]
	s_cbranch_vccnz .LBB70_501
; %bb.500:
	global_load_dword v2, v[0:1], off
	s_waitcnt vmcnt(0)
	v_cvt_i16_f16_e32 v2, v2
.LBB70_501:
	s_mov_b64 s[0:1], 0
.LBB70_502:
	s_andn2_b64 vcc, exec, s[0:1]
	s_cbranch_vccnz .LBB70_513
; %bb.503:
	s_cmp_lt_i32 s28, 6
	s_cbranch_scc1 .LBB70_506
; %bb.504:
	s_cmp_gt_i32 s28, 6
	s_cbranch_scc0 .LBB70_507
; %bb.505:
	global_load_dwordx2 v[2:3], v[0:1], off
	s_mov_b64 s[0:1], 0
	s_waitcnt vmcnt(0)
	v_cvt_i32_f64_e32 v2, v[2:3]
	s_branch .LBB70_508
.LBB70_506:
	s_mov_b64 s[0:1], -1
                                        ; implicit-def: $vgpr2
	s_branch .LBB70_511
.LBB70_507:
	s_mov_b64 s[0:1], -1
                                        ; implicit-def: $vgpr2
.LBB70_508:
	s_andn2_b64 vcc, exec, s[0:1]
	s_cbranch_vccnz .LBB70_510
; %bb.509:
	global_load_dword v2, v[0:1], off
	s_waitcnt vmcnt(0)
	v_cvt_i32_f32_e32 v2, v2
.LBB70_510:
	s_mov_b64 s[0:1], 0
.LBB70_511:
	s_andn2_b64 vcc, exec, s[0:1]
	s_cbranch_vccnz .LBB70_513
; %bb.512:
	global_load_ushort v2, v[0:1], off
	s_waitcnt vmcnt(0)
	v_cvt_i16_f16_e32 v2, v2
.LBB70_513:
	s_mov_b64 s[0:1], 0
.LBB70_514:
	s_andn2_b64 vcc, exec, s[0:1]
	s_cbranch_vccnz .LBB70_534
; %bb.515:
	s_cmp_lt_i32 s28, 2
	s_cbranch_scc1 .LBB70_519
; %bb.516:
	s_cmp_lt_i32 s28, 3
	s_cbranch_scc1 .LBB70_520
; %bb.517:
	s_cmp_gt_i32 s28, 3
	s_cbranch_scc0 .LBB70_521
; %bb.518:
	global_load_dwordx2 v[2:3], v[0:1], off
	s_mov_b64 s[0:1], 0
	s_branch .LBB70_522
.LBB70_519:
	s_mov_b64 s[0:1], -1
                                        ; implicit-def: $vgpr2
	s_branch .LBB70_528
.LBB70_520:
	s_mov_b64 s[0:1], -1
                                        ; implicit-def: $vgpr2
	s_branch .LBB70_525
.LBB70_521:
	s_mov_b64 s[0:1], -1
                                        ; implicit-def: $vgpr2
.LBB70_522:
	s_andn2_b64 vcc, exec, s[0:1]
	s_cbranch_vccnz .LBB70_524
; %bb.523:
	global_load_dword v2, v[0:1], off
.LBB70_524:
	s_mov_b64 s[0:1], 0
.LBB70_525:
	s_andn2_b64 vcc, exec, s[0:1]
	s_cbranch_vccnz .LBB70_527
; %bb.526:
	global_load_ushort v2, v[0:1], off
.LBB70_527:
	s_mov_b64 s[0:1], 0
.LBB70_528:
	s_andn2_b64 vcc, exec, s[0:1]
	s_cbranch_vccnz .LBB70_534
; %bb.529:
	s_cmp_gt_i32 s28, 0
	s_cbranch_scc0 .LBB70_531
; %bb.530:
	global_load_sbyte v2, v[0:1], off
	s_mov_b64 s[0:1], 0
	s_branch .LBB70_532
.LBB70_531:
	s_mov_b64 s[0:1], -1
                                        ; implicit-def: $vgpr2
.LBB70_532:
	s_andn2_b64 vcc, exec, s[0:1]
	s_cbranch_vccnz .LBB70_534
; %bb.533:
	global_load_ubyte v2, v[0:1], off
.LBB70_534:
	s_branch .LBB70_278
.LBB70_535:
	s_mov_b64 s[28:29], 0
                                        ; implicit-def: $vgpr4
	s_mov_b64 s[0:1], s[16:17]
.LBB70_536:
	s_andn2_b64 s[24:25], s[16:17], exec
	s_and_b64 s[0:1], s[0:1], exec
	s_or_b64 s[24:25], s[24:25], s[0:1]
	s_andn2_b64 s[0:1], s[18:19], exec
	s_and_b64 s[22:23], s[22:23], exec
	s_or_b64 s[22:23], s[0:1], s[22:23]
	s_orn2_b64 s[0:1], s[28:29], exec
.LBB70_537:
	s_or_b64 exec, exec, s[26:27]
	s_mov_b64 s[28:29], 0
	s_mov_b64 s[30:31], 0
	;; [unrolled: 1-line block ×3, first 2 shown]
                                        ; implicit-def: $vgpr0_vgpr1
                                        ; implicit-def: $vgpr2
	s_and_saveexec_b64 s[26:27], s[0:1]
	s_cbranch_execz .LBB70_891
; %bb.538:
	v_cmp_gt_i32_e32 vcc, s33, v4
	s_mov_b64 s[38:39], -1
	s_mov_b64 s[0:1], s[22:23]
	s_mov_b64 s[34:35], s[24:25]
	s_and_saveexec_b64 s[28:29], vcc
	s_cbranch_execz .LBB70_809
; %bb.539:
	v_mul_lo_u32 v0, v4, s13
	v_mov_b32_e32 v1, s11
	s_and_b32 s36, 0xffff, s15
	s_cmp_lt_i32 s36, 11
	s_waitcnt vmcnt(0)
	v_ashrrev_i32_e32 v2, 31, v0
	v_add_co_u32_e32 v0, vcc, s10, v0
	v_addc_co_u32_e32 v1, vcc, v1, v2, vcc
	s_cbranch_scc1 .LBB70_546
; %bb.540:
	s_cmp_gt_i32 s36, 25
	s_cbranch_scc0 .LBB70_547
; %bb.541:
	s_cmp_gt_i32 s36, 28
	s_cbranch_scc0 .LBB70_548
	;; [unrolled: 3-line block ×4, first 2 shown]
; %bb.544:
	s_cmp_eq_u32 s36, 46
	s_mov_b64 s[34:35], 0
	s_cbranch_scc0 .LBB70_555
; %bb.545:
	global_load_dword v2, v[0:1], off
	s_mov_b64 s[0:1], -1
	s_waitcnt vmcnt(0)
	v_lshlrev_b32_e32 v2, 16, v2
	v_cvt_i32_f32_e32 v2, v2
	s_branch .LBB70_556
.LBB70_546:
	s_mov_b64 s[34:35], -1
	s_mov_b64 s[0:1], 0
                                        ; implicit-def: $vgpr2
	s_mov_b64 s[30:31], s[22:23]
	s_branch .LBB70_617
.LBB70_547:
	s_mov_b64 s[34:35], -1
	s_mov_b64 s[0:1], 0
	s_mov_b64 s[30:31], s[22:23]
                                        ; implicit-def: $vgpr2
	s_branch .LBB70_583
.LBB70_548:
	s_mov_b64 s[34:35], -1
	s_mov_b64 s[0:1], 0
	s_mov_b64 s[30:31], s[22:23]
                                        ; implicit-def: $vgpr2
	s_branch .LBB70_566
.LBB70_549:
	s_mov_b64 s[34:35], -1
	s_mov_b64 s[0:1], 0
	s_mov_b64 s[30:31], s[22:23]
                                        ; implicit-def: $vgpr2
	s_branch .LBB70_561
.LBB70_550:
	s_andn2_saveexec_b64 s[34:35], s[34:35]
	s_cbranch_execz .LBB70_339
.LBB70_551:
	v_add_f32_e32 v2, 0x46000000, v3
	v_and_b32_e32 v2, 0xff, v2
	v_cmp_ne_u32_e32 vcc, 0, v2
	s_andn2_b64 s[30:31], s[30:31], exec
	s_and_b64 s[38:39], vcc, exec
	s_or_b64 s[30:31], s[30:31], s[38:39]
	s_or_b64 exec, exec, s[34:35]
	v_mov_b32_e32 v5, 0
	s_and_saveexec_b64 s[34:35], s[30:31]
	s_cbranch_execnz .LBB70_340
	s_branch .LBB70_341
.LBB70_552:
	s_mov_b64 s[34:35], -1
	s_mov_b64 s[0:1], 0
	s_mov_b64 s[30:31], s[22:23]
                                        ; implicit-def: $vgpr2
	s_branch .LBB70_556
.LBB70_553:
	s_andn2_saveexec_b64 s[34:35], s[34:35]
	s_cbranch_execz .LBB70_352
.LBB70_554:
	v_add_f32_e32 v2, 0x42800000, v3
	v_and_b32_e32 v2, 0xff, v2
	v_cmp_ne_u32_e32 vcc, 0, v2
	s_andn2_b64 s[30:31], s[30:31], exec
	s_and_b64 s[38:39], vcc, exec
	s_or_b64 s[30:31], s[30:31], s[38:39]
	s_or_b64 exec, exec, s[34:35]
	v_mov_b32_e32 v5, 0
	s_and_saveexec_b64 s[34:35], s[30:31]
	s_cbranch_execnz .LBB70_353
	s_branch .LBB70_354
.LBB70_555:
	s_mov_b64 s[30:31], -1
                                        ; implicit-def: $vgpr2
	s_mov_b64 s[0:1], 0
.LBB70_556:
	s_and_b64 vcc, exec, s[34:35]
	s_cbranch_vccz .LBB70_560
; %bb.557:
	s_cmp_eq_u32 s36, 44
	s_cbranch_scc0 .LBB70_559
; %bb.558:
	global_load_ubyte v2, v[0:1], off
	s_mov_b64 s[0:1], -1
	s_mov_b64 s[30:31], 0
	s_waitcnt vmcnt(0)
	v_lshlrev_b32_e32 v3, 23, v2
	v_cvt_i32_f32_e32 v3, v3
	v_cmp_ne_u32_e32 vcc, 0, v2
	v_cndmask_b32_e32 v2, 0, v3, vcc
	s_branch .LBB70_560
.LBB70_559:
	s_mov_b64 s[30:31], -1
                                        ; implicit-def: $vgpr2
.LBB70_560:
	s_mov_b64 s[34:35], 0
.LBB70_561:
	s_and_b64 vcc, exec, s[34:35]
	s_cbranch_vccz .LBB70_565
; %bb.562:
	s_cmp_eq_u32 s36, 29
	s_cbranch_scc0 .LBB70_564
; %bb.563:
	global_load_dwordx2 v[2:3], v[0:1], off
	s_mov_b64 s[0:1], -1
	s_mov_b64 s[30:31], 0
	s_branch .LBB70_565
.LBB70_564:
	s_mov_b64 s[30:31], -1
                                        ; implicit-def: $vgpr2
.LBB70_565:
	s_mov_b64 s[34:35], 0
.LBB70_566:
	s_and_b64 vcc, exec, s[34:35]
	s_cbranch_vccz .LBB70_582
; %bb.567:
	s_cmp_lt_i32 s36, 27
	s_cbranch_scc1 .LBB70_570
; %bb.568:
	s_cmp_gt_i32 s36, 27
	s_cbranch_scc0 .LBB70_571
; %bb.569:
	global_load_dword v2, v[0:1], off
	s_mov_b64 s[0:1], 0
	s_branch .LBB70_572
.LBB70_570:
	s_mov_b64 s[0:1], -1
                                        ; implicit-def: $vgpr2
	s_branch .LBB70_575
.LBB70_571:
	s_mov_b64 s[0:1], -1
                                        ; implicit-def: $vgpr2
.LBB70_572:
	s_andn2_b64 vcc, exec, s[0:1]
	s_cbranch_vccnz .LBB70_574
; %bb.573:
	global_load_ushort v2, v[0:1], off
.LBB70_574:
	s_mov_b64 s[0:1], 0
.LBB70_575:
	s_andn2_b64 vcc, exec, s[0:1]
	s_cbranch_vccnz .LBB70_581
; %bb.576:
	global_load_ubyte v3, v[0:1], off
	s_movk_i32 s0, 0x7f
	s_mov_b64 s[34:35], 0
	s_waitcnt vmcnt(0)
	v_cmp_lt_i16_e32 vcc, s0, v3
	s_and_saveexec_b64 s[0:1], vcc
	s_xor_b64 s[0:1], exec, s[0:1]
	s_cbranch_execz .LBB70_593
; %bb.577:
	s_movk_i32 s34, 0x80
	v_cmp_ne_u16_e32 vcc, s34, v3
	s_and_b64 s[34:35], vcc, exec
	s_andn2_saveexec_b64 s[0:1], s[0:1]
	s_cbranch_execnz .LBB70_594
.LBB70_578:
	s_or_b64 exec, exec, s[0:1]
	v_mov_b32_e32 v2, 0
	s_and_saveexec_b64 s[0:1], s[34:35]
	s_cbranch_execz .LBB70_580
.LBB70_579:
	v_lshlrev_b32_e32 v2, 24, v3
	v_and_b32_e32 v3, 0xffff, v3
	v_and_b32_e32 v5, 7, v3
	v_ffbh_u32_e32 v7, v5
	v_min_u32_e32 v7, 32, v7
	v_subrev_u32_e32 v8, 28, v7
	v_bfe_u32 v6, v3, 3, 4
	v_lshlrev_b32_e32 v3, v8, v3
	v_sub_u32_e32 v7, 29, v7
	v_and_b32_e32 v3, 7, v3
	v_cmp_eq_u32_e32 vcc, 0, v6
	v_cndmask_b32_e32 v6, v6, v7, vcc
	v_cndmask_b32_e32 v3, v5, v3, vcc
	v_mov_b32_e32 v5, 0x3b800000
	v_lshlrev_b32_e32 v3, 20, v3
	v_and_b32_e32 v2, 0x80000000, v2
	v_lshl_add_u32 v5, v6, 23, v5
	v_or3_b32 v2, v2, v5, v3
	v_cvt_i32_f32_e32 v2, v2
.LBB70_580:
	s_or_b64 exec, exec, s[0:1]
.LBB70_581:
	s_mov_b64 s[0:1], -1
.LBB70_582:
	s_mov_b64 s[34:35], 0
.LBB70_583:
	s_and_b64 vcc, exec, s[34:35]
	s_cbranch_vccz .LBB70_616
; %bb.584:
	s_cmp_gt_i32 s36, 22
	s_cbranch_scc0 .LBB70_592
; %bb.585:
	s_cmp_lt_i32 s36, 24
	s_cbranch_scc1 .LBB70_595
; %bb.586:
	s_cmp_gt_i32 s36, 24
	s_cbranch_scc0 .LBB70_596
; %bb.587:
	global_load_ubyte v3, v[0:1], off
	s_movk_i32 s0, 0x7f
	s_mov_b64 s[34:35], 0
	s_waitcnt vmcnt(0)
	v_cmp_lt_i16_e32 vcc, s0, v3
	s_and_saveexec_b64 s[0:1], vcc
	s_xor_b64 s[0:1], exec, s[0:1]
	s_cbranch_execz .LBB70_608
; %bb.588:
	s_movk_i32 s34, 0x80
	v_cmp_ne_u16_e32 vcc, s34, v3
	s_and_b64 s[34:35], vcc, exec
	s_andn2_saveexec_b64 s[0:1], s[0:1]
	s_cbranch_execnz .LBB70_609
.LBB70_589:
	s_or_b64 exec, exec, s[0:1]
	v_mov_b32_e32 v2, 0
	s_and_saveexec_b64 s[0:1], s[34:35]
	s_cbranch_execz .LBB70_591
.LBB70_590:
	v_lshlrev_b32_e32 v2, 24, v3
	v_and_b32_e32 v3, 0xffff, v3
	v_and_b32_e32 v5, 3, v3
	v_ffbh_u32_e32 v7, v5
	v_min_u32_e32 v7, 32, v7
	v_subrev_u32_e32 v8, 29, v7
	v_bfe_u32 v6, v3, 2, 5
	v_lshlrev_b32_e32 v3, v8, v3
	v_sub_u32_e32 v7, 30, v7
	v_and_b32_e32 v3, 3, v3
	v_cmp_eq_u32_e32 vcc, 0, v6
	v_cndmask_b32_e32 v6, v6, v7, vcc
	v_cndmask_b32_e32 v3, v5, v3, vcc
	v_mov_b32_e32 v5, 0x37800000
	v_lshlrev_b32_e32 v3, 21, v3
	v_and_b32_e32 v2, 0x80000000, v2
	v_lshl_add_u32 v5, v6, 23, v5
	v_or3_b32 v2, v2, v5, v3
	v_cvt_i32_f32_e32 v2, v2
.LBB70_591:
	s_or_b64 exec, exec, s[0:1]
	s_mov_b64 s[0:1], 0
	s_branch .LBB70_597
.LBB70_592:
	s_mov_b64 s[34:35], -1
                                        ; implicit-def: $vgpr2
	s_branch .LBB70_603
.LBB70_593:
	s_andn2_saveexec_b64 s[0:1], s[0:1]
	s_cbranch_execz .LBB70_578
.LBB70_594:
	v_cmp_ne_u16_e32 vcc, 0, v3
	s_andn2_b64 s[34:35], s[34:35], exec
	s_and_b64 s[38:39], vcc, exec
	s_or_b64 s[34:35], s[34:35], s[38:39]
	s_or_b64 exec, exec, s[0:1]
	v_mov_b32_e32 v2, 0
	s_and_saveexec_b64 s[0:1], s[34:35]
	s_cbranch_execnz .LBB70_579
	s_branch .LBB70_580
.LBB70_595:
	s_mov_b64 s[0:1], -1
                                        ; implicit-def: $vgpr2
	s_branch .LBB70_600
.LBB70_596:
	s_mov_b64 s[0:1], -1
                                        ; implicit-def: $vgpr2
.LBB70_597:
	s_and_b64 vcc, exec, s[0:1]
	s_cbranch_vccz .LBB70_599
; %bb.598:
	global_load_ubyte v2, v[0:1], off
	s_mov_b32 s0, 0x7f800000
	s_waitcnt vmcnt(0)
	v_lshlrev_b32_e32 v2, 24, v2
	v_and_b32_e32 v3, 0x7f000000, v2
	v_ffbh_u32_e32 v5, v3
	v_min_u32_e32 v5, 32, v5
	v_sub_u32_e64 v5, v5, 4 clamp
	v_lshlrev_b32_e32 v7, v5, v3
	v_lshlrev_b32_e32 v5, 23, v5
	v_lshrrev_b32_e32 v7, 4, v7
	v_add_u32_e32 v6, 0x1000000, v3
	v_sub_u32_e32 v5, v7, v5
	v_ashrrev_i32_e32 v6, 8, v6
	v_add_u32_e32 v5, 0x3c000000, v5
	v_and_or_b32 v5, v6, s0, v5
	v_cmp_ne_u32_e32 vcc, 0, v3
	v_cndmask_b32_e32 v3, 0, v5, vcc
	s_brev_b32 s0, 1
	v_and_or_b32 v2, v2, s0, v3
	v_cvt_i32_f32_e32 v2, v2
.LBB70_599:
	s_mov_b64 s[0:1], 0
.LBB70_600:
	s_andn2_b64 vcc, exec, s[0:1]
	s_cbranch_vccnz .LBB70_602
; %bb.601:
	global_load_ubyte v2, v[0:1], off
	s_movk_i32 s0, 0x7f00
	s_brev_b32 s1, 16
	s_waitcnt vmcnt(0)
	v_lshlrev_b16_e32 v3, 8, v2
	v_lshlrev_b32_e32 v2, 25, v2
	v_lshrrev_b32_e32 v5, 4, v2
	v_and_or_b32 v6, v3, s0, 0.5
	v_or_b32_e32 v5, 0x70000000, v5
	v_add_f32_e32 v6, -0.5, v6
	v_mul_f32_e32 v5, 0x7800000, v5
	v_cmp_gt_u32_e32 vcc, s1, v2
	v_bfe_i32 v3, v3, 0, 16
	v_cndmask_b32_e32 v2, v5, v6, vcc
	s_brev_b32 s0, 1
	v_and_or_b32 v2, v3, s0, v2
	v_cvt_i32_f32_e32 v2, v2
.LBB70_602:
	s_mov_b64 s[34:35], 0
	s_mov_b64 s[0:1], -1
.LBB70_603:
	s_andn2_b64 vcc, exec, s[34:35]
	s_cbranch_vccnz .LBB70_616
; %bb.604:
	s_cmp_gt_i32 s36, 14
	s_cbranch_scc0 .LBB70_607
; %bb.605:
	s_cmp_eq_u32 s36, 15
	s_cbranch_scc0 .LBB70_610
; %bb.606:
	global_load_ushort v2, v[0:1], off
	s_mov_b64 s[0:1], -1
	s_mov_b64 s[30:31], 0
	s_waitcnt vmcnt(0)
	v_lshlrev_b32_e32 v2, 16, v2
	v_cvt_i32_f32_e32 v2, v2
	s_branch .LBB70_611
.LBB70_607:
	s_mov_b64 s[34:35], -1
                                        ; implicit-def: $vgpr2
	s_branch .LBB70_612
.LBB70_608:
	s_andn2_saveexec_b64 s[0:1], s[0:1]
	s_cbranch_execz .LBB70_589
.LBB70_609:
	v_cmp_ne_u16_e32 vcc, 0, v3
	s_andn2_b64 s[34:35], s[34:35], exec
	s_and_b64 s[38:39], vcc, exec
	s_or_b64 s[34:35], s[34:35], s[38:39]
	s_or_b64 exec, exec, s[0:1]
	v_mov_b32_e32 v2, 0
	s_and_saveexec_b64 s[0:1], s[34:35]
	s_cbranch_execnz .LBB70_590
	s_branch .LBB70_591
.LBB70_610:
	s_mov_b64 s[30:31], -1
                                        ; implicit-def: $vgpr2
.LBB70_611:
	s_mov_b64 s[34:35], 0
.LBB70_612:
	s_and_b64 vcc, exec, s[34:35]
	s_cbranch_vccz .LBB70_616
; %bb.613:
	s_cmp_eq_u32 s36, 11
	s_cbranch_scc0 .LBB70_615
; %bb.614:
	global_load_ubyte v2, v[0:1], off
	s_mov_b64 s[0:1], -1
	s_mov_b64 s[30:31], 0
	s_waitcnt vmcnt(0)
	v_cmp_ne_u16_e32 vcc, 0, v2
	v_cndmask_b32_e64 v2, 0, 1, vcc
	s_branch .LBB70_616
.LBB70_615:
	s_mov_b64 s[30:31], -1
                                        ; implicit-def: $vgpr2
.LBB70_616:
	s_mov_b64 s[34:35], 0
.LBB70_617:
	s_and_b64 vcc, exec, s[34:35]
	s_cbranch_vccz .LBB70_666
; %bb.618:
	s_cmp_lt_i32 s36, 5
	s_cbranch_scc1 .LBB70_623
; %bb.619:
	s_cmp_lt_i32 s36, 8
	s_cbranch_scc1 .LBB70_624
	;; [unrolled: 3-line block ×3, first 2 shown]
; %bb.621:
	s_cmp_gt_i32 s36, 9
	s_cbranch_scc0 .LBB70_626
; %bb.622:
	global_load_dwordx2 v[2:3], v[0:1], off
	s_mov_b64 s[0:1], 0
	s_waitcnt vmcnt(0)
	v_cvt_i32_f64_e32 v2, v[2:3]
	s_branch .LBB70_627
.LBB70_623:
	s_mov_b64 s[0:1], -1
                                        ; implicit-def: $vgpr2
	s_branch .LBB70_645
.LBB70_624:
	s_mov_b64 s[0:1], -1
                                        ; implicit-def: $vgpr2
	s_branch .LBB70_633
.LBB70_625:
	s_mov_b64 s[0:1], -1
                                        ; implicit-def: $vgpr2
	s_branch .LBB70_630
.LBB70_626:
	s_mov_b64 s[0:1], -1
                                        ; implicit-def: $vgpr2
.LBB70_627:
	s_andn2_b64 vcc, exec, s[0:1]
	s_cbranch_vccnz .LBB70_629
; %bb.628:
	global_load_dword v2, v[0:1], off
	s_waitcnt vmcnt(0)
	v_cvt_i32_f32_e32 v2, v2
.LBB70_629:
	s_mov_b64 s[0:1], 0
.LBB70_630:
	s_andn2_b64 vcc, exec, s[0:1]
	s_cbranch_vccnz .LBB70_632
; %bb.631:
	global_load_dword v2, v[0:1], off
	s_waitcnt vmcnt(0)
	v_cvt_i16_f16_e32 v2, v2
.LBB70_632:
	s_mov_b64 s[0:1], 0
.LBB70_633:
	s_andn2_b64 vcc, exec, s[0:1]
	s_cbranch_vccnz .LBB70_644
; %bb.634:
	s_cmp_lt_i32 s36, 6
	s_cbranch_scc1 .LBB70_637
; %bb.635:
	s_cmp_gt_i32 s36, 6
	s_cbranch_scc0 .LBB70_638
; %bb.636:
	global_load_dwordx2 v[2:3], v[0:1], off
	s_mov_b64 s[0:1], 0
	s_waitcnt vmcnt(0)
	v_cvt_i32_f64_e32 v2, v[2:3]
	s_branch .LBB70_639
.LBB70_637:
	s_mov_b64 s[0:1], -1
                                        ; implicit-def: $vgpr2
	s_branch .LBB70_642
.LBB70_638:
	s_mov_b64 s[0:1], -1
                                        ; implicit-def: $vgpr2
.LBB70_639:
	s_andn2_b64 vcc, exec, s[0:1]
	s_cbranch_vccnz .LBB70_641
; %bb.640:
	global_load_dword v2, v[0:1], off
	s_waitcnt vmcnt(0)
	v_cvt_i32_f32_e32 v2, v2
.LBB70_641:
	s_mov_b64 s[0:1], 0
.LBB70_642:
	s_andn2_b64 vcc, exec, s[0:1]
	s_cbranch_vccnz .LBB70_644
; %bb.643:
	global_load_ushort v2, v[0:1], off
	s_waitcnt vmcnt(0)
	v_cvt_i16_f16_e32 v2, v2
.LBB70_644:
	s_mov_b64 s[0:1], 0
.LBB70_645:
	s_andn2_b64 vcc, exec, s[0:1]
	s_cbranch_vccnz .LBB70_665
; %bb.646:
	s_cmp_lt_i32 s36, 2
	s_cbranch_scc1 .LBB70_650
; %bb.647:
	s_cmp_lt_i32 s36, 3
	s_cbranch_scc1 .LBB70_651
; %bb.648:
	s_cmp_gt_i32 s36, 3
	s_cbranch_scc0 .LBB70_652
; %bb.649:
	global_load_dwordx2 v[2:3], v[0:1], off
	s_mov_b64 s[0:1], 0
	s_branch .LBB70_653
.LBB70_650:
	s_mov_b64 s[0:1], -1
                                        ; implicit-def: $vgpr2
	s_branch .LBB70_659
.LBB70_651:
	s_mov_b64 s[0:1], -1
                                        ; implicit-def: $vgpr2
	s_branch .LBB70_656
.LBB70_652:
	s_mov_b64 s[0:1], -1
                                        ; implicit-def: $vgpr2
.LBB70_653:
	s_andn2_b64 vcc, exec, s[0:1]
	s_cbranch_vccnz .LBB70_655
; %bb.654:
	global_load_dword v2, v[0:1], off
.LBB70_655:
	s_mov_b64 s[0:1], 0
.LBB70_656:
	s_andn2_b64 vcc, exec, s[0:1]
	s_cbranch_vccnz .LBB70_658
; %bb.657:
	global_load_ushort v2, v[0:1], off
.LBB70_658:
	s_mov_b64 s[0:1], 0
.LBB70_659:
	s_andn2_b64 vcc, exec, s[0:1]
	s_cbranch_vccnz .LBB70_665
; %bb.660:
	s_cmp_gt_i32 s36, 0
	s_cbranch_scc0 .LBB70_662
; %bb.661:
	global_load_sbyte v2, v[0:1], off
	s_mov_b64 s[0:1], 0
	s_branch .LBB70_663
.LBB70_662:
	s_mov_b64 s[0:1], -1
                                        ; implicit-def: $vgpr2
.LBB70_663:
	s_andn2_b64 vcc, exec, s[0:1]
	s_cbranch_vccnz .LBB70_665
; %bb.664:
	global_load_ubyte v2, v[0:1], off
.LBB70_665:
	s_mov_b64 s[0:1], -1
.LBB70_666:
	s_andn2_b64 vcc, exec, s[0:1]
	s_cbranch_vccnz .LBB70_671
; %bb.667:
	s_cmp_lt_i32 s14, 1
	s_mov_b64 s[0:1], 0
	s_cbranch_scc1 .LBB70_672
; %bb.668:
	s_cmp_gt_i32 s14, 1
	s_cbranch_scc0 .LBB70_673
; %bb.669:
	s_cmp_eq_u32 s14, 2
	s_cbranch_scc0 .LBB70_674
; %bb.670:
	s_waitcnt vmcnt(0)
	v_cmp_ge_i16_e64 s[34:35], s2, v2
	s_mov_b64 s[36:37], 0
	s_branch .LBB70_675
.LBB70_671:
	s_mov_b64 s[36:37], 0
                                        ; implicit-def: $vgpr4
	s_mov_b64 s[0:1], s[24:25]
	s_branch .LBB70_808
.LBB70_672:
	s_mov_b64 s[38:39], -1
                                        ; implicit-def: $sgpr34_sgpr35
	s_mov_b64 s[36:37], 0
	s_branch .LBB70_679
.LBB70_673:
	s_mov_b64 s[38:39], -1
	s_mov_b64 s[36:37], 0
                                        ; implicit-def: $sgpr34_sgpr35
	s_branch .LBB70_676
.LBB70_674:
	s_mov_b64 s[36:37], -1
                                        ; implicit-def: $sgpr34_sgpr35
.LBB70_675:
	s_mov_b64 s[38:39], 0
.LBB70_676:
	s_and_b64 vcc, exec, s[38:39]
	s_cbranch_vccz .LBB70_678
; %bb.677:
	s_waitcnt vmcnt(0)
	v_cmp_lt_i16_e32 vcc, s2, v2
	s_andn2_b64 s[34:35], s[34:35], exec
	s_and_b64 s[38:39], vcc, exec
	s_or_b64 s[34:35], s[34:35], s[38:39]
.LBB70_678:
	s_mov_b64 s[38:39], 0
.LBB70_679:
	s_and_b64 vcc, exec, s[38:39]
	s_cbranch_vccz .LBB70_690
; %bb.680:
	s_cmp_lg_u32 s14, 0
	s_mov_b64 s[0:1], -1
	s_cselect_b64 s[36:37], -1, 0
	s_andn2_b64 vcc, exec, s[36:37]
	s_cbranch_vccz .LBB70_691
.LBB70_681:
	s_andn2_b64 vcc, exec, s[0:1]
	s_cbranch_vccnz .LBB70_683
.LBB70_682:
	s_waitcnt vmcnt(0)
	v_cmp_le_i16_e32 vcc, s2, v2
	s_andn2_b64 s[0:1], s[34:35], exec
	s_and_b64 s[34:35], vcc, exec
	s_or_b64 s[34:35], s[0:1], s[34:35]
.LBB70_683:
	v_mul_lo_u32 v0, v4, s12
	v_mov_b32_e32 v1, s9
	s_and_b32 s42, s3, 0xff
	s_cmp_lt_i32 s42, 11
	s_waitcnt vmcnt(0)
	v_ashrrev_i32_e32 v2, 31, v0
	v_add_co_u32_e32 v0, vcc, s8, v0
	v_addc_co_u32_e32 v1, vcc, v1, v2, vcc
	s_cbranch_scc1 .LBB70_692
; %bb.684:
	s_and_b32 s43, 0xffff, s42
	s_cmp_gt_i32 s43, 25
	s_cbranch_scc0 .LBB70_693
; %bb.685:
	s_cmp_gt_i32 s43, 28
	s_cbranch_scc0 .LBB70_694
; %bb.686:
	s_cmp_gt_i32 s43, 43
	s_cbranch_scc0 .LBB70_695
; %bb.687:
	s_cmp_gt_i32 s43, 45
	s_cbranch_scc0 .LBB70_696
; %bb.688:
	s_mov_b64 s[38:39], 0
	s_mov_b64 s[0:1], -1
	s_cmp_eq_u32 s43, 46
	s_mov_b64 s[36:37], 0
	s_cbranch_scc0 .LBB70_697
; %bb.689:
	v_cndmask_b32_e64 v2, 0, 1.0, s[34:35]
	v_bfe_u32 v3, v2, 16, 1
	s_movk_i32 s0, 0x7fff
	v_add3_u32 v2, v2, v3, s0
	v_lshrrev_b32_e32 v2, 16, v2
	global_store_dword v[0:1], v2, off
	s_mov_b64 s[36:37], -1
	s_mov_b64 s[0:1], 0
	s_branch .LBB70_697
.LBB70_690:
	s_andn2_b64 vcc, exec, s[36:37]
	s_cbranch_vccnz .LBB70_681
.LBB70_691:
	s_waitcnt vmcnt(0)
	v_cmp_gt_i16_e32 vcc, s2, v2
	s_andn2_b64 s[34:35], s[34:35], exec
	s_and_b64 s[36:37], vcc, exec
	s_or_b64 s[34:35], s[34:35], s[36:37]
	s_cbranch_execz .LBB70_682
	s_branch .LBB70_683
.LBB70_692:
	s_mov_b64 s[38:39], -1
	s_mov_b64 s[36:37], 0
	s_mov_b64 s[0:1], s[24:25]
	s_branch .LBB70_766
.LBB70_693:
	s_mov_b64 s[38:39], -1
	s_mov_b64 s[36:37], 0
	s_mov_b64 s[0:1], s[24:25]
	s_branch .LBB70_724
.LBB70_694:
	s_mov_b64 s[38:39], -1
	s_mov_b64 s[36:37], 0
	s_mov_b64 s[0:1], s[24:25]
	s_branch .LBB70_707
.LBB70_695:
	s_mov_b64 s[38:39], -1
	s_mov_b64 s[36:37], 0
	s_mov_b64 s[0:1], s[24:25]
	s_branch .LBB70_703
.LBB70_696:
	s_mov_b64 s[38:39], -1
	s_mov_b64 s[36:37], 0
	s_mov_b64 s[0:1], s[24:25]
.LBB70_697:
	s_and_b64 vcc, exec, s[38:39]
	s_cbranch_vccz .LBB70_702
; %bb.698:
	s_cmp_eq_u32 s43, 44
	s_mov_b64 s[0:1], -1
	s_cbranch_scc0 .LBB70_702
; %bb.699:
	v_cndmask_b32_e64 v3, 0, 1.0, s[34:35]
	v_lshrrev_b32_e32 v2, 23, v3
	s_movk_i32 s0, 0xff
	v_cmp_ne_u32_e32 vcc, s0, v2
	v_mov_b32_e32 v5, 0xff
	s_and_saveexec_b64 s[36:37], vcc
; %bb.700:
	s_mov_b32 s0, 0x3fffff
	v_and_b32_e32 v5, 0x400000, v3
	v_and_or_b32 v3, v3, s0, v2
	v_cmp_ne_u32_e32 vcc, 0, v5
	v_cmp_ne_u32_e64 s[0:1], 0, v3
	s_and_b64 s[0:1], vcc, s[0:1]
	v_cndmask_b32_e64 v3, 0, 1, s[0:1]
	v_add_u32_e32 v5, v2, v3
; %bb.701:
	s_or_b64 exec, exec, s[36:37]
	s_mov_b64 s[36:37], -1
	s_mov_b64 s[0:1], 0
	global_store_byte v[0:1], v5, off
.LBB70_702:
	s_mov_b64 s[38:39], 0
.LBB70_703:
	s_and_b64 vcc, exec, s[38:39]
	s_cbranch_vccz .LBB70_706
; %bb.704:
	s_cmp_eq_u32 s43, 29
	s_mov_b64 s[0:1], -1
	s_cbranch_scc0 .LBB70_706
; %bb.705:
	s_mov_b32 s0, 0
	v_cndmask_b32_e64 v2, 0, 1, s[34:35]
	v_mov_b32_e32 v3, s0
	global_store_dwordx2 v[0:1], v[2:3], off
	s_mov_b64 s[36:37], -1
	s_mov_b64 s[0:1], 0
.LBB70_706:
	s_mov_b64 s[38:39], 0
.LBB70_707:
	s_and_b64 vcc, exec, s[38:39]
	s_cbranch_vccz .LBB70_723
; %bb.708:
	s_cmp_lt_i32 s43, 27
	s_mov_b64 s[36:37], -1
	s_cbranch_scc1 .LBB70_714
; %bb.709:
	s_cmp_gt_i32 s43, 27
	s_cbranch_scc0 .LBB70_711
; %bb.710:
	v_cndmask_b32_e64 v2, 0, 1, s[34:35]
	s_mov_b64 s[36:37], 0
	global_store_dword v[0:1], v2, off
.LBB70_711:
	s_andn2_b64 vcc, exec, s[36:37]
	s_cbranch_vccnz .LBB70_713
; %bb.712:
	v_cndmask_b32_e64 v2, 0, 1, s[34:35]
	global_store_short v[0:1], v2, off
.LBB70_713:
	s_mov_b64 s[36:37], 0
.LBB70_714:
	s_andn2_b64 vcc, exec, s[36:37]
	s_cbranch_vccnz .LBB70_722
; %bb.715:
	v_cndmask_b32_e64 v3, 0, 1.0, s[34:35]
	s_mov_b32 s36, 0x43800000
	v_cmp_gt_u32_e32 vcc, s36, v3
	v_mov_b32_e32 v5, 0x80
	s_and_saveexec_b64 s[36:37], vcc
	s_cbranch_execz .LBB70_721
; %bb.716:
	s_mov_b32 s38, 0x3bffffff
	v_cmp_lt_u32_e32 vcc, s38, v3
	s_mov_b64 s[38:39], 0
                                        ; implicit-def: $vgpr2
	s_and_saveexec_b64 s[40:41], vcc
	s_xor_b64 s[40:41], exec, s[40:41]
	s_cbranch_execz .LBB70_822
; %bb.717:
	v_bfe_u32 v2, v3, 20, 1
	s_mov_b32 s44, 0x487ffff
	v_add3_u32 v2, v3, v2, s44
	s_mov_b64 s[38:39], exec
	v_lshrrev_b32_e32 v2, 20, v2
                                        ; implicit-def: $vgpr3
	s_andn2_saveexec_b64 s[40:41], s[40:41]
	s_cbranch_execnz .LBB70_823
.LBB70_718:
	s_or_b64 exec, exec, s[40:41]
	v_mov_b32_e32 v5, 0
	s_and_saveexec_b64 s[40:41], s[38:39]
.LBB70_719:
	v_mov_b32_e32 v5, v2
.LBB70_720:
	s_or_b64 exec, exec, s[40:41]
.LBB70_721:
	s_or_b64 exec, exec, s[36:37]
	global_store_byte v[0:1], v5, off
.LBB70_722:
	s_mov_b64 s[36:37], -1
.LBB70_723:
	s_mov_b64 s[38:39], 0
.LBB70_724:
	s_and_b64 vcc, exec, s[38:39]
	s_cbranch_vccz .LBB70_765
; %bb.725:
	s_cmp_gt_i32 s43, 22
	s_mov_b64 s[38:39], -1
	s_cbranch_scc0 .LBB70_757
; %bb.726:
	s_cmp_lt_i32 s43, 24
	s_mov_b64 s[36:37], -1
	s_cbranch_scc1 .LBB70_746
; %bb.727:
	s_cmp_gt_i32 s43, 24
	s_cbranch_scc0 .LBB70_735
; %bb.728:
	v_cndmask_b32_e64 v3, 0, 1.0, s[34:35]
	s_mov_b32 s36, 0x47800000
	v_cmp_gt_u32_e32 vcc, s36, v3
	v_mov_b32_e32 v5, 0x80
	s_and_saveexec_b64 s[36:37], vcc
	s_cbranch_execz .LBB70_734
; %bb.729:
	s_mov_b32 s38, 0x37ffffff
	v_cmp_lt_u32_e32 vcc, s38, v3
	s_mov_b64 s[38:39], 0
                                        ; implicit-def: $vgpr2
	s_and_saveexec_b64 s[40:41], vcc
	s_xor_b64 s[40:41], exec, s[40:41]
	s_cbranch_execz .LBB70_825
; %bb.730:
	v_bfe_u32 v2, v3, 21, 1
	s_mov_b32 s44, 0x88fffff
	v_add3_u32 v2, v3, v2, s44
	s_mov_b64 s[38:39], exec
	v_lshrrev_b32_e32 v2, 21, v2
                                        ; implicit-def: $vgpr3
	s_andn2_saveexec_b64 s[40:41], s[40:41]
	s_cbranch_execnz .LBB70_826
.LBB70_731:
	s_or_b64 exec, exec, s[40:41]
	v_mov_b32_e32 v5, 0
	s_and_saveexec_b64 s[40:41], s[38:39]
.LBB70_732:
	v_mov_b32_e32 v5, v2
.LBB70_733:
	s_or_b64 exec, exec, s[40:41]
.LBB70_734:
	s_or_b64 exec, exec, s[36:37]
	s_mov_b64 s[36:37], 0
	global_store_byte v[0:1], v5, off
.LBB70_735:
	s_and_b64 vcc, exec, s[36:37]
	s_cbranch_vccz .LBB70_745
; %bb.736:
	v_cndmask_b32_e64 v2, 0, 1.0, s[34:35]
	s_mov_b32 s36, 0x43f00000
	v_cmp_gt_u32_e32 vcc, s36, v2
                                        ; implicit-def: $vgpr3
	s_and_saveexec_b64 s[36:37], vcc
	s_xor_b64 s[36:37], exec, s[36:37]
	s_cbranch_execz .LBB70_742
; %bb.737:
	s_mov_b32 s38, 0x3c7fffff
	v_cmp_lt_u32_e32 vcc, s38, v2
                                        ; implicit-def: $vgpr3
	s_and_saveexec_b64 s[38:39], vcc
	s_xor_b64 s[38:39], exec, s[38:39]
; %bb.738:
	v_bfe_u32 v3, v2, 20, 1
	s_mov_b32 s40, 0x407ffff
	v_add3_u32 v2, v2, v3, s40
	v_lshrrev_b32_e32 v3, 20, v2
	v_and_b32_e32 v2, 0xff00000, v2
	s_mov_b32 s40, 0x7f00000
	v_mov_b32_e32 v5, 0x7e
	v_cmp_ne_u32_e32 vcc, s40, v2
	v_cndmask_b32_e32 v3, v5, v3, vcc
                                        ; implicit-def: $vgpr2
; %bb.739:
	s_andn2_saveexec_b64 s[38:39], s[38:39]
; %bb.740:
	v_add_f32_e32 v3, 0x46800000, v2
; %bb.741:
	s_or_b64 exec, exec, s[38:39]
                                        ; implicit-def: $vgpr2
.LBB70_742:
	s_andn2_saveexec_b64 s[36:37], s[36:37]
; %bb.743:
	s_mov_b32 s38, 0x7f800000
	v_mov_b32_e32 v3, 0x7e
	v_mov_b32_e32 v5, 0x7f
	v_cmp_lt_u32_e32 vcc, s38, v2
	v_cndmask_b32_e32 v3, v3, v5, vcc
; %bb.744:
	s_or_b64 exec, exec, s[36:37]
	global_store_byte v[0:1], v3, off
.LBB70_745:
	s_mov_b64 s[36:37], 0
.LBB70_746:
	s_andn2_b64 vcc, exec, s[36:37]
	s_cbranch_vccnz .LBB70_756
; %bb.747:
	v_cndmask_b32_e64 v2, 0, 1.0, s[34:35]
	s_mov_b32 s36, 0x47800000
	v_cmp_gt_u32_e32 vcc, s36, v2
                                        ; implicit-def: $vgpr3
	s_and_saveexec_b64 s[36:37], vcc
	s_xor_b64 s[36:37], exec, s[36:37]
	s_cbranch_execz .LBB70_753
; %bb.748:
	s_mov_b32 s38, 0x387fffff
	v_cmp_lt_u32_e32 vcc, s38, v2
                                        ; implicit-def: $vgpr3
	s_and_saveexec_b64 s[38:39], vcc
	s_xor_b64 s[38:39], exec, s[38:39]
; %bb.749:
	v_bfe_u32 v3, v2, 21, 1
	s_mov_b32 s40, 0x80fffff
	v_add3_u32 v2, v2, v3, s40
	v_lshrrev_b32_e32 v3, 21, v2
                                        ; implicit-def: $vgpr2
; %bb.750:
	s_andn2_saveexec_b64 s[38:39], s[38:39]
; %bb.751:
	v_add_f32_e32 v3, 0x43000000, v2
; %bb.752:
	s_or_b64 exec, exec, s[38:39]
                                        ; implicit-def: $vgpr2
.LBB70_753:
	s_andn2_saveexec_b64 s[36:37], s[36:37]
; %bb.754:
	s_mov_b32 s38, 0x7f800000
	v_mov_b32_e32 v3, 0x7c
	v_mov_b32_e32 v5, 0x7f
	v_cmp_lt_u32_e32 vcc, s38, v2
	v_cndmask_b32_e32 v3, v3, v5, vcc
; %bb.755:
	s_or_b64 exec, exec, s[36:37]
	global_store_byte v[0:1], v3, off
.LBB70_756:
	s_mov_b64 s[38:39], 0
	s_mov_b64 s[36:37], -1
.LBB70_757:
	s_andn2_b64 vcc, exec, s[38:39]
	s_cbranch_vccnz .LBB70_765
; %bb.758:
	s_cmp_gt_i32 s43, 14
	s_mov_b64 s[38:39], -1
	s_cbranch_scc0 .LBB70_762
; %bb.759:
	s_cmp_eq_u32 s43, 15
	s_mov_b64 s[0:1], -1
	s_cbranch_scc0 .LBB70_761
; %bb.760:
	v_cndmask_b32_e64 v2, 0, 1.0, s[34:35]
	v_bfe_u32 v3, v2, 16, 1
	s_movk_i32 s0, 0x7fff
	v_add3_u32 v2, v2, v3, s0
	global_store_short_d16_hi v[0:1], v2, off
	s_mov_b64 s[36:37], -1
	s_mov_b64 s[0:1], 0
.LBB70_761:
	s_mov_b64 s[38:39], 0
.LBB70_762:
	s_and_b64 vcc, exec, s[38:39]
	s_cbranch_vccz .LBB70_765
; %bb.763:
	s_cmp_eq_u32 s43, 11
	s_mov_b64 s[0:1], -1
	s_cbranch_scc0 .LBB70_765
; %bb.764:
	v_cndmask_b32_e64 v2, 0, 1, s[34:35]
	s_mov_b64 s[36:37], -1
	s_mov_b64 s[0:1], 0
	global_store_byte v[0:1], v2, off
.LBB70_765:
	s_mov_b64 s[38:39], 0
.LBB70_766:
	s_and_b64 vcc, exec, s[38:39]
	s_cbranch_vccz .LBB70_805
; %bb.767:
	s_and_b32 s38, 0xffff, s42
	s_cmp_lt_i32 s38, 5
	s_mov_b64 s[36:37], -1
	s_cbranch_scc1 .LBB70_788
; %bb.768:
	s_cmp_lt_i32 s38, 8
	s_cbranch_scc1 .LBB70_778
; %bb.769:
	s_cmp_lt_i32 s38, 9
	s_cbranch_scc1 .LBB70_775
; %bb.770:
	s_cmp_gt_i32 s38, 9
	s_cbranch_scc0 .LBB70_772
; %bb.771:
	v_cndmask_b32_e64 v2, 0, 1, s[34:35]
	v_cvt_f64_u32_e32 v[5:6], v2
	v_mov_b32_e32 v7, 0
	v_mov_b32_e32 v8, v7
	s_mov_b64 s[36:37], 0
	global_store_dwordx4 v[0:1], v[5:8], off
.LBB70_772:
	s_andn2_b64 vcc, exec, s[36:37]
	s_cbranch_vccnz .LBB70_774
; %bb.773:
	v_cndmask_b32_e64 v2, 0, 1.0, s[34:35]
	v_mov_b32_e32 v3, 0
	global_store_dwordx2 v[0:1], v[2:3], off
.LBB70_774:
	s_mov_b64 s[36:37], 0
.LBB70_775:
	s_andn2_b64 vcc, exec, s[36:37]
	s_cbranch_vccnz .LBB70_777
; %bb.776:
	v_cndmask_b32_e64 v2, 0, 1.0, s[34:35]
	v_cvt_f16_f32_e32 v2, v2
	global_store_dword v[0:1], v2, off
.LBB70_777:
	s_mov_b64 s[36:37], 0
.LBB70_778:
	s_andn2_b64 vcc, exec, s[36:37]
	s_cbranch_vccnz .LBB70_787
; %bb.779:
	s_cmp_lt_i32 s38, 6
	s_mov_b64 s[36:37], -1
	s_cbranch_scc1 .LBB70_785
; %bb.780:
	s_cmp_gt_i32 s38, 6
	s_cbranch_scc0 .LBB70_782
; %bb.781:
	v_cndmask_b32_e64 v2, 0, 1, s[34:35]
	v_cvt_f64_u32_e32 v[2:3], v2
	s_mov_b64 s[36:37], 0
	global_store_dwordx2 v[0:1], v[2:3], off
.LBB70_782:
	s_andn2_b64 vcc, exec, s[36:37]
	s_cbranch_vccnz .LBB70_784
; %bb.783:
	v_cndmask_b32_e64 v2, 0, 1.0, s[34:35]
	global_store_dword v[0:1], v2, off
.LBB70_784:
	s_mov_b64 s[36:37], 0
.LBB70_785:
	s_andn2_b64 vcc, exec, s[36:37]
	s_cbranch_vccnz .LBB70_787
; %bb.786:
	v_cndmask_b32_e64 v2, 0, 1.0, s[34:35]
	v_cvt_f16_f32_e32 v2, v2
	global_store_short v[0:1], v2, off
.LBB70_787:
	s_mov_b64 s[36:37], 0
.LBB70_788:
	s_andn2_b64 vcc, exec, s[36:37]
	s_cbranch_vccnz .LBB70_804
; %bb.789:
	s_cmp_lt_i32 s38, 2
	s_mov_b64 s[36:37], -1
	s_cbranch_scc1 .LBB70_799
; %bb.790:
	s_cmp_lt_i32 s38, 3
	s_cbranch_scc1 .LBB70_796
; %bb.791:
	s_cmp_gt_i32 s38, 3
	s_cbranch_scc0 .LBB70_793
; %bb.792:
	s_mov_b32 s36, 0
	v_cndmask_b32_e64 v2, 0, 1, s[34:35]
	v_mov_b32_e32 v3, s36
	s_mov_b64 s[36:37], 0
	global_store_dwordx2 v[0:1], v[2:3], off
.LBB70_793:
	s_andn2_b64 vcc, exec, s[36:37]
	s_cbranch_vccnz .LBB70_795
; %bb.794:
	v_cndmask_b32_e64 v2, 0, 1, s[34:35]
	global_store_dword v[0:1], v2, off
.LBB70_795:
	s_mov_b64 s[36:37], 0
.LBB70_796:
	s_andn2_b64 vcc, exec, s[36:37]
	s_cbranch_vccnz .LBB70_798
; %bb.797:
	v_cndmask_b32_e64 v2, 0, 1, s[34:35]
	global_store_short v[0:1], v2, off
.LBB70_798:
	s_mov_b64 s[36:37], 0
.LBB70_799:
	s_andn2_b64 vcc, exec, s[36:37]
	s_cbranch_vccnz .LBB70_804
; %bb.800:
	s_mov_b64 s[36:37], -1
	s_cmp_gt_i32 s38, 0
	v_cndmask_b32_e64 v2, 0, 1, s[34:35]
	s_cbranch_scc0 .LBB70_802
; %bb.801:
	s_mov_b64 s[36:37], 0
	global_store_byte v[0:1], v2, off
.LBB70_802:
	s_andn2_b64 vcc, exec, s[36:37]
	s_cbranch_vccnz .LBB70_804
; %bb.803:
	global_store_byte v[0:1], v2, off
.LBB70_804:
	s_mov_b64 s[36:37], -1
.LBB70_805:
	s_andn2_b64 vcc, exec, s[36:37]
	s_cbranch_vccnz .LBB70_807
; %bb.806:
	v_add_u32_e32 v4, 0x80, v4
	s_mov_b64 s[36:37], -1
	s_branch .LBB70_808
.LBB70_807:
	s_mov_b64 s[36:37], 0
                                        ; implicit-def: $vgpr4
.LBB70_808:
	s_andn2_b64 s[34:35], s[24:25], exec
	s_and_b64 s[0:1], s[0:1], exec
	s_or_b64 s[34:35], s[34:35], s[0:1]
	s_andn2_b64 s[0:1], s[22:23], exec
	s_and_b64 s[30:31], s[30:31], exec
	s_or_b64 s[0:1], s[0:1], s[30:31]
	s_orn2_b64 s[38:39], s[36:37], exec
.LBB70_809:
	s_or_b64 exec, exec, s[28:29]
	s_mov_b64 s[36:37], 0
	s_mov_b64 s[30:31], 0
	;; [unrolled: 1-line block ×3, first 2 shown]
                                        ; implicit-def: $vgpr0_vgpr1
                                        ; implicit-def: $vgpr2
	s_and_saveexec_b64 s[28:29], s[38:39]
	s_cbranch_execz .LBB70_890
; %bb.810:
	v_cmp_gt_i32_e32 vcc, s33, v4
	s_mov_b64 s[38:39], 0
	s_mov_b64 s[42:43], s[0:1]
	;; [unrolled: 1-line block ×3, first 2 shown]
                                        ; implicit-def: $vgpr0_vgpr1
                                        ; implicit-def: $vgpr2
	s_and_saveexec_b64 s[30:31], vcc
	s_cbranch_execz .LBB70_889
; %bb.811:
	v_mul_lo_u32 v0, v4, s13
	v_mov_b32_e32 v1, s11
	s_and_b32 s33, 0xffff, s15
	s_cmp_lt_i32 s33, 11
	s_waitcnt vmcnt(0)
	v_ashrrev_i32_e32 v2, 31, v0
	v_add_co_u32_e32 v0, vcc, s10, v0
	v_addc_co_u32_e32 v1, vcc, v1, v2, vcc
	s_cbranch_scc1 .LBB70_818
; %bb.812:
	s_cmp_gt_i32 s33, 25
	s_cbranch_scc0 .LBB70_819
; %bb.813:
	s_cmp_gt_i32 s33, 28
	s_cbranch_scc0 .LBB70_820
	;; [unrolled: 3-line block ×4, first 2 shown]
; %bb.816:
	s_cmp_eq_u32 s33, 46
	s_mov_b64 s[42:43], 0
	s_cbranch_scc0 .LBB70_827
; %bb.817:
	global_load_dword v2, v[0:1], off
	s_mov_b64 s[40:41], -1
	s_waitcnt vmcnt(0)
	v_lshlrev_b32_e32 v2, 16, v2
	v_cvt_i32_f32_e32 v2, v2
	s_branch .LBB70_829
.LBB70_818:
	s_mov_b64 s[42:43], -1
                                        ; implicit-def: $vgpr2
	s_mov_b64 s[36:37], s[0:1]
	s_branch .LBB70_888
.LBB70_819:
	s_mov_b64 s[42:43], -1
	s_mov_b64 s[36:37], s[0:1]
                                        ; implicit-def: $vgpr2
	s_branch .LBB70_856
.LBB70_820:
	s_mov_b64 s[42:43], -1
	s_mov_b64 s[36:37], s[0:1]
                                        ; implicit-def: $vgpr2
	s_branch .LBB70_839
.LBB70_821:
	s_mov_b64 s[42:43], -1
	s_mov_b64 s[36:37], s[0:1]
                                        ; implicit-def: $vgpr2
	s_branch .LBB70_834
.LBB70_822:
	s_andn2_saveexec_b64 s[40:41], s[40:41]
	s_cbranch_execz .LBB70_718
.LBB70_823:
	v_add_f32_e32 v2, 0x46000000, v3
	v_and_b32_e32 v2, 0xff, v2
	v_cmp_ne_u32_e32 vcc, 0, v2
	s_andn2_b64 s[38:39], s[38:39], exec
	s_and_b64 s[44:45], vcc, exec
	s_or_b64 s[38:39], s[38:39], s[44:45]
	s_or_b64 exec, exec, s[40:41]
	v_mov_b32_e32 v5, 0
	s_and_saveexec_b64 s[40:41], s[38:39]
	s_cbranch_execnz .LBB70_719
	s_branch .LBB70_720
.LBB70_824:
	s_mov_b64 s[42:43], -1
	s_mov_b64 s[36:37], s[0:1]
	s_branch .LBB70_828
.LBB70_825:
	s_andn2_saveexec_b64 s[40:41], s[40:41]
	s_cbranch_execz .LBB70_731
.LBB70_826:
	v_add_f32_e32 v2, 0x42800000, v3
	v_and_b32_e32 v2, 0xff, v2
	v_cmp_ne_u32_e32 vcc, 0, v2
	s_andn2_b64 s[38:39], s[38:39], exec
	s_and_b64 s[44:45], vcc, exec
	s_or_b64 s[38:39], s[38:39], s[44:45]
	s_or_b64 exec, exec, s[40:41]
	v_mov_b32_e32 v5, 0
	s_and_saveexec_b64 s[40:41], s[38:39]
	s_cbranch_execnz .LBB70_732
	s_branch .LBB70_733
.LBB70_827:
	s_mov_b64 s[36:37], -1
.LBB70_828:
                                        ; implicit-def: $vgpr2
.LBB70_829:
	s_and_b64 vcc, exec, s[42:43]
	s_cbranch_vccz .LBB70_833
; %bb.830:
	s_cmp_eq_u32 s33, 44
	s_cbranch_scc0 .LBB70_832
; %bb.831:
	global_load_ubyte v2, v[0:1], off
	s_mov_b64 s[36:37], 0
	s_mov_b64 s[40:41], -1
	s_waitcnt vmcnt(0)
	v_lshlrev_b32_e32 v3, 23, v2
	v_cvt_i32_f32_e32 v3, v3
	v_cmp_ne_u32_e32 vcc, 0, v2
	v_cndmask_b32_e32 v2, 0, v3, vcc
	s_branch .LBB70_833
.LBB70_832:
	s_mov_b64 s[36:37], -1
                                        ; implicit-def: $vgpr2
.LBB70_833:
	s_mov_b64 s[42:43], 0
.LBB70_834:
	s_and_b64 vcc, exec, s[42:43]
	s_cbranch_vccz .LBB70_838
; %bb.835:
	s_cmp_eq_u32 s33, 29
	s_cbranch_scc0 .LBB70_837
; %bb.836:
	global_load_dwordx2 v[2:3], v[0:1], off
	s_mov_b64 s[36:37], 0
	s_mov_b64 s[40:41], -1
	s_branch .LBB70_838
.LBB70_837:
	s_mov_b64 s[36:37], -1
                                        ; implicit-def: $vgpr2
.LBB70_838:
	s_mov_b64 s[42:43], 0
.LBB70_839:
	s_and_b64 vcc, exec, s[42:43]
	s_cbranch_vccz .LBB70_855
; %bb.840:
	s_cmp_lt_i32 s33, 27
	s_cbranch_scc1 .LBB70_843
; %bb.841:
	s_cmp_gt_i32 s33, 27
	s_cbranch_scc0 .LBB70_844
; %bb.842:
	global_load_dword v2, v[0:1], off
	s_mov_b64 s[40:41], 0
	s_branch .LBB70_845
.LBB70_843:
	s_mov_b64 s[40:41], -1
                                        ; implicit-def: $vgpr2
	s_branch .LBB70_848
.LBB70_844:
	s_mov_b64 s[40:41], -1
                                        ; implicit-def: $vgpr2
.LBB70_845:
	s_andn2_b64 vcc, exec, s[40:41]
	s_cbranch_vccnz .LBB70_847
; %bb.846:
	global_load_ushort v2, v[0:1], off
.LBB70_847:
	s_mov_b64 s[40:41], 0
.LBB70_848:
	s_andn2_b64 vcc, exec, s[40:41]
	s_cbranch_vccnz .LBB70_854
; %bb.849:
	global_load_ubyte v3, v[0:1], off
	s_movk_i32 s40, 0x7f
	s_mov_b64 s[42:43], 0
	s_waitcnt vmcnt(0)
	v_cmp_lt_i16_e32 vcc, s40, v3
	s_and_saveexec_b64 s[40:41], vcc
	s_xor_b64 s[40:41], exec, s[40:41]
	s_cbranch_execz .LBB70_866
; %bb.850:
	s_movk_i32 s42, 0x80
	v_cmp_ne_u16_e32 vcc, s42, v3
	s_and_b64 s[42:43], vcc, exec
	s_andn2_saveexec_b64 s[40:41], s[40:41]
	s_cbranch_execnz .LBB70_867
.LBB70_851:
	s_or_b64 exec, exec, s[40:41]
	v_mov_b32_e32 v2, 0
	s_and_saveexec_b64 s[40:41], s[42:43]
	s_cbranch_execz .LBB70_853
.LBB70_852:
	v_lshlrev_b32_e32 v2, 24, v3
	v_and_b32_e32 v3, 0xffff, v3
	v_and_b32_e32 v5, 7, v3
	v_ffbh_u32_e32 v7, v5
	v_min_u32_e32 v7, 32, v7
	v_subrev_u32_e32 v8, 28, v7
	v_bfe_u32 v6, v3, 3, 4
	v_lshlrev_b32_e32 v3, v8, v3
	v_sub_u32_e32 v7, 29, v7
	v_and_b32_e32 v3, 7, v3
	v_cmp_eq_u32_e32 vcc, 0, v6
	v_cndmask_b32_e32 v6, v6, v7, vcc
	v_cndmask_b32_e32 v3, v5, v3, vcc
	v_mov_b32_e32 v5, 0x3b800000
	v_lshlrev_b32_e32 v3, 20, v3
	v_and_b32_e32 v2, 0x80000000, v2
	v_lshl_add_u32 v5, v6, 23, v5
	v_or3_b32 v2, v2, v5, v3
	v_cvt_i32_f32_e32 v2, v2
.LBB70_853:
	s_or_b64 exec, exec, s[40:41]
.LBB70_854:
	s_mov_b64 s[40:41], -1
.LBB70_855:
	s_mov_b64 s[42:43], 0
.LBB70_856:
	s_and_b64 vcc, exec, s[42:43]
	s_cbranch_vccz .LBB70_887
; %bb.857:
	s_cmp_gt_i32 s33, 22
	s_cbranch_scc0 .LBB70_865
; %bb.858:
	s_cmp_lt_i32 s33, 24
	s_cbranch_scc1 .LBB70_868
; %bb.859:
	s_cmp_gt_i32 s33, 24
	s_cbranch_scc0 .LBB70_869
; %bb.860:
	global_load_ubyte v3, v[0:1], off
	s_movk_i32 s38, 0x7f
	s_mov_b64 s[40:41], 0
	s_waitcnt vmcnt(0)
	v_cmp_lt_i16_e32 vcc, s38, v3
	s_and_saveexec_b64 s[38:39], vcc
	s_xor_b64 s[38:39], exec, s[38:39]
	s_cbranch_execz .LBB70_881
; %bb.861:
	s_movk_i32 s40, 0x80
	v_cmp_ne_u16_e32 vcc, s40, v3
	s_and_b64 s[40:41], vcc, exec
	s_andn2_saveexec_b64 s[38:39], s[38:39]
	s_cbranch_execnz .LBB70_882
.LBB70_862:
	s_or_b64 exec, exec, s[38:39]
	v_mov_b32_e32 v2, 0
	s_and_saveexec_b64 s[38:39], s[40:41]
	s_cbranch_execz .LBB70_864
.LBB70_863:
	v_lshlrev_b32_e32 v2, 24, v3
	v_and_b32_e32 v3, 0xffff, v3
	v_and_b32_e32 v5, 3, v3
	v_ffbh_u32_e32 v7, v5
	v_min_u32_e32 v7, 32, v7
	v_subrev_u32_e32 v8, 29, v7
	v_bfe_u32 v6, v3, 2, 5
	v_lshlrev_b32_e32 v3, v8, v3
	v_sub_u32_e32 v7, 30, v7
	v_and_b32_e32 v3, 3, v3
	v_cmp_eq_u32_e32 vcc, 0, v6
	v_cndmask_b32_e32 v6, v6, v7, vcc
	v_cndmask_b32_e32 v3, v5, v3, vcc
	v_mov_b32_e32 v5, 0x37800000
	v_lshlrev_b32_e32 v3, 21, v3
	v_and_b32_e32 v2, 0x80000000, v2
	v_lshl_add_u32 v5, v6, 23, v5
	v_or3_b32 v2, v2, v5, v3
	v_cvt_i32_f32_e32 v2, v2
.LBB70_864:
	s_or_b64 exec, exec, s[38:39]
	s_mov_b64 s[38:39], 0
	s_branch .LBB70_870
.LBB70_865:
	s_mov_b64 s[38:39], -1
                                        ; implicit-def: $vgpr2
	s_branch .LBB70_876
.LBB70_866:
	s_andn2_saveexec_b64 s[40:41], s[40:41]
	s_cbranch_execz .LBB70_851
.LBB70_867:
	v_cmp_ne_u16_e32 vcc, 0, v3
	s_andn2_b64 s[42:43], s[42:43], exec
	s_and_b64 s[44:45], vcc, exec
	s_or_b64 s[42:43], s[42:43], s[44:45]
	s_or_b64 exec, exec, s[40:41]
	v_mov_b32_e32 v2, 0
	s_and_saveexec_b64 s[40:41], s[42:43]
	s_cbranch_execnz .LBB70_852
	s_branch .LBB70_853
.LBB70_868:
	s_mov_b64 s[38:39], -1
                                        ; implicit-def: $vgpr2
	s_branch .LBB70_873
.LBB70_869:
	s_mov_b64 s[38:39], -1
                                        ; implicit-def: $vgpr2
.LBB70_870:
	s_and_b64 vcc, exec, s[38:39]
	s_cbranch_vccz .LBB70_872
; %bb.871:
	global_load_ubyte v2, v[0:1], off
	s_mov_b32 s38, 0x7f800000
	s_waitcnt vmcnt(0)
	v_lshlrev_b32_e32 v2, 24, v2
	v_and_b32_e32 v3, 0x7f000000, v2
	v_ffbh_u32_e32 v5, v3
	v_min_u32_e32 v5, 32, v5
	v_sub_u32_e64 v5, v5, 4 clamp
	v_lshlrev_b32_e32 v7, v5, v3
	v_lshlrev_b32_e32 v5, 23, v5
	v_lshrrev_b32_e32 v7, 4, v7
	v_add_u32_e32 v6, 0x1000000, v3
	v_sub_u32_e32 v5, v7, v5
	v_ashrrev_i32_e32 v6, 8, v6
	v_add_u32_e32 v5, 0x3c000000, v5
	v_and_or_b32 v5, v6, s38, v5
	v_cmp_ne_u32_e32 vcc, 0, v3
	v_cndmask_b32_e32 v3, 0, v5, vcc
	s_brev_b32 s38, 1
	v_and_or_b32 v2, v2, s38, v3
	v_cvt_i32_f32_e32 v2, v2
.LBB70_872:
	s_mov_b64 s[38:39], 0
.LBB70_873:
	s_andn2_b64 vcc, exec, s[38:39]
	s_cbranch_vccnz .LBB70_875
; %bb.874:
	global_load_ubyte v2, v[0:1], off
	s_movk_i32 s38, 0x7f00
	s_brev_b32 s39, 16
	s_waitcnt vmcnt(0)
	v_lshlrev_b16_e32 v3, 8, v2
	v_lshlrev_b32_e32 v2, 25, v2
	v_lshrrev_b32_e32 v5, 4, v2
	v_and_or_b32 v6, v3, s38, 0.5
	v_or_b32_e32 v5, 0x70000000, v5
	v_add_f32_e32 v6, -0.5, v6
	v_mul_f32_e32 v5, 0x7800000, v5
	v_cmp_gt_u32_e32 vcc, s39, v2
	v_bfe_i32 v3, v3, 0, 16
	v_cndmask_b32_e32 v2, v5, v6, vcc
	s_brev_b32 s38, 1
	v_and_or_b32 v2, v3, s38, v2
	v_cvt_i32_f32_e32 v2, v2
.LBB70_875:
	s_mov_b64 s[38:39], 0
	s_mov_b64 s[40:41], -1
.LBB70_876:
	s_andn2_b64 vcc, exec, s[38:39]
	s_mov_b64 s[38:39], 0
	s_cbranch_vccnz .LBB70_887
; %bb.877:
	s_cmp_gt_i32 s33, 14
	s_cbranch_scc0 .LBB70_880
; %bb.878:
	s_cmp_eq_u32 s33, 15
	s_cbranch_scc0 .LBB70_883
; %bb.879:
	global_load_ushort v2, v[0:1], off
	s_mov_b64 s[36:37], 0
	s_mov_b64 s[40:41], -1
	s_waitcnt vmcnt(0)
	v_lshlrev_b32_e32 v2, 16, v2
	v_cvt_i32_f32_e32 v2, v2
	s_branch .LBB70_884
.LBB70_880:
	s_mov_b64 s[42:43], -1
                                        ; implicit-def: $vgpr2
	s_branch .LBB70_885
.LBB70_881:
	s_andn2_saveexec_b64 s[38:39], s[38:39]
	s_cbranch_execz .LBB70_862
.LBB70_882:
	v_cmp_ne_u16_e32 vcc, 0, v3
	s_andn2_b64 s[40:41], s[40:41], exec
	s_and_b64 s[42:43], vcc, exec
	s_or_b64 s[40:41], s[40:41], s[42:43]
	s_or_b64 exec, exec, s[38:39]
	v_mov_b32_e32 v2, 0
	s_and_saveexec_b64 s[38:39], s[40:41]
	s_cbranch_execnz .LBB70_863
	s_branch .LBB70_864
.LBB70_883:
	s_mov_b64 s[36:37], -1
                                        ; implicit-def: $vgpr2
.LBB70_884:
	s_mov_b64 s[42:43], 0
.LBB70_885:
	s_and_b64 vcc, exec, s[42:43]
	s_cbranch_vccz .LBB70_887
; %bb.886:
	s_cmp_lg_u32 s33, 11
	s_cselect_b64 s[42:43], -1, 0
	s_andn2_b64 s[36:37], s[36:37], exec
	s_and_b64 s[42:43], s[42:43], exec
	s_mov_b64 s[38:39], -1
	s_or_b64 s[36:37], s[36:37], s[42:43]
.LBB70_887:
	s_mov_b64 s[42:43], 0
.LBB70_888:
	s_and_b64 s[44:45], s[42:43], exec
	s_andn2_b64 s[42:43], s[0:1], exec
	s_and_b64 s[36:37], s[36:37], exec
	s_and_b64 s[40:41], s[40:41], exec
	;; [unrolled: 1-line block ×3, first 2 shown]
	s_or_b64 s[42:43], s[42:43], s[36:37]
.LBB70_889:
	s_or_b64 exec, exec, s[30:31]
	s_and_b64 s[36:37], s[38:39], exec
	s_andn2_b64 s[0:1], s[0:1], exec
	s_and_b64 s[38:39], s[42:43], exec
	s_and_b64 s[40:41], s[40:41], exec
	;; [unrolled: 1-line block ×3, first 2 shown]
	s_or_b64 s[0:1], s[0:1], s[38:39]
.LBB70_890:
	s_or_b64 exec, exec, s[28:29]
	s_andn2_b64 s[24:25], s[24:25], exec
	s_and_b64 s[28:29], s[34:35], exec
	s_andn2_b64 s[22:23], s[22:23], exec
	s_and_b64 s[0:1], s[0:1], exec
	s_or_b64 s[24:25], s[24:25], s[28:29]
	s_and_b64 s[34:35], s[40:41], exec
	s_and_b64 s[30:31], s[30:31], exec
	;; [unrolled: 1-line block ×3, first 2 shown]
	s_or_b64 s[22:23], s[22:23], s[0:1]
.LBB70_891:
	s_or_b64 exec, exec, s[26:27]
	s_andn2_b64 s[0:1], s[16:17], exec
	s_and_b64 s[16:17], s[24:25], exec
	s_andn2_b64 s[18:19], s[18:19], exec
	s_and_b64 s[22:23], s[22:23], exec
	s_or_b64 s[16:17], s[0:1], s[16:17]
	s_and_b64 s[0:1], s[34:35], exec
	s_and_b64 s[26:27], s[30:31], exec
	;; [unrolled: 1-line block ×3, first 2 shown]
	s_or_b64 s[18:19], s[18:19], s[22:23]
	s_or_b64 exec, exec, s[20:21]
	s_mov_b64 s[20:21], 0
	s_and_saveexec_b64 s[22:23], s[18:19]
	s_cbranch_execz .LBB70_274
.LBB70_892:
	s_mov_b64 s[20:21], exec
	s_andn2_b64 s[24:25], s[24:25], exec
	s_trap 2
	s_or_b64 exec, exec, s[22:23]
	s_and_saveexec_b64 s[18:19], s[24:25]
	s_xor_b64 s[18:19], exec, s[18:19]
	s_cbranch_execnz .LBB70_275
.LBB70_893:
	s_or_b64 exec, exec, s[18:19]
	s_and_saveexec_b64 s[18:19], s[26:27]
	s_cbranch_execz .LBB70_939
.LBB70_894:
	s_sext_i32_i16 s22, s15
	s_cmp_lt_i32 s22, 5
	s_cbranch_scc1 .LBB70_899
; %bb.895:
	s_cmp_lt_i32 s22, 8
	s_cbranch_scc1 .LBB70_900
; %bb.896:
	s_cmp_lt_i32 s22, 9
	s_cbranch_scc1 .LBB70_901
; %bb.897:
	s_cmp_gt_i32 s22, 9
	s_cbranch_scc0 .LBB70_902
; %bb.898:
	global_load_dwordx2 v[2:3], v[0:1], off
	s_mov_b64 s[22:23], 0
	s_waitcnt vmcnt(0)
	v_cvt_i32_f64_e32 v2, v[2:3]
	s_branch .LBB70_903
.LBB70_899:
                                        ; implicit-def: $vgpr2
	s_branch .LBB70_920
.LBB70_900:
                                        ; implicit-def: $vgpr2
	s_branch .LBB70_909
.LBB70_901:
	s_mov_b64 s[22:23], -1
                                        ; implicit-def: $vgpr2
	s_branch .LBB70_906
.LBB70_902:
	s_mov_b64 s[22:23], -1
                                        ; implicit-def: $vgpr2
.LBB70_903:
	s_andn2_b64 vcc, exec, s[22:23]
	s_cbranch_vccnz .LBB70_905
; %bb.904:
	global_load_dword v2, v[0:1], off
	s_waitcnt vmcnt(0)
	v_cvt_i32_f32_e32 v2, v2
.LBB70_905:
	s_mov_b64 s[22:23], 0
.LBB70_906:
	s_andn2_b64 vcc, exec, s[22:23]
	s_cbranch_vccnz .LBB70_908
; %bb.907:
	global_load_dword v2, v[0:1], off
	s_waitcnt vmcnt(0)
	v_cvt_i16_f16_e32 v2, v2
.LBB70_908:
	s_cbranch_execnz .LBB70_919
.LBB70_909:
	s_sext_i32_i16 s22, s15
	s_cmp_lt_i32 s22, 6
	s_cbranch_scc1 .LBB70_912
; %bb.910:
	s_cmp_gt_i32 s22, 6
	s_cbranch_scc0 .LBB70_913
; %bb.911:
	global_load_dwordx2 v[2:3], v[0:1], off
	s_mov_b64 s[22:23], 0
	s_waitcnt vmcnt(0)
	v_cvt_i32_f64_e32 v2, v[2:3]
	s_branch .LBB70_914
.LBB70_912:
	s_mov_b64 s[22:23], -1
                                        ; implicit-def: $vgpr2
	s_branch .LBB70_917
.LBB70_913:
	s_mov_b64 s[22:23], -1
                                        ; implicit-def: $vgpr2
.LBB70_914:
	s_andn2_b64 vcc, exec, s[22:23]
	s_cbranch_vccnz .LBB70_916
; %bb.915:
	global_load_dword v2, v[0:1], off
	s_waitcnt vmcnt(0)
	v_cvt_i32_f32_e32 v2, v2
.LBB70_916:
	s_mov_b64 s[22:23], 0
.LBB70_917:
	s_andn2_b64 vcc, exec, s[22:23]
	s_cbranch_vccnz .LBB70_919
; %bb.918:
	global_load_ushort v2, v[0:1], off
	s_waitcnt vmcnt(0)
	v_cvt_i16_f16_e32 v2, v2
.LBB70_919:
	s_cbranch_execnz .LBB70_938
.LBB70_920:
	s_sext_i32_i16 s22, s15
	s_cmp_lt_i32 s22, 2
	s_cbranch_scc1 .LBB70_924
; %bb.921:
	s_cmp_lt_i32 s22, 3
	s_cbranch_scc1 .LBB70_925
; %bb.922:
	s_cmp_gt_i32 s22, 3
	s_cbranch_scc0 .LBB70_926
; %bb.923:
	global_load_dwordx2 v[2:3], v[0:1], off
	s_mov_b64 s[22:23], 0
	s_branch .LBB70_927
.LBB70_924:
                                        ; implicit-def: $vgpr2
	s_branch .LBB70_933
.LBB70_925:
	s_mov_b64 s[22:23], -1
                                        ; implicit-def: $vgpr2
	s_branch .LBB70_930
.LBB70_926:
	s_mov_b64 s[22:23], -1
                                        ; implicit-def: $vgpr2
.LBB70_927:
	s_andn2_b64 vcc, exec, s[22:23]
	s_cbranch_vccnz .LBB70_929
; %bb.928:
	global_load_dword v2, v[0:1], off
.LBB70_929:
	s_mov_b64 s[22:23], 0
.LBB70_930:
	s_andn2_b64 vcc, exec, s[22:23]
	s_cbranch_vccnz .LBB70_932
; %bb.931:
	global_load_ushort v2, v[0:1], off
.LBB70_932:
	s_cbranch_execnz .LBB70_938
.LBB70_933:
	s_sext_i32_i16 s22, s15
	s_cmp_gt_i32 s22, 0
	s_cbranch_scc0 .LBB70_935
; %bb.934:
	global_load_sbyte v2, v[0:1], off
	s_mov_b64 s[22:23], 0
	s_branch .LBB70_936
.LBB70_935:
	s_mov_b64 s[22:23], -1
                                        ; implicit-def: $vgpr2
.LBB70_936:
	s_andn2_b64 vcc, exec, s[22:23]
	s_cbranch_vccnz .LBB70_938
; %bb.937:
	global_load_ubyte v2, v[0:1], off
.LBB70_938:
	s_or_b64 s[0:1], s[0:1], exec
.LBB70_939:
	s_or_b64 exec, exec, s[18:19]
	s_mov_b64 s[26:27], 0
	s_mov_b64 s[24:25], 0
                                        ; implicit-def: $sgpr18_sgpr19
                                        ; implicit-def: $sgpr33
                                        ; implicit-def: $vgpr0_vgpr1
	s_and_saveexec_b64 s[22:23], s[0:1]
	s_cbranch_execz .LBB70_944
; %bb.940:
	s_cmp_lt_i32 s14, 1
	s_mov_b64 s[0:1], 0
	s_cbranch_scc1 .LBB70_947
; %bb.941:
	s_cmp_gt_i32 s14, 1
	s_cbranch_scc0 .LBB70_948
; %bb.942:
	s_cmp_eq_u32 s14, 2
	s_cbranch_scc0 .LBB70_949
; %bb.943:
	s_waitcnt vmcnt(0)
	v_cmp_ge_i16_e64 s[18:19], s2, v2
	s_branch .LBB70_951
.LBB70_944:
	s_or_b64 exec, exec, s[22:23]
	s_and_saveexec_b64 s[0:1], s[16:17]
	s_cbranch_execnz .LBB70_1036
.LBB70_945:
	s_or_b64 exec, exec, s[0:1]
	s_and_saveexec_b64 s[0:1], s[26:27]
	s_xor_b64 s[0:1], exec, s[0:1]
	s_cbranch_execz .LBB70_1037
.LBB70_946:
	s_waitcnt vmcnt(0)
	v_cndmask_b32_e64 v2, 0, 1, s[18:19]
	global_store_byte v[0:1], v2, off
	s_or_b64 exec, exec, s[0:1]
	s_and_saveexec_b64 s[0:1], s[24:25]
	s_xor_b64 s[0:1], exec, s[0:1]
	s_cbranch_execz .LBB70_1075
	s_branch .LBB70_1038
.LBB70_947:
                                        ; implicit-def: $sgpr18_sgpr19
	s_cbranch_execnz .LBB70_954
	s_branch .LBB70_955
.LBB70_948:
	s_mov_b64 s[26:27], -1
	s_branch .LBB70_950
.LBB70_949:
	s_mov_b64 s[24:25], -1
.LBB70_950:
                                        ; implicit-def: $sgpr18_sgpr19
.LBB70_951:
	s_and_b64 vcc, exec, s[26:27]
	s_cbranch_vccz .LBB70_953
; %bb.952:
	s_waitcnt vmcnt(0)
	v_cmp_lt_i16_e32 vcc, s2, v2
	s_andn2_b64 s[18:19], s[18:19], exec
	s_and_b64 s[26:27], vcc, exec
	s_or_b64 s[18:19], s[18:19], s[26:27]
.LBB70_953:
	s_branch .LBB70_955
.LBB70_954:
	s_cmp_lg_u32 s14, 0
	s_mov_b64 s[0:1], -1
	s_cselect_b64 s[24:25], -1, 0
.LBB70_955:
	s_andn2_b64 vcc, exec, s[24:25]
	s_cbranch_vccnz .LBB70_957
; %bb.956:
	s_waitcnt vmcnt(0)
	v_cmp_gt_i16_e32 vcc, s2, v2
	s_andn2_b64 s[18:19], s[18:19], exec
	s_and_b64 s[24:25], vcc, exec
	s_or_b64 s[18:19], s[18:19], s[24:25]
	s_cbranch_execz .LBB70_958
	s_branch .LBB70_959
.LBB70_957:
	s_andn2_b64 vcc, exec, s[0:1]
	s_cbranch_vccnz .LBB70_959
.LBB70_958:
	s_waitcnt vmcnt(0)
	v_cmp_le_i16_e32 vcc, s2, v2
	s_andn2_b64 s[0:1], s[18:19], exec
	s_and_b64 s[18:19], vcc, exec
	s_or_b64 s[18:19], s[0:1], s[18:19]
.LBB70_959:
	v_mul_lo_u32 v0, v4, s12
	v_mov_b32_e32 v1, s9
	s_and_b32 s33, s3, 0xff
	s_cmp_lt_i32 s33, 11
	s_waitcnt vmcnt(0)
	v_ashrrev_i32_e32 v2, 31, v0
	v_add_co_u32_e32 v0, vcc, s8, v0
	v_addc_co_u32_e32 v1, vcc, v1, v2, vcc
	s_cbranch_scc1 .LBB70_1033
; %bb.960:
	s_and_b32 s34, 0xffff, s33
	s_mov_b64 s[26:27], -1
	s_cmp_gt_i32 s34, 25
	s_mov_b64 s[0:1], s[16:17]
	s_cbranch_scc0 .LBB70_993
; %bb.961:
	s_mov_b64 s[24:25], -1
	s_cmp_gt_i32 s34, 28
	s_mov_b64 s[0:1], s[16:17]
	s_cbranch_scc0 .LBB70_977
; %bb.962:
	s_cmp_gt_i32 s34, 43
	s_mov_b64 s[0:1], s[16:17]
	s_cbranch_scc0 .LBB70_973
; %bb.963:
	;; [unrolled: 4-line block ×3, first 2 shown]
	s_cmp_eq_u32 s34, 46
	s_mov_b64 s[0:1], -1
	s_cbranch_scc0 .LBB70_966
; %bb.965:
	v_cndmask_b32_e64 v2, 0, 1.0, s[18:19]
	v_bfe_u32 v3, v2, 16, 1
	s_movk_i32 s0, 0x7fff
	v_add3_u32 v2, v2, v3, s0
	v_lshrrev_b32_e32 v2, 16, v2
	global_store_dword v[0:1], v2, off
	s_mov_b64 s[0:1], 0
.LBB70_966:
	s_mov_b64 s[24:25], 0
.LBB70_967:
	s_and_b64 vcc, exec, s[24:25]
	s_cbranch_vccz .LBB70_972
; %bb.968:
	s_cmp_eq_u32 s34, 44
	s_mov_b64 s[0:1], -1
	s_cbranch_scc0 .LBB70_972
; %bb.969:
	v_cndmask_b32_e64 v3, 0, 1.0, s[18:19]
	v_lshrrev_b32_e32 v2, 23, v3
	s_movk_i32 s0, 0xff
	v_cmp_ne_u32_e32 vcc, s0, v2
	v_mov_b32_e32 v4, 0xff
	s_and_saveexec_b64 s[24:25], vcc
; %bb.970:
	s_mov_b32 s0, 0x3fffff
	v_and_b32_e32 v4, 0x400000, v3
	v_and_or_b32 v3, v3, s0, v2
	v_cmp_ne_u32_e32 vcc, 0, v4
	v_cmp_ne_u32_e64 s[0:1], 0, v3
	s_and_b64 s[0:1], vcc, s[0:1]
	v_cndmask_b32_e64 v3, 0, 1, s[0:1]
	v_add_u32_e32 v4, v2, v3
; %bb.971:
	s_or_b64 exec, exec, s[24:25]
	s_mov_b64 s[0:1], 0
	global_store_byte v[0:1], v4, off
.LBB70_972:
	s_mov_b64 s[24:25], 0
.LBB70_973:
	s_and_b64 vcc, exec, s[24:25]
	s_cbranch_vccz .LBB70_976
; %bb.974:
	s_cmp_eq_u32 s34, 29
	s_mov_b64 s[0:1], -1
	s_cbranch_scc0 .LBB70_976
; %bb.975:
	s_mov_b32 s0, 0
	v_cndmask_b32_e64 v2, 0, 1, s[18:19]
	v_mov_b32_e32 v3, s0
	global_store_dwordx2 v[0:1], v[2:3], off
	s_mov_b64 s[0:1], 0
.LBB70_976:
	s_mov_b64 s[24:25], 0
.LBB70_977:
	s_and_b64 vcc, exec, s[24:25]
	s_cbranch_vccz .LBB70_992
; %bb.978:
	s_cmp_lt_i32 s34, 27
	s_mov_b64 s[24:25], -1
	s_cbranch_scc1 .LBB70_984
; %bb.979:
	s_cmp_gt_i32 s34, 27
	v_cndmask_b32_e64 v2, 0, 1, s[18:19]
	s_cbranch_scc0 .LBB70_981
; %bb.980:
	s_mov_b64 s[24:25], 0
	global_store_dword v[0:1], v2, off
.LBB70_981:
	s_andn2_b64 vcc, exec, s[24:25]
	s_cbranch_vccnz .LBB70_983
; %bb.982:
	global_store_short v[0:1], v2, off
.LBB70_983:
	s_mov_b64 s[24:25], 0
.LBB70_984:
	s_andn2_b64 vcc, exec, s[24:25]
	s_cbranch_vccnz .LBB70_992
; %bb.985:
	v_cndmask_b32_e64 v3, 0, 1.0, s[18:19]
	s_mov_b32 s24, 0x43800000
	v_cmp_gt_u32_e32 vcc, s24, v3
	v_mov_b32_e32 v4, 0x80
	s_and_saveexec_b64 s[24:25], vcc
	s_cbranch_execz .LBB70_991
; %bb.986:
	s_mov_b32 s26, 0x3bffffff
	v_cmp_lt_u32_e32 vcc, s26, v3
	s_mov_b64 s[26:27], 0
                                        ; implicit-def: $vgpr2
	s_and_saveexec_b64 s[28:29], vcc
	s_xor_b64 s[28:29], exec, s[28:29]
	s_cbranch_execz .LBB70_1090
; %bb.987:
	v_bfe_u32 v2, v3, 20, 1
	s_mov_b32 s30, 0x487ffff
	v_add3_u32 v2, v3, v2, s30
	s_mov_b64 s[26:27], exec
	v_lshrrev_b32_e32 v2, 20, v2
                                        ; implicit-def: $vgpr3
	s_andn2_saveexec_b64 s[28:29], s[28:29]
	s_cbranch_execnz .LBB70_1091
.LBB70_988:
	s_or_b64 exec, exec, s[28:29]
	v_mov_b32_e32 v4, 0
	s_and_saveexec_b64 s[28:29], s[26:27]
.LBB70_989:
	v_mov_b32_e32 v4, v2
.LBB70_990:
	s_or_b64 exec, exec, s[28:29]
.LBB70_991:
	s_or_b64 exec, exec, s[24:25]
	global_store_byte v[0:1], v4, off
.LBB70_992:
	s_mov_b64 s[26:27], 0
.LBB70_993:
	s_mov_b64 s[24:25], 0
	s_and_b64 vcc, exec, s[26:27]
	s_cbranch_vccz .LBB70_1034
; %bb.994:
	s_cmp_gt_i32 s34, 22
	s_mov_b64 s[26:27], -1
	s_cbranch_scc0 .LBB70_1026
; %bb.995:
	s_cmp_lt_i32 s34, 24
	s_cbranch_scc1 .LBB70_1015
; %bb.996:
	s_cmp_gt_i32 s34, 24
	s_cbranch_scc0 .LBB70_1004
; %bb.997:
	v_cndmask_b32_e64 v3, 0, 1.0, s[18:19]
	s_mov_b32 s26, 0x47800000
	v_cmp_gt_u32_e32 vcc, s26, v3
	v_mov_b32_e32 v4, 0x80
	s_and_saveexec_b64 s[26:27], vcc
	s_cbranch_execz .LBB70_1003
; %bb.998:
	s_mov_b32 s28, 0x37ffffff
	v_cmp_lt_u32_e32 vcc, s28, v3
	s_mov_b64 s[28:29], 0
                                        ; implicit-def: $vgpr2
	s_and_saveexec_b64 s[30:31], vcc
	s_xor_b64 s[30:31], exec, s[30:31]
	s_cbranch_execz .LBB70_1225
; %bb.999:
	v_bfe_u32 v2, v3, 21, 1
	s_mov_b32 s35, 0x88fffff
	v_add3_u32 v2, v3, v2, s35
	s_mov_b64 s[28:29], exec
	v_lshrrev_b32_e32 v2, 21, v2
                                        ; implicit-def: $vgpr3
	s_andn2_saveexec_b64 s[30:31], s[30:31]
	s_cbranch_execnz .LBB70_1226
.LBB70_1000:
	s_or_b64 exec, exec, s[30:31]
	v_mov_b32_e32 v4, 0
	s_and_saveexec_b64 s[30:31], s[28:29]
.LBB70_1001:
	v_mov_b32_e32 v4, v2
.LBB70_1002:
	s_or_b64 exec, exec, s[30:31]
.LBB70_1003:
	s_or_b64 exec, exec, s[26:27]
	s_mov_b64 s[26:27], 0
	global_store_byte v[0:1], v4, off
.LBB70_1004:
	s_and_b64 vcc, exec, s[26:27]
	s_cbranch_vccz .LBB70_1014
; %bb.1005:
	v_cndmask_b32_e64 v2, 0, 1.0, s[18:19]
	s_mov_b32 s26, 0x43f00000
	v_cmp_gt_u32_e32 vcc, s26, v2
                                        ; implicit-def: $vgpr3
	s_and_saveexec_b64 s[26:27], vcc
	s_xor_b64 s[26:27], exec, s[26:27]
	s_cbranch_execz .LBB70_1011
; %bb.1006:
	s_mov_b32 s28, 0x3c7fffff
	v_cmp_lt_u32_e32 vcc, s28, v2
                                        ; implicit-def: $vgpr3
	s_and_saveexec_b64 s[28:29], vcc
	s_xor_b64 s[28:29], exec, s[28:29]
; %bb.1007:
	v_bfe_u32 v3, v2, 20, 1
	s_mov_b32 s30, 0x407ffff
	v_add3_u32 v2, v2, v3, s30
	v_lshrrev_b32_e32 v3, 20, v2
	v_and_b32_e32 v2, 0xff00000, v2
	s_mov_b32 s30, 0x7f00000
	v_mov_b32_e32 v4, 0x7e
	v_cmp_ne_u32_e32 vcc, s30, v2
	v_cndmask_b32_e32 v3, v4, v3, vcc
                                        ; implicit-def: $vgpr2
; %bb.1008:
	s_andn2_saveexec_b64 s[28:29], s[28:29]
; %bb.1009:
	v_add_f32_e32 v3, 0x46800000, v2
; %bb.1010:
	s_or_b64 exec, exec, s[28:29]
                                        ; implicit-def: $vgpr2
.LBB70_1011:
	s_andn2_saveexec_b64 s[26:27], s[26:27]
; %bb.1012:
	s_mov_b32 s28, 0x7f800000
	v_mov_b32_e32 v3, 0x7e
	v_mov_b32_e32 v4, 0x7f
	v_cmp_lt_u32_e32 vcc, s28, v2
	v_cndmask_b32_e32 v3, v3, v4, vcc
; %bb.1013:
	s_or_b64 exec, exec, s[26:27]
	global_store_byte v[0:1], v3, off
.LBB70_1014:
	s_mov_b64 s[26:27], 0
.LBB70_1015:
	s_andn2_b64 vcc, exec, s[26:27]
	s_cbranch_vccnz .LBB70_1025
; %bb.1016:
	v_cndmask_b32_e64 v2, 0, 1.0, s[18:19]
	s_mov_b32 s26, 0x47800000
	v_cmp_gt_u32_e32 vcc, s26, v2
                                        ; implicit-def: $vgpr3
	s_and_saveexec_b64 s[26:27], vcc
	s_xor_b64 s[26:27], exec, s[26:27]
	s_cbranch_execz .LBB70_1022
; %bb.1017:
	s_mov_b32 s28, 0x387fffff
	v_cmp_lt_u32_e32 vcc, s28, v2
                                        ; implicit-def: $vgpr3
	s_and_saveexec_b64 s[28:29], vcc
	s_xor_b64 s[28:29], exec, s[28:29]
; %bb.1018:
	v_bfe_u32 v3, v2, 21, 1
	s_mov_b32 s30, 0x80fffff
	v_add3_u32 v2, v2, v3, s30
	v_lshrrev_b32_e32 v3, 21, v2
                                        ; implicit-def: $vgpr2
; %bb.1019:
	s_andn2_saveexec_b64 s[28:29], s[28:29]
; %bb.1020:
	v_add_f32_e32 v3, 0x43000000, v2
; %bb.1021:
	s_or_b64 exec, exec, s[28:29]
                                        ; implicit-def: $vgpr2
.LBB70_1022:
	s_andn2_saveexec_b64 s[26:27], s[26:27]
; %bb.1023:
	s_mov_b32 s28, 0x7f800000
	v_mov_b32_e32 v3, 0x7c
	v_mov_b32_e32 v4, 0x7f
	v_cmp_lt_u32_e32 vcc, s28, v2
	v_cndmask_b32_e32 v3, v3, v4, vcc
; %bb.1024:
	s_or_b64 exec, exec, s[26:27]
	global_store_byte v[0:1], v3, off
.LBB70_1025:
	s_mov_b64 s[26:27], 0
.LBB70_1026:
	s_andn2_b64 vcc, exec, s[26:27]
	s_mov_b64 s[26:27], 0
	s_cbranch_vccnz .LBB70_1035
; %bb.1027:
	s_cmp_gt_i32 s34, 14
	s_mov_b64 s[28:29], -1
	s_cbranch_scc0 .LBB70_1031
; %bb.1028:
	s_cmp_eq_u32 s34, 15
	s_mov_b64 s[0:1], -1
	s_cbranch_scc0 .LBB70_1030
; %bb.1029:
	v_cndmask_b32_e64 v2, 0, 1.0, s[18:19]
	v_bfe_u32 v3, v2, 16, 1
	s_movk_i32 s0, 0x7fff
	v_add3_u32 v2, v2, v3, s0
	global_store_short_d16_hi v[0:1], v2, off
	s_mov_b64 s[0:1], 0
.LBB70_1030:
	s_mov_b64 s[28:29], 0
.LBB70_1031:
	s_and_b64 vcc, exec, s[28:29]
	s_cbranch_vccz .LBB70_1035
; %bb.1032:
	s_cmp_lg_u32 s34, 11
	s_cselect_b64 s[28:29], -1, 0
	s_andn2_b64 s[0:1], s[0:1], exec
	s_and_b64 s[28:29], s[28:29], exec
	s_mov_b64 s[26:27], -1
	s_or_b64 s[0:1], s[0:1], s[28:29]
	s_branch .LBB70_1035
.LBB70_1033:
	s_mov_b64 s[26:27], 0
	s_mov_b64 s[24:25], -1
	s_mov_b64 s[0:1], s[16:17]
	s_branch .LBB70_1035
.LBB70_1034:
	s_mov_b64 s[26:27], 0
.LBB70_1035:
	s_andn2_b64 s[16:17], s[16:17], exec
	s_and_b64 s[0:1], s[0:1], exec
	s_and_b64 s[24:25], s[24:25], exec
	;; [unrolled: 1-line block ×3, first 2 shown]
	s_or_b64 s[16:17], s[16:17], s[0:1]
	s_or_b64 exec, exec, s[22:23]
	s_and_saveexec_b64 s[0:1], s[16:17]
	s_cbranch_execz .LBB70_945
.LBB70_1036:
	s_or_b64 s[20:21], s[20:21], exec
	s_andn2_b64 s[26:27], s[26:27], exec
	s_trap 2
	s_or_b64 exec, exec, s[0:1]
	s_and_saveexec_b64 s[0:1], s[26:27]
	s_xor_b64 s[0:1], exec, s[0:1]
	s_cbranch_execnz .LBB70_946
.LBB70_1037:
	s_or_b64 exec, exec, s[0:1]
	s_and_saveexec_b64 s[0:1], s[24:25]
	s_xor_b64 s[0:1], exec, s[0:1]
	s_cbranch_execz .LBB70_1075
.LBB70_1038:
	s_sext_i32_i16 s22, s33
	s_cmp_lt_i32 s22, 5
	s_mov_b64 s[16:17], -1
	s_cbranch_scc1 .LBB70_1059
; %bb.1039:
	s_cmp_lt_i32 s22, 8
	s_cbranch_scc1 .LBB70_1049
; %bb.1040:
	s_cmp_lt_i32 s22, 9
	s_cbranch_scc1 .LBB70_1046
; %bb.1041:
	s_cmp_gt_i32 s22, 9
	s_cbranch_scc0 .LBB70_1043
; %bb.1042:
	s_waitcnt vmcnt(0)
	v_cndmask_b32_e64 v2, 0, 1, s[18:19]
	v_cvt_f64_u32_e32 v[2:3], v2
	v_mov_b32_e32 v4, 0
	v_mov_b32_e32 v5, v4
	s_mov_b64 s[16:17], 0
	global_store_dwordx4 v[0:1], v[2:5], off
.LBB70_1043:
	s_andn2_b64 vcc, exec, s[16:17]
	s_cbranch_vccnz .LBB70_1045
; %bb.1044:
	s_waitcnt vmcnt(0)
	v_cndmask_b32_e64 v2, 0, 1.0, s[18:19]
	v_mov_b32_e32 v3, 0
	global_store_dwordx2 v[0:1], v[2:3], off
.LBB70_1045:
	s_mov_b64 s[16:17], 0
.LBB70_1046:
	s_andn2_b64 vcc, exec, s[16:17]
	s_cbranch_vccnz .LBB70_1048
; %bb.1047:
	s_waitcnt vmcnt(0)
	v_cndmask_b32_e64 v2, 0, 1.0, s[18:19]
	v_cvt_f16_f32_e32 v2, v2
	global_store_dword v[0:1], v2, off
.LBB70_1048:
	s_mov_b64 s[16:17], 0
.LBB70_1049:
	s_andn2_b64 vcc, exec, s[16:17]
	s_cbranch_vccnz .LBB70_1058
; %bb.1050:
	s_sext_i32_i16 s22, s33
	s_cmp_lt_i32 s22, 6
	s_mov_b64 s[16:17], -1
	s_cbranch_scc1 .LBB70_1056
; %bb.1051:
	s_cmp_gt_i32 s22, 6
	s_cbranch_scc0 .LBB70_1053
; %bb.1052:
	s_waitcnt vmcnt(0)
	v_cndmask_b32_e64 v2, 0, 1, s[18:19]
	v_cvt_f64_u32_e32 v[2:3], v2
	s_mov_b64 s[16:17], 0
	global_store_dwordx2 v[0:1], v[2:3], off
.LBB70_1053:
	s_andn2_b64 vcc, exec, s[16:17]
	s_cbranch_vccnz .LBB70_1055
; %bb.1054:
	s_waitcnt vmcnt(0)
	v_cndmask_b32_e64 v2, 0, 1.0, s[18:19]
	global_store_dword v[0:1], v2, off
.LBB70_1055:
	s_mov_b64 s[16:17], 0
.LBB70_1056:
	s_andn2_b64 vcc, exec, s[16:17]
	s_cbranch_vccnz .LBB70_1058
; %bb.1057:
	s_waitcnt vmcnt(0)
	v_cndmask_b32_e64 v2, 0, 1.0, s[18:19]
	v_cvt_f16_f32_e32 v2, v2
	global_store_short v[0:1], v2, off
.LBB70_1058:
	s_mov_b64 s[16:17], 0
.LBB70_1059:
	s_andn2_b64 vcc, exec, s[16:17]
	s_cbranch_vccnz .LBB70_1075
; %bb.1060:
	s_sext_i32_i16 s22, s33
	s_cmp_lt_i32 s22, 2
	s_mov_b64 s[16:17], -1
	s_cbranch_scc1 .LBB70_1070
; %bb.1061:
	s_cmp_lt_i32 s22, 3
	s_cbranch_scc1 .LBB70_1067
; %bb.1062:
	s_cmp_gt_i32 s22, 3
	s_cbranch_scc0 .LBB70_1064
; %bb.1063:
	s_mov_b32 s16, 0
	s_waitcnt vmcnt(0)
	v_cndmask_b32_e64 v2, 0, 1, s[18:19]
	v_mov_b32_e32 v3, s16
	s_mov_b64 s[16:17], 0
	global_store_dwordx2 v[0:1], v[2:3], off
.LBB70_1064:
	s_andn2_b64 vcc, exec, s[16:17]
	s_cbranch_vccnz .LBB70_1066
; %bb.1065:
	s_waitcnt vmcnt(0)
	v_cndmask_b32_e64 v2, 0, 1, s[18:19]
	global_store_dword v[0:1], v2, off
.LBB70_1066:
	s_mov_b64 s[16:17], 0
.LBB70_1067:
	s_andn2_b64 vcc, exec, s[16:17]
	s_cbranch_vccnz .LBB70_1069
; %bb.1068:
	s_waitcnt vmcnt(0)
	v_cndmask_b32_e64 v2, 0, 1, s[18:19]
	global_store_short v[0:1], v2, off
.LBB70_1069:
	s_mov_b64 s[16:17], 0
.LBB70_1070:
	s_andn2_b64 vcc, exec, s[16:17]
	s_cbranch_vccnz .LBB70_1075
; %bb.1071:
	s_sext_i32_i16 s22, s33
	s_mov_b64 s[16:17], -1
	s_cmp_gt_i32 s22, 0
	s_waitcnt vmcnt(0)
	v_cndmask_b32_e64 v2, 0, 1, s[18:19]
	s_cbranch_scc0 .LBB70_1073
; %bb.1072:
	s_mov_b64 s[16:17], 0
	global_store_byte v[0:1], v2, off
.LBB70_1073:
	s_andn2_b64 vcc, exec, s[16:17]
	s_cbranch_vccnz .LBB70_1075
; %bb.1074:
	global_store_byte v[0:1], v2, off
.LBB70_1075:
	s_or_b64 exec, exec, s[0:1]
	s_and_b64 s[16:17], s[20:21], exec
                                        ; implicit-def: $vgpr4
.LBB70_1076:
	s_or_saveexec_b64 s[6:7], s[6:7]
	s_mov_b64 s[0:1], 0
                                        ; implicit-def: $sgpr22_sgpr23
                                        ; implicit-def: $sgpr28
                                        ; implicit-def: $vgpr0_vgpr1
	s_xor_b64 exec, exec, s[6:7]
	s_cbranch_execz .LBB70_1626
; %bb.1077:
	v_mul_lo_u32 v5, s13, v4
	v_mov_b32_e32 v1, s11
	s_and_b32 s15, 0xffff, s15
	s_cmp_lt_i32 s15, 11
	s_waitcnt vmcnt(0)
	v_ashrrev_i32_e32 v2, 31, v5
	v_add_co_u32_e32 v0, vcc, s10, v5
	v_addc_co_u32_e32 v1, vcc, v1, v2, vcc
	s_cbranch_scc1 .LBB70_1084
; %bb.1078:
	s_cmp_gt_i32 s15, 25
	s_cbranch_scc0 .LBB70_1086
; %bb.1079:
	s_cmp_gt_i32 s15, 28
	s_cbranch_scc0 .LBB70_1087
	;; [unrolled: 3-line block ×4, first 2 shown]
; %bb.1082:
	s_cmp_eq_u32 s15, 46
	s_mov_b64 s[18:19], 0
	s_cbranch_scc0 .LBB70_1092
; %bb.1083:
	global_load_dword v2, v[0:1], off
	s_mov_b64 s[20:21], -1
	s_waitcnt vmcnt(0)
	v_lshlrev_b32_e32 v2, 16, v2
	v_cvt_i32_f32_e32 v2, v2
	s_branch .LBB70_1093
.LBB70_1084:
	s_mov_b64 s[20:21], 0
                                        ; implicit-def: $vgpr2
	s_mov_b64 s[18:19], s[16:17]
	s_cbranch_execnz .LBB70_1151
.LBB70_1085:
	s_andn2_b64 vcc, exec, s[20:21]
	s_cbranch_vccz .LBB70_1196
	s_branch .LBB70_1623
.LBB70_1086:
	s_mov_b64 s[20:21], 0
                                        ; implicit-def: $vgpr2
	s_cbranch_execnz .LBB70_1118
	s_branch .LBB70_1147
.LBB70_1087:
	s_mov_b64 s[20:21], 0
                                        ; implicit-def: $vgpr2
	s_cbranch_execz .LBB70_1117
	s_branch .LBB70_1102
.LBB70_1088:
	s_mov_b64 s[20:21], 0
                                        ; implicit-def: $vgpr2
	s_cbranch_execnz .LBB70_1098
	s_branch .LBB70_1101
.LBB70_1089:
	s_mov_b64 s[18:19], -1
	s_mov_b64 s[20:21], 0
                                        ; implicit-def: $vgpr2
	s_branch .LBB70_1093
.LBB70_1090:
	s_andn2_saveexec_b64 s[28:29], s[28:29]
	s_cbranch_execz .LBB70_988
.LBB70_1091:
	v_add_f32_e32 v2, 0x46000000, v3
	v_and_b32_e32 v2, 0xff, v2
	v_cmp_ne_u32_e32 vcc, 0, v2
	s_andn2_b64 s[26:27], s[26:27], exec
	s_and_b64 s[30:31], vcc, exec
	s_or_b64 s[26:27], s[26:27], s[30:31]
	s_or_b64 exec, exec, s[28:29]
	v_mov_b32_e32 v4, 0
	s_and_saveexec_b64 s[28:29], s[26:27]
	s_cbranch_execnz .LBB70_989
	s_branch .LBB70_990
.LBB70_1092:
	s_mov_b64 s[0:1], -1
                                        ; implicit-def: $vgpr2
	s_mov_b64 s[20:21], 0
.LBB70_1093:
	s_and_b64 vcc, exec, s[18:19]
	s_cbranch_vccz .LBB70_1096
; %bb.1094:
	s_cmp_eq_u32 s15, 44
	s_cbranch_scc0 .LBB70_1097
; %bb.1095:
	global_load_ubyte v2, v[0:1], off
	s_mov_b64 s[0:1], 0
	s_mov_b64 s[20:21], -1
	s_waitcnt vmcnt(0)
	v_lshlrev_b32_e32 v3, 23, v2
	v_cvt_i32_f32_e32 v3, v3
	v_cmp_ne_u32_e32 vcc, 0, v2
	v_cndmask_b32_e32 v2, 0, v3, vcc
.LBB70_1096:
	s_branch .LBB70_1101
.LBB70_1097:
	s_mov_b64 s[0:1], -1
                                        ; implicit-def: $vgpr2
	s_branch .LBB70_1101
.LBB70_1098:
	s_cmp_eq_u32 s15, 29
	s_cbranch_scc0 .LBB70_1100
; %bb.1099:
	global_load_dwordx2 v[2:3], v[0:1], off
	s_mov_b64 s[0:1], 0
	s_mov_b64 s[20:21], -1
	s_branch .LBB70_1101
.LBB70_1100:
	s_mov_b64 s[0:1], -1
                                        ; implicit-def: $vgpr2
.LBB70_1101:
	s_branch .LBB70_1117
.LBB70_1102:
	s_cmp_lt_i32 s15, 27
	s_cbranch_scc1 .LBB70_1105
; %bb.1103:
	s_cmp_gt_i32 s15, 27
	s_cbranch_scc0 .LBB70_1106
; %bb.1104:
	global_load_dword v2, v[0:1], off
	s_mov_b64 s[18:19], 0
	s_branch .LBB70_1107
.LBB70_1105:
	s_mov_b64 s[18:19], -1
                                        ; implicit-def: $vgpr2
	s_branch .LBB70_1110
.LBB70_1106:
	s_mov_b64 s[18:19], -1
                                        ; implicit-def: $vgpr2
.LBB70_1107:
	s_andn2_b64 vcc, exec, s[18:19]
	s_cbranch_vccnz .LBB70_1109
; %bb.1108:
	global_load_ushort v2, v[0:1], off
.LBB70_1109:
	s_mov_b64 s[18:19], 0
.LBB70_1110:
	s_andn2_b64 vcc, exec, s[18:19]
	s_cbranch_vccnz .LBB70_1116
; %bb.1111:
	global_load_ubyte v3, v[0:1], off
	s_movk_i32 s18, 0x7f
	s_mov_b64 s[20:21], 0
	s_waitcnt vmcnt(0)
	v_cmp_lt_i16_e32 vcc, s18, v3
	s_and_saveexec_b64 s[18:19], vcc
	s_xor_b64 s[18:19], exec, s[18:19]
	s_cbranch_execz .LBB70_1127
; %bb.1112:
	s_movk_i32 s20, 0x80
	v_cmp_ne_u16_e32 vcc, s20, v3
	s_and_b64 s[20:21], vcc, exec
	s_andn2_saveexec_b64 s[18:19], s[18:19]
	s_cbranch_execnz .LBB70_1128
.LBB70_1113:
	s_or_b64 exec, exec, s[18:19]
	v_mov_b32_e32 v2, 0
	s_and_saveexec_b64 s[18:19], s[20:21]
	s_cbranch_execz .LBB70_1115
.LBB70_1114:
	v_lshlrev_b32_e32 v2, 24, v3
	v_and_b32_e32 v3, 0xffff, v3
	v_and_b32_e32 v6, 7, v3
	v_ffbh_u32_e32 v8, v6
	v_min_u32_e32 v8, 32, v8
	v_subrev_u32_e32 v9, 28, v8
	v_bfe_u32 v7, v3, 3, 4
	v_lshlrev_b32_e32 v3, v9, v3
	v_sub_u32_e32 v8, 29, v8
	v_and_b32_e32 v3, 7, v3
	v_cmp_eq_u32_e32 vcc, 0, v7
	v_cndmask_b32_e32 v7, v7, v8, vcc
	v_cndmask_b32_e32 v3, v6, v3, vcc
	v_mov_b32_e32 v6, 0x3b800000
	v_lshlrev_b32_e32 v3, 20, v3
	v_and_b32_e32 v2, 0x80000000, v2
	v_lshl_add_u32 v6, v7, 23, v6
	v_or3_b32 v2, v2, v6, v3
	v_cvt_i32_f32_e32 v2, v2
.LBB70_1115:
	s_or_b64 exec, exec, s[18:19]
.LBB70_1116:
	s_mov_b64 s[20:21], -1
.LBB70_1117:
	s_branch .LBB70_1147
.LBB70_1118:
	s_cmp_gt_i32 s15, 22
	s_cbranch_scc0 .LBB70_1126
; %bb.1119:
	s_cmp_lt_i32 s15, 24
	s_cbranch_scc1 .LBB70_1129
; %bb.1120:
	s_cmp_gt_i32 s15, 24
	s_cbranch_scc0 .LBB70_1130
; %bb.1121:
	global_load_ubyte v3, v[0:1], off
	s_movk_i32 s4, 0x7f
	s_mov_b64 s[18:19], 0
	s_waitcnt vmcnt(0)
	v_cmp_lt_i16_e32 vcc, s4, v3
	s_and_saveexec_b64 s[4:5], vcc
	s_xor_b64 s[4:5], exec, s[4:5]
	s_cbranch_execz .LBB70_1141
; %bb.1122:
	s_movk_i32 s18, 0x80
	v_cmp_ne_u16_e32 vcc, s18, v3
	s_and_b64 s[18:19], vcc, exec
	s_andn2_saveexec_b64 s[4:5], s[4:5]
	s_cbranch_execnz .LBB70_1142
.LBB70_1123:
	s_or_b64 exec, exec, s[4:5]
	v_mov_b32_e32 v2, 0
	s_and_saveexec_b64 s[4:5], s[18:19]
	s_cbranch_execz .LBB70_1125
.LBB70_1124:
	v_lshlrev_b32_e32 v2, 24, v3
	v_and_b32_e32 v3, 0xffff, v3
	v_and_b32_e32 v6, 3, v3
	v_ffbh_u32_e32 v8, v6
	v_min_u32_e32 v8, 32, v8
	v_subrev_u32_e32 v9, 29, v8
	v_bfe_u32 v7, v3, 2, 5
	v_lshlrev_b32_e32 v3, v9, v3
	v_sub_u32_e32 v8, 30, v8
	v_and_b32_e32 v3, 3, v3
	v_cmp_eq_u32_e32 vcc, 0, v7
	v_cndmask_b32_e32 v7, v7, v8, vcc
	v_cndmask_b32_e32 v3, v6, v3, vcc
	v_mov_b32_e32 v6, 0x37800000
	v_lshlrev_b32_e32 v3, 21, v3
	v_and_b32_e32 v2, 0x80000000, v2
	v_lshl_add_u32 v6, v7, 23, v6
	v_or3_b32 v2, v2, v6, v3
	v_cvt_i32_f32_e32 v2, v2
.LBB70_1125:
	s_or_b64 exec, exec, s[4:5]
	s_mov_b64 s[4:5], 0
	s_branch .LBB70_1131
.LBB70_1126:
                                        ; implicit-def: $vgpr2
	s_mov_b64 s[4:5], 0
	s_branch .LBB70_1137
.LBB70_1127:
	s_andn2_saveexec_b64 s[18:19], s[18:19]
	s_cbranch_execz .LBB70_1113
.LBB70_1128:
	v_cmp_ne_u16_e32 vcc, 0, v3
	s_andn2_b64 s[20:21], s[20:21], exec
	s_and_b64 s[22:23], vcc, exec
	s_or_b64 s[20:21], s[20:21], s[22:23]
	s_or_b64 exec, exec, s[18:19]
	v_mov_b32_e32 v2, 0
	s_and_saveexec_b64 s[18:19], s[20:21]
	s_cbranch_execnz .LBB70_1114
	s_branch .LBB70_1115
.LBB70_1129:
	s_mov_b64 s[4:5], -1
                                        ; implicit-def: $vgpr2
	s_branch .LBB70_1134
.LBB70_1130:
	s_mov_b64 s[4:5], -1
                                        ; implicit-def: $vgpr2
.LBB70_1131:
	s_and_b64 vcc, exec, s[4:5]
	s_cbranch_vccz .LBB70_1133
; %bb.1132:
	global_load_ubyte v2, v[0:1], off
	s_mov_b32 s4, 0x7f800000
	s_waitcnt vmcnt(0)
	v_lshlrev_b32_e32 v2, 24, v2
	v_and_b32_e32 v3, 0x7f000000, v2
	v_ffbh_u32_e32 v6, v3
	v_min_u32_e32 v6, 32, v6
	v_sub_u32_e64 v6, v6, 4 clamp
	v_lshlrev_b32_e32 v8, v6, v3
	v_lshlrev_b32_e32 v6, 23, v6
	v_lshrrev_b32_e32 v8, 4, v8
	v_add_u32_e32 v7, 0x1000000, v3
	v_sub_u32_e32 v6, v8, v6
	v_ashrrev_i32_e32 v7, 8, v7
	v_add_u32_e32 v6, 0x3c000000, v6
	v_and_or_b32 v6, v7, s4, v6
	v_cmp_ne_u32_e32 vcc, 0, v3
	v_cndmask_b32_e32 v3, 0, v6, vcc
	s_brev_b32 s4, 1
	v_and_or_b32 v2, v2, s4, v3
	v_cvt_i32_f32_e32 v2, v2
.LBB70_1133:
	s_mov_b64 s[4:5], 0
.LBB70_1134:
	s_andn2_b64 vcc, exec, s[4:5]
	s_cbranch_vccnz .LBB70_1136
; %bb.1135:
	global_load_ubyte v2, v[0:1], off
	s_movk_i32 s4, 0x7f00
	s_brev_b32 s5, 16
	s_waitcnt vmcnt(0)
	v_lshlrev_b16_e32 v3, 8, v2
	v_lshlrev_b32_e32 v2, 25, v2
	v_lshrrev_b32_e32 v6, 4, v2
	v_and_or_b32 v7, v3, s4, 0.5
	v_or_b32_e32 v6, 0x70000000, v6
	v_add_f32_e32 v7, -0.5, v7
	v_mul_f32_e32 v6, 0x7800000, v6
	v_cmp_gt_u32_e32 vcc, s5, v2
	v_bfe_i32 v3, v3, 0, 16
	v_cndmask_b32_e32 v2, v6, v7, vcc
	s_brev_b32 s4, 1
	v_and_or_b32 v2, v3, s4, v2
	v_cvt_i32_f32_e32 v2, v2
.LBB70_1136:
	s_mov_b64 s[20:21], -1
	s_mov_b64 s[4:5], 0
	s_cbranch_execnz .LBB70_1147
.LBB70_1137:
	s_cmp_gt_i32 s15, 14
	s_cbranch_scc0 .LBB70_1140
; %bb.1138:
	s_cmp_eq_u32 s15, 15
	s_cbranch_scc0 .LBB70_1143
; %bb.1139:
	global_load_ushort v2, v[0:1], off
	s_mov_b64 s[0:1], 0
	s_mov_b64 s[20:21], -1
	s_waitcnt vmcnt(0)
	v_lshlrev_b32_e32 v2, 16, v2
	v_cvt_i32_f32_e32 v2, v2
	s_branch .LBB70_1144
.LBB70_1140:
	s_mov_b64 s[18:19], -1
                                        ; implicit-def: $vgpr2
	s_branch .LBB70_1145
.LBB70_1141:
	s_andn2_saveexec_b64 s[4:5], s[4:5]
	s_cbranch_execz .LBB70_1123
.LBB70_1142:
	v_cmp_ne_u16_e32 vcc, 0, v3
	s_andn2_b64 s[18:19], s[18:19], exec
	s_and_b64 s[20:21], vcc, exec
	s_or_b64 s[18:19], s[18:19], s[20:21]
	s_or_b64 exec, exec, s[4:5]
	v_mov_b32_e32 v2, 0
	s_and_saveexec_b64 s[4:5], s[18:19]
	s_cbranch_execnz .LBB70_1124
	s_branch .LBB70_1125
.LBB70_1143:
	s_mov_b64 s[0:1], -1
                                        ; implicit-def: $vgpr2
.LBB70_1144:
	s_mov_b64 s[18:19], 0
.LBB70_1145:
	s_and_b64 vcc, exec, s[18:19]
	s_cbranch_vccz .LBB70_1147
; %bb.1146:
	s_cmp_lg_u32 s15, 11
	s_mov_b64 s[4:5], -1
	s_cselect_b64 s[0:1], -1, 0
.LBB70_1147:
	s_and_b64 vcc, exec, s[0:1]
	s_mov_b64 s[18:19], s[16:17]
	s_cbranch_vccnz .LBB70_1223
; %bb.1148:
	s_andn2_b64 vcc, exec, s[4:5]
	s_cbranch_vccnz .LBB70_1150
.LBB70_1149:
	global_load_ubyte v2, v[0:1], off
	s_mov_b64 s[20:21], -1
	s_waitcnt vmcnt(0)
	v_cmp_ne_u16_e32 vcc, 0, v2
	v_cndmask_b32_e64 v2, 0, 1, vcc
.LBB70_1150:
	s_branch .LBB70_1085
.LBB70_1151:
	s_cmp_lt_i32 s15, 5
	s_cbranch_scc1 .LBB70_1156
; %bb.1152:
	s_cmp_lt_i32 s15, 8
	s_cbranch_scc1 .LBB70_1157
; %bb.1153:
	;; [unrolled: 3-line block ×3, first 2 shown]
	s_cmp_gt_i32 s15, 9
	s_cbranch_scc0 .LBB70_1159
; %bb.1155:
	global_load_dwordx2 v[2:3], v[0:1], off
	s_mov_b64 s[0:1], 0
	s_waitcnt vmcnt(0)
	v_cvt_i32_f64_e32 v2, v[2:3]
	s_branch .LBB70_1160
.LBB70_1156:
                                        ; implicit-def: $vgpr2
	s_branch .LBB70_1177
.LBB70_1157:
                                        ; implicit-def: $vgpr2
	s_branch .LBB70_1166
.LBB70_1158:
	s_mov_b64 s[0:1], -1
                                        ; implicit-def: $vgpr2
	s_branch .LBB70_1163
.LBB70_1159:
	s_mov_b64 s[0:1], -1
                                        ; implicit-def: $vgpr2
.LBB70_1160:
	s_andn2_b64 vcc, exec, s[0:1]
	s_cbranch_vccnz .LBB70_1162
; %bb.1161:
	global_load_dword v2, v[0:1], off
	s_waitcnt vmcnt(0)
	v_cvt_i32_f32_e32 v2, v2
.LBB70_1162:
	s_mov_b64 s[0:1], 0
.LBB70_1163:
	s_andn2_b64 vcc, exec, s[0:1]
	s_cbranch_vccnz .LBB70_1165
; %bb.1164:
	global_load_dword v2, v[0:1], off
	s_waitcnt vmcnt(0)
	v_cvt_i16_f16_e32 v2, v2
.LBB70_1165:
	s_cbranch_execnz .LBB70_1176
.LBB70_1166:
	s_cmp_lt_i32 s15, 6
	s_cbranch_scc1 .LBB70_1169
; %bb.1167:
	s_cmp_gt_i32 s15, 6
	s_cbranch_scc0 .LBB70_1170
; %bb.1168:
	global_load_dwordx2 v[2:3], v[0:1], off
	s_mov_b64 s[0:1], 0
	s_waitcnt vmcnt(0)
	v_cvt_i32_f64_e32 v2, v[2:3]
	s_branch .LBB70_1171
.LBB70_1169:
	s_mov_b64 s[0:1], -1
                                        ; implicit-def: $vgpr2
	s_branch .LBB70_1174
.LBB70_1170:
	s_mov_b64 s[0:1], -1
                                        ; implicit-def: $vgpr2
.LBB70_1171:
	s_andn2_b64 vcc, exec, s[0:1]
	s_cbranch_vccnz .LBB70_1173
; %bb.1172:
	global_load_dword v2, v[0:1], off
	s_waitcnt vmcnt(0)
	v_cvt_i32_f32_e32 v2, v2
.LBB70_1173:
	s_mov_b64 s[0:1], 0
.LBB70_1174:
	s_andn2_b64 vcc, exec, s[0:1]
	s_cbranch_vccnz .LBB70_1176
; %bb.1175:
	global_load_ushort v2, v[0:1], off
	s_waitcnt vmcnt(0)
	v_cvt_i16_f16_e32 v2, v2
.LBB70_1176:
	s_cbranch_execnz .LBB70_1195
.LBB70_1177:
	s_cmp_lt_i32 s15, 2
	s_cbranch_scc1 .LBB70_1181
; %bb.1178:
	s_cmp_lt_i32 s15, 3
	s_cbranch_scc1 .LBB70_1182
; %bb.1179:
	s_cmp_gt_i32 s15, 3
	s_cbranch_scc0 .LBB70_1183
; %bb.1180:
	global_load_dwordx2 v[2:3], v[0:1], off
	s_mov_b64 s[0:1], 0
	s_branch .LBB70_1184
.LBB70_1181:
                                        ; implicit-def: $vgpr2
	s_branch .LBB70_1190
.LBB70_1182:
	s_mov_b64 s[0:1], -1
                                        ; implicit-def: $vgpr2
	s_branch .LBB70_1187
.LBB70_1183:
	s_mov_b64 s[0:1], -1
                                        ; implicit-def: $vgpr2
.LBB70_1184:
	s_andn2_b64 vcc, exec, s[0:1]
	s_cbranch_vccnz .LBB70_1186
; %bb.1185:
	global_load_dword v2, v[0:1], off
.LBB70_1186:
	s_mov_b64 s[0:1], 0
.LBB70_1187:
	s_andn2_b64 vcc, exec, s[0:1]
	s_cbranch_vccnz .LBB70_1189
; %bb.1188:
	global_load_ushort v2, v[0:1], off
.LBB70_1189:
	s_cbranch_execnz .LBB70_1195
.LBB70_1190:
	s_cmp_gt_i32 s15, 0
	s_cbranch_scc0 .LBB70_1192
; %bb.1191:
	global_load_sbyte v2, v[0:1], off
	s_mov_b64 s[0:1], 0
	s_branch .LBB70_1193
.LBB70_1192:
	s_mov_b64 s[0:1], -1
                                        ; implicit-def: $vgpr2
.LBB70_1193:
	s_andn2_b64 vcc, exec, s[0:1]
	s_cbranch_vccnz .LBB70_1195
; %bb.1194:
	global_load_ubyte v2, v[0:1], off
.LBB70_1195:
.LBB70_1196:
	s_cmp_lt_i32 s14, 1
	s_mov_b64 s[0:1], 0
	s_cbranch_scc1 .LBB70_1200
; %bb.1197:
	s_cmp_gt_i32 s14, 1
	s_cbranch_scc0 .LBB70_1201
; %bb.1198:
	s_cmp_eq_u32 s14, 2
	s_cbranch_scc0 .LBB70_1202
; %bb.1199:
	s_waitcnt vmcnt(0)
	v_cmp_ge_i16_e64 s[4:5], s2, v2
	s_mov_b64 s[20:21], 0
	s_branch .LBB70_1203
.LBB70_1200:
                                        ; implicit-def: $sgpr4_sgpr5
	s_mov_b64 s[20:21], 0
	s_cbranch_execnz .LBB70_1206
	s_branch .LBB70_1207
.LBB70_1201:
	s_mov_b64 s[20:21], 0
                                        ; implicit-def: $sgpr4_sgpr5
	s_cbranch_execnz .LBB70_1204
	s_branch .LBB70_1205
.LBB70_1202:
	s_mov_b64 s[20:21], -1
                                        ; implicit-def: $sgpr4_sgpr5
.LBB70_1203:
	s_branch .LBB70_1205
.LBB70_1204:
	s_waitcnt vmcnt(0)
	v_cmp_lt_i16_e32 vcc, s2, v2
	s_andn2_b64 s[4:5], s[4:5], exec
	s_and_b64 s[22:23], vcc, exec
	s_or_b64 s[4:5], s[4:5], s[22:23]
.LBB70_1205:
	s_branch .LBB70_1207
.LBB70_1206:
	s_cmp_lg_u32 s14, 0
	s_mov_b64 s[0:1], -1
	s_cselect_b64 s[20:21], -1, 0
.LBB70_1207:
	s_andn2_b64 vcc, exec, s[20:21]
	s_cbranch_vccnz .LBB70_1209
; %bb.1208:
	s_waitcnt vmcnt(0)
	v_cmp_gt_i16_e32 vcc, s2, v2
	s_andn2_b64 s[4:5], s[4:5], exec
	s_and_b64 s[20:21], vcc, exec
	s_or_b64 s[4:5], s[4:5], s[20:21]
	s_cbranch_execz .LBB70_1210
	s_branch .LBB70_1211
.LBB70_1209:
	s_andn2_b64 vcc, exec, s[0:1]
	s_cbranch_vccnz .LBB70_1211
.LBB70_1210:
	s_waitcnt vmcnt(0)
	v_cmp_le_i16_e32 vcc, s2, v2
	s_andn2_b64 s[0:1], s[4:5], exec
	s_and_b64 s[4:5], vcc, exec
	s_or_b64 s[4:5], s[0:1], s[4:5]
.LBB70_1211:
	s_lshl_b32 s13, s13, 7
	v_add_u32_e32 v5, s13, v5
	v_ashrrev_i32_e32 v1, 31, v5
	s_waitcnt vmcnt(0)
	v_mov_b32_e32 v2, s11
	v_add_co_u32_e32 v0, vcc, s10, v5
	s_cmp_lt_i32 s15, 11
	v_addc_co_u32_e32 v1, vcc, v2, v1, vcc
	s_cbranch_scc1 .LBB70_1218
; %bb.1212:
	s_cmp_gt_i32 s15, 25
	s_mov_b64 s[20:21], 0
	s_cbranch_scc0 .LBB70_1220
; %bb.1213:
	s_cmp_gt_i32 s15, 28
	s_cbranch_scc0 .LBB70_1221
; %bb.1214:
	s_cmp_gt_i32 s15, 43
	;; [unrolled: 3-line block ×3, first 2 shown]
	s_cbranch_scc0 .LBB70_1224
; %bb.1216:
	s_cmp_eq_u32 s15, 46
	s_mov_b64 s[24:25], 0
	s_cbranch_scc0 .LBB70_1227
; %bb.1217:
	global_load_dword v2, v[0:1], off
	s_mov_b64 s[0:1], 0
	s_mov_b64 s[22:23], -1
	s_waitcnt vmcnt(0)
	v_lshlrev_b32_e32 v2, 16, v2
	v_cvt_i32_f32_e32 v2, v2
	s_branch .LBB70_1228
.LBB70_1218:
	s_mov_b64 s[22:23], 0
                                        ; implicit-def: $vgpr2
	s_cbranch_execnz .LBB70_1289
.LBB70_1219:
	s_andn2_b64 vcc, exec, s[22:23]
	s_cbranch_vccnz .LBB70_1623
	s_branch .LBB70_1336
.LBB70_1220:
	s_mov_b64 s[22:23], 0
	s_mov_b64 s[0:1], 0
                                        ; implicit-def: $vgpr2
	s_cbranch_execnz .LBB70_1255
	s_branch .LBB70_1285
.LBB70_1221:
	s_mov_b64 s[24:25], -1
	s_mov_b64 s[22:23], 0
	s_mov_b64 s[0:1], 0
                                        ; implicit-def: $vgpr2
	s_branch .LBB70_1238
.LBB70_1222:
	s_mov_b64 s[24:25], -1
	s_mov_b64 s[22:23], 0
	s_mov_b64 s[0:1], 0
                                        ; implicit-def: $vgpr2
	s_branch .LBB70_1233
.LBB70_1223:
	s_or_b64 s[18:19], s[16:17], exec
	s_trap 2
	s_cbranch_execz .LBB70_1149
	s_branch .LBB70_1150
.LBB70_1224:
	s_mov_b64 s[24:25], -1
	s_mov_b64 s[22:23], 0
	s_mov_b64 s[0:1], 0
                                        ; implicit-def: $vgpr2
	s_branch .LBB70_1228
.LBB70_1225:
	s_andn2_saveexec_b64 s[30:31], s[30:31]
	s_cbranch_execz .LBB70_1000
.LBB70_1226:
	v_add_f32_e32 v2, 0x42800000, v3
	v_and_b32_e32 v2, 0xff, v2
	v_cmp_ne_u32_e32 vcc, 0, v2
	s_andn2_b64 s[28:29], s[28:29], exec
	s_and_b64 s[36:37], vcc, exec
	s_or_b64 s[28:29], s[28:29], s[36:37]
	s_or_b64 exec, exec, s[30:31]
	v_mov_b32_e32 v4, 0
	s_and_saveexec_b64 s[30:31], s[28:29]
	s_cbranch_execnz .LBB70_1001
	s_branch .LBB70_1002
.LBB70_1227:
	s_mov_b64 s[0:1], -1
                                        ; implicit-def: $vgpr2
	s_mov_b64 s[22:23], 0
.LBB70_1228:
	s_and_b64 vcc, exec, s[24:25]
	s_cbranch_vccz .LBB70_1232
; %bb.1229:
	s_cmp_eq_u32 s15, 44
	s_cbranch_scc0 .LBB70_1231
; %bb.1230:
	global_load_ubyte v2, v[0:1], off
	s_mov_b64 s[0:1], 0
	s_mov_b64 s[22:23], -1
	s_waitcnt vmcnt(0)
	v_lshlrev_b32_e32 v3, 23, v2
	v_cvt_i32_f32_e32 v3, v3
	v_cmp_ne_u32_e32 vcc, 0, v2
	v_cndmask_b32_e32 v2, 0, v3, vcc
	s_branch .LBB70_1232
.LBB70_1231:
	s_mov_b64 s[0:1], -1
                                        ; implicit-def: $vgpr2
.LBB70_1232:
	s_mov_b64 s[24:25], 0
.LBB70_1233:
	s_and_b64 vcc, exec, s[24:25]
	s_cbranch_vccz .LBB70_1237
; %bb.1234:
	s_cmp_eq_u32 s15, 29
	s_cbranch_scc0 .LBB70_1236
; %bb.1235:
	global_load_dwordx2 v[2:3], v[0:1], off
	s_mov_b64 s[0:1], 0
	s_mov_b64 s[22:23], -1
	s_branch .LBB70_1237
.LBB70_1236:
	s_mov_b64 s[0:1], -1
                                        ; implicit-def: $vgpr2
.LBB70_1237:
	s_mov_b64 s[24:25], 0
.LBB70_1238:
	s_and_b64 vcc, exec, s[24:25]
	s_cbranch_vccz .LBB70_1254
; %bb.1239:
	s_cmp_lt_i32 s15, 27
	s_cbranch_scc1 .LBB70_1242
; %bb.1240:
	s_cmp_gt_i32 s15, 27
	s_cbranch_scc0 .LBB70_1243
; %bb.1241:
	global_load_dword v2, v[0:1], off
	s_mov_b64 s[22:23], 0
	s_branch .LBB70_1244
.LBB70_1242:
	s_mov_b64 s[22:23], -1
                                        ; implicit-def: $vgpr2
	s_branch .LBB70_1247
.LBB70_1243:
	s_mov_b64 s[22:23], -1
                                        ; implicit-def: $vgpr2
.LBB70_1244:
	s_andn2_b64 vcc, exec, s[22:23]
	s_cbranch_vccnz .LBB70_1246
; %bb.1245:
	global_load_ushort v2, v[0:1], off
.LBB70_1246:
	s_mov_b64 s[22:23], 0
.LBB70_1247:
	s_andn2_b64 vcc, exec, s[22:23]
	s_cbranch_vccnz .LBB70_1253
; %bb.1248:
	global_load_ubyte v3, v[0:1], off
	s_movk_i32 s22, 0x7f
	s_mov_b64 s[24:25], 0
	s_waitcnt vmcnt(0)
	v_cmp_lt_i16_e32 vcc, s22, v3
	s_and_saveexec_b64 s[22:23], vcc
	s_xor_b64 s[22:23], exec, s[22:23]
	s_cbranch_execz .LBB70_1264
; %bb.1249:
	s_movk_i32 s24, 0x80
	v_cmp_ne_u16_e32 vcc, s24, v3
	s_and_b64 s[24:25], vcc, exec
	s_andn2_saveexec_b64 s[22:23], s[22:23]
	s_cbranch_execnz .LBB70_1265
.LBB70_1250:
	s_or_b64 exec, exec, s[22:23]
	v_mov_b32_e32 v2, 0
	s_and_saveexec_b64 s[22:23], s[24:25]
	s_cbranch_execz .LBB70_1252
.LBB70_1251:
	v_lshlrev_b32_e32 v2, 24, v3
	v_and_b32_e32 v3, 0xffff, v3
	v_and_b32_e32 v6, 7, v3
	v_ffbh_u32_e32 v8, v6
	v_min_u32_e32 v8, 32, v8
	v_subrev_u32_e32 v9, 28, v8
	v_bfe_u32 v7, v3, 3, 4
	v_lshlrev_b32_e32 v3, v9, v3
	v_sub_u32_e32 v8, 29, v8
	v_and_b32_e32 v3, 7, v3
	v_cmp_eq_u32_e32 vcc, 0, v7
	v_cndmask_b32_e32 v7, v7, v8, vcc
	v_cndmask_b32_e32 v3, v6, v3, vcc
	v_mov_b32_e32 v6, 0x3b800000
	v_lshlrev_b32_e32 v3, 20, v3
	v_and_b32_e32 v2, 0x80000000, v2
	v_lshl_add_u32 v6, v7, 23, v6
	v_or3_b32 v2, v2, v6, v3
	v_cvt_i32_f32_e32 v2, v2
.LBB70_1252:
	s_or_b64 exec, exec, s[22:23]
.LBB70_1253:
	s_mov_b64 s[22:23], -1
.LBB70_1254:
	s_branch .LBB70_1285
.LBB70_1255:
	s_cmp_gt_i32 s15, 22
	s_cbranch_scc0 .LBB70_1263
; %bb.1256:
	s_cmp_lt_i32 s15, 24
	s_cbranch_scc1 .LBB70_1266
; %bb.1257:
	s_cmp_gt_i32 s15, 24
	s_cbranch_scc0 .LBB70_1267
; %bb.1258:
	global_load_ubyte v3, v[0:1], off
	s_movk_i32 s20, 0x7f
	s_mov_b64 s[22:23], 0
	s_waitcnt vmcnt(0)
	v_cmp_lt_i16_e32 vcc, s20, v3
	s_and_saveexec_b64 s[20:21], vcc
	s_xor_b64 s[20:21], exec, s[20:21]
	s_cbranch_execz .LBB70_1279
; %bb.1259:
	s_movk_i32 s22, 0x80
	v_cmp_ne_u16_e32 vcc, s22, v3
	s_and_b64 s[22:23], vcc, exec
	s_andn2_saveexec_b64 s[20:21], s[20:21]
	s_cbranch_execnz .LBB70_1280
.LBB70_1260:
	s_or_b64 exec, exec, s[20:21]
	v_mov_b32_e32 v2, 0
	s_and_saveexec_b64 s[20:21], s[22:23]
	s_cbranch_execz .LBB70_1262
.LBB70_1261:
	v_lshlrev_b32_e32 v2, 24, v3
	v_and_b32_e32 v3, 0xffff, v3
	v_and_b32_e32 v6, 3, v3
	v_ffbh_u32_e32 v8, v6
	v_min_u32_e32 v8, 32, v8
	v_subrev_u32_e32 v9, 29, v8
	v_bfe_u32 v7, v3, 2, 5
	v_lshlrev_b32_e32 v3, v9, v3
	v_sub_u32_e32 v8, 30, v8
	v_and_b32_e32 v3, 3, v3
	v_cmp_eq_u32_e32 vcc, 0, v7
	v_cndmask_b32_e32 v7, v7, v8, vcc
	v_cndmask_b32_e32 v3, v6, v3, vcc
	v_mov_b32_e32 v6, 0x37800000
	v_lshlrev_b32_e32 v3, 21, v3
	v_and_b32_e32 v2, 0x80000000, v2
	v_lshl_add_u32 v6, v7, 23, v6
	v_or3_b32 v2, v2, v6, v3
	v_cvt_i32_f32_e32 v2, v2
.LBB70_1262:
	s_or_b64 exec, exec, s[20:21]
	s_mov_b64 s[20:21], 0
	s_branch .LBB70_1268
.LBB70_1263:
	s_mov_b64 s[20:21], -1
                                        ; implicit-def: $vgpr2
	s_branch .LBB70_1274
.LBB70_1264:
	s_andn2_saveexec_b64 s[22:23], s[22:23]
	s_cbranch_execz .LBB70_1250
.LBB70_1265:
	v_cmp_ne_u16_e32 vcc, 0, v3
	s_andn2_b64 s[24:25], s[24:25], exec
	s_and_b64 s[26:27], vcc, exec
	s_or_b64 s[24:25], s[24:25], s[26:27]
	s_or_b64 exec, exec, s[22:23]
	v_mov_b32_e32 v2, 0
	s_and_saveexec_b64 s[22:23], s[24:25]
	s_cbranch_execnz .LBB70_1251
	s_branch .LBB70_1252
.LBB70_1266:
	s_mov_b64 s[20:21], -1
                                        ; implicit-def: $vgpr2
	s_branch .LBB70_1271
.LBB70_1267:
	s_mov_b64 s[20:21], -1
                                        ; implicit-def: $vgpr2
.LBB70_1268:
	s_and_b64 vcc, exec, s[20:21]
	s_cbranch_vccz .LBB70_1270
; %bb.1269:
	global_load_ubyte v2, v[0:1], off
	s_mov_b32 s20, 0x7f800000
	s_waitcnt vmcnt(0)
	v_lshlrev_b32_e32 v2, 24, v2
	v_and_b32_e32 v3, 0x7f000000, v2
	v_ffbh_u32_e32 v6, v3
	v_min_u32_e32 v6, 32, v6
	v_sub_u32_e64 v6, v6, 4 clamp
	v_lshlrev_b32_e32 v8, v6, v3
	v_lshlrev_b32_e32 v6, 23, v6
	v_lshrrev_b32_e32 v8, 4, v8
	v_add_u32_e32 v7, 0x1000000, v3
	v_sub_u32_e32 v6, v8, v6
	v_ashrrev_i32_e32 v7, 8, v7
	v_add_u32_e32 v6, 0x3c000000, v6
	v_and_or_b32 v6, v7, s20, v6
	v_cmp_ne_u32_e32 vcc, 0, v3
	v_cndmask_b32_e32 v3, 0, v6, vcc
	s_brev_b32 s20, 1
	v_and_or_b32 v2, v2, s20, v3
	v_cvt_i32_f32_e32 v2, v2
.LBB70_1270:
	s_mov_b64 s[20:21], 0
.LBB70_1271:
	s_andn2_b64 vcc, exec, s[20:21]
	s_cbranch_vccnz .LBB70_1273
; %bb.1272:
	global_load_ubyte v2, v[0:1], off
	s_movk_i32 s20, 0x7f00
	s_brev_b32 s21, 16
	s_waitcnt vmcnt(0)
	v_lshlrev_b16_e32 v3, 8, v2
	v_lshlrev_b32_e32 v2, 25, v2
	v_lshrrev_b32_e32 v6, 4, v2
	v_and_or_b32 v7, v3, s20, 0.5
	v_or_b32_e32 v6, 0x70000000, v6
	v_add_f32_e32 v7, -0.5, v7
	v_mul_f32_e32 v6, 0x7800000, v6
	v_cmp_gt_u32_e32 vcc, s21, v2
	v_bfe_i32 v3, v3, 0, 16
	v_cndmask_b32_e32 v2, v6, v7, vcc
	s_brev_b32 s20, 1
	v_and_or_b32 v2, v3, s20, v2
	v_cvt_i32_f32_e32 v2, v2
.LBB70_1273:
	s_mov_b64 s[20:21], 0
	s_mov_b64 s[22:23], -1
.LBB70_1274:
	s_andn2_b64 vcc, exec, s[20:21]
	s_mov_b64 s[20:21], 0
	s_cbranch_vccnz .LBB70_1285
; %bb.1275:
	s_cmp_gt_i32 s15, 14
	s_cbranch_scc0 .LBB70_1278
; %bb.1276:
	s_cmp_eq_u32 s15, 15
	s_cbranch_scc0 .LBB70_1281
; %bb.1277:
	global_load_ushort v2, v[0:1], off
	s_mov_b64 s[0:1], 0
	s_mov_b64 s[22:23], -1
	s_waitcnt vmcnt(0)
	v_lshlrev_b32_e32 v2, 16, v2
	v_cvt_i32_f32_e32 v2, v2
	s_branch .LBB70_1282
.LBB70_1278:
	s_mov_b64 s[24:25], -1
                                        ; implicit-def: $vgpr2
	s_branch .LBB70_1283
.LBB70_1279:
	s_andn2_saveexec_b64 s[20:21], s[20:21]
	s_cbranch_execz .LBB70_1260
.LBB70_1280:
	v_cmp_ne_u16_e32 vcc, 0, v3
	s_andn2_b64 s[22:23], s[22:23], exec
	s_and_b64 s[24:25], vcc, exec
	s_or_b64 s[22:23], s[22:23], s[24:25]
	s_or_b64 exec, exec, s[20:21]
	v_mov_b32_e32 v2, 0
	s_and_saveexec_b64 s[20:21], s[22:23]
	s_cbranch_execnz .LBB70_1261
	s_branch .LBB70_1262
.LBB70_1281:
	s_mov_b64 s[0:1], -1
                                        ; implicit-def: $vgpr2
.LBB70_1282:
	s_mov_b64 s[24:25], 0
.LBB70_1283:
	s_and_b64 vcc, exec, s[24:25]
	s_cbranch_vccz .LBB70_1285
; %bb.1284:
	s_cmp_lg_u32 s15, 11
	s_mov_b64 s[20:21], -1
	s_cselect_b64 s[0:1], -1, 0
.LBB70_1285:
	s_and_b64 vcc, exec, s[0:1]
	s_cbranch_vccnz .LBB70_1364
; %bb.1286:
	s_andn2_b64 vcc, exec, s[20:21]
	s_cbranch_vccnz .LBB70_1288
.LBB70_1287:
	global_load_ubyte v2, v[0:1], off
	s_mov_b64 s[22:23], -1
	s_waitcnt vmcnt(0)
	v_cmp_ne_u16_e32 vcc, 0, v2
	v_cndmask_b32_e64 v2, 0, 1, vcc
.LBB70_1288:
	s_branch .LBB70_1219
.LBB70_1289:
	s_cmp_lt_i32 s15, 5
	s_cbranch_scc1 .LBB70_1294
; %bb.1290:
	s_cmp_lt_i32 s15, 8
	s_cbranch_scc1 .LBB70_1295
; %bb.1291:
	s_cmp_lt_i32 s15, 9
	s_cbranch_scc1 .LBB70_1296
; %bb.1292:
	s_cmp_gt_i32 s15, 9
	s_cbranch_scc0 .LBB70_1297
; %bb.1293:
	global_load_dwordx2 v[2:3], v[0:1], off
	s_mov_b64 s[0:1], 0
	s_waitcnt vmcnt(0)
	v_cvt_i32_f64_e32 v2, v[2:3]
	s_branch .LBB70_1298
.LBB70_1294:
                                        ; implicit-def: $vgpr2
	s_branch .LBB70_1316
.LBB70_1295:
	s_mov_b64 s[0:1], -1
                                        ; implicit-def: $vgpr2
	s_branch .LBB70_1304
.LBB70_1296:
	s_mov_b64 s[0:1], -1
                                        ; implicit-def: $vgpr2
	s_branch .LBB70_1301
.LBB70_1297:
	s_mov_b64 s[0:1], -1
                                        ; implicit-def: $vgpr2
.LBB70_1298:
	s_andn2_b64 vcc, exec, s[0:1]
	s_cbranch_vccnz .LBB70_1300
; %bb.1299:
	global_load_dword v2, v[0:1], off
	s_waitcnt vmcnt(0)
	v_cvt_i32_f32_e32 v2, v2
.LBB70_1300:
	s_mov_b64 s[0:1], 0
.LBB70_1301:
	s_andn2_b64 vcc, exec, s[0:1]
	s_cbranch_vccnz .LBB70_1303
; %bb.1302:
	global_load_dword v2, v[0:1], off
	s_waitcnt vmcnt(0)
	v_cvt_i16_f16_e32 v2, v2
.LBB70_1303:
	s_mov_b64 s[0:1], 0
.LBB70_1304:
	s_andn2_b64 vcc, exec, s[0:1]
	s_cbranch_vccnz .LBB70_1315
; %bb.1305:
	s_cmp_lt_i32 s15, 6
	s_cbranch_scc1 .LBB70_1308
; %bb.1306:
	s_cmp_gt_i32 s15, 6
	s_cbranch_scc0 .LBB70_1309
; %bb.1307:
	global_load_dwordx2 v[2:3], v[0:1], off
	s_mov_b64 s[0:1], 0
	s_waitcnt vmcnt(0)
	v_cvt_i32_f64_e32 v2, v[2:3]
	s_branch .LBB70_1310
.LBB70_1308:
	s_mov_b64 s[0:1], -1
                                        ; implicit-def: $vgpr2
	s_branch .LBB70_1313
.LBB70_1309:
	s_mov_b64 s[0:1], -1
                                        ; implicit-def: $vgpr2
.LBB70_1310:
	s_andn2_b64 vcc, exec, s[0:1]
	s_cbranch_vccnz .LBB70_1312
; %bb.1311:
	global_load_dword v2, v[0:1], off
	s_waitcnt vmcnt(0)
	v_cvt_i32_f32_e32 v2, v2
.LBB70_1312:
	s_mov_b64 s[0:1], 0
.LBB70_1313:
	s_andn2_b64 vcc, exec, s[0:1]
	s_cbranch_vccnz .LBB70_1315
; %bb.1314:
	global_load_ushort v2, v[0:1], off
	s_waitcnt vmcnt(0)
	v_cvt_i16_f16_e32 v2, v2
.LBB70_1315:
	s_cbranch_execnz .LBB70_1335
.LBB70_1316:
	s_cmp_lt_i32 s15, 2
	s_cbranch_scc1 .LBB70_1320
; %bb.1317:
	s_cmp_lt_i32 s15, 3
	s_cbranch_scc1 .LBB70_1321
; %bb.1318:
	s_cmp_gt_i32 s15, 3
	s_cbranch_scc0 .LBB70_1322
; %bb.1319:
	global_load_dwordx2 v[2:3], v[0:1], off
	s_mov_b64 s[0:1], 0
	s_branch .LBB70_1323
.LBB70_1320:
	s_mov_b64 s[0:1], -1
                                        ; implicit-def: $vgpr2
	s_branch .LBB70_1329
.LBB70_1321:
	s_mov_b64 s[0:1], -1
                                        ; implicit-def: $vgpr2
	s_branch .LBB70_1326
.LBB70_1322:
	s_mov_b64 s[0:1], -1
                                        ; implicit-def: $vgpr2
.LBB70_1323:
	s_andn2_b64 vcc, exec, s[0:1]
	s_cbranch_vccnz .LBB70_1325
; %bb.1324:
	global_load_dword v2, v[0:1], off
.LBB70_1325:
	s_mov_b64 s[0:1], 0
.LBB70_1326:
	s_andn2_b64 vcc, exec, s[0:1]
	s_cbranch_vccnz .LBB70_1328
; %bb.1327:
	global_load_ushort v2, v[0:1], off
.LBB70_1328:
	s_mov_b64 s[0:1], 0
.LBB70_1329:
	s_andn2_b64 vcc, exec, s[0:1]
	s_cbranch_vccnz .LBB70_1335
; %bb.1330:
	s_cmp_gt_i32 s15, 0
	s_cbranch_scc0 .LBB70_1332
; %bb.1331:
	global_load_sbyte v2, v[0:1], off
	s_mov_b64 s[0:1], 0
	s_branch .LBB70_1333
.LBB70_1332:
	s_mov_b64 s[0:1], -1
                                        ; implicit-def: $vgpr2
.LBB70_1333:
	s_andn2_b64 vcc, exec, s[0:1]
	s_cbranch_vccnz .LBB70_1335
; %bb.1334:
	global_load_ubyte v2, v[0:1], off
.LBB70_1335:
.LBB70_1336:
	s_cmp_lt_i32 s14, 1
	s_mov_b64 s[0:1], 0
	s_cbranch_scc1 .LBB70_1340
; %bb.1337:
	s_cmp_gt_i32 s14, 1
	s_cbranch_scc0 .LBB70_1341
; %bb.1338:
	s_cmp_eq_u32 s14, 2
	s_cbranch_scc0 .LBB70_1342
; %bb.1339:
	s_waitcnt vmcnt(0)
	v_cmp_ge_i16_e64 s[20:21], s2, v2
	s_mov_b64 s[22:23], 0
	s_branch .LBB70_1343
.LBB70_1340:
                                        ; implicit-def: $sgpr20_sgpr21
	s_mov_b64 s[22:23], 0
	s_cbranch_execnz .LBB70_1347
	s_branch .LBB70_1348
.LBB70_1341:
	s_mov_b64 s[24:25], -1
	s_mov_b64 s[22:23], 0
                                        ; implicit-def: $sgpr20_sgpr21
	s_branch .LBB70_1344
.LBB70_1342:
	s_mov_b64 s[22:23], -1
                                        ; implicit-def: $sgpr20_sgpr21
.LBB70_1343:
	s_mov_b64 s[24:25], 0
.LBB70_1344:
	s_and_b64 vcc, exec, s[24:25]
	s_cbranch_vccz .LBB70_1346
; %bb.1345:
	s_waitcnt vmcnt(0)
	v_cmp_lt_i16_e32 vcc, s2, v2
	s_andn2_b64 s[20:21], s[20:21], exec
	s_and_b64 s[24:25], vcc, exec
	s_or_b64 s[20:21], s[20:21], s[24:25]
.LBB70_1346:
	s_branch .LBB70_1348
.LBB70_1347:
	s_cmp_lg_u32 s14, 0
	s_mov_b64 s[0:1], -1
	s_cselect_b64 s[22:23], -1, 0
.LBB70_1348:
	s_andn2_b64 vcc, exec, s[22:23]
	s_cbranch_vccnz .LBB70_1350
; %bb.1349:
	s_waitcnt vmcnt(0)
	v_cmp_gt_i16_e32 vcc, s2, v2
	s_andn2_b64 s[20:21], s[20:21], exec
	s_and_b64 s[22:23], vcc, exec
	s_or_b64 s[20:21], s[20:21], s[22:23]
	s_cbranch_execz .LBB70_1351
	s_branch .LBB70_1352
.LBB70_1350:
	s_andn2_b64 vcc, exec, s[0:1]
	s_cbranch_vccnz .LBB70_1352
.LBB70_1351:
	s_waitcnt vmcnt(0)
	v_cmp_le_i16_e32 vcc, s2, v2
	s_andn2_b64 s[0:1], s[20:21], exec
	s_and_b64 s[20:21], vcc, exec
	s_or_b64 s[20:21], s[0:1], s[20:21]
.LBB70_1352:
	v_add_u32_e32 v5, s13, v5
	v_ashrrev_i32_e32 v1, 31, v5
	s_waitcnt vmcnt(0)
	v_mov_b32_e32 v2, s11
	v_add_co_u32_e32 v0, vcc, s10, v5
	s_cmp_lt_i32 s15, 11
	v_addc_co_u32_e32 v1, vcc, v2, v1, vcc
	s_cbranch_scc1 .LBB70_1359
; %bb.1353:
	s_cmp_gt_i32 s15, 25
	s_mov_b64 s[22:23], 0
	s_cbranch_scc0 .LBB70_1361
; %bb.1354:
	s_cmp_gt_i32 s15, 28
	s_cbranch_scc0 .LBB70_1362
; %bb.1355:
	s_cmp_gt_i32 s15, 43
	;; [unrolled: 3-line block ×3, first 2 shown]
	s_cbranch_scc0 .LBB70_1365
; %bb.1357:
	s_cmp_eq_u32 s15, 46
	s_mov_b64 s[26:27], 0
	s_cbranch_scc0 .LBB70_1366
; %bb.1358:
	global_load_dword v2, v[0:1], off
	s_mov_b64 s[0:1], 0
	s_mov_b64 s[24:25], -1
	s_waitcnt vmcnt(0)
	v_lshlrev_b32_e32 v2, 16, v2
	v_cvt_i32_f32_e32 v2, v2
	s_branch .LBB70_1367
.LBB70_1359:
	s_mov_b64 s[24:25], 0
                                        ; implicit-def: $vgpr2
	s_cbranch_execnz .LBB70_1429
.LBB70_1360:
	s_andn2_b64 vcc, exec, s[24:25]
	s_cbranch_vccnz .LBB70_1623
	s_branch .LBB70_1477
.LBB70_1361:
	s_mov_b64 s[26:27], -1
	s_mov_b64 s[24:25], 0
	s_mov_b64 s[0:1], 0
                                        ; implicit-def: $vgpr2
	s_branch .LBB70_1394
.LBB70_1362:
	s_mov_b64 s[26:27], -1
	s_mov_b64 s[24:25], 0
	s_mov_b64 s[0:1], 0
                                        ; implicit-def: $vgpr2
	s_branch .LBB70_1377
.LBB70_1363:
	s_mov_b64 s[26:27], -1
	s_mov_b64 s[24:25], 0
	s_mov_b64 s[0:1], 0
                                        ; implicit-def: $vgpr2
	s_branch .LBB70_1372
.LBB70_1364:
	s_trap 2
	s_or_b64 s[18:19], s[18:19], exec
	s_cbranch_execz .LBB70_1287
	s_branch .LBB70_1288
.LBB70_1365:
	s_mov_b64 s[26:27], -1
	s_mov_b64 s[24:25], 0
	s_mov_b64 s[0:1], 0
                                        ; implicit-def: $vgpr2
	s_branch .LBB70_1367
.LBB70_1366:
	s_mov_b64 s[0:1], -1
                                        ; implicit-def: $vgpr2
	s_mov_b64 s[24:25], 0
.LBB70_1367:
	s_and_b64 vcc, exec, s[26:27]
	s_cbranch_vccz .LBB70_1371
; %bb.1368:
	s_cmp_eq_u32 s15, 44
	s_cbranch_scc0 .LBB70_1370
; %bb.1369:
	global_load_ubyte v2, v[0:1], off
	s_mov_b64 s[0:1], 0
	s_mov_b64 s[24:25], -1
	s_waitcnt vmcnt(0)
	v_lshlrev_b32_e32 v3, 23, v2
	v_cvt_i32_f32_e32 v3, v3
	v_cmp_ne_u32_e32 vcc, 0, v2
	v_cndmask_b32_e32 v2, 0, v3, vcc
	s_branch .LBB70_1371
.LBB70_1370:
	s_mov_b64 s[0:1], -1
                                        ; implicit-def: $vgpr2
.LBB70_1371:
	s_mov_b64 s[26:27], 0
.LBB70_1372:
	s_and_b64 vcc, exec, s[26:27]
	s_cbranch_vccz .LBB70_1376
; %bb.1373:
	s_cmp_eq_u32 s15, 29
	s_cbranch_scc0 .LBB70_1375
; %bb.1374:
	global_load_dwordx2 v[2:3], v[0:1], off
	s_mov_b64 s[0:1], 0
	s_mov_b64 s[24:25], -1
	s_branch .LBB70_1376
.LBB70_1375:
	s_mov_b64 s[0:1], -1
                                        ; implicit-def: $vgpr2
.LBB70_1376:
	s_mov_b64 s[26:27], 0
.LBB70_1377:
	s_and_b64 vcc, exec, s[26:27]
	s_cbranch_vccz .LBB70_1393
; %bb.1378:
	s_cmp_lt_i32 s15, 27
	s_cbranch_scc1 .LBB70_1381
; %bb.1379:
	s_cmp_gt_i32 s15, 27
	s_cbranch_scc0 .LBB70_1382
; %bb.1380:
	global_load_dword v2, v[0:1], off
	s_mov_b64 s[24:25], 0
	s_branch .LBB70_1383
.LBB70_1381:
	s_mov_b64 s[24:25], -1
                                        ; implicit-def: $vgpr2
	s_branch .LBB70_1386
.LBB70_1382:
	s_mov_b64 s[24:25], -1
                                        ; implicit-def: $vgpr2
.LBB70_1383:
	s_andn2_b64 vcc, exec, s[24:25]
	s_cbranch_vccnz .LBB70_1385
; %bb.1384:
	global_load_ushort v2, v[0:1], off
.LBB70_1385:
	s_mov_b64 s[24:25], 0
.LBB70_1386:
	s_andn2_b64 vcc, exec, s[24:25]
	s_cbranch_vccnz .LBB70_1392
; %bb.1387:
	global_load_ubyte v3, v[0:1], off
	s_movk_i32 s24, 0x7f
	s_mov_b64 s[26:27], 0
	s_waitcnt vmcnt(0)
	v_cmp_lt_i16_e32 vcc, s24, v3
	s_and_saveexec_b64 s[24:25], vcc
	s_xor_b64 s[24:25], exec, s[24:25]
	s_cbranch_execz .LBB70_1404
; %bb.1388:
	s_movk_i32 s26, 0x80
	v_cmp_ne_u16_e32 vcc, s26, v3
	s_and_b64 s[26:27], vcc, exec
	s_andn2_saveexec_b64 s[24:25], s[24:25]
	s_cbranch_execnz .LBB70_1405
.LBB70_1389:
	s_or_b64 exec, exec, s[24:25]
	v_mov_b32_e32 v2, 0
	s_and_saveexec_b64 s[24:25], s[26:27]
	s_cbranch_execz .LBB70_1391
.LBB70_1390:
	v_lshlrev_b32_e32 v2, 24, v3
	v_and_b32_e32 v3, 0xffff, v3
	v_and_b32_e32 v6, 7, v3
	v_ffbh_u32_e32 v8, v6
	v_min_u32_e32 v8, 32, v8
	v_subrev_u32_e32 v9, 28, v8
	v_bfe_u32 v7, v3, 3, 4
	v_lshlrev_b32_e32 v3, v9, v3
	v_sub_u32_e32 v8, 29, v8
	v_and_b32_e32 v3, 7, v3
	v_cmp_eq_u32_e32 vcc, 0, v7
	v_cndmask_b32_e32 v7, v7, v8, vcc
	v_cndmask_b32_e32 v3, v6, v3, vcc
	v_mov_b32_e32 v6, 0x3b800000
	v_lshlrev_b32_e32 v3, 20, v3
	v_and_b32_e32 v2, 0x80000000, v2
	v_lshl_add_u32 v6, v7, 23, v6
	v_or3_b32 v2, v2, v6, v3
	v_cvt_i32_f32_e32 v2, v2
.LBB70_1391:
	s_or_b64 exec, exec, s[24:25]
.LBB70_1392:
	s_mov_b64 s[24:25], -1
.LBB70_1393:
	s_mov_b64 s[26:27], 0
.LBB70_1394:
	s_and_b64 vcc, exec, s[26:27]
	s_cbranch_vccz .LBB70_1425
; %bb.1395:
	s_cmp_gt_i32 s15, 22
	s_cbranch_scc0 .LBB70_1403
; %bb.1396:
	s_cmp_lt_i32 s15, 24
	s_cbranch_scc1 .LBB70_1406
; %bb.1397:
	s_cmp_gt_i32 s15, 24
	s_cbranch_scc0 .LBB70_1407
; %bb.1398:
	global_load_ubyte v3, v[0:1], off
	s_movk_i32 s22, 0x7f
	s_mov_b64 s[24:25], 0
	s_waitcnt vmcnt(0)
	v_cmp_lt_i16_e32 vcc, s22, v3
	s_and_saveexec_b64 s[22:23], vcc
	s_xor_b64 s[22:23], exec, s[22:23]
	s_cbranch_execz .LBB70_1419
; %bb.1399:
	s_movk_i32 s24, 0x80
	v_cmp_ne_u16_e32 vcc, s24, v3
	s_and_b64 s[24:25], vcc, exec
	s_andn2_saveexec_b64 s[22:23], s[22:23]
	s_cbranch_execnz .LBB70_1420
.LBB70_1400:
	s_or_b64 exec, exec, s[22:23]
	v_mov_b32_e32 v2, 0
	s_and_saveexec_b64 s[22:23], s[24:25]
	s_cbranch_execz .LBB70_1402
.LBB70_1401:
	v_lshlrev_b32_e32 v2, 24, v3
	v_and_b32_e32 v3, 0xffff, v3
	v_and_b32_e32 v6, 3, v3
	v_ffbh_u32_e32 v8, v6
	v_min_u32_e32 v8, 32, v8
	v_subrev_u32_e32 v9, 29, v8
	v_bfe_u32 v7, v3, 2, 5
	v_lshlrev_b32_e32 v3, v9, v3
	v_sub_u32_e32 v8, 30, v8
	v_and_b32_e32 v3, 3, v3
	v_cmp_eq_u32_e32 vcc, 0, v7
	v_cndmask_b32_e32 v7, v7, v8, vcc
	v_cndmask_b32_e32 v3, v6, v3, vcc
	v_mov_b32_e32 v6, 0x37800000
	v_lshlrev_b32_e32 v3, 21, v3
	v_and_b32_e32 v2, 0x80000000, v2
	v_lshl_add_u32 v6, v7, 23, v6
	v_or3_b32 v2, v2, v6, v3
	v_cvt_i32_f32_e32 v2, v2
.LBB70_1402:
	s_or_b64 exec, exec, s[22:23]
	s_mov_b64 s[22:23], 0
	s_branch .LBB70_1408
.LBB70_1403:
	s_mov_b64 s[22:23], -1
                                        ; implicit-def: $vgpr2
	s_branch .LBB70_1414
.LBB70_1404:
	s_andn2_saveexec_b64 s[24:25], s[24:25]
	s_cbranch_execz .LBB70_1389
.LBB70_1405:
	v_cmp_ne_u16_e32 vcc, 0, v3
	s_andn2_b64 s[26:27], s[26:27], exec
	s_and_b64 s[28:29], vcc, exec
	s_or_b64 s[26:27], s[26:27], s[28:29]
	s_or_b64 exec, exec, s[24:25]
	v_mov_b32_e32 v2, 0
	s_and_saveexec_b64 s[24:25], s[26:27]
	s_cbranch_execnz .LBB70_1390
	s_branch .LBB70_1391
.LBB70_1406:
	s_mov_b64 s[22:23], -1
                                        ; implicit-def: $vgpr2
	s_branch .LBB70_1411
.LBB70_1407:
	s_mov_b64 s[22:23], -1
                                        ; implicit-def: $vgpr2
.LBB70_1408:
	s_and_b64 vcc, exec, s[22:23]
	s_cbranch_vccz .LBB70_1410
; %bb.1409:
	global_load_ubyte v2, v[0:1], off
	s_mov_b32 s22, 0x7f800000
	s_waitcnt vmcnt(0)
	v_lshlrev_b32_e32 v2, 24, v2
	v_and_b32_e32 v3, 0x7f000000, v2
	v_ffbh_u32_e32 v6, v3
	v_min_u32_e32 v6, 32, v6
	v_sub_u32_e64 v6, v6, 4 clamp
	v_lshlrev_b32_e32 v8, v6, v3
	v_lshlrev_b32_e32 v6, 23, v6
	v_lshrrev_b32_e32 v8, 4, v8
	v_add_u32_e32 v7, 0x1000000, v3
	v_sub_u32_e32 v6, v8, v6
	v_ashrrev_i32_e32 v7, 8, v7
	v_add_u32_e32 v6, 0x3c000000, v6
	v_and_or_b32 v6, v7, s22, v6
	v_cmp_ne_u32_e32 vcc, 0, v3
	v_cndmask_b32_e32 v3, 0, v6, vcc
	s_brev_b32 s22, 1
	v_and_or_b32 v2, v2, s22, v3
	v_cvt_i32_f32_e32 v2, v2
.LBB70_1410:
	s_mov_b64 s[22:23], 0
.LBB70_1411:
	s_andn2_b64 vcc, exec, s[22:23]
	s_cbranch_vccnz .LBB70_1413
; %bb.1412:
	global_load_ubyte v2, v[0:1], off
	s_movk_i32 s22, 0x7f00
	s_brev_b32 s23, 16
	s_waitcnt vmcnt(0)
	v_lshlrev_b16_e32 v3, 8, v2
	v_lshlrev_b32_e32 v2, 25, v2
	v_lshrrev_b32_e32 v6, 4, v2
	v_and_or_b32 v7, v3, s22, 0.5
	v_or_b32_e32 v6, 0x70000000, v6
	v_add_f32_e32 v7, -0.5, v7
	v_mul_f32_e32 v6, 0x7800000, v6
	v_cmp_gt_u32_e32 vcc, s23, v2
	v_bfe_i32 v3, v3, 0, 16
	v_cndmask_b32_e32 v2, v6, v7, vcc
	s_brev_b32 s22, 1
	v_and_or_b32 v2, v3, s22, v2
	v_cvt_i32_f32_e32 v2, v2
.LBB70_1413:
	s_mov_b64 s[22:23], 0
	s_mov_b64 s[24:25], -1
.LBB70_1414:
	s_andn2_b64 vcc, exec, s[22:23]
	s_mov_b64 s[22:23], 0
	s_cbranch_vccnz .LBB70_1425
; %bb.1415:
	s_cmp_gt_i32 s15, 14
	s_cbranch_scc0 .LBB70_1418
; %bb.1416:
	s_cmp_eq_u32 s15, 15
	s_cbranch_scc0 .LBB70_1421
; %bb.1417:
	global_load_ushort v2, v[0:1], off
	s_mov_b64 s[0:1], 0
	s_mov_b64 s[24:25], -1
	s_waitcnt vmcnt(0)
	v_lshlrev_b32_e32 v2, 16, v2
	v_cvt_i32_f32_e32 v2, v2
	s_branch .LBB70_1422
.LBB70_1418:
	s_mov_b64 s[26:27], -1
                                        ; implicit-def: $vgpr2
	s_branch .LBB70_1423
.LBB70_1419:
	s_andn2_saveexec_b64 s[22:23], s[22:23]
	s_cbranch_execz .LBB70_1400
.LBB70_1420:
	v_cmp_ne_u16_e32 vcc, 0, v3
	s_andn2_b64 s[24:25], s[24:25], exec
	s_and_b64 s[26:27], vcc, exec
	s_or_b64 s[24:25], s[24:25], s[26:27]
	s_or_b64 exec, exec, s[22:23]
	v_mov_b32_e32 v2, 0
	s_and_saveexec_b64 s[22:23], s[24:25]
	s_cbranch_execnz .LBB70_1401
	s_branch .LBB70_1402
.LBB70_1421:
	s_mov_b64 s[0:1], -1
                                        ; implicit-def: $vgpr2
.LBB70_1422:
	s_mov_b64 s[26:27], 0
.LBB70_1423:
	s_and_b64 vcc, exec, s[26:27]
	s_cbranch_vccz .LBB70_1425
; %bb.1424:
	s_cmp_lg_u32 s15, 11
	s_mov_b64 s[22:23], -1
	s_cselect_b64 s[0:1], -1, 0
.LBB70_1425:
	s_and_b64 vcc, exec, s[0:1]
	s_cbranch_vccnz .LBB70_1504
; %bb.1426:
	s_andn2_b64 vcc, exec, s[22:23]
	s_cbranch_vccnz .LBB70_1428
.LBB70_1427:
	global_load_ubyte v2, v[0:1], off
	s_mov_b64 s[24:25], -1
	s_waitcnt vmcnt(0)
	v_cmp_ne_u16_e32 vcc, 0, v2
	v_cndmask_b32_e64 v2, 0, 1, vcc
.LBB70_1428:
	s_branch .LBB70_1360
.LBB70_1429:
	s_cmp_lt_i32 s15, 5
	s_cbranch_scc1 .LBB70_1434
; %bb.1430:
	s_cmp_lt_i32 s15, 8
	s_cbranch_scc1 .LBB70_1435
; %bb.1431:
	;; [unrolled: 3-line block ×3, first 2 shown]
	s_cmp_gt_i32 s15, 9
	s_cbranch_scc0 .LBB70_1437
; %bb.1433:
	global_load_dwordx2 v[2:3], v[0:1], off
	s_mov_b64 s[0:1], 0
	s_waitcnt vmcnt(0)
	v_cvt_i32_f64_e32 v2, v[2:3]
	s_branch .LBB70_1438
.LBB70_1434:
	s_mov_b64 s[0:1], -1
                                        ; implicit-def: $vgpr2
	s_branch .LBB70_1456
.LBB70_1435:
	s_mov_b64 s[0:1], -1
                                        ; implicit-def: $vgpr2
	s_branch .LBB70_1444
.LBB70_1436:
	s_mov_b64 s[0:1], -1
                                        ; implicit-def: $vgpr2
	s_branch .LBB70_1441
.LBB70_1437:
	s_mov_b64 s[0:1], -1
                                        ; implicit-def: $vgpr2
.LBB70_1438:
	s_andn2_b64 vcc, exec, s[0:1]
	s_cbranch_vccnz .LBB70_1440
; %bb.1439:
	global_load_dword v2, v[0:1], off
	s_waitcnt vmcnt(0)
	v_cvt_i32_f32_e32 v2, v2
.LBB70_1440:
	s_mov_b64 s[0:1], 0
.LBB70_1441:
	s_andn2_b64 vcc, exec, s[0:1]
	s_cbranch_vccnz .LBB70_1443
; %bb.1442:
	global_load_dword v2, v[0:1], off
	s_waitcnt vmcnt(0)
	v_cvt_i16_f16_e32 v2, v2
.LBB70_1443:
	s_mov_b64 s[0:1], 0
.LBB70_1444:
	s_andn2_b64 vcc, exec, s[0:1]
	s_cbranch_vccnz .LBB70_1455
; %bb.1445:
	s_cmp_lt_i32 s15, 6
	s_cbranch_scc1 .LBB70_1448
; %bb.1446:
	s_cmp_gt_i32 s15, 6
	s_cbranch_scc0 .LBB70_1449
; %bb.1447:
	global_load_dwordx2 v[2:3], v[0:1], off
	s_mov_b64 s[0:1], 0
	s_waitcnt vmcnt(0)
	v_cvt_i32_f64_e32 v2, v[2:3]
	s_branch .LBB70_1450
.LBB70_1448:
	s_mov_b64 s[0:1], -1
                                        ; implicit-def: $vgpr2
	s_branch .LBB70_1453
.LBB70_1449:
	s_mov_b64 s[0:1], -1
                                        ; implicit-def: $vgpr2
.LBB70_1450:
	s_andn2_b64 vcc, exec, s[0:1]
	s_cbranch_vccnz .LBB70_1452
; %bb.1451:
	global_load_dword v2, v[0:1], off
	s_waitcnt vmcnt(0)
	v_cvt_i32_f32_e32 v2, v2
.LBB70_1452:
	s_mov_b64 s[0:1], 0
.LBB70_1453:
	s_andn2_b64 vcc, exec, s[0:1]
	s_cbranch_vccnz .LBB70_1455
; %bb.1454:
	global_load_ushort v2, v[0:1], off
	s_waitcnt vmcnt(0)
	v_cvt_i16_f16_e32 v2, v2
.LBB70_1455:
	s_mov_b64 s[0:1], 0
.LBB70_1456:
	s_andn2_b64 vcc, exec, s[0:1]
	s_cbranch_vccnz .LBB70_1476
; %bb.1457:
	s_cmp_lt_i32 s15, 2
	s_cbranch_scc1 .LBB70_1461
; %bb.1458:
	s_cmp_lt_i32 s15, 3
	s_cbranch_scc1 .LBB70_1462
; %bb.1459:
	s_cmp_gt_i32 s15, 3
	s_cbranch_scc0 .LBB70_1463
; %bb.1460:
	global_load_dwordx2 v[2:3], v[0:1], off
	s_mov_b64 s[0:1], 0
	s_branch .LBB70_1464
.LBB70_1461:
	s_mov_b64 s[0:1], -1
                                        ; implicit-def: $vgpr2
	s_branch .LBB70_1470
.LBB70_1462:
	s_mov_b64 s[0:1], -1
                                        ; implicit-def: $vgpr2
	s_branch .LBB70_1467
.LBB70_1463:
	s_mov_b64 s[0:1], -1
                                        ; implicit-def: $vgpr2
.LBB70_1464:
	s_andn2_b64 vcc, exec, s[0:1]
	s_cbranch_vccnz .LBB70_1466
; %bb.1465:
	global_load_dword v2, v[0:1], off
.LBB70_1466:
	s_mov_b64 s[0:1], 0
.LBB70_1467:
	s_andn2_b64 vcc, exec, s[0:1]
	s_cbranch_vccnz .LBB70_1469
; %bb.1468:
	global_load_ushort v2, v[0:1], off
.LBB70_1469:
	s_mov_b64 s[0:1], 0
.LBB70_1470:
	s_andn2_b64 vcc, exec, s[0:1]
	s_cbranch_vccnz .LBB70_1476
; %bb.1471:
	s_cmp_gt_i32 s15, 0
	s_cbranch_scc0 .LBB70_1473
; %bb.1472:
	global_load_sbyte v2, v[0:1], off
	s_mov_b64 s[0:1], 0
	s_branch .LBB70_1474
.LBB70_1473:
	s_mov_b64 s[0:1], -1
                                        ; implicit-def: $vgpr2
.LBB70_1474:
	s_andn2_b64 vcc, exec, s[0:1]
	s_cbranch_vccnz .LBB70_1476
; %bb.1475:
	global_load_ubyte v2, v[0:1], off
.LBB70_1476:
.LBB70_1477:
	s_cmp_lt_i32 s14, 1
	s_mov_b64 s[0:1], 0
	s_cbranch_scc1 .LBB70_1481
; %bb.1478:
	s_cmp_gt_i32 s14, 1
	s_cbranch_scc0 .LBB70_1484
; %bb.1479:
	s_cmp_eq_u32 s14, 2
	s_cbranch_scc0 .LBB70_1485
; %bb.1480:
	s_waitcnt vmcnt(0)
	v_cmp_ge_i16_e64 s[24:25], s2, v2
	s_mov_b64 s[22:23], 0
	s_branch .LBB70_1486
.LBB70_1481:
                                        ; implicit-def: $sgpr24_sgpr25
	s_mov_b64 s[22:23], 0
	s_cbranch_execnz .LBB70_1490
.LBB70_1482:
	s_andn2_b64 vcc, exec, s[22:23]
	s_cbranch_vccnz .LBB70_1491
.LBB70_1483:
	s_waitcnt vmcnt(0)
	v_cmp_gt_i16_e32 vcc, s2, v2
	s_andn2_b64 s[22:23], s[24:25], exec
	s_and_b64 s[24:25], vcc, exec
	s_or_b64 s[24:25], s[22:23], s[24:25]
	s_cbranch_execz .LBB70_1492
	s_branch .LBB70_1493
.LBB70_1484:
	s_mov_b64 s[26:27], -1
	s_mov_b64 s[22:23], 0
                                        ; implicit-def: $sgpr24_sgpr25
	s_branch .LBB70_1487
.LBB70_1485:
	s_mov_b64 s[22:23], -1
                                        ; implicit-def: $sgpr24_sgpr25
.LBB70_1486:
	s_mov_b64 s[26:27], 0
.LBB70_1487:
	s_and_b64 vcc, exec, s[26:27]
	s_cbranch_vccz .LBB70_1489
; %bb.1488:
	s_waitcnt vmcnt(0)
	v_cmp_lt_i16_e32 vcc, s2, v2
	s_andn2_b64 s[24:25], s[24:25], exec
	s_and_b64 s[26:27], vcc, exec
	s_or_b64 s[24:25], s[24:25], s[26:27]
.LBB70_1489:
	s_branch .LBB70_1482
.LBB70_1490:
	s_cmp_lg_u32 s14, 0
	s_mov_b64 s[0:1], -1
	s_cselect_b64 s[22:23], -1, 0
	s_andn2_b64 vcc, exec, s[22:23]
	s_cbranch_vccz .LBB70_1483
.LBB70_1491:
	s_andn2_b64 vcc, exec, s[0:1]
	s_cbranch_vccnz .LBB70_1493
.LBB70_1492:
	s_waitcnt vmcnt(0)
	v_cmp_le_i16_e32 vcc, s2, v2
	s_andn2_b64 s[0:1], s[24:25], exec
	s_and_b64 s[22:23], vcc, exec
	s_or_b64 s[24:25], s[0:1], s[22:23]
.LBB70_1493:
	v_add_u32_e32 v0, s13, v5
	v_ashrrev_i32_e32 v1, 31, v0
	s_waitcnt vmcnt(0)
	v_mov_b32_e32 v2, s11
	v_add_co_u32_e32 v0, vcc, s10, v0
	s_cmp_lt_i32 s15, 11
	v_addc_co_u32_e32 v1, vcc, v2, v1, vcc
	s_cbranch_scc1 .LBB70_1500
; %bb.1494:
	s_cmp_gt_i32 s15, 25
	s_mov_b64 s[10:11], 0
	s_cbranch_scc0 .LBB70_1501
; %bb.1495:
	s_cmp_gt_i32 s15, 28
	s_cbranch_scc0 .LBB70_1502
; %bb.1496:
	s_cmp_gt_i32 s15, 43
	;; [unrolled: 3-line block ×3, first 2 shown]
	s_cbranch_scc0 .LBB70_1505
; %bb.1498:
	s_cmp_eq_u32 s15, 46
	s_mov_b64 s[26:27], 0
	s_cbranch_scc0 .LBB70_1506
; %bb.1499:
	global_load_dword v2, v[0:1], off
	s_mov_b64 s[0:1], 0
	s_mov_b64 s[22:23], -1
	s_waitcnt vmcnt(0)
	v_lshlrev_b32_e32 v2, 16, v2
	v_cvt_i32_f32_e32 v2, v2
	s_branch .LBB70_1507
.LBB70_1500:
	s_mov_b64 s[0:1], -1
	s_mov_b64 s[22:23], 0
                                        ; implicit-def: $vgpr2
	s_branch .LBB70_1569
.LBB70_1501:
	s_mov_b64 s[26:27], -1
	s_mov_b64 s[22:23], 0
	s_mov_b64 s[0:1], 0
                                        ; implicit-def: $vgpr2
	s_branch .LBB70_1534
.LBB70_1502:
	s_mov_b64 s[26:27], -1
	s_mov_b64 s[22:23], 0
	s_mov_b64 s[0:1], 0
                                        ; implicit-def: $vgpr2
	s_branch .LBB70_1517
.LBB70_1503:
	s_mov_b64 s[26:27], -1
	s_mov_b64 s[22:23], 0
	s_mov_b64 s[0:1], 0
                                        ; implicit-def: $vgpr2
	s_branch .LBB70_1512
.LBB70_1504:
	s_trap 2
	s_or_b64 s[18:19], s[18:19], exec
	s_cbranch_execz .LBB70_1427
	s_branch .LBB70_1428
.LBB70_1505:
	s_mov_b64 s[26:27], -1
	s_mov_b64 s[22:23], 0
	s_mov_b64 s[0:1], 0
                                        ; implicit-def: $vgpr2
	s_branch .LBB70_1507
.LBB70_1506:
	s_mov_b64 s[0:1], -1
                                        ; implicit-def: $vgpr2
	s_mov_b64 s[22:23], 0
.LBB70_1507:
	s_and_b64 vcc, exec, s[26:27]
	s_cbranch_vccz .LBB70_1511
; %bb.1508:
	s_cmp_eq_u32 s15, 44
	s_cbranch_scc0 .LBB70_1510
; %bb.1509:
	global_load_ubyte v2, v[0:1], off
	s_mov_b64 s[0:1], 0
	s_mov_b64 s[22:23], -1
	s_waitcnt vmcnt(0)
	v_lshlrev_b32_e32 v3, 23, v2
	v_cvt_i32_f32_e32 v3, v3
	v_cmp_ne_u32_e32 vcc, 0, v2
	v_cndmask_b32_e32 v2, 0, v3, vcc
	s_branch .LBB70_1511
.LBB70_1510:
	s_mov_b64 s[0:1], -1
                                        ; implicit-def: $vgpr2
.LBB70_1511:
	s_mov_b64 s[26:27], 0
.LBB70_1512:
	s_and_b64 vcc, exec, s[26:27]
	s_cbranch_vccz .LBB70_1516
; %bb.1513:
	s_cmp_eq_u32 s15, 29
	s_cbranch_scc0 .LBB70_1515
; %bb.1514:
	global_load_dwordx2 v[2:3], v[0:1], off
	s_mov_b64 s[0:1], 0
	s_mov_b64 s[22:23], -1
	s_branch .LBB70_1516
.LBB70_1515:
	s_mov_b64 s[0:1], -1
                                        ; implicit-def: $vgpr2
.LBB70_1516:
	s_mov_b64 s[26:27], 0
.LBB70_1517:
	s_and_b64 vcc, exec, s[26:27]
	s_cbranch_vccz .LBB70_1533
; %bb.1518:
	s_cmp_lt_i32 s15, 27
	s_cbranch_scc1 .LBB70_1521
; %bb.1519:
	s_cmp_gt_i32 s15, 27
	s_cbranch_scc0 .LBB70_1522
; %bb.1520:
	global_load_dword v2, v[0:1], off
	s_mov_b64 s[22:23], 0
	s_branch .LBB70_1523
.LBB70_1521:
	s_mov_b64 s[22:23], -1
                                        ; implicit-def: $vgpr2
	s_branch .LBB70_1526
.LBB70_1522:
	s_mov_b64 s[22:23], -1
                                        ; implicit-def: $vgpr2
.LBB70_1523:
	s_andn2_b64 vcc, exec, s[22:23]
	s_cbranch_vccnz .LBB70_1525
; %bb.1524:
	global_load_ushort v2, v[0:1], off
.LBB70_1525:
	s_mov_b64 s[22:23], 0
.LBB70_1526:
	s_andn2_b64 vcc, exec, s[22:23]
	s_cbranch_vccnz .LBB70_1532
; %bb.1527:
	global_load_ubyte v3, v[0:1], off
	s_movk_i32 s13, 0x7f
	s_mov_b64 s[26:27], 0
	s_waitcnt vmcnt(0)
	v_cmp_lt_i16_e32 vcc, s13, v3
	s_and_saveexec_b64 s[22:23], vcc
	s_xor_b64 s[22:23], exec, s[22:23]
	s_cbranch_execz .LBB70_1544
; %bb.1528:
	s_movk_i32 s13, 0x80
	v_cmp_ne_u16_e32 vcc, s13, v3
	s_and_b64 s[26:27], vcc, exec
	s_andn2_saveexec_b64 s[22:23], s[22:23]
	s_cbranch_execnz .LBB70_1545
.LBB70_1529:
	s_or_b64 exec, exec, s[22:23]
	v_mov_b32_e32 v2, 0
	s_and_saveexec_b64 s[22:23], s[26:27]
	s_cbranch_execz .LBB70_1531
.LBB70_1530:
	v_lshlrev_b32_e32 v2, 24, v3
	v_and_b32_e32 v3, 0xffff, v3
	v_and_b32_e32 v5, 7, v3
	v_ffbh_u32_e32 v7, v5
	v_min_u32_e32 v7, 32, v7
	v_subrev_u32_e32 v8, 28, v7
	v_bfe_u32 v6, v3, 3, 4
	v_lshlrev_b32_e32 v3, v8, v3
	v_sub_u32_e32 v7, 29, v7
	v_and_b32_e32 v3, 7, v3
	v_cmp_eq_u32_e32 vcc, 0, v6
	v_cndmask_b32_e32 v6, v6, v7, vcc
	v_cndmask_b32_e32 v3, v5, v3, vcc
	v_mov_b32_e32 v5, 0x3b800000
	v_lshlrev_b32_e32 v3, 20, v3
	v_and_b32_e32 v2, 0x80000000, v2
	v_lshl_add_u32 v5, v6, 23, v5
	v_or3_b32 v2, v2, v5, v3
	v_cvt_i32_f32_e32 v2, v2
.LBB70_1531:
	s_or_b64 exec, exec, s[22:23]
.LBB70_1532:
	s_mov_b64 s[22:23], -1
.LBB70_1533:
	s_mov_b64 s[26:27], 0
.LBB70_1534:
	s_and_b64 vcc, exec, s[26:27]
	s_cbranch_vccz .LBB70_1565
; %bb.1535:
	s_cmp_gt_i32 s15, 22
	s_cbranch_scc0 .LBB70_1543
; %bb.1536:
	s_cmp_lt_i32 s15, 24
	s_cbranch_scc1 .LBB70_1546
; %bb.1537:
	s_cmp_gt_i32 s15, 24
	s_cbranch_scc0 .LBB70_1547
; %bb.1538:
	global_load_ubyte v3, v[0:1], off
	s_movk_i32 s10, 0x7f
	s_mov_b64 s[22:23], 0
	s_waitcnt vmcnt(0)
	v_cmp_lt_i16_e32 vcc, s10, v3
	s_and_saveexec_b64 s[10:11], vcc
	s_xor_b64 s[10:11], exec, s[10:11]
	s_cbranch_execz .LBB70_1559
; %bb.1539:
	s_movk_i32 s13, 0x80
	v_cmp_ne_u16_e32 vcc, s13, v3
	s_and_b64 s[22:23], vcc, exec
	s_andn2_saveexec_b64 s[10:11], s[10:11]
	s_cbranch_execnz .LBB70_1560
.LBB70_1540:
	s_or_b64 exec, exec, s[10:11]
	v_mov_b32_e32 v2, 0
	s_and_saveexec_b64 s[10:11], s[22:23]
	s_cbranch_execz .LBB70_1542
.LBB70_1541:
	v_lshlrev_b32_e32 v2, 24, v3
	v_and_b32_e32 v3, 0xffff, v3
	v_and_b32_e32 v5, 3, v3
	v_ffbh_u32_e32 v7, v5
	v_min_u32_e32 v7, 32, v7
	v_subrev_u32_e32 v8, 29, v7
	v_bfe_u32 v6, v3, 2, 5
	v_lshlrev_b32_e32 v3, v8, v3
	v_sub_u32_e32 v7, 30, v7
	v_and_b32_e32 v3, 3, v3
	v_cmp_eq_u32_e32 vcc, 0, v6
	v_cndmask_b32_e32 v6, v6, v7, vcc
	v_cndmask_b32_e32 v3, v5, v3, vcc
	v_mov_b32_e32 v5, 0x37800000
	v_lshlrev_b32_e32 v3, 21, v3
	v_and_b32_e32 v2, 0x80000000, v2
	v_lshl_add_u32 v5, v6, 23, v5
	v_or3_b32 v2, v2, v5, v3
	v_cvt_i32_f32_e32 v2, v2
.LBB70_1542:
	s_or_b64 exec, exec, s[10:11]
	s_mov_b64 s[10:11], 0
	s_branch .LBB70_1548
.LBB70_1543:
	s_mov_b64 s[10:11], -1
                                        ; implicit-def: $vgpr2
	s_branch .LBB70_1554
.LBB70_1544:
	s_andn2_saveexec_b64 s[22:23], s[22:23]
	s_cbranch_execz .LBB70_1529
.LBB70_1545:
	v_cmp_ne_u16_e32 vcc, 0, v3
	s_andn2_b64 s[26:27], s[26:27], exec
	s_and_b64 s[28:29], vcc, exec
	s_or_b64 s[26:27], s[26:27], s[28:29]
	s_or_b64 exec, exec, s[22:23]
	v_mov_b32_e32 v2, 0
	s_and_saveexec_b64 s[22:23], s[26:27]
	s_cbranch_execnz .LBB70_1530
	s_branch .LBB70_1531
.LBB70_1546:
	s_mov_b64 s[10:11], -1
                                        ; implicit-def: $vgpr2
	s_branch .LBB70_1551
.LBB70_1547:
	s_mov_b64 s[10:11], -1
                                        ; implicit-def: $vgpr2
.LBB70_1548:
	s_and_b64 vcc, exec, s[10:11]
	s_cbranch_vccz .LBB70_1550
; %bb.1549:
	global_load_ubyte v2, v[0:1], off
	s_mov_b32 s10, 0x7f800000
	s_waitcnt vmcnt(0)
	v_lshlrev_b32_e32 v2, 24, v2
	v_and_b32_e32 v3, 0x7f000000, v2
	v_ffbh_u32_e32 v5, v3
	v_min_u32_e32 v5, 32, v5
	v_sub_u32_e64 v5, v5, 4 clamp
	v_lshlrev_b32_e32 v7, v5, v3
	v_lshlrev_b32_e32 v5, 23, v5
	v_lshrrev_b32_e32 v7, 4, v7
	v_add_u32_e32 v6, 0x1000000, v3
	v_sub_u32_e32 v5, v7, v5
	v_ashrrev_i32_e32 v6, 8, v6
	v_add_u32_e32 v5, 0x3c000000, v5
	v_and_or_b32 v5, v6, s10, v5
	v_cmp_ne_u32_e32 vcc, 0, v3
	v_cndmask_b32_e32 v3, 0, v5, vcc
	s_brev_b32 s10, 1
	v_and_or_b32 v2, v2, s10, v3
	v_cvt_i32_f32_e32 v2, v2
.LBB70_1550:
	s_mov_b64 s[10:11], 0
.LBB70_1551:
	s_andn2_b64 vcc, exec, s[10:11]
	s_cbranch_vccnz .LBB70_1553
; %bb.1552:
	global_load_ubyte v2, v[0:1], off
	s_movk_i32 s10, 0x7f00
	s_brev_b32 s11, 16
	s_waitcnt vmcnt(0)
	v_lshlrev_b16_e32 v3, 8, v2
	v_lshlrev_b32_e32 v2, 25, v2
	v_lshrrev_b32_e32 v5, 4, v2
	v_and_or_b32 v6, v3, s10, 0.5
	v_or_b32_e32 v5, 0x70000000, v5
	v_add_f32_e32 v6, -0.5, v6
	v_mul_f32_e32 v5, 0x7800000, v5
	v_cmp_gt_u32_e32 vcc, s11, v2
	v_bfe_i32 v3, v3, 0, 16
	v_cndmask_b32_e32 v2, v5, v6, vcc
	s_brev_b32 s10, 1
	v_and_or_b32 v2, v3, s10, v2
	v_cvt_i32_f32_e32 v2, v2
.LBB70_1553:
	s_mov_b64 s[10:11], 0
	s_mov_b64 s[22:23], -1
.LBB70_1554:
	s_andn2_b64 vcc, exec, s[10:11]
	s_mov_b64 s[10:11], 0
	s_cbranch_vccnz .LBB70_1565
; %bb.1555:
	s_cmp_gt_i32 s15, 14
	s_cbranch_scc0 .LBB70_1558
; %bb.1556:
	s_cmp_eq_u32 s15, 15
	s_cbranch_scc0 .LBB70_1561
; %bb.1557:
	global_load_ushort v2, v[0:1], off
	s_mov_b64 s[0:1], 0
	s_mov_b64 s[22:23], -1
	s_waitcnt vmcnt(0)
	v_lshlrev_b32_e32 v2, 16, v2
	v_cvt_i32_f32_e32 v2, v2
	s_branch .LBB70_1562
.LBB70_1558:
	s_mov_b64 s[26:27], -1
                                        ; implicit-def: $vgpr2
	s_branch .LBB70_1563
.LBB70_1559:
	s_andn2_saveexec_b64 s[10:11], s[10:11]
	s_cbranch_execz .LBB70_1540
.LBB70_1560:
	v_cmp_ne_u16_e32 vcc, 0, v3
	s_andn2_b64 s[22:23], s[22:23], exec
	s_and_b64 s[26:27], vcc, exec
	s_or_b64 s[22:23], s[22:23], s[26:27]
	s_or_b64 exec, exec, s[10:11]
	v_mov_b32_e32 v2, 0
	s_and_saveexec_b64 s[10:11], s[22:23]
	s_cbranch_execnz .LBB70_1541
	s_branch .LBB70_1542
.LBB70_1561:
	s_mov_b64 s[0:1], -1
                                        ; implicit-def: $vgpr2
.LBB70_1562:
	s_mov_b64 s[26:27], 0
.LBB70_1563:
	s_and_b64 vcc, exec, s[26:27]
	s_cbranch_vccz .LBB70_1565
; %bb.1564:
	s_cmp_lg_u32 s15, 11
	s_mov_b64 s[10:11], -1
	s_cselect_b64 s[0:1], -1, 0
.LBB70_1565:
	s_and_b64 vcc, exec, s[0:1]
	s_cbranch_vccnz .LBB70_2117
; %bb.1566:
	s_andn2_b64 vcc, exec, s[10:11]
	s_cbranch_vccnz .LBB70_1568
.LBB70_1567:
	global_load_ubyte v2, v[0:1], off
	s_mov_b64 s[22:23], -1
	s_waitcnt vmcnt(0)
	v_cmp_ne_u16_e32 vcc, 0, v2
	v_cndmask_b32_e64 v2, 0, 1, vcc
.LBB70_1568:
	s_mov_b64 s[0:1], 0
.LBB70_1569:
	s_and_b64 vcc, exec, s[0:1]
	s_cbranch_vccz .LBB70_1618
; %bb.1570:
	s_cmp_lt_i32 s15, 5
	s_cbranch_scc1 .LBB70_1575
; %bb.1571:
	s_cmp_lt_i32 s15, 8
	s_cbranch_scc1 .LBB70_1576
	;; [unrolled: 3-line block ×3, first 2 shown]
; %bb.1573:
	s_cmp_gt_i32 s15, 9
	s_cbranch_scc0 .LBB70_1578
; %bb.1574:
	global_load_dwordx2 v[2:3], v[0:1], off
	s_mov_b64 s[0:1], 0
	s_waitcnt vmcnt(0)
	v_cvt_i32_f64_e32 v2, v[2:3]
	s_branch .LBB70_1579
.LBB70_1575:
	s_mov_b64 s[0:1], -1
                                        ; implicit-def: $vgpr2
	s_branch .LBB70_1597
.LBB70_1576:
	s_mov_b64 s[0:1], -1
                                        ; implicit-def: $vgpr2
	s_branch .LBB70_1585
.LBB70_1577:
	s_mov_b64 s[0:1], -1
                                        ; implicit-def: $vgpr2
	s_branch .LBB70_1582
.LBB70_1578:
	s_mov_b64 s[0:1], -1
                                        ; implicit-def: $vgpr2
.LBB70_1579:
	s_andn2_b64 vcc, exec, s[0:1]
	s_cbranch_vccnz .LBB70_1581
; %bb.1580:
	global_load_dword v2, v[0:1], off
	s_waitcnt vmcnt(0)
	v_cvt_i32_f32_e32 v2, v2
.LBB70_1581:
	s_mov_b64 s[0:1], 0
.LBB70_1582:
	s_andn2_b64 vcc, exec, s[0:1]
	s_cbranch_vccnz .LBB70_1584
; %bb.1583:
	global_load_dword v2, v[0:1], off
	s_waitcnt vmcnt(0)
	v_cvt_i16_f16_e32 v2, v2
.LBB70_1584:
	s_mov_b64 s[0:1], 0
.LBB70_1585:
	s_andn2_b64 vcc, exec, s[0:1]
	s_cbranch_vccnz .LBB70_1596
; %bb.1586:
	s_cmp_lt_i32 s15, 6
	s_cbranch_scc1 .LBB70_1589
; %bb.1587:
	s_cmp_gt_i32 s15, 6
	s_cbranch_scc0 .LBB70_1590
; %bb.1588:
	global_load_dwordx2 v[2:3], v[0:1], off
	s_mov_b64 s[0:1], 0
	s_waitcnt vmcnt(0)
	v_cvt_i32_f64_e32 v2, v[2:3]
	s_branch .LBB70_1591
.LBB70_1589:
	s_mov_b64 s[0:1], -1
                                        ; implicit-def: $vgpr2
	s_branch .LBB70_1594
.LBB70_1590:
	s_mov_b64 s[0:1], -1
                                        ; implicit-def: $vgpr2
.LBB70_1591:
	s_andn2_b64 vcc, exec, s[0:1]
	s_cbranch_vccnz .LBB70_1593
; %bb.1592:
	global_load_dword v2, v[0:1], off
	s_waitcnt vmcnt(0)
	v_cvt_i32_f32_e32 v2, v2
.LBB70_1593:
	s_mov_b64 s[0:1], 0
.LBB70_1594:
	s_andn2_b64 vcc, exec, s[0:1]
	s_cbranch_vccnz .LBB70_1596
; %bb.1595:
	global_load_ushort v2, v[0:1], off
	s_waitcnt vmcnt(0)
	v_cvt_i16_f16_e32 v2, v2
.LBB70_1596:
	s_mov_b64 s[0:1], 0
.LBB70_1597:
	s_andn2_b64 vcc, exec, s[0:1]
	s_cbranch_vccnz .LBB70_1617
; %bb.1598:
	s_cmp_lt_i32 s15, 2
	s_cbranch_scc1 .LBB70_1602
; %bb.1599:
	s_cmp_lt_i32 s15, 3
	s_cbranch_scc1 .LBB70_1603
; %bb.1600:
	s_cmp_gt_i32 s15, 3
	s_cbranch_scc0 .LBB70_1604
; %bb.1601:
	global_load_dwordx2 v[2:3], v[0:1], off
	s_mov_b64 s[0:1], 0
	s_branch .LBB70_1605
.LBB70_1602:
	s_mov_b64 s[0:1], -1
                                        ; implicit-def: $vgpr2
	s_branch .LBB70_1611
.LBB70_1603:
	s_mov_b64 s[0:1], -1
                                        ; implicit-def: $vgpr2
	s_branch .LBB70_1608
.LBB70_1604:
	s_mov_b64 s[0:1], -1
                                        ; implicit-def: $vgpr2
.LBB70_1605:
	s_andn2_b64 vcc, exec, s[0:1]
	s_cbranch_vccnz .LBB70_1607
; %bb.1606:
	global_load_dword v2, v[0:1], off
.LBB70_1607:
	s_mov_b64 s[0:1], 0
.LBB70_1608:
	s_andn2_b64 vcc, exec, s[0:1]
	s_cbranch_vccnz .LBB70_1610
; %bb.1609:
	global_load_ushort v2, v[0:1], off
.LBB70_1610:
	s_mov_b64 s[0:1], 0
.LBB70_1611:
	s_andn2_b64 vcc, exec, s[0:1]
	s_cbranch_vccnz .LBB70_1617
; %bb.1612:
	s_cmp_gt_i32 s15, 0
	s_cbranch_scc0 .LBB70_1614
; %bb.1613:
	global_load_sbyte v2, v[0:1], off
	s_mov_b64 s[0:1], 0
	s_branch .LBB70_1615
.LBB70_1614:
	s_mov_b64 s[0:1], -1
                                        ; implicit-def: $vgpr2
.LBB70_1615:
	s_andn2_b64 vcc, exec, s[0:1]
	s_cbranch_vccnz .LBB70_1617
; %bb.1616:
	global_load_ubyte v2, v[0:1], off
.LBB70_1617:
	s_mov_b64 s[22:23], -1
.LBB70_1618:
	s_andn2_b64 vcc, exec, s[22:23]
	s_cbranch_vccnz .LBB70_1623
; %bb.1619:
	s_cmp_lt_i32 s14, 1
	s_mov_b64 s[0:1], 0
	s_cbranch_scc1 .LBB70_1669
; %bb.1620:
	s_cmp_gt_i32 s14, 1
	s_cbranch_scc0 .LBB70_1670
; %bb.1621:
	s_cmp_eq_u32 s14, 2
	s_cbranch_scc0 .LBB70_1671
; %bb.1622:
	s_waitcnt vmcnt(0)
	v_cmp_ge_i16_e64 s[22:23], s2, v2
	s_mov_b64 s[10:11], 0
	s_branch .LBB70_1672
.LBB70_1623:
	s_mov_b64 s[0:1], 0
                                        ; implicit-def: $sgpr22_sgpr23
.LBB70_1624:
	s_mov_b64 s[2:3], 0
                                        ; implicit-def: $sgpr28
                                        ; implicit-def: $vgpr0_vgpr1
.LBB70_1625:
	s_and_b64 s[4:5], s[2:3], exec
	s_andn2_b64 s[2:3], s[16:17], exec
	s_and_b64 s[8:9], s[18:19], exec
	s_and_b64 s[0:1], s[0:1], exec
	s_or_b64 s[16:17], s[2:3], s[8:9]
.LBB70_1626:
	s_or_b64 exec, exec, s[6:7]
	s_and_saveexec_b64 s[2:3], s[16:17]
	s_cbranch_execz .LBB70_1629
; %bb.1627:
	; divergent unreachable
	s_or_b64 exec, exec, s[2:3]
	s_and_saveexec_b64 s[2:3], s[4:5]
	s_xor_b64 s[2:3], exec, s[2:3]
	s_cbranch_execnz .LBB70_1630
.LBB70_1628:
	s_or_b64 exec, exec, s[2:3]
	s_and_saveexec_b64 s[2:3], s[0:1]
	s_cbranch_execnz .LBB70_1631
	s_branch .LBB70_1668
.LBB70_1629:
	s_or_b64 exec, exec, s[2:3]
	s_and_saveexec_b64 s[2:3], s[4:5]
	s_xor_b64 s[2:3], exec, s[2:3]
	s_cbranch_execz .LBB70_1628
.LBB70_1630:
	s_waitcnt vmcnt(0)
	v_cndmask_b32_e64 v2, 0, 1, s[22:23]
	global_store_byte v[0:1], v2, off
	s_or_b64 exec, exec, s[2:3]
	s_and_saveexec_b64 s[2:3], s[0:1]
	s_cbranch_execz .LBB70_1668
.LBB70_1631:
	s_sext_i32_i16 s2, s28
	s_cmp_lt_i32 s2, 5
	s_mov_b64 s[0:1], -1
	s_cbranch_scc1 .LBB70_1652
; %bb.1632:
	s_cmp_lt_i32 s2, 8
	s_cbranch_scc1 .LBB70_1642
; %bb.1633:
	s_cmp_lt_i32 s2, 9
	s_cbranch_scc1 .LBB70_1639
; %bb.1634:
	s_cmp_gt_i32 s2, 9
	s_cbranch_scc0 .LBB70_1636
; %bb.1635:
	s_waitcnt vmcnt(0)
	v_cndmask_b32_e64 v2, 0, 1, s[22:23]
	v_cvt_f64_u32_e32 v[2:3], v2
	v_mov_b32_e32 v4, 0
	v_mov_b32_e32 v5, v4
	s_mov_b64 s[0:1], 0
	global_store_dwordx4 v[0:1], v[2:5], off
.LBB70_1636:
	s_andn2_b64 vcc, exec, s[0:1]
	s_cbranch_vccnz .LBB70_1638
; %bb.1637:
	s_waitcnt vmcnt(0)
	v_cndmask_b32_e64 v2, 0, 1.0, s[22:23]
	v_mov_b32_e32 v3, 0
	global_store_dwordx2 v[0:1], v[2:3], off
.LBB70_1638:
	s_mov_b64 s[0:1], 0
.LBB70_1639:
	s_andn2_b64 vcc, exec, s[0:1]
	s_cbranch_vccnz .LBB70_1641
; %bb.1640:
	s_waitcnt vmcnt(0)
	v_cndmask_b32_e64 v2, 0, 1.0, s[22:23]
	v_cvt_f16_f32_e32 v2, v2
	global_store_dword v[0:1], v2, off
.LBB70_1641:
	s_mov_b64 s[0:1], 0
.LBB70_1642:
	s_andn2_b64 vcc, exec, s[0:1]
	s_cbranch_vccnz .LBB70_1651
; %bb.1643:
	s_sext_i32_i16 s2, s28
	s_cmp_lt_i32 s2, 6
	s_mov_b64 s[0:1], -1
	s_cbranch_scc1 .LBB70_1649
; %bb.1644:
	s_cmp_gt_i32 s2, 6
	s_cbranch_scc0 .LBB70_1646
; %bb.1645:
	s_waitcnt vmcnt(0)
	v_cndmask_b32_e64 v2, 0, 1, s[22:23]
	v_cvt_f64_u32_e32 v[2:3], v2
	s_mov_b64 s[0:1], 0
	global_store_dwordx2 v[0:1], v[2:3], off
.LBB70_1646:
	s_andn2_b64 vcc, exec, s[0:1]
	s_cbranch_vccnz .LBB70_1648
; %bb.1647:
	s_waitcnt vmcnt(0)
	v_cndmask_b32_e64 v2, 0, 1.0, s[22:23]
	global_store_dword v[0:1], v2, off
.LBB70_1648:
	s_mov_b64 s[0:1], 0
.LBB70_1649:
	s_andn2_b64 vcc, exec, s[0:1]
	s_cbranch_vccnz .LBB70_1651
; %bb.1650:
	s_waitcnt vmcnt(0)
	v_cndmask_b32_e64 v2, 0, 1.0, s[22:23]
	v_cvt_f16_f32_e32 v2, v2
	global_store_short v[0:1], v2, off
.LBB70_1651:
	s_mov_b64 s[0:1], 0
.LBB70_1652:
	s_andn2_b64 vcc, exec, s[0:1]
	s_cbranch_vccnz .LBB70_1668
; %bb.1653:
	s_sext_i32_i16 s2, s28
	s_cmp_lt_i32 s2, 2
	s_mov_b64 s[0:1], -1
	s_cbranch_scc1 .LBB70_1663
; %bb.1654:
	s_cmp_lt_i32 s2, 3
	s_cbranch_scc1 .LBB70_1660
; %bb.1655:
	s_cmp_gt_i32 s2, 3
	s_cbranch_scc0 .LBB70_1657
; %bb.1656:
	s_mov_b32 s0, 0
	s_waitcnt vmcnt(0)
	v_cndmask_b32_e64 v2, 0, 1, s[22:23]
	v_mov_b32_e32 v3, s0
	global_store_dwordx2 v[0:1], v[2:3], off
	s_mov_b64 s[0:1], 0
.LBB70_1657:
	s_andn2_b64 vcc, exec, s[0:1]
	s_cbranch_vccnz .LBB70_1659
; %bb.1658:
	s_waitcnt vmcnt(0)
	v_cndmask_b32_e64 v2, 0, 1, s[22:23]
	global_store_dword v[0:1], v2, off
.LBB70_1659:
	s_mov_b64 s[0:1], 0
.LBB70_1660:
	s_andn2_b64 vcc, exec, s[0:1]
	s_cbranch_vccnz .LBB70_1662
; %bb.1661:
	s_waitcnt vmcnt(0)
	v_cndmask_b32_e64 v2, 0, 1, s[22:23]
	global_store_short v[0:1], v2, off
.LBB70_1662:
	s_mov_b64 s[0:1], 0
.LBB70_1663:
	s_andn2_b64 vcc, exec, s[0:1]
	s_cbranch_vccnz .LBB70_1668
; %bb.1664:
	s_sext_i32_i16 s2, s28
	s_mov_b64 s[0:1], -1
	s_cmp_gt_i32 s2, 0
	s_waitcnt vmcnt(0)
	v_cndmask_b32_e64 v2, 0, 1, s[22:23]
	s_cbranch_scc0 .LBB70_1666
; %bb.1665:
	global_store_byte v[0:1], v2, off
	s_mov_b64 s[0:1], 0
.LBB70_1666:
	s_andn2_b64 vcc, exec, s[0:1]
	s_cbranch_vccnz .LBB70_1668
; %bb.1667:
	global_store_byte v[0:1], v2, off
	s_endpgm
.LBB70_1668:
	s_endpgm
.LBB70_1669:
	s_mov_b64 s[26:27], -1
                                        ; implicit-def: $sgpr22_sgpr23
	s_mov_b64 s[10:11], 0
	s_branch .LBB70_1676
.LBB70_1670:
	s_mov_b64 s[26:27], -1
	s_mov_b64 s[10:11], 0
                                        ; implicit-def: $sgpr22_sgpr23
	s_branch .LBB70_1673
.LBB70_1671:
	s_mov_b64 s[10:11], -1
                                        ; implicit-def: $sgpr22_sgpr23
.LBB70_1672:
	s_mov_b64 s[26:27], 0
.LBB70_1673:
	s_and_b64 vcc, exec, s[26:27]
	s_cbranch_vccz .LBB70_1675
; %bb.1674:
	s_waitcnt vmcnt(0)
	v_cmp_lt_i16_e32 vcc, s2, v2
	s_andn2_b64 s[22:23], s[22:23], exec
	s_and_b64 s[26:27], vcc, exec
	s_or_b64 s[22:23], s[22:23], s[26:27]
.LBB70_1675:
	s_mov_b64 s[26:27], 0
.LBB70_1676:
	s_and_b64 vcc, exec, s[26:27]
	s_cbranch_vccz .LBB70_1758
; %bb.1677:
	s_cmp_lg_u32 s14, 0
	s_mov_b64 s[0:1], -1
	s_cselect_b64 s[10:11], -1, 0
	s_andn2_b64 vcc, exec, s[10:11]
	s_cbranch_vccz .LBB70_1759
.LBB70_1678:
	s_andn2_b64 vcc, exec, s[0:1]
	s_cbranch_vccnz .LBB70_1680
.LBB70_1679:
	s_waitcnt vmcnt(0)
	v_cmp_le_i16_e32 vcc, s2, v2
	s_andn2_b64 s[0:1], s[22:23], exec
	s_and_b64 s[10:11], vcc, exec
	s_or_b64 s[22:23], s[0:1], s[10:11]
.LBB70_1680:
	s_waitcnt vmcnt(0)
	v_mul_lo_u32 v2, s12, v4
	v_mov_b32_e32 v1, s9
	s_and_b32 s28, s3, 0xff
	s_cmp_lt_i32 s28, 11
	v_ashrrev_i32_e32 v3, 31, v2
	v_add_co_u32_e32 v0, vcc, s8, v2
	v_addc_co_u32_e32 v1, vcc, v1, v3, vcc
	s_cbranch_scc1 .LBB70_1760
; %bb.1681:
	s_and_b32 s13, 0xffff, s28
	s_mov_b64 s[14:15], -1
	s_mov_b64 s[2:3], 0
	s_cmp_gt_i32 s13, 25
	s_mov_b64 s[10:11], 0
	s_mov_b64 s[0:1], 0
	s_cbranch_scc0 .LBB70_1714
; %bb.1682:
	s_cmp_gt_i32 s13, 28
	s_cbranch_scc0 .LBB70_1697
; %bb.1683:
	s_cmp_gt_i32 s13, 43
	;; [unrolled: 3-line block ×3, first 2 shown]
	s_cbranch_scc0 .LBB70_1687
; %bb.1685:
	s_mov_b64 s[0:1], -1
	s_mov_b64 s[14:15], 0
	s_cmp_eq_u32 s13, 46
	s_cbranch_scc0 .LBB70_1687
; %bb.1686:
	v_cndmask_b32_e64 v3, 0, 1.0, s[4:5]
	v_bfe_u32 v4, v3, 16, 1
	s_movk_i32 s0, 0x7fff
	v_add3_u32 v3, v3, v4, s0
	v_lshrrev_b32_e32 v3, 16, v3
	global_store_dword v[0:1], v3, off
	s_mov_b64 s[0:1], 0
	s_mov_b64 s[10:11], -1
.LBB70_1687:
	s_and_b64 vcc, exec, s[14:15]
	s_cbranch_vccz .LBB70_1692
; %bb.1688:
	s_cmp_eq_u32 s13, 44
	s_mov_b64 s[0:1], -1
	s_cbranch_scc0 .LBB70_1692
; %bb.1689:
	v_cndmask_b32_e64 v4, 0, 1.0, s[4:5]
	v_lshrrev_b32_e32 v3, 23, v4
	s_movk_i32 s0, 0xff
	v_cmp_ne_u32_e32 vcc, s0, v3
	v_mov_b32_e32 v5, 0xff
	s_and_saveexec_b64 s[10:11], vcc
; %bb.1690:
	s_mov_b32 s0, 0x3fffff
	v_and_b32_e32 v5, 0x400000, v4
	v_and_or_b32 v4, v4, s0, v3
	v_cmp_ne_u32_e32 vcc, 0, v5
	v_cmp_ne_u32_e64 s[0:1], 0, v4
	s_and_b64 s[0:1], vcc, s[0:1]
	v_cndmask_b32_e64 v4, 0, 1, s[0:1]
	v_add_u32_e32 v5, v3, v4
; %bb.1691:
	s_or_b64 exec, exec, s[10:11]
	s_mov_b64 s[0:1], 0
	s_mov_b64 s[10:11], -1
	global_store_byte v[0:1], v5, off
.LBB70_1692:
	s_mov_b64 s[14:15], 0
.LBB70_1693:
	s_and_b64 vcc, exec, s[14:15]
	s_cbranch_vccz .LBB70_1696
; %bb.1694:
	s_cmp_eq_u32 s13, 29
	s_mov_b64 s[0:1], -1
	s_cbranch_scc0 .LBB70_1696
; %bb.1695:
	s_mov_b32 s0, 0
	v_cndmask_b32_e64 v3, 0, 1, s[4:5]
	v_mov_b32_e32 v4, s0
	global_store_dwordx2 v[0:1], v[3:4], off
	s_mov_b64 s[0:1], 0
	s_mov_b64 s[10:11], -1
.LBB70_1696:
	s_mov_b64 s[14:15], 0
.LBB70_1697:
	s_and_b64 vcc, exec, s[14:15]
	s_cbranch_vccz .LBB70_1713
; %bb.1698:
	s_cmp_lt_i32 s13, 27
	s_mov_b64 s[10:11], -1
	s_cbranch_scc1 .LBB70_1704
; %bb.1699:
	s_cmp_gt_i32 s13, 27
	s_cbranch_scc0 .LBB70_1701
; %bb.1700:
	v_cndmask_b32_e64 v3, 0, 1, s[4:5]
	s_mov_b64 s[10:11], 0
	global_store_dword v[0:1], v3, off
.LBB70_1701:
	s_andn2_b64 vcc, exec, s[10:11]
	s_cbranch_vccnz .LBB70_1703
; %bb.1702:
	v_cndmask_b32_e64 v3, 0, 1, s[4:5]
	global_store_short v[0:1], v3, off
.LBB70_1703:
	s_mov_b64 s[10:11], 0
.LBB70_1704:
	s_andn2_b64 vcc, exec, s[10:11]
	s_cbranch_vccnz .LBB70_1712
; %bb.1705:
	v_cndmask_b32_e64 v4, 0, 1.0, s[4:5]
	s_mov_b32 s10, 0x43800000
	v_cmp_gt_u32_e32 vcc, s10, v4
	v_mov_b32_e32 v5, 0x80
	s_and_saveexec_b64 s[10:11], vcc
	s_cbranch_execz .LBB70_1711
; %bb.1706:
	s_mov_b32 s14, 0x3bffffff
	v_cmp_lt_u32_e32 vcc, s14, v4
	s_mov_b64 s[14:15], 0
                                        ; implicit-def: $vgpr3
	s_and_saveexec_b64 s[26:27], vcc
	s_xor_b64 s[26:27], exec, s[26:27]
	s_cbranch_execz .LBB70_2118
; %bb.1707:
	v_bfe_u32 v3, v4, 20, 1
	s_mov_b32 s29, 0x487ffff
	v_add3_u32 v3, v4, v3, s29
	s_mov_b64 s[14:15], exec
	v_lshrrev_b32_e32 v3, 20, v3
                                        ; implicit-def: $vgpr4
	s_andn2_saveexec_b64 s[26:27], s[26:27]
	s_cbranch_execnz .LBB70_2119
.LBB70_1708:
	s_or_b64 exec, exec, s[26:27]
	v_mov_b32_e32 v5, 0
	s_and_saveexec_b64 s[26:27], s[14:15]
.LBB70_1709:
	v_mov_b32_e32 v5, v3
.LBB70_1710:
	s_or_b64 exec, exec, s[26:27]
.LBB70_1711:
	s_or_b64 exec, exec, s[10:11]
	global_store_byte v[0:1], v5, off
.LBB70_1712:
	s_mov_b64 s[10:11], -1
.LBB70_1713:
	s_mov_b64 s[14:15], 0
.LBB70_1714:
	s_and_b64 vcc, exec, s[14:15]
	s_cbranch_vccz .LBB70_1754
; %bb.1715:
	s_cmp_gt_i32 s13, 22
	s_mov_b64 s[2:3], -1
	s_cbranch_scc0 .LBB70_1747
; %bb.1716:
	s_cmp_lt_i32 s13, 24
	s_cbranch_scc1 .LBB70_1736
; %bb.1717:
	s_cmp_gt_i32 s13, 24
	s_cbranch_scc0 .LBB70_1725
; %bb.1718:
	v_cndmask_b32_e64 v4, 0, 1.0, s[4:5]
	s_mov_b32 s2, 0x47800000
	v_cmp_gt_u32_e32 vcc, s2, v4
	v_mov_b32_e32 v5, 0x80
	s_and_saveexec_b64 s[2:3], vcc
	s_cbranch_execz .LBB70_1724
; %bb.1719:
	s_mov_b32 s10, 0x37ffffff
	v_cmp_lt_u32_e32 vcc, s10, v4
	s_mov_b64 s[10:11], 0
                                        ; implicit-def: $vgpr3
	s_and_saveexec_b64 s[14:15], vcc
	s_xor_b64 s[14:15], exec, s[14:15]
	s_cbranch_execz .LBB70_2121
; %bb.1720:
	v_bfe_u32 v3, v4, 21, 1
	s_mov_b32 s26, 0x88fffff
	v_add3_u32 v3, v4, v3, s26
	s_mov_b64 s[10:11], exec
	v_lshrrev_b32_e32 v3, 21, v3
                                        ; implicit-def: $vgpr4
	s_andn2_saveexec_b64 s[14:15], s[14:15]
	s_cbranch_execnz .LBB70_2122
.LBB70_1721:
	s_or_b64 exec, exec, s[14:15]
	v_mov_b32_e32 v5, 0
	s_and_saveexec_b64 s[14:15], s[10:11]
.LBB70_1722:
	v_mov_b32_e32 v5, v3
.LBB70_1723:
	s_or_b64 exec, exec, s[14:15]
.LBB70_1724:
	s_or_b64 exec, exec, s[2:3]
	s_mov_b64 s[2:3], 0
	global_store_byte v[0:1], v5, off
.LBB70_1725:
	s_and_b64 vcc, exec, s[2:3]
	s_cbranch_vccz .LBB70_1735
; %bb.1726:
	v_cndmask_b32_e64 v3, 0, 1.0, s[4:5]
	s_mov_b32 s2, 0x43f00000
	v_cmp_gt_u32_e32 vcc, s2, v3
                                        ; implicit-def: $vgpr4
	s_and_saveexec_b64 s[2:3], vcc
	s_xor_b64 s[2:3], exec, s[2:3]
	s_cbranch_execz .LBB70_1732
; %bb.1727:
	s_mov_b32 s10, 0x3c7fffff
	v_cmp_lt_u32_e32 vcc, s10, v3
                                        ; implicit-def: $vgpr4
	s_and_saveexec_b64 s[10:11], vcc
	s_xor_b64 s[10:11], exec, s[10:11]
; %bb.1728:
	v_bfe_u32 v4, v3, 20, 1
	s_mov_b32 s14, 0x407ffff
	v_add3_u32 v3, v3, v4, s14
	v_lshrrev_b32_e32 v4, 20, v3
	v_and_b32_e32 v3, 0xff00000, v3
	s_mov_b32 s14, 0x7f00000
	v_mov_b32_e32 v5, 0x7e
	v_cmp_ne_u32_e32 vcc, s14, v3
	v_cndmask_b32_e32 v4, v5, v4, vcc
                                        ; implicit-def: $vgpr3
; %bb.1729:
	s_andn2_saveexec_b64 s[10:11], s[10:11]
; %bb.1730:
	v_add_f32_e32 v4, 0x46800000, v3
; %bb.1731:
	s_or_b64 exec, exec, s[10:11]
                                        ; implicit-def: $vgpr3
.LBB70_1732:
	s_andn2_saveexec_b64 s[2:3], s[2:3]
; %bb.1733:
	s_mov_b32 s10, 0x7f800000
	v_mov_b32_e32 v4, 0x7e
	v_mov_b32_e32 v5, 0x7f
	v_cmp_lt_u32_e32 vcc, s10, v3
	v_cndmask_b32_e32 v4, v4, v5, vcc
; %bb.1734:
	s_or_b64 exec, exec, s[2:3]
	global_store_byte v[0:1], v4, off
.LBB70_1735:
	s_mov_b64 s[2:3], 0
.LBB70_1736:
	s_andn2_b64 vcc, exec, s[2:3]
	s_cbranch_vccnz .LBB70_1746
; %bb.1737:
	v_cndmask_b32_e64 v3, 0, 1.0, s[4:5]
	s_mov_b32 s2, 0x47800000
	v_cmp_gt_u32_e32 vcc, s2, v3
                                        ; implicit-def: $vgpr4
	s_and_saveexec_b64 s[2:3], vcc
	s_xor_b64 s[2:3], exec, s[2:3]
	s_cbranch_execz .LBB70_1743
; %bb.1738:
	s_mov_b32 s10, 0x387fffff
	v_cmp_lt_u32_e32 vcc, s10, v3
                                        ; implicit-def: $vgpr4
	s_and_saveexec_b64 s[10:11], vcc
	s_xor_b64 s[10:11], exec, s[10:11]
; %bb.1739:
	v_bfe_u32 v4, v3, 21, 1
	s_mov_b32 s14, 0x80fffff
	v_add3_u32 v3, v3, v4, s14
	v_lshrrev_b32_e32 v4, 21, v3
                                        ; implicit-def: $vgpr3
; %bb.1740:
	s_andn2_saveexec_b64 s[10:11], s[10:11]
; %bb.1741:
	v_add_f32_e32 v4, 0x43000000, v3
; %bb.1742:
	s_or_b64 exec, exec, s[10:11]
                                        ; implicit-def: $vgpr3
.LBB70_1743:
	s_andn2_saveexec_b64 s[2:3], s[2:3]
; %bb.1744:
	s_mov_b32 s10, 0x7f800000
	v_mov_b32_e32 v4, 0x7c
	v_mov_b32_e32 v5, 0x7f
	v_cmp_lt_u32_e32 vcc, s10, v3
	v_cndmask_b32_e32 v4, v4, v5, vcc
; %bb.1745:
	s_or_b64 exec, exec, s[2:3]
	global_store_byte v[0:1], v4, off
.LBB70_1746:
	s_mov_b64 s[2:3], 0
	s_mov_b64 s[10:11], -1
.LBB70_1747:
	s_andn2_b64 vcc, exec, s[2:3]
	s_mov_b64 s[2:3], 0
	s_cbranch_vccnz .LBB70_1754
; %bb.1748:
	s_cmp_gt_i32 s13, 14
	s_mov_b64 s[14:15], -1
	s_cbranch_scc0 .LBB70_1752
; %bb.1749:
	s_cmp_eq_u32 s13, 15
	s_mov_b64 s[0:1], -1
	s_cbranch_scc0 .LBB70_1751
; %bb.1750:
	v_cndmask_b32_e64 v3, 0, 1.0, s[4:5]
	v_bfe_u32 v4, v3, 16, 1
	s_movk_i32 s0, 0x7fff
	v_add3_u32 v3, v3, v4, s0
	global_store_short_d16_hi v[0:1], v3, off
	s_mov_b64 s[0:1], 0
	s_mov_b64 s[10:11], -1
.LBB70_1751:
	s_mov_b64 s[14:15], 0
.LBB70_1752:
	s_and_b64 vcc, exec, s[14:15]
	s_cbranch_vccz .LBB70_1754
; %bb.1753:
	s_cmp_lg_u32 s13, 11
	s_mov_b64 s[2:3], -1
	s_cselect_b64 s[0:1], -1, 0
.LBB70_1754:
	s_and_b64 vcc, exec, s[0:1]
	s_cbranch_vccnz .LBB70_2120
; %bb.1755:
	s_andn2_b64 vcc, exec, s[2:3]
	s_cbranch_vccnz .LBB70_1757
.LBB70_1756:
	v_cndmask_b32_e64 v3, 0, 1, s[4:5]
	s_mov_b64 s[10:11], -1
	global_store_byte v[0:1], v3, off
.LBB70_1757:
	s_mov_b64 s[0:1], 0
	s_branch .LBB70_1761
.LBB70_1758:
	s_andn2_b64 vcc, exec, s[10:11]
	s_cbranch_vccnz .LBB70_1678
.LBB70_1759:
	s_waitcnt vmcnt(0)
	v_cmp_gt_i16_e32 vcc, s2, v2
	s_andn2_b64 s[10:11], s[22:23], exec
	s_and_b64 s[14:15], vcc, exec
	s_or_b64 s[22:23], s[10:11], s[14:15]
	s_cbranch_execz .LBB70_1679
	s_branch .LBB70_1680
.LBB70_1760:
	s_mov_b64 s[0:1], -1
	s_mov_b64 s[10:11], 0
.LBB70_1761:
	s_and_b64 vcc, exec, s[0:1]
	s_cbranch_vccz .LBB70_1800
; %bb.1762:
	s_and_b32 s2, 0xffff, s28
	s_cmp_lt_i32 s2, 5
	s_mov_b64 s[0:1], -1
	s_cbranch_scc1 .LBB70_1783
; %bb.1763:
	s_cmp_lt_i32 s2, 8
	s_cbranch_scc1 .LBB70_1773
; %bb.1764:
	s_cmp_lt_i32 s2, 9
	s_cbranch_scc1 .LBB70_1770
; %bb.1765:
	s_cmp_gt_i32 s2, 9
	s_cbranch_scc0 .LBB70_1767
; %bb.1766:
	v_cndmask_b32_e64 v3, 0, 1, s[4:5]
	v_cvt_f64_u32_e32 v[3:4], v3
	v_mov_b32_e32 v5, 0
	v_mov_b32_e32 v6, v5
	s_mov_b64 s[0:1], 0
	global_store_dwordx4 v[0:1], v[3:6], off
.LBB70_1767:
	s_andn2_b64 vcc, exec, s[0:1]
	s_cbranch_vccnz .LBB70_1769
; %bb.1768:
	v_cndmask_b32_e64 v3, 0, 1.0, s[4:5]
	v_mov_b32_e32 v4, 0
	global_store_dwordx2 v[0:1], v[3:4], off
.LBB70_1769:
	s_mov_b64 s[0:1], 0
.LBB70_1770:
	s_andn2_b64 vcc, exec, s[0:1]
	s_cbranch_vccnz .LBB70_1772
; %bb.1771:
	v_cndmask_b32_e64 v3, 0, 1.0, s[4:5]
	v_cvt_f16_f32_e32 v3, v3
	global_store_dword v[0:1], v3, off
.LBB70_1772:
	s_mov_b64 s[0:1], 0
.LBB70_1773:
	s_andn2_b64 vcc, exec, s[0:1]
	s_cbranch_vccnz .LBB70_1782
; %bb.1774:
	s_cmp_lt_i32 s2, 6
	s_mov_b64 s[0:1], -1
	s_cbranch_scc1 .LBB70_1780
; %bb.1775:
	s_cmp_gt_i32 s2, 6
	s_cbranch_scc0 .LBB70_1777
; %bb.1776:
	v_cndmask_b32_e64 v3, 0, 1, s[4:5]
	v_cvt_f64_u32_e32 v[3:4], v3
	s_mov_b64 s[0:1], 0
	global_store_dwordx2 v[0:1], v[3:4], off
.LBB70_1777:
	s_andn2_b64 vcc, exec, s[0:1]
	s_cbranch_vccnz .LBB70_1779
; %bb.1778:
	v_cndmask_b32_e64 v3, 0, 1.0, s[4:5]
	global_store_dword v[0:1], v3, off
.LBB70_1779:
	s_mov_b64 s[0:1], 0
.LBB70_1780:
	s_andn2_b64 vcc, exec, s[0:1]
	s_cbranch_vccnz .LBB70_1782
; %bb.1781:
	v_cndmask_b32_e64 v3, 0, 1.0, s[4:5]
	v_cvt_f16_f32_e32 v3, v3
	global_store_short v[0:1], v3, off
.LBB70_1782:
	s_mov_b64 s[0:1], 0
.LBB70_1783:
	s_andn2_b64 vcc, exec, s[0:1]
	s_cbranch_vccnz .LBB70_1799
; %bb.1784:
	s_cmp_lt_i32 s2, 2
	s_mov_b64 s[0:1], -1
	s_cbranch_scc1 .LBB70_1794
; %bb.1785:
	s_cmp_lt_i32 s2, 3
	s_cbranch_scc1 .LBB70_1791
; %bb.1786:
	s_cmp_gt_i32 s2, 3
	s_cbranch_scc0 .LBB70_1788
; %bb.1787:
	s_mov_b32 s0, 0
	v_cndmask_b32_e64 v3, 0, 1, s[4:5]
	v_mov_b32_e32 v4, s0
	global_store_dwordx2 v[0:1], v[3:4], off
	s_mov_b64 s[0:1], 0
.LBB70_1788:
	s_andn2_b64 vcc, exec, s[0:1]
	s_cbranch_vccnz .LBB70_1790
; %bb.1789:
	v_cndmask_b32_e64 v3, 0, 1, s[4:5]
	global_store_dword v[0:1], v3, off
.LBB70_1790:
	s_mov_b64 s[0:1], 0
.LBB70_1791:
	s_andn2_b64 vcc, exec, s[0:1]
	s_cbranch_vccnz .LBB70_1793
; %bb.1792:
	v_cndmask_b32_e64 v3, 0, 1, s[4:5]
	global_store_short v[0:1], v3, off
.LBB70_1793:
	s_mov_b64 s[0:1], 0
.LBB70_1794:
	s_andn2_b64 vcc, exec, s[0:1]
	s_cbranch_vccnz .LBB70_1799
; %bb.1795:
	s_mov_b64 s[0:1], -1
	s_cmp_gt_i32 s2, 0
	v_cndmask_b32_e64 v3, 0, 1, s[4:5]
	s_cbranch_scc0 .LBB70_1797
; %bb.1796:
	global_store_byte v[0:1], v3, off
	s_mov_b64 s[0:1], 0
.LBB70_1797:
	s_andn2_b64 vcc, exec, s[0:1]
	s_cbranch_vccnz .LBB70_1799
; %bb.1798:
	global_store_byte v[0:1], v3, off
.LBB70_1799:
	s_mov_b64 s[10:11], -1
.LBB70_1800:
	s_andn2_b64 vcc, exec, s[10:11]
	s_cbranch_vccnz .LBB70_2115
; %bb.1801:
	s_lshl_b32 s14, s12, 7
	v_add_u32_e32 v2, s14, v2
	v_ashrrev_i32_e32 v1, 31, v2
	v_mov_b32_e32 v3, s9
	v_add_co_u32_e32 v0, vcc, s8, v2
	s_cmp_lt_i32 s28, 11
	v_addc_co_u32_e32 v1, vcc, v3, v1, vcc
	s_cbranch_scc1 .LBB70_1879
; %bb.1802:
	s_and_b32 s15, 0xffff, s28
	s_mov_b64 s[10:11], -1
	s_mov_b64 s[2:3], 0
	s_cmp_gt_i32 s15, 25
	s_mov_b64 s[4:5], 0
	s_mov_b64 s[0:1], 0
	s_cbranch_scc0 .LBB70_1835
; %bb.1803:
	s_cmp_gt_i32 s15, 28
	s_cbranch_scc0 .LBB70_1818
; %bb.1804:
	s_cmp_gt_i32 s15, 43
	;; [unrolled: 3-line block ×3, first 2 shown]
	s_cbranch_scc0 .LBB70_1808
; %bb.1806:
	s_mov_b64 s[0:1], -1
	s_mov_b64 s[10:11], 0
	s_cmp_eq_u32 s15, 46
	s_cbranch_scc0 .LBB70_1808
; %bb.1807:
	v_cndmask_b32_e64 v3, 0, 1.0, s[20:21]
	v_bfe_u32 v4, v3, 16, 1
	s_movk_i32 s0, 0x7fff
	v_add3_u32 v3, v3, v4, s0
	v_lshrrev_b32_e32 v3, 16, v3
	global_store_dword v[0:1], v3, off
	s_mov_b64 s[0:1], 0
	s_mov_b64 s[4:5], -1
.LBB70_1808:
	s_and_b64 vcc, exec, s[10:11]
	s_cbranch_vccz .LBB70_1813
; %bb.1809:
	s_cmp_eq_u32 s15, 44
	s_mov_b64 s[0:1], -1
	s_cbranch_scc0 .LBB70_1813
; %bb.1810:
	v_cndmask_b32_e64 v4, 0, 1.0, s[20:21]
	v_lshrrev_b32_e32 v3, 23, v4
	s_movk_i32 s0, 0xff
	v_cmp_ne_u32_e32 vcc, s0, v3
	v_mov_b32_e32 v5, 0xff
	s_and_saveexec_b64 s[4:5], vcc
; %bb.1811:
	s_mov_b32 s0, 0x3fffff
	v_and_b32_e32 v5, 0x400000, v4
	v_and_or_b32 v4, v4, s0, v3
	v_cmp_ne_u32_e32 vcc, 0, v5
	v_cmp_ne_u32_e64 s[0:1], 0, v4
	s_and_b64 s[0:1], vcc, s[0:1]
	v_cndmask_b32_e64 v4, 0, 1, s[0:1]
	v_add_u32_e32 v5, v3, v4
; %bb.1812:
	s_or_b64 exec, exec, s[4:5]
	s_mov_b64 s[0:1], 0
	s_mov_b64 s[4:5], -1
	global_store_byte v[0:1], v5, off
.LBB70_1813:
	s_mov_b64 s[10:11], 0
.LBB70_1814:
	s_and_b64 vcc, exec, s[10:11]
	s_cbranch_vccz .LBB70_1817
; %bb.1815:
	s_cmp_eq_u32 s15, 29
	s_mov_b64 s[0:1], -1
	s_cbranch_scc0 .LBB70_1817
; %bb.1816:
	s_mov_b32 s0, 0
	v_cndmask_b32_e64 v3, 0, 1, s[20:21]
	v_mov_b32_e32 v4, s0
	global_store_dwordx2 v[0:1], v[3:4], off
	s_mov_b64 s[0:1], 0
	s_mov_b64 s[4:5], -1
.LBB70_1817:
	s_mov_b64 s[10:11], 0
.LBB70_1818:
	s_and_b64 vcc, exec, s[10:11]
	s_cbranch_vccz .LBB70_1834
; %bb.1819:
	s_cmp_lt_i32 s15, 27
	s_mov_b64 s[4:5], -1
	s_cbranch_scc1 .LBB70_1825
; %bb.1820:
	s_cmp_gt_i32 s15, 27
	s_cbranch_scc0 .LBB70_1822
; %bb.1821:
	v_cndmask_b32_e64 v3, 0, 1, s[20:21]
	s_mov_b64 s[4:5], 0
	global_store_dword v[0:1], v3, off
.LBB70_1822:
	s_andn2_b64 vcc, exec, s[4:5]
	s_cbranch_vccnz .LBB70_1824
; %bb.1823:
	v_cndmask_b32_e64 v3, 0, 1, s[20:21]
	global_store_short v[0:1], v3, off
.LBB70_1824:
	s_mov_b64 s[4:5], 0
.LBB70_1825:
	s_andn2_b64 vcc, exec, s[4:5]
	s_cbranch_vccnz .LBB70_1833
; %bb.1826:
	v_cndmask_b32_e64 v4, 0, 1.0, s[20:21]
	s_mov_b32 s4, 0x43800000
	v_cmp_gt_u32_e32 vcc, s4, v4
	v_mov_b32_e32 v5, 0x80
	s_and_saveexec_b64 s[4:5], vcc
	s_cbranch_execz .LBB70_1832
; %bb.1827:
	s_mov_b32 s10, 0x3bffffff
	v_cmp_lt_u32_e32 vcc, s10, v4
	s_mov_b64 s[10:11], 0
                                        ; implicit-def: $vgpr3
	s_and_saveexec_b64 s[12:13], vcc
	s_xor_b64 s[12:13], exec, s[12:13]
	s_cbranch_execz .LBB70_2123
; %bb.1828:
	v_bfe_u32 v3, v4, 20, 1
	s_mov_b32 s26, 0x487ffff
	v_add3_u32 v3, v4, v3, s26
	s_mov_b64 s[10:11], exec
	v_lshrrev_b32_e32 v3, 20, v3
                                        ; implicit-def: $vgpr4
	s_andn2_saveexec_b64 s[12:13], s[12:13]
	s_cbranch_execnz .LBB70_2124
.LBB70_1829:
	s_or_b64 exec, exec, s[12:13]
	v_mov_b32_e32 v5, 0
	s_and_saveexec_b64 s[12:13], s[10:11]
.LBB70_1830:
	v_mov_b32_e32 v5, v3
.LBB70_1831:
	s_or_b64 exec, exec, s[12:13]
.LBB70_1832:
	s_or_b64 exec, exec, s[4:5]
	global_store_byte v[0:1], v5, off
.LBB70_1833:
	s_mov_b64 s[4:5], -1
.LBB70_1834:
	s_mov_b64 s[10:11], 0
.LBB70_1835:
	s_and_b64 vcc, exec, s[10:11]
	s_cbranch_vccz .LBB70_1875
; %bb.1836:
	s_cmp_gt_i32 s15, 22
	s_mov_b64 s[2:3], -1
	s_cbranch_scc0 .LBB70_1868
; %bb.1837:
	s_cmp_lt_i32 s15, 24
	s_cbranch_scc1 .LBB70_1857
; %bb.1838:
	s_cmp_gt_i32 s15, 24
	s_cbranch_scc0 .LBB70_1846
; %bb.1839:
	v_cndmask_b32_e64 v4, 0, 1.0, s[20:21]
	s_mov_b32 s2, 0x47800000
	v_cmp_gt_u32_e32 vcc, s2, v4
	v_mov_b32_e32 v5, 0x80
	s_and_saveexec_b64 s[2:3], vcc
	s_cbranch_execz .LBB70_1845
; %bb.1840:
	s_mov_b32 s4, 0x37ffffff
	v_cmp_lt_u32_e32 vcc, s4, v4
	s_mov_b64 s[4:5], 0
                                        ; implicit-def: $vgpr3
	s_and_saveexec_b64 s[10:11], vcc
	s_xor_b64 s[10:11], exec, s[10:11]
	s_cbranch_execz .LBB70_2126
; %bb.1841:
	v_bfe_u32 v3, v4, 21, 1
	s_mov_b32 s12, 0x88fffff
	v_add3_u32 v3, v4, v3, s12
	s_mov_b64 s[4:5], exec
	v_lshrrev_b32_e32 v3, 21, v3
                                        ; implicit-def: $vgpr4
	s_andn2_saveexec_b64 s[10:11], s[10:11]
	s_cbranch_execnz .LBB70_2127
.LBB70_1842:
	s_or_b64 exec, exec, s[10:11]
	v_mov_b32_e32 v5, 0
	s_and_saveexec_b64 s[10:11], s[4:5]
.LBB70_1843:
	v_mov_b32_e32 v5, v3
.LBB70_1844:
	s_or_b64 exec, exec, s[10:11]
.LBB70_1845:
	s_or_b64 exec, exec, s[2:3]
	s_mov_b64 s[2:3], 0
	global_store_byte v[0:1], v5, off
.LBB70_1846:
	s_and_b64 vcc, exec, s[2:3]
	s_cbranch_vccz .LBB70_1856
; %bb.1847:
	v_cndmask_b32_e64 v3, 0, 1.0, s[20:21]
	s_mov_b32 s2, 0x43f00000
	v_cmp_gt_u32_e32 vcc, s2, v3
                                        ; implicit-def: $vgpr4
	s_and_saveexec_b64 s[2:3], vcc
	s_xor_b64 s[2:3], exec, s[2:3]
	s_cbranch_execz .LBB70_1853
; %bb.1848:
	s_mov_b32 s4, 0x3c7fffff
	v_cmp_lt_u32_e32 vcc, s4, v3
                                        ; implicit-def: $vgpr4
	s_and_saveexec_b64 s[4:5], vcc
	s_xor_b64 s[4:5], exec, s[4:5]
; %bb.1849:
	v_bfe_u32 v4, v3, 20, 1
	s_mov_b32 s10, 0x407ffff
	v_add3_u32 v3, v3, v4, s10
	v_lshrrev_b32_e32 v4, 20, v3
	v_and_b32_e32 v3, 0xff00000, v3
	s_mov_b32 s10, 0x7f00000
	v_mov_b32_e32 v5, 0x7e
	v_cmp_ne_u32_e32 vcc, s10, v3
	v_cndmask_b32_e32 v4, v5, v4, vcc
                                        ; implicit-def: $vgpr3
; %bb.1850:
	s_andn2_saveexec_b64 s[4:5], s[4:5]
; %bb.1851:
	v_add_f32_e32 v4, 0x46800000, v3
; %bb.1852:
	s_or_b64 exec, exec, s[4:5]
                                        ; implicit-def: $vgpr3
.LBB70_1853:
	s_andn2_saveexec_b64 s[2:3], s[2:3]
; %bb.1854:
	s_mov_b32 s4, 0x7f800000
	v_mov_b32_e32 v4, 0x7e
	v_mov_b32_e32 v5, 0x7f
	v_cmp_lt_u32_e32 vcc, s4, v3
	v_cndmask_b32_e32 v4, v4, v5, vcc
; %bb.1855:
	s_or_b64 exec, exec, s[2:3]
	global_store_byte v[0:1], v4, off
.LBB70_1856:
	s_mov_b64 s[2:3], 0
.LBB70_1857:
	s_andn2_b64 vcc, exec, s[2:3]
	s_cbranch_vccnz .LBB70_1867
; %bb.1858:
	v_cndmask_b32_e64 v3, 0, 1.0, s[20:21]
	s_mov_b32 s2, 0x47800000
	v_cmp_gt_u32_e32 vcc, s2, v3
                                        ; implicit-def: $vgpr4
	s_and_saveexec_b64 s[2:3], vcc
	s_xor_b64 s[2:3], exec, s[2:3]
	s_cbranch_execz .LBB70_1864
; %bb.1859:
	s_mov_b32 s4, 0x387fffff
	v_cmp_lt_u32_e32 vcc, s4, v3
                                        ; implicit-def: $vgpr4
	s_and_saveexec_b64 s[4:5], vcc
	s_xor_b64 s[4:5], exec, s[4:5]
; %bb.1860:
	v_bfe_u32 v4, v3, 21, 1
	s_mov_b32 s10, 0x80fffff
	v_add3_u32 v3, v3, v4, s10
	v_lshrrev_b32_e32 v4, 21, v3
                                        ; implicit-def: $vgpr3
; %bb.1861:
	s_andn2_saveexec_b64 s[4:5], s[4:5]
; %bb.1862:
	v_add_f32_e32 v4, 0x43000000, v3
; %bb.1863:
	s_or_b64 exec, exec, s[4:5]
                                        ; implicit-def: $vgpr3
.LBB70_1864:
	s_andn2_saveexec_b64 s[2:3], s[2:3]
; %bb.1865:
	s_mov_b32 s4, 0x7f800000
	v_mov_b32_e32 v4, 0x7c
	v_mov_b32_e32 v5, 0x7f
	v_cmp_lt_u32_e32 vcc, s4, v3
	v_cndmask_b32_e32 v4, v4, v5, vcc
; %bb.1866:
	s_or_b64 exec, exec, s[2:3]
	global_store_byte v[0:1], v4, off
.LBB70_1867:
	s_mov_b64 s[2:3], 0
	s_mov_b64 s[4:5], -1
.LBB70_1868:
	s_andn2_b64 vcc, exec, s[2:3]
	s_mov_b64 s[2:3], 0
	s_cbranch_vccnz .LBB70_1875
; %bb.1869:
	s_cmp_gt_i32 s15, 14
	s_mov_b64 s[10:11], -1
	s_cbranch_scc0 .LBB70_1873
; %bb.1870:
	s_cmp_eq_u32 s15, 15
	s_mov_b64 s[0:1], -1
	s_cbranch_scc0 .LBB70_1872
; %bb.1871:
	v_cndmask_b32_e64 v3, 0, 1.0, s[20:21]
	v_bfe_u32 v4, v3, 16, 1
	s_movk_i32 s0, 0x7fff
	v_add3_u32 v3, v3, v4, s0
	global_store_short_d16_hi v[0:1], v3, off
	s_mov_b64 s[0:1], 0
	s_mov_b64 s[4:5], -1
.LBB70_1872:
	s_mov_b64 s[10:11], 0
.LBB70_1873:
	s_and_b64 vcc, exec, s[10:11]
	s_cbranch_vccz .LBB70_1875
; %bb.1874:
	s_cmp_lg_u32 s15, 11
	s_mov_b64 s[2:3], -1
	s_cselect_b64 s[0:1], -1, 0
.LBB70_1875:
	s_and_b64 vcc, exec, s[0:1]
	s_cbranch_vccnz .LBB70_2125
; %bb.1876:
	s_andn2_b64 vcc, exec, s[2:3]
	s_cbranch_vccnz .LBB70_1878
.LBB70_1877:
	v_cndmask_b32_e64 v3, 0, 1, s[20:21]
	s_mov_b64 s[4:5], -1
	global_store_byte v[0:1], v3, off
.LBB70_1878:
	s_mov_b64 s[0:1], 0
	s_branch .LBB70_1880
.LBB70_1879:
	s_mov_b64 s[0:1], -1
	s_mov_b64 s[4:5], 0
.LBB70_1880:
	s_and_b64 vcc, exec, s[0:1]
	s_cbranch_vccz .LBB70_1919
; %bb.1881:
	s_and_b32 s2, 0xffff, s28
	s_cmp_lt_i32 s2, 5
	s_mov_b64 s[0:1], -1
	s_cbranch_scc1 .LBB70_1902
; %bb.1882:
	s_cmp_lt_i32 s2, 8
	s_cbranch_scc1 .LBB70_1892
; %bb.1883:
	s_cmp_lt_i32 s2, 9
	s_cbranch_scc1 .LBB70_1889
; %bb.1884:
	s_cmp_gt_i32 s2, 9
	s_cbranch_scc0 .LBB70_1886
; %bb.1885:
	v_cndmask_b32_e64 v3, 0, 1, s[20:21]
	v_cvt_f64_u32_e32 v[3:4], v3
	v_mov_b32_e32 v5, 0
	v_mov_b32_e32 v6, v5
	s_mov_b64 s[0:1], 0
	global_store_dwordx4 v[0:1], v[3:6], off
.LBB70_1886:
	s_andn2_b64 vcc, exec, s[0:1]
	s_cbranch_vccnz .LBB70_1888
; %bb.1887:
	v_cndmask_b32_e64 v3, 0, 1.0, s[20:21]
	v_mov_b32_e32 v4, 0
	global_store_dwordx2 v[0:1], v[3:4], off
.LBB70_1888:
	s_mov_b64 s[0:1], 0
.LBB70_1889:
	s_andn2_b64 vcc, exec, s[0:1]
	s_cbranch_vccnz .LBB70_1891
; %bb.1890:
	v_cndmask_b32_e64 v3, 0, 1.0, s[20:21]
	v_cvt_f16_f32_e32 v3, v3
	global_store_dword v[0:1], v3, off
.LBB70_1891:
	s_mov_b64 s[0:1], 0
.LBB70_1892:
	s_andn2_b64 vcc, exec, s[0:1]
	s_cbranch_vccnz .LBB70_1901
; %bb.1893:
	s_cmp_lt_i32 s2, 6
	s_mov_b64 s[0:1], -1
	s_cbranch_scc1 .LBB70_1899
; %bb.1894:
	s_cmp_gt_i32 s2, 6
	s_cbranch_scc0 .LBB70_1896
; %bb.1895:
	v_cndmask_b32_e64 v3, 0, 1, s[20:21]
	v_cvt_f64_u32_e32 v[3:4], v3
	s_mov_b64 s[0:1], 0
	global_store_dwordx2 v[0:1], v[3:4], off
.LBB70_1896:
	s_andn2_b64 vcc, exec, s[0:1]
	s_cbranch_vccnz .LBB70_1898
; %bb.1897:
	v_cndmask_b32_e64 v3, 0, 1.0, s[20:21]
	global_store_dword v[0:1], v3, off
.LBB70_1898:
	s_mov_b64 s[0:1], 0
.LBB70_1899:
	s_andn2_b64 vcc, exec, s[0:1]
	s_cbranch_vccnz .LBB70_1901
; %bb.1900:
	v_cndmask_b32_e64 v3, 0, 1.0, s[20:21]
	v_cvt_f16_f32_e32 v3, v3
	global_store_short v[0:1], v3, off
.LBB70_1901:
	s_mov_b64 s[0:1], 0
.LBB70_1902:
	s_andn2_b64 vcc, exec, s[0:1]
	s_cbranch_vccnz .LBB70_1918
; %bb.1903:
	s_cmp_lt_i32 s2, 2
	s_mov_b64 s[0:1], -1
	s_cbranch_scc1 .LBB70_1913
; %bb.1904:
	s_cmp_lt_i32 s2, 3
	s_cbranch_scc1 .LBB70_1910
; %bb.1905:
	s_cmp_gt_i32 s2, 3
	s_cbranch_scc0 .LBB70_1907
; %bb.1906:
	s_mov_b32 s0, 0
	v_cndmask_b32_e64 v3, 0, 1, s[20:21]
	v_mov_b32_e32 v4, s0
	global_store_dwordx2 v[0:1], v[3:4], off
	s_mov_b64 s[0:1], 0
.LBB70_1907:
	s_andn2_b64 vcc, exec, s[0:1]
	s_cbranch_vccnz .LBB70_1909
; %bb.1908:
	v_cndmask_b32_e64 v3, 0, 1, s[20:21]
	global_store_dword v[0:1], v3, off
.LBB70_1909:
	s_mov_b64 s[0:1], 0
.LBB70_1910:
	s_andn2_b64 vcc, exec, s[0:1]
	s_cbranch_vccnz .LBB70_1912
; %bb.1911:
	v_cndmask_b32_e64 v3, 0, 1, s[20:21]
	global_store_short v[0:1], v3, off
.LBB70_1912:
	s_mov_b64 s[0:1], 0
.LBB70_1913:
	s_andn2_b64 vcc, exec, s[0:1]
	s_cbranch_vccnz .LBB70_1918
; %bb.1914:
	s_mov_b64 s[0:1], -1
	s_cmp_gt_i32 s2, 0
	v_cndmask_b32_e64 v3, 0, 1, s[20:21]
	s_cbranch_scc0 .LBB70_1916
; %bb.1915:
	global_store_byte v[0:1], v3, off
	s_mov_b64 s[0:1], 0
.LBB70_1916:
	s_andn2_b64 vcc, exec, s[0:1]
	s_cbranch_vccnz .LBB70_1918
; %bb.1917:
	global_store_byte v[0:1], v3, off
.LBB70_1918:
	s_mov_b64 s[4:5], -1
.LBB70_1919:
	s_andn2_b64 vcc, exec, s[4:5]
	s_cbranch_vccnz .LBB70_2115
; %bb.1920:
	v_add_u32_e32 v2, s14, v2
	v_ashrrev_i32_e32 v1, 31, v2
	v_mov_b32_e32 v3, s9
	v_add_co_u32_e32 v0, vcc, s8, v2
	s_cmp_lt_i32 s28, 11
	v_addc_co_u32_e32 v1, vcc, v3, v1, vcc
	s_cbranch_scc1 .LBB70_1998
; %bb.1921:
	s_and_b32 s15, 0xffff, s28
	s_mov_b64 s[10:11], -1
	s_mov_b64 s[2:3], 0
	s_cmp_gt_i32 s15, 25
	s_mov_b64 s[4:5], 0
	s_mov_b64 s[0:1], 0
	s_cbranch_scc0 .LBB70_1954
; %bb.1922:
	s_cmp_gt_i32 s15, 28
	s_cbranch_scc0 .LBB70_1937
; %bb.1923:
	s_cmp_gt_i32 s15, 43
	;; [unrolled: 3-line block ×3, first 2 shown]
	s_cbranch_scc0 .LBB70_1927
; %bb.1925:
	s_mov_b64 s[0:1], -1
	s_mov_b64 s[10:11], 0
	s_cmp_eq_u32 s15, 46
	s_cbranch_scc0 .LBB70_1927
; %bb.1926:
	v_cndmask_b32_e64 v3, 0, 1.0, s[24:25]
	v_bfe_u32 v4, v3, 16, 1
	s_movk_i32 s0, 0x7fff
	v_add3_u32 v3, v3, v4, s0
	v_lshrrev_b32_e32 v3, 16, v3
	global_store_dword v[0:1], v3, off
	s_mov_b64 s[0:1], 0
	s_mov_b64 s[4:5], -1
.LBB70_1927:
	s_and_b64 vcc, exec, s[10:11]
	s_cbranch_vccz .LBB70_1932
; %bb.1928:
	s_cmp_eq_u32 s15, 44
	s_mov_b64 s[0:1], -1
	s_cbranch_scc0 .LBB70_1932
; %bb.1929:
	v_cndmask_b32_e64 v4, 0, 1.0, s[24:25]
	v_lshrrev_b32_e32 v3, 23, v4
	s_movk_i32 s0, 0xff
	v_cmp_ne_u32_e32 vcc, s0, v3
	v_mov_b32_e32 v5, 0xff
	s_and_saveexec_b64 s[4:5], vcc
; %bb.1930:
	s_mov_b32 s0, 0x3fffff
	v_and_b32_e32 v5, 0x400000, v4
	v_and_or_b32 v4, v4, s0, v3
	v_cmp_ne_u32_e32 vcc, 0, v5
	v_cmp_ne_u32_e64 s[0:1], 0, v4
	s_and_b64 s[0:1], vcc, s[0:1]
	v_cndmask_b32_e64 v4, 0, 1, s[0:1]
	v_add_u32_e32 v5, v3, v4
; %bb.1931:
	s_or_b64 exec, exec, s[4:5]
	s_mov_b64 s[0:1], 0
	s_mov_b64 s[4:5], -1
	global_store_byte v[0:1], v5, off
.LBB70_1932:
	s_mov_b64 s[10:11], 0
.LBB70_1933:
	s_and_b64 vcc, exec, s[10:11]
	s_cbranch_vccz .LBB70_1936
; %bb.1934:
	s_cmp_eq_u32 s15, 29
	s_mov_b64 s[0:1], -1
	s_cbranch_scc0 .LBB70_1936
; %bb.1935:
	s_mov_b32 s0, 0
	v_cndmask_b32_e64 v3, 0, 1, s[24:25]
	v_mov_b32_e32 v4, s0
	global_store_dwordx2 v[0:1], v[3:4], off
	s_mov_b64 s[0:1], 0
	s_mov_b64 s[4:5], -1
.LBB70_1936:
	s_mov_b64 s[10:11], 0
.LBB70_1937:
	s_and_b64 vcc, exec, s[10:11]
	s_cbranch_vccz .LBB70_1953
; %bb.1938:
	s_cmp_lt_i32 s15, 27
	s_mov_b64 s[4:5], -1
	s_cbranch_scc1 .LBB70_1944
; %bb.1939:
	s_cmp_gt_i32 s15, 27
	s_cbranch_scc0 .LBB70_1941
; %bb.1940:
	v_cndmask_b32_e64 v3, 0, 1, s[24:25]
	s_mov_b64 s[4:5], 0
	global_store_dword v[0:1], v3, off
.LBB70_1941:
	s_andn2_b64 vcc, exec, s[4:5]
	s_cbranch_vccnz .LBB70_1943
; %bb.1942:
	v_cndmask_b32_e64 v3, 0, 1, s[24:25]
	global_store_short v[0:1], v3, off
.LBB70_1943:
	s_mov_b64 s[4:5], 0
.LBB70_1944:
	s_andn2_b64 vcc, exec, s[4:5]
	s_cbranch_vccnz .LBB70_1952
; %bb.1945:
	v_cndmask_b32_e64 v4, 0, 1.0, s[24:25]
	s_mov_b32 s4, 0x43800000
	v_cmp_gt_u32_e32 vcc, s4, v4
	v_mov_b32_e32 v5, 0x80
	s_and_saveexec_b64 s[4:5], vcc
	s_cbranch_execz .LBB70_1951
; %bb.1946:
	s_mov_b32 s10, 0x3bffffff
	v_cmp_lt_u32_e32 vcc, s10, v4
	s_mov_b64 s[10:11], 0
                                        ; implicit-def: $vgpr3
	s_and_saveexec_b64 s[12:13], vcc
	s_xor_b64 s[12:13], exec, s[12:13]
	s_cbranch_execz .LBB70_2128
; %bb.1947:
	v_bfe_u32 v3, v4, 20, 1
	s_mov_b32 s20, 0x487ffff
	v_add3_u32 v3, v4, v3, s20
	s_mov_b64 s[10:11], exec
	v_lshrrev_b32_e32 v3, 20, v3
                                        ; implicit-def: $vgpr4
	s_andn2_saveexec_b64 s[12:13], s[12:13]
	s_cbranch_execnz .LBB70_2129
.LBB70_1948:
	s_or_b64 exec, exec, s[12:13]
	v_mov_b32_e32 v5, 0
	s_and_saveexec_b64 s[12:13], s[10:11]
.LBB70_1949:
	v_mov_b32_e32 v5, v3
.LBB70_1950:
	s_or_b64 exec, exec, s[12:13]
.LBB70_1951:
	s_or_b64 exec, exec, s[4:5]
	global_store_byte v[0:1], v5, off
.LBB70_1952:
	s_mov_b64 s[4:5], -1
.LBB70_1953:
	s_mov_b64 s[10:11], 0
.LBB70_1954:
	s_and_b64 vcc, exec, s[10:11]
	s_cbranch_vccz .LBB70_1994
; %bb.1955:
	s_cmp_gt_i32 s15, 22
	s_mov_b64 s[2:3], -1
	s_cbranch_scc0 .LBB70_1987
; %bb.1956:
	s_cmp_lt_i32 s15, 24
	s_cbranch_scc1 .LBB70_1976
; %bb.1957:
	s_cmp_gt_i32 s15, 24
	s_cbranch_scc0 .LBB70_1965
; %bb.1958:
	v_cndmask_b32_e64 v4, 0, 1.0, s[24:25]
	s_mov_b32 s2, 0x47800000
	v_cmp_gt_u32_e32 vcc, s2, v4
	v_mov_b32_e32 v5, 0x80
	s_and_saveexec_b64 s[2:3], vcc
	s_cbranch_execz .LBB70_1964
; %bb.1959:
	s_mov_b32 s4, 0x37ffffff
	v_cmp_lt_u32_e32 vcc, s4, v4
	s_mov_b64 s[4:5], 0
                                        ; implicit-def: $vgpr3
	s_and_saveexec_b64 s[10:11], vcc
	s_xor_b64 s[10:11], exec, s[10:11]
	s_cbranch_execz .LBB70_2131
; %bb.1960:
	v_bfe_u32 v3, v4, 21, 1
	s_mov_b32 s12, 0x88fffff
	v_add3_u32 v3, v4, v3, s12
	s_mov_b64 s[4:5], exec
	v_lshrrev_b32_e32 v3, 21, v3
                                        ; implicit-def: $vgpr4
	s_andn2_saveexec_b64 s[10:11], s[10:11]
	s_cbranch_execnz .LBB70_2132
.LBB70_1961:
	s_or_b64 exec, exec, s[10:11]
	v_mov_b32_e32 v5, 0
	s_and_saveexec_b64 s[10:11], s[4:5]
.LBB70_1962:
	v_mov_b32_e32 v5, v3
.LBB70_1963:
	s_or_b64 exec, exec, s[10:11]
.LBB70_1964:
	s_or_b64 exec, exec, s[2:3]
	s_mov_b64 s[2:3], 0
	global_store_byte v[0:1], v5, off
.LBB70_1965:
	s_and_b64 vcc, exec, s[2:3]
	s_cbranch_vccz .LBB70_1975
; %bb.1966:
	v_cndmask_b32_e64 v3, 0, 1.0, s[24:25]
	s_mov_b32 s2, 0x43f00000
	v_cmp_gt_u32_e32 vcc, s2, v3
                                        ; implicit-def: $vgpr4
	s_and_saveexec_b64 s[2:3], vcc
	s_xor_b64 s[2:3], exec, s[2:3]
	s_cbranch_execz .LBB70_1972
; %bb.1967:
	s_mov_b32 s4, 0x3c7fffff
	v_cmp_lt_u32_e32 vcc, s4, v3
                                        ; implicit-def: $vgpr4
	s_and_saveexec_b64 s[4:5], vcc
	s_xor_b64 s[4:5], exec, s[4:5]
; %bb.1968:
	v_bfe_u32 v4, v3, 20, 1
	s_mov_b32 s10, 0x407ffff
	v_add3_u32 v3, v3, v4, s10
	v_lshrrev_b32_e32 v4, 20, v3
	v_and_b32_e32 v3, 0xff00000, v3
	s_mov_b32 s10, 0x7f00000
	v_mov_b32_e32 v5, 0x7e
	v_cmp_ne_u32_e32 vcc, s10, v3
	v_cndmask_b32_e32 v4, v5, v4, vcc
                                        ; implicit-def: $vgpr3
; %bb.1969:
	s_andn2_saveexec_b64 s[4:5], s[4:5]
; %bb.1970:
	v_add_f32_e32 v4, 0x46800000, v3
; %bb.1971:
	s_or_b64 exec, exec, s[4:5]
                                        ; implicit-def: $vgpr3
.LBB70_1972:
	s_andn2_saveexec_b64 s[2:3], s[2:3]
; %bb.1973:
	s_mov_b32 s4, 0x7f800000
	v_mov_b32_e32 v4, 0x7e
	v_mov_b32_e32 v5, 0x7f
	v_cmp_lt_u32_e32 vcc, s4, v3
	v_cndmask_b32_e32 v4, v4, v5, vcc
; %bb.1974:
	s_or_b64 exec, exec, s[2:3]
	global_store_byte v[0:1], v4, off
.LBB70_1975:
	s_mov_b64 s[2:3], 0
.LBB70_1976:
	s_andn2_b64 vcc, exec, s[2:3]
	s_cbranch_vccnz .LBB70_1986
; %bb.1977:
	v_cndmask_b32_e64 v3, 0, 1.0, s[24:25]
	s_mov_b32 s2, 0x47800000
	v_cmp_gt_u32_e32 vcc, s2, v3
                                        ; implicit-def: $vgpr4
	s_and_saveexec_b64 s[2:3], vcc
	s_xor_b64 s[2:3], exec, s[2:3]
	s_cbranch_execz .LBB70_1983
; %bb.1978:
	s_mov_b32 s4, 0x387fffff
	v_cmp_lt_u32_e32 vcc, s4, v3
                                        ; implicit-def: $vgpr4
	s_and_saveexec_b64 s[4:5], vcc
	s_xor_b64 s[4:5], exec, s[4:5]
; %bb.1979:
	v_bfe_u32 v4, v3, 21, 1
	s_mov_b32 s10, 0x80fffff
	v_add3_u32 v3, v3, v4, s10
	v_lshrrev_b32_e32 v4, 21, v3
                                        ; implicit-def: $vgpr3
; %bb.1980:
	s_andn2_saveexec_b64 s[4:5], s[4:5]
; %bb.1981:
	v_add_f32_e32 v4, 0x43000000, v3
; %bb.1982:
	s_or_b64 exec, exec, s[4:5]
                                        ; implicit-def: $vgpr3
.LBB70_1983:
	s_andn2_saveexec_b64 s[2:3], s[2:3]
; %bb.1984:
	s_mov_b32 s4, 0x7f800000
	v_mov_b32_e32 v4, 0x7c
	v_mov_b32_e32 v5, 0x7f
	v_cmp_lt_u32_e32 vcc, s4, v3
	v_cndmask_b32_e32 v4, v4, v5, vcc
; %bb.1985:
	s_or_b64 exec, exec, s[2:3]
	global_store_byte v[0:1], v4, off
.LBB70_1986:
	s_mov_b64 s[2:3], 0
	s_mov_b64 s[4:5], -1
.LBB70_1987:
	s_andn2_b64 vcc, exec, s[2:3]
	s_mov_b64 s[2:3], 0
	s_cbranch_vccnz .LBB70_1994
; %bb.1988:
	s_cmp_gt_i32 s15, 14
	s_mov_b64 s[10:11], -1
	s_cbranch_scc0 .LBB70_1992
; %bb.1989:
	s_cmp_eq_u32 s15, 15
	s_mov_b64 s[0:1], -1
	s_cbranch_scc0 .LBB70_1991
; %bb.1990:
	v_cndmask_b32_e64 v3, 0, 1.0, s[24:25]
	v_bfe_u32 v4, v3, 16, 1
	s_movk_i32 s0, 0x7fff
	v_add3_u32 v3, v3, v4, s0
	global_store_short_d16_hi v[0:1], v3, off
	s_mov_b64 s[0:1], 0
	s_mov_b64 s[4:5], -1
.LBB70_1991:
	s_mov_b64 s[10:11], 0
.LBB70_1992:
	s_and_b64 vcc, exec, s[10:11]
	s_cbranch_vccz .LBB70_1994
; %bb.1993:
	s_cmp_lg_u32 s15, 11
	s_mov_b64 s[2:3], -1
	s_cselect_b64 s[0:1], -1, 0
.LBB70_1994:
	s_and_b64 vcc, exec, s[0:1]
	s_cbranch_vccnz .LBB70_2130
; %bb.1995:
	s_andn2_b64 vcc, exec, s[2:3]
	s_cbranch_vccnz .LBB70_1997
.LBB70_1996:
	v_cndmask_b32_e64 v3, 0, 1, s[24:25]
	s_mov_b64 s[4:5], -1
	global_store_byte v[0:1], v3, off
.LBB70_1997:
	s_mov_b64 s[0:1], 0
	s_branch .LBB70_1999
.LBB70_1998:
	s_mov_b64 s[0:1], -1
	s_mov_b64 s[4:5], 0
.LBB70_1999:
	s_and_b64 vcc, exec, s[0:1]
	s_cbranch_vccz .LBB70_2038
; %bb.2000:
	s_and_b32 s2, 0xffff, s28
	s_cmp_lt_i32 s2, 5
	s_mov_b64 s[0:1], -1
	s_cbranch_scc1 .LBB70_2021
; %bb.2001:
	s_cmp_lt_i32 s2, 8
	s_cbranch_scc1 .LBB70_2011
; %bb.2002:
	s_cmp_lt_i32 s2, 9
	s_cbranch_scc1 .LBB70_2008
; %bb.2003:
	s_cmp_gt_i32 s2, 9
	s_cbranch_scc0 .LBB70_2005
; %bb.2004:
	v_cndmask_b32_e64 v3, 0, 1, s[24:25]
	v_cvt_f64_u32_e32 v[3:4], v3
	v_mov_b32_e32 v5, 0
	v_mov_b32_e32 v6, v5
	s_mov_b64 s[0:1], 0
	global_store_dwordx4 v[0:1], v[3:6], off
.LBB70_2005:
	s_andn2_b64 vcc, exec, s[0:1]
	s_cbranch_vccnz .LBB70_2007
; %bb.2006:
	v_cndmask_b32_e64 v3, 0, 1.0, s[24:25]
	v_mov_b32_e32 v4, 0
	global_store_dwordx2 v[0:1], v[3:4], off
.LBB70_2007:
	s_mov_b64 s[0:1], 0
.LBB70_2008:
	s_andn2_b64 vcc, exec, s[0:1]
	s_cbranch_vccnz .LBB70_2010
; %bb.2009:
	v_cndmask_b32_e64 v3, 0, 1.0, s[24:25]
	v_cvt_f16_f32_e32 v3, v3
	global_store_dword v[0:1], v3, off
.LBB70_2010:
	s_mov_b64 s[0:1], 0
.LBB70_2011:
	s_andn2_b64 vcc, exec, s[0:1]
	s_cbranch_vccnz .LBB70_2020
; %bb.2012:
	s_cmp_lt_i32 s2, 6
	s_mov_b64 s[0:1], -1
	s_cbranch_scc1 .LBB70_2018
; %bb.2013:
	s_cmp_gt_i32 s2, 6
	s_cbranch_scc0 .LBB70_2015
; %bb.2014:
	v_cndmask_b32_e64 v3, 0, 1, s[24:25]
	v_cvt_f64_u32_e32 v[3:4], v3
	s_mov_b64 s[0:1], 0
	global_store_dwordx2 v[0:1], v[3:4], off
.LBB70_2015:
	s_andn2_b64 vcc, exec, s[0:1]
	s_cbranch_vccnz .LBB70_2017
; %bb.2016:
	v_cndmask_b32_e64 v3, 0, 1.0, s[24:25]
	global_store_dword v[0:1], v3, off
.LBB70_2017:
	s_mov_b64 s[0:1], 0
.LBB70_2018:
	s_andn2_b64 vcc, exec, s[0:1]
	s_cbranch_vccnz .LBB70_2020
; %bb.2019:
	v_cndmask_b32_e64 v3, 0, 1.0, s[24:25]
	v_cvt_f16_f32_e32 v3, v3
	global_store_short v[0:1], v3, off
.LBB70_2020:
	s_mov_b64 s[0:1], 0
.LBB70_2021:
	s_andn2_b64 vcc, exec, s[0:1]
	s_cbranch_vccnz .LBB70_2037
; %bb.2022:
	s_cmp_lt_i32 s2, 2
	s_mov_b64 s[0:1], -1
	s_cbranch_scc1 .LBB70_2032
; %bb.2023:
	s_cmp_lt_i32 s2, 3
	s_cbranch_scc1 .LBB70_2029
; %bb.2024:
	s_cmp_gt_i32 s2, 3
	s_cbranch_scc0 .LBB70_2026
; %bb.2025:
	s_mov_b32 s0, 0
	v_cndmask_b32_e64 v3, 0, 1, s[24:25]
	v_mov_b32_e32 v4, s0
	global_store_dwordx2 v[0:1], v[3:4], off
	s_mov_b64 s[0:1], 0
.LBB70_2026:
	s_andn2_b64 vcc, exec, s[0:1]
	s_cbranch_vccnz .LBB70_2028
; %bb.2027:
	v_cndmask_b32_e64 v3, 0, 1, s[24:25]
	global_store_dword v[0:1], v3, off
.LBB70_2028:
	s_mov_b64 s[0:1], 0
.LBB70_2029:
	s_andn2_b64 vcc, exec, s[0:1]
	s_cbranch_vccnz .LBB70_2031
; %bb.2030:
	v_cndmask_b32_e64 v3, 0, 1, s[24:25]
	global_store_short v[0:1], v3, off
.LBB70_2031:
	s_mov_b64 s[0:1], 0
.LBB70_2032:
	s_andn2_b64 vcc, exec, s[0:1]
	s_cbranch_vccnz .LBB70_2037
; %bb.2033:
	s_mov_b64 s[0:1], -1
	s_cmp_gt_i32 s2, 0
	v_cndmask_b32_e64 v3, 0, 1, s[24:25]
	s_cbranch_scc0 .LBB70_2035
; %bb.2034:
	global_store_byte v[0:1], v3, off
	s_mov_b64 s[0:1], 0
.LBB70_2035:
	s_andn2_b64 vcc, exec, s[0:1]
	s_cbranch_vccnz .LBB70_2037
; %bb.2036:
	global_store_byte v[0:1], v3, off
.LBB70_2037:
	s_mov_b64 s[4:5], -1
.LBB70_2038:
	s_andn2_b64 vcc, exec, s[4:5]
	s_cbranch_vccnz .LBB70_2115
; %bb.2039:
	v_add_u32_e32 v0, s14, v2
	v_ashrrev_i32_e32 v1, 31, v0
	v_mov_b32_e32 v2, s9
	v_add_co_u32_e32 v0, vcc, s8, v0
	s_cmp_lt_i32 s28, 11
	v_addc_co_u32_e32 v1, vcc, v2, v1, vcc
	s_cbranch_scc1 .LBB70_2116
; %bb.2040:
	s_and_b32 s12, 0xffff, s28
	s_mov_b64 s[4:5], -1
	s_mov_b64 s[2:3], 0
	s_cmp_gt_i32 s12, 25
	s_mov_b64 s[0:1], 0
	s_cbranch_scc0 .LBB70_2073
; %bb.2041:
	s_cmp_gt_i32 s12, 28
	s_cbranch_scc0 .LBB70_2057
; %bb.2042:
	s_cmp_gt_i32 s12, 43
	;; [unrolled: 3-line block ×3, first 2 shown]
	s_cbranch_scc0 .LBB70_2047
; %bb.2044:
	s_cmp_eq_u32 s12, 46
	s_mov_b64 s[0:1], -1
	s_cbranch_scc0 .LBB70_2046
; %bb.2045:
	v_cndmask_b32_e64 v2, 0, 1.0, s[22:23]
	v_bfe_u32 v3, v2, 16, 1
	s_movk_i32 s0, 0x7fff
	v_add3_u32 v2, v2, v3, s0
	v_lshrrev_b32_e32 v2, 16, v2
	global_store_dword v[0:1], v2, off
	s_mov_b64 s[0:1], 0
.LBB70_2046:
	s_mov_b64 s[4:5], 0
.LBB70_2047:
	s_and_b64 vcc, exec, s[4:5]
	s_cbranch_vccz .LBB70_2052
; %bb.2048:
	s_cmp_eq_u32 s12, 44
	s_mov_b64 s[0:1], -1
	s_cbranch_scc0 .LBB70_2052
; %bb.2049:
	v_cndmask_b32_e64 v3, 0, 1.0, s[22:23]
	v_lshrrev_b32_e32 v2, 23, v3
	s_movk_i32 s0, 0xff
	v_cmp_ne_u32_e32 vcc, s0, v2
	v_mov_b32_e32 v4, 0xff
	s_and_saveexec_b64 s[4:5], vcc
; %bb.2050:
	s_mov_b32 s0, 0x3fffff
	v_and_b32_e32 v4, 0x400000, v3
	v_and_or_b32 v3, v3, s0, v2
	v_cmp_ne_u32_e32 vcc, 0, v4
	v_cmp_ne_u32_e64 s[0:1], 0, v3
	s_and_b64 s[0:1], vcc, s[0:1]
	v_cndmask_b32_e64 v3, 0, 1, s[0:1]
	v_add_u32_e32 v4, v2, v3
; %bb.2051:
	s_or_b64 exec, exec, s[4:5]
	s_mov_b64 s[0:1], 0
	global_store_byte v[0:1], v4, off
.LBB70_2052:
	s_mov_b64 s[4:5], 0
.LBB70_2053:
	s_and_b64 vcc, exec, s[4:5]
	s_cbranch_vccz .LBB70_2056
; %bb.2054:
	s_cmp_eq_u32 s12, 29
	s_mov_b64 s[0:1], -1
	s_cbranch_scc0 .LBB70_2056
; %bb.2055:
	s_mov_b32 s0, 0
	v_cndmask_b32_e64 v2, 0, 1, s[22:23]
	v_mov_b32_e32 v3, s0
	global_store_dwordx2 v[0:1], v[2:3], off
	s_mov_b64 s[0:1], 0
.LBB70_2056:
	s_mov_b64 s[4:5], 0
.LBB70_2057:
	s_and_b64 vcc, exec, s[4:5]
	s_cbranch_vccz .LBB70_2072
; %bb.2058:
	s_cmp_lt_i32 s12, 27
	s_mov_b64 s[4:5], -1
	s_cbranch_scc1 .LBB70_2064
; %bb.2059:
	s_cmp_gt_i32 s12, 27
	v_cndmask_b32_e64 v2, 0, 1, s[22:23]
	s_cbranch_scc0 .LBB70_2061
; %bb.2060:
	global_store_dword v[0:1], v2, off
	s_mov_b64 s[4:5], 0
.LBB70_2061:
	s_andn2_b64 vcc, exec, s[4:5]
	s_cbranch_vccnz .LBB70_2063
; %bb.2062:
	global_store_short v[0:1], v2, off
.LBB70_2063:
	s_mov_b64 s[4:5], 0
.LBB70_2064:
	s_andn2_b64 vcc, exec, s[4:5]
	s_cbranch_vccnz .LBB70_2072
; %bb.2065:
	v_cndmask_b32_e64 v3, 0, 1.0, s[22:23]
	s_mov_b32 s4, 0x43800000
	v_cmp_gt_u32_e32 vcc, s4, v3
	v_mov_b32_e32 v4, 0x80
	s_and_saveexec_b64 s[4:5], vcc
	s_cbranch_execz .LBB70_2071
; %bb.2066:
	s_mov_b32 s8, 0x3bffffff
	v_cmp_lt_u32_e32 vcc, s8, v3
	s_mov_b64 s[8:9], 0
                                        ; implicit-def: $vgpr2
	s_and_saveexec_b64 s[10:11], vcc
	s_xor_b64 s[10:11], exec, s[10:11]
	s_cbranch_execz .LBB70_2133
; %bb.2067:
	v_bfe_u32 v2, v3, 20, 1
	s_mov_b32 s13, 0x487ffff
	v_add3_u32 v2, v3, v2, s13
	s_mov_b64 s[8:9], exec
	v_lshrrev_b32_e32 v2, 20, v2
                                        ; implicit-def: $vgpr3
	s_andn2_saveexec_b64 s[10:11], s[10:11]
	s_cbranch_execnz .LBB70_2134
.LBB70_2068:
	s_or_b64 exec, exec, s[10:11]
	v_mov_b32_e32 v4, 0
	s_and_saveexec_b64 s[10:11], s[8:9]
.LBB70_2069:
	v_mov_b32_e32 v4, v2
.LBB70_2070:
	s_or_b64 exec, exec, s[10:11]
.LBB70_2071:
	s_or_b64 exec, exec, s[4:5]
	global_store_byte v[0:1], v4, off
.LBB70_2072:
	s_mov_b64 s[4:5], 0
.LBB70_2073:
	s_and_b64 vcc, exec, s[4:5]
	s_cbranch_vccz .LBB70_2113
; %bb.2074:
	s_cmp_gt_i32 s12, 22
	s_mov_b64 s[2:3], -1
	s_cbranch_scc0 .LBB70_2106
; %bb.2075:
	s_cmp_lt_i32 s12, 24
	s_cbranch_scc1 .LBB70_2095
; %bb.2076:
	s_cmp_gt_i32 s12, 24
	s_cbranch_scc0 .LBB70_2084
; %bb.2077:
	v_cndmask_b32_e64 v3, 0, 1.0, s[22:23]
	s_mov_b32 s2, 0x47800000
	v_cmp_gt_u32_e32 vcc, s2, v3
	v_mov_b32_e32 v4, 0x80
	s_and_saveexec_b64 s[2:3], vcc
	s_cbranch_execz .LBB70_2083
; %bb.2078:
	s_mov_b32 s4, 0x37ffffff
	v_cmp_lt_u32_e32 vcc, s4, v3
	s_mov_b64 s[4:5], 0
                                        ; implicit-def: $vgpr2
	s_and_saveexec_b64 s[8:9], vcc
	s_xor_b64 s[8:9], exec, s[8:9]
	s_cbranch_execz .LBB70_2136
; %bb.2079:
	v_bfe_u32 v2, v3, 21, 1
	s_mov_b32 s10, 0x88fffff
	v_add3_u32 v2, v3, v2, s10
	s_mov_b64 s[4:5], exec
	v_lshrrev_b32_e32 v2, 21, v2
                                        ; implicit-def: $vgpr3
	s_andn2_saveexec_b64 s[8:9], s[8:9]
	s_cbranch_execnz .LBB70_2137
.LBB70_2080:
	s_or_b64 exec, exec, s[8:9]
	v_mov_b32_e32 v4, 0
	s_and_saveexec_b64 s[8:9], s[4:5]
.LBB70_2081:
	v_mov_b32_e32 v4, v2
.LBB70_2082:
	s_or_b64 exec, exec, s[8:9]
.LBB70_2083:
	s_or_b64 exec, exec, s[2:3]
	s_mov_b64 s[2:3], 0
	global_store_byte v[0:1], v4, off
.LBB70_2084:
	s_and_b64 vcc, exec, s[2:3]
	s_cbranch_vccz .LBB70_2094
; %bb.2085:
	v_cndmask_b32_e64 v2, 0, 1.0, s[22:23]
	s_mov_b32 s2, 0x43f00000
	v_cmp_gt_u32_e32 vcc, s2, v2
                                        ; implicit-def: $vgpr3
	s_and_saveexec_b64 s[2:3], vcc
	s_xor_b64 s[2:3], exec, s[2:3]
	s_cbranch_execz .LBB70_2091
; %bb.2086:
	s_mov_b32 s4, 0x3c7fffff
	v_cmp_lt_u32_e32 vcc, s4, v2
                                        ; implicit-def: $vgpr3
	s_and_saveexec_b64 s[4:5], vcc
	s_xor_b64 s[4:5], exec, s[4:5]
; %bb.2087:
	v_bfe_u32 v3, v2, 20, 1
	s_mov_b32 s8, 0x407ffff
	v_add3_u32 v2, v2, v3, s8
	v_lshrrev_b32_e32 v3, 20, v2
	v_and_b32_e32 v2, 0xff00000, v2
	s_mov_b32 s8, 0x7f00000
	v_mov_b32_e32 v4, 0x7e
	v_cmp_ne_u32_e32 vcc, s8, v2
	v_cndmask_b32_e32 v3, v4, v3, vcc
                                        ; implicit-def: $vgpr2
; %bb.2088:
	s_andn2_saveexec_b64 s[4:5], s[4:5]
; %bb.2089:
	v_add_f32_e32 v3, 0x46800000, v2
; %bb.2090:
	s_or_b64 exec, exec, s[4:5]
                                        ; implicit-def: $vgpr2
.LBB70_2091:
	s_andn2_saveexec_b64 s[2:3], s[2:3]
; %bb.2092:
	s_mov_b32 s4, 0x7f800000
	v_mov_b32_e32 v3, 0x7e
	v_mov_b32_e32 v4, 0x7f
	v_cmp_lt_u32_e32 vcc, s4, v2
	v_cndmask_b32_e32 v3, v3, v4, vcc
; %bb.2093:
	s_or_b64 exec, exec, s[2:3]
	global_store_byte v[0:1], v3, off
.LBB70_2094:
	s_mov_b64 s[2:3], 0
.LBB70_2095:
	s_andn2_b64 vcc, exec, s[2:3]
	s_cbranch_vccnz .LBB70_2105
; %bb.2096:
	v_cndmask_b32_e64 v2, 0, 1.0, s[22:23]
	s_mov_b32 s2, 0x47800000
	v_cmp_gt_u32_e32 vcc, s2, v2
                                        ; implicit-def: $vgpr3
	s_and_saveexec_b64 s[2:3], vcc
	s_xor_b64 s[2:3], exec, s[2:3]
	s_cbranch_execz .LBB70_2102
; %bb.2097:
	s_mov_b32 s4, 0x387fffff
	v_cmp_lt_u32_e32 vcc, s4, v2
                                        ; implicit-def: $vgpr3
	s_and_saveexec_b64 s[4:5], vcc
	s_xor_b64 s[4:5], exec, s[4:5]
; %bb.2098:
	v_bfe_u32 v3, v2, 21, 1
	s_mov_b32 s8, 0x80fffff
	v_add3_u32 v2, v2, v3, s8
	v_lshrrev_b32_e32 v3, 21, v2
                                        ; implicit-def: $vgpr2
; %bb.2099:
	s_andn2_saveexec_b64 s[4:5], s[4:5]
; %bb.2100:
	v_add_f32_e32 v3, 0x43000000, v2
; %bb.2101:
	s_or_b64 exec, exec, s[4:5]
                                        ; implicit-def: $vgpr2
.LBB70_2102:
	s_andn2_saveexec_b64 s[2:3], s[2:3]
; %bb.2103:
	s_mov_b32 s4, 0x7f800000
	v_mov_b32_e32 v3, 0x7c
	v_mov_b32_e32 v4, 0x7f
	v_cmp_lt_u32_e32 vcc, s4, v2
	v_cndmask_b32_e32 v3, v3, v4, vcc
; %bb.2104:
	s_or_b64 exec, exec, s[2:3]
	global_store_byte v[0:1], v3, off
.LBB70_2105:
	s_mov_b64 s[2:3], 0
.LBB70_2106:
	s_andn2_b64 vcc, exec, s[2:3]
	s_mov_b64 s[2:3], 0
	s_cbranch_vccnz .LBB70_2113
; %bb.2107:
	s_cmp_gt_i32 s12, 14
	s_mov_b64 s[4:5], -1
	s_cbranch_scc0 .LBB70_2111
; %bb.2108:
	s_cmp_eq_u32 s12, 15
	s_mov_b64 s[0:1], -1
	s_cbranch_scc0 .LBB70_2110
; %bb.2109:
	v_cndmask_b32_e64 v2, 0, 1.0, s[22:23]
	v_bfe_u32 v3, v2, 16, 1
	s_movk_i32 s0, 0x7fff
	v_add3_u32 v2, v2, v3, s0
	global_store_short_d16_hi v[0:1], v2, off
	s_mov_b64 s[0:1], 0
.LBB70_2110:
	s_mov_b64 s[4:5], 0
.LBB70_2111:
	s_and_b64 vcc, exec, s[4:5]
	s_cbranch_vccz .LBB70_2113
; %bb.2112:
	s_cmp_lg_u32 s12, 11
	s_mov_b64 s[2:3], -1
	s_cselect_b64 s[0:1], -1, 0
.LBB70_2113:
	s_and_b64 vcc, exec, s[0:1]
	s_cbranch_vccnz .LBB70_2135
.LBB70_2114:
	s_mov_b64 s[0:1], 0
	s_branch .LBB70_1625
.LBB70_2115:
	s_mov_b64 s[0:1], 0
	s_branch .LBB70_1624
.LBB70_2116:
	s_mov_b64 s[2:3], 0
	s_mov_b64 s[0:1], -1
	s_branch .LBB70_1625
.LBB70_2117:
	s_trap 2
	s_or_b64 s[18:19], s[18:19], exec
	s_cbranch_execz .LBB70_1567
	s_branch .LBB70_1568
.LBB70_2118:
	s_andn2_saveexec_b64 s[26:27], s[26:27]
	s_cbranch_execz .LBB70_1708
.LBB70_2119:
	v_add_f32_e32 v3, 0x46000000, v4
	v_and_b32_e32 v3, 0xff, v3
	v_cmp_ne_u32_e32 vcc, 0, v3
	s_andn2_b64 s[14:15], s[14:15], exec
	s_and_b64 s[30:31], vcc, exec
	s_or_b64 s[14:15], s[14:15], s[30:31]
	s_or_b64 exec, exec, s[26:27]
	v_mov_b32_e32 v5, 0
	s_and_saveexec_b64 s[26:27], s[14:15]
	s_cbranch_execnz .LBB70_1709
	s_branch .LBB70_1710
.LBB70_2120:
	s_trap 2
	s_or_b64 s[18:19], s[18:19], exec
	s_cbranch_execz .LBB70_1756
	s_branch .LBB70_1757
.LBB70_2121:
	s_andn2_saveexec_b64 s[14:15], s[14:15]
	s_cbranch_execz .LBB70_1721
.LBB70_2122:
	v_add_f32_e32 v3, 0x42800000, v4
	v_and_b32_e32 v3, 0xff, v3
	v_cmp_ne_u32_e32 vcc, 0, v3
	s_andn2_b64 s[10:11], s[10:11], exec
	s_and_b64 s[26:27], vcc, exec
	s_or_b64 s[10:11], s[10:11], s[26:27]
	s_or_b64 exec, exec, s[14:15]
	v_mov_b32_e32 v5, 0
	s_and_saveexec_b64 s[14:15], s[10:11]
	s_cbranch_execnz .LBB70_1722
	s_branch .LBB70_1723
.LBB70_2123:
	s_andn2_saveexec_b64 s[12:13], s[12:13]
	s_cbranch_execz .LBB70_1829
.LBB70_2124:
	v_add_f32_e32 v3, 0x46000000, v4
	v_and_b32_e32 v3, 0xff, v3
	v_cmp_ne_u32_e32 vcc, 0, v3
	s_andn2_b64 s[10:11], s[10:11], exec
	s_and_b64 s[26:27], vcc, exec
	s_or_b64 s[10:11], s[10:11], s[26:27]
	s_or_b64 exec, exec, s[12:13]
	v_mov_b32_e32 v5, 0
	s_and_saveexec_b64 s[12:13], s[10:11]
	s_cbranch_execnz .LBB70_1830
	s_branch .LBB70_1831
.LBB70_2125:
	s_trap 2
	s_or_b64 s[18:19], s[18:19], exec
	s_cbranch_execz .LBB70_1877
	s_branch .LBB70_1878
.LBB70_2126:
	s_andn2_saveexec_b64 s[10:11], s[10:11]
	s_cbranch_execz .LBB70_1842
.LBB70_2127:
	v_add_f32_e32 v3, 0x42800000, v4
	v_and_b32_e32 v3, 0xff, v3
	v_cmp_ne_u32_e32 vcc, 0, v3
	s_andn2_b64 s[4:5], s[4:5], exec
	s_and_b64 s[12:13], vcc, exec
	s_or_b64 s[4:5], s[4:5], s[12:13]
	s_or_b64 exec, exec, s[10:11]
	v_mov_b32_e32 v5, 0
	s_and_saveexec_b64 s[10:11], s[4:5]
	s_cbranch_execnz .LBB70_1843
	s_branch .LBB70_1844
.LBB70_2128:
	s_andn2_saveexec_b64 s[12:13], s[12:13]
	s_cbranch_execz .LBB70_1948
.LBB70_2129:
	v_add_f32_e32 v3, 0x46000000, v4
	v_and_b32_e32 v3, 0xff, v3
	v_cmp_ne_u32_e32 vcc, 0, v3
	s_andn2_b64 s[10:11], s[10:11], exec
	s_and_b64 s[20:21], vcc, exec
	s_or_b64 s[10:11], s[10:11], s[20:21]
	s_or_b64 exec, exec, s[12:13]
	v_mov_b32_e32 v5, 0
	s_and_saveexec_b64 s[12:13], s[10:11]
	s_cbranch_execnz .LBB70_1949
	s_branch .LBB70_1950
.LBB70_2130:
	s_trap 2
	s_or_b64 s[18:19], s[18:19], exec
	s_cbranch_execz .LBB70_1996
	s_branch .LBB70_1997
.LBB70_2131:
	s_andn2_saveexec_b64 s[10:11], s[10:11]
	s_cbranch_execz .LBB70_1961
.LBB70_2132:
	v_add_f32_e32 v3, 0x42800000, v4
	v_and_b32_e32 v3, 0xff, v3
	v_cmp_ne_u32_e32 vcc, 0, v3
	s_andn2_b64 s[4:5], s[4:5], exec
	s_and_b64 s[12:13], vcc, exec
	s_or_b64 s[4:5], s[4:5], s[12:13]
	s_or_b64 exec, exec, s[10:11]
	v_mov_b32_e32 v5, 0
	s_and_saveexec_b64 s[10:11], s[4:5]
	s_cbranch_execnz .LBB70_1962
	s_branch .LBB70_1963
.LBB70_2133:
	s_andn2_saveexec_b64 s[10:11], s[10:11]
	s_cbranch_execz .LBB70_2068
.LBB70_2134:
	v_add_f32_e32 v2, 0x46000000, v3
	v_and_b32_e32 v2, 0xff, v2
	v_cmp_ne_u32_e32 vcc, 0, v2
	s_andn2_b64 s[8:9], s[8:9], exec
	s_and_b64 s[14:15], vcc, exec
	s_or_b64 s[8:9], s[8:9], s[14:15]
	s_or_b64 exec, exec, s[10:11]
	v_mov_b32_e32 v4, 0
	s_and_saveexec_b64 s[10:11], s[8:9]
	s_cbranch_execnz .LBB70_2069
	s_branch .LBB70_2070
.LBB70_2135:
	s_mov_b64 s[2:3], 0
	s_or_b64 s[18:19], s[18:19], exec
	s_trap 2
	s_branch .LBB70_2114
.LBB70_2136:
	s_andn2_saveexec_b64 s[8:9], s[8:9]
	s_cbranch_execz .LBB70_2080
.LBB70_2137:
	v_add_f32_e32 v2, 0x42800000, v3
	v_and_b32_e32 v2, 0xff, v2
	v_cmp_ne_u32_e32 vcc, 0, v2
	s_andn2_b64 s[4:5], s[4:5], exec
	s_and_b64 s[10:11], vcc, exec
	s_or_b64 s[4:5], s[4:5], s[10:11]
	s_or_b64 exec, exec, s[8:9]
	v_mov_b32_e32 v4, 0
	s_and_saveexec_b64 s[8:9], s[4:5]
	s_cbranch_execnz .LBB70_2081
	s_branch .LBB70_2082
	.section	.rodata,"a",@progbits
	.p2align	6, 0x0
	.amdhsa_kernel _ZN2at6native32elementwise_kernel_manual_unrollILi128ELi4EZNS0_15gpu_kernel_implIZNS0_21compare_scalar_kernelIsEEvRNS_18TensorIteratorBaseENS0_12_GLOBAL__N_16OpTypeET_EUlsE_EEvS5_RKS8_EUlibE_EEviT1_
		.amdhsa_group_segment_fixed_size 0
		.amdhsa_private_segment_fixed_size 0
		.amdhsa_kernarg_size 48
		.amdhsa_user_sgpr_count 6
		.amdhsa_user_sgpr_private_segment_buffer 1
		.amdhsa_user_sgpr_dispatch_ptr 0
		.amdhsa_user_sgpr_queue_ptr 0
		.amdhsa_user_sgpr_kernarg_segment_ptr 1
		.amdhsa_user_sgpr_dispatch_id 0
		.amdhsa_user_sgpr_flat_scratch_init 0
		.amdhsa_user_sgpr_private_segment_size 0
		.amdhsa_uses_dynamic_stack 0
		.amdhsa_system_sgpr_private_segment_wavefront_offset 0
		.amdhsa_system_sgpr_workgroup_id_x 1
		.amdhsa_system_sgpr_workgroup_id_y 0
		.amdhsa_system_sgpr_workgroup_id_z 0
		.amdhsa_system_sgpr_workgroup_info 0
		.amdhsa_system_vgpr_workitem_id 0
		.amdhsa_next_free_vgpr 10
		.amdhsa_next_free_sgpr 46
		.amdhsa_reserve_vcc 1
		.amdhsa_reserve_flat_scratch 0
		.amdhsa_float_round_mode_32 0
		.amdhsa_float_round_mode_16_64 0
		.amdhsa_float_denorm_mode_32 3
		.amdhsa_float_denorm_mode_16_64 3
		.amdhsa_dx10_clamp 1
		.amdhsa_ieee_mode 1
		.amdhsa_fp16_overflow 0
		.amdhsa_exception_fp_ieee_invalid_op 0
		.amdhsa_exception_fp_denorm_src 0
		.amdhsa_exception_fp_ieee_div_zero 0
		.amdhsa_exception_fp_ieee_overflow 0
		.amdhsa_exception_fp_ieee_underflow 0
		.amdhsa_exception_fp_ieee_inexact 0
		.amdhsa_exception_int_div_zero 0
	.end_amdhsa_kernel
	.section	.text._ZN2at6native32elementwise_kernel_manual_unrollILi128ELi4EZNS0_15gpu_kernel_implIZNS0_21compare_scalar_kernelIsEEvRNS_18TensorIteratorBaseENS0_12_GLOBAL__N_16OpTypeET_EUlsE_EEvS5_RKS8_EUlibE_EEviT1_,"axG",@progbits,_ZN2at6native32elementwise_kernel_manual_unrollILi128ELi4EZNS0_15gpu_kernel_implIZNS0_21compare_scalar_kernelIsEEvRNS_18TensorIteratorBaseENS0_12_GLOBAL__N_16OpTypeET_EUlsE_EEvS5_RKS8_EUlibE_EEviT1_,comdat
.Lfunc_end70:
	.size	_ZN2at6native32elementwise_kernel_manual_unrollILi128ELi4EZNS0_15gpu_kernel_implIZNS0_21compare_scalar_kernelIsEEvRNS_18TensorIteratorBaseENS0_12_GLOBAL__N_16OpTypeET_EUlsE_EEvS5_RKS8_EUlibE_EEviT1_, .Lfunc_end70-_ZN2at6native32elementwise_kernel_manual_unrollILi128ELi4EZNS0_15gpu_kernel_implIZNS0_21compare_scalar_kernelIsEEvRNS_18TensorIteratorBaseENS0_12_GLOBAL__N_16OpTypeET_EUlsE_EEvS5_RKS8_EUlibE_EEviT1_
                                        ; -- End function
	.set _ZN2at6native32elementwise_kernel_manual_unrollILi128ELi4EZNS0_15gpu_kernel_implIZNS0_21compare_scalar_kernelIsEEvRNS_18TensorIteratorBaseENS0_12_GLOBAL__N_16OpTypeET_EUlsE_EEvS5_RKS8_EUlibE_EEviT1_.num_vgpr, 10
	.set _ZN2at6native32elementwise_kernel_manual_unrollILi128ELi4EZNS0_15gpu_kernel_implIZNS0_21compare_scalar_kernelIsEEvRNS_18TensorIteratorBaseENS0_12_GLOBAL__N_16OpTypeET_EUlsE_EEvS5_RKS8_EUlibE_EEviT1_.num_agpr, 0
	.set _ZN2at6native32elementwise_kernel_manual_unrollILi128ELi4EZNS0_15gpu_kernel_implIZNS0_21compare_scalar_kernelIsEEvRNS_18TensorIteratorBaseENS0_12_GLOBAL__N_16OpTypeET_EUlsE_EEvS5_RKS8_EUlibE_EEviT1_.numbered_sgpr, 46
	.set _ZN2at6native32elementwise_kernel_manual_unrollILi128ELi4EZNS0_15gpu_kernel_implIZNS0_21compare_scalar_kernelIsEEvRNS_18TensorIteratorBaseENS0_12_GLOBAL__N_16OpTypeET_EUlsE_EEvS5_RKS8_EUlibE_EEviT1_.num_named_barrier, 0
	.set _ZN2at6native32elementwise_kernel_manual_unrollILi128ELi4EZNS0_15gpu_kernel_implIZNS0_21compare_scalar_kernelIsEEvRNS_18TensorIteratorBaseENS0_12_GLOBAL__N_16OpTypeET_EUlsE_EEvS5_RKS8_EUlibE_EEviT1_.private_seg_size, 0
	.set _ZN2at6native32elementwise_kernel_manual_unrollILi128ELi4EZNS0_15gpu_kernel_implIZNS0_21compare_scalar_kernelIsEEvRNS_18TensorIteratorBaseENS0_12_GLOBAL__N_16OpTypeET_EUlsE_EEvS5_RKS8_EUlibE_EEviT1_.uses_vcc, 1
	.set _ZN2at6native32elementwise_kernel_manual_unrollILi128ELi4EZNS0_15gpu_kernel_implIZNS0_21compare_scalar_kernelIsEEvRNS_18TensorIteratorBaseENS0_12_GLOBAL__N_16OpTypeET_EUlsE_EEvS5_RKS8_EUlibE_EEviT1_.uses_flat_scratch, 0
	.set _ZN2at6native32elementwise_kernel_manual_unrollILi128ELi4EZNS0_15gpu_kernel_implIZNS0_21compare_scalar_kernelIsEEvRNS_18TensorIteratorBaseENS0_12_GLOBAL__N_16OpTypeET_EUlsE_EEvS5_RKS8_EUlibE_EEviT1_.has_dyn_sized_stack, 0
	.set _ZN2at6native32elementwise_kernel_manual_unrollILi128ELi4EZNS0_15gpu_kernel_implIZNS0_21compare_scalar_kernelIsEEvRNS_18TensorIteratorBaseENS0_12_GLOBAL__N_16OpTypeET_EUlsE_EEvS5_RKS8_EUlibE_EEviT1_.has_recursion, 0
	.set _ZN2at6native32elementwise_kernel_manual_unrollILi128ELi4EZNS0_15gpu_kernel_implIZNS0_21compare_scalar_kernelIsEEvRNS_18TensorIteratorBaseENS0_12_GLOBAL__N_16OpTypeET_EUlsE_EEvS5_RKS8_EUlibE_EEviT1_.has_indirect_call, 0
	.section	.AMDGPU.csdata,"",@progbits
; Kernel info:
; codeLenInByte = 30636
; TotalNumSgprs: 50
; NumVgprs: 10
; ScratchSize: 0
; MemoryBound: 1
; FloatMode: 240
; IeeeMode: 1
; LDSByteSize: 0 bytes/workgroup (compile time only)
; SGPRBlocks: 6
; VGPRBlocks: 2
; NumSGPRsForWavesPerEU: 50
; NumVGPRsForWavesPerEU: 10
; Occupancy: 10
; WaveLimiterHint : 0
; COMPUTE_PGM_RSRC2:SCRATCH_EN: 0
; COMPUTE_PGM_RSRC2:USER_SGPR: 6
; COMPUTE_PGM_RSRC2:TRAP_HANDLER: 0
; COMPUTE_PGM_RSRC2:TGID_X_EN: 1
; COMPUTE_PGM_RSRC2:TGID_Y_EN: 0
; COMPUTE_PGM_RSRC2:TGID_Z_EN: 0
; COMPUTE_PGM_RSRC2:TIDIG_COMP_CNT: 0
	.section	.text._ZN2at6native32elementwise_kernel_manual_unrollILi128ELi4EZNS0_15gpu_kernel_implIZNS0_21compare_scalar_kernelIsEEvRNS_18TensorIteratorBaseENS0_12_GLOBAL__N_16OpTypeET_EUlsE_EEvS5_RKS8_EUlibE0_EEviT1_,"axG",@progbits,_ZN2at6native32elementwise_kernel_manual_unrollILi128ELi4EZNS0_15gpu_kernel_implIZNS0_21compare_scalar_kernelIsEEvRNS_18TensorIteratorBaseENS0_12_GLOBAL__N_16OpTypeET_EUlsE_EEvS5_RKS8_EUlibE0_EEviT1_,comdat
	.globl	_ZN2at6native32elementwise_kernel_manual_unrollILi128ELi4EZNS0_15gpu_kernel_implIZNS0_21compare_scalar_kernelIsEEvRNS_18TensorIteratorBaseENS0_12_GLOBAL__N_16OpTypeET_EUlsE_EEvS5_RKS8_EUlibE0_EEviT1_ ; -- Begin function _ZN2at6native32elementwise_kernel_manual_unrollILi128ELi4EZNS0_15gpu_kernel_implIZNS0_21compare_scalar_kernelIsEEvRNS_18TensorIteratorBaseENS0_12_GLOBAL__N_16OpTypeET_EUlsE_EEvS5_RKS8_EUlibE0_EEviT1_
	.p2align	8
	.type	_ZN2at6native32elementwise_kernel_manual_unrollILi128ELi4EZNS0_15gpu_kernel_implIZNS0_21compare_scalar_kernelIsEEvRNS_18TensorIteratorBaseENS0_12_GLOBAL__N_16OpTypeET_EUlsE_EEvS5_RKS8_EUlibE0_EEviT1_,@function
_ZN2at6native32elementwise_kernel_manual_unrollILi128ELi4EZNS0_15gpu_kernel_implIZNS0_21compare_scalar_kernelIsEEvRNS_18TensorIteratorBaseENS0_12_GLOBAL__N_16OpTypeET_EUlsE_EEvS5_RKS8_EUlibE0_EEviT1_: ; @_ZN2at6native32elementwise_kernel_manual_unrollILi128ELi4EZNS0_15gpu_kernel_implIZNS0_21compare_scalar_kernelIsEEvRNS_18TensorIteratorBaseENS0_12_GLOBAL__N_16OpTypeET_EUlsE_EEvS5_RKS8_EUlibE0_EEviT1_
; %bb.0:
	s_load_dword s72, s[4:5], 0x0
	s_load_dword s33, s[4:5], 0x8
	s_add_u32 s34, s4, 8
	s_addc_u32 s35, s5, 0
	v_lshl_or_b32 v8, s6, 9, v0
	v_or_b32_e32 v15, 0x180, v8
	s_waitcnt lgkmcnt(0)
	s_add_i32 s74, s33, -1
	s_cmp_gt_u32 s74, 1
	v_cmp_le_i32_e32 vcc, s72, v15
	s_cselect_b64 s[40:41], -1, 0
	s_mov_b64 s[6:7], 0
	s_mov_b64 s[28:29], 0
	s_and_saveexec_b64 s[0:1], vcc
	s_xor_b64 s[42:43], exec, s[0:1]
	s_cbranch_execz .LBB71_1135
; %bb.1:
	s_load_dwordx4 s[28:31], s[34:35], 0x4
	s_load_dwordx2 s[46:47], s[34:35], 0x14
	s_load_dwordx2 s[44:45], s[34:35], 0x158
	s_load_dword s75, s[34:35], 0x160
	s_cmp_lg_u32 s33, 0
	s_load_dwordx4 s[36:39], s[34:35], 0xc4
	s_load_dwordx4 s[24:27], s[34:35], 0x148
	s_cselect_b64 s[52:53], -1, 0
	s_add_u32 s50, s34, 0xc4
	s_addc_u32 s51, s35, 0
	s_min_u32 s77, s74, 15
	s_cmp_gt_u32 s33, 1
	s_cselect_b64 s[48:49], -1, 0
	s_waitcnt lgkmcnt(0)
	s_bfe_u32 s76, s75, 0x80008
	v_cmp_gt_i32_e32 vcc, s72, v8
	s_mov_b64 s[2:3], -1
	s_mov_b64 s[62:63], 0
	s_mov_b64 s[56:57], 0
	;; [unrolled: 1-line block ×3, first 2 shown]
	s_and_saveexec_b64 s[58:59], vcc
	s_cbranch_execz .LBB71_278
; %bb.2:
	s_andn2_b64 vcc, exec, s[40:41]
	s_cbranch_vccnz .LBB71_7
; %bb.3:
	s_andn2_b64 vcc, exec, s[52:53]
	s_cbranch_vccnz .LBB71_8
; %bb.4:
	s_add_i32 s61, s77, 1
	s_cmp_eq_u32 s74, 2
	s_cbranch_scc1 .LBB71_9
; %bb.5:
	s_and_b32 s60, s61, 28
	v_mov_b32_e32 v2, 0
	s_mov_b32 s64, 0
	s_mov_b64 s[54:55], s[34:35]
	s_mov_b64 s[56:57], s[50:51]
	v_mov_b32_e32 v0, 0
	v_mov_b32_e32 v1, v8
.LBB71_6:                               ; =>This Inner Loop Header: Depth=1
	s_load_dwordx8 s[16:23], s[54:55], 0x4
	s_load_dwordx4 s[0:3], s[54:55], 0x24
	s_load_dwordx8 s[8:15], s[56:57], 0x0
	s_add_u32 s54, s54, 48
	s_addc_u32 s55, s55, 0
	s_waitcnt lgkmcnt(0)
	v_mul_hi_u32 v3, s17, v1
	s_add_i32 s64, s64, 4
	s_add_u32 s56, s56, 32
	s_addc_u32 s57, s57, 0
	v_add_u32_e32 v3, v1, v3
	v_lshrrev_b32_e32 v3, s18, v3
	v_mul_lo_u32 v4, v3, s16
	v_mul_hi_u32 v5, s20, v3
	s_cmp_lg_u32 s60, s64
	v_sub_u32_e32 v1, v1, v4
	v_add_u32_e32 v4, v3, v5
	v_mul_lo_u32 v5, v1, s8
	v_mul_lo_u32 v6, v1, s9
	v_lshrrev_b32_e32 v1, s21, v4
	v_mul_lo_u32 v4, v1, s19
	v_mul_hi_u32 v7, s23, v1
	v_sub_u32_e32 v3, v3, v4
	v_add_u32_e32 v4, v1, v7
	v_lshrrev_b32_e32 v4, s0, v4
	v_mul_hi_u32 v9, s2, v4
	v_mul_lo_u32 v10, v4, s22
	v_mul_lo_u32 v7, v3, s10
	;; [unrolled: 1-line block ×3, first 2 shown]
	v_sub_u32_e32 v10, v1, v10
	v_add_u32_e32 v1, v4, v9
	v_lshrrev_b32_e32 v1, s3, v1
	v_mul_lo_u32 v9, v1, s1
	v_mul_lo_u32 v11, v10, s12
	v_mul_lo_u32 v10, v10, s13
	v_add3_u32 v0, v5, v0, v7
	v_sub_u32_e32 v4, v4, v9
	v_mul_lo_u32 v9, v4, s14
	v_mul_lo_u32 v4, v4, s15
	v_add3_u32 v2, v6, v2, v3
	v_add3_u32 v0, v11, v0, v9
	;; [unrolled: 1-line block ×3, first 2 shown]
	s_cbranch_scc1 .LBB71_6
	s_branch .LBB71_10
.LBB71_7:
                                        ; implicit-def: $vgpr0
                                        ; implicit-def: $vgpr2
	s_branch .LBB71_14
.LBB71_8:
	v_mov_b32_e32 v0, 0
	v_mov_b32_e32 v2, 0
	s_branch .LBB71_13
.LBB71_9:
	s_mov_b32 s60, 0
	v_mov_b32_e32 v0, 0
	v_mov_b32_e32 v2, 0
	;; [unrolled: 1-line block ×3, first 2 shown]
.LBB71_10:
	s_and_b32 s8, s61, 3
	s_cmp_eq_u32 s8, 0
	s_cbranch_scc1 .LBB71_13
; %bb.11:
	s_lshl_b32 s0, s60, 3
	s_add_u32 s0, s34, s0
	s_addc_u32 s1, s35, 0
	s_add_u32 s0, s0, 0xc4
	s_addc_u32 s1, s1, 0
	s_mul_i32 s2, s60, 12
	s_add_u32 s2, s34, s2
	s_addc_u32 s3, s35, 0
.LBB71_12:                              ; =>This Inner Loop Header: Depth=1
	s_load_dwordx2 s[10:11], s[2:3], 0x4
	s_load_dword s9, s[2:3], 0xc
	s_load_dwordx2 s[12:13], s[0:1], 0x0
	s_add_u32 s2, s2, 12
	s_addc_u32 s3, s3, 0
	s_waitcnt lgkmcnt(0)
	v_mul_hi_u32 v3, s11, v1
	s_add_u32 s0, s0, 8
	s_addc_u32 s1, s1, 0
	s_add_i32 s8, s8, -1
	v_add_u32_e32 v3, v1, v3
	v_lshrrev_b32_e32 v4, s9, v3
	v_mul_lo_u32 v3, v4, s10
	s_cmp_lg_u32 s8, 0
	v_sub_u32_e32 v3, v1, v3
	v_mad_u64_u32 v[0:1], s[10:11], v3, s12, v[0:1]
	v_mad_u64_u32 v[2:3], s[10:11], v3, s13, v[2:3]
	v_mov_b32_e32 v1, v4
	s_cbranch_scc1 .LBB71_12
.LBB71_13:
	s_cbranch_execnz .LBB71_16
.LBB71_14:
	v_mul_hi_u32 v0, s29, v8
	s_andn2_b64 vcc, exec, s[48:49]
	v_add_u32_e32 v0, v8, v0
	v_lshrrev_b32_e32 v1, s30, v0
	v_mul_lo_u32 v0, v1, s28
	v_sub_u32_e32 v2, v8, v0
	v_mul_lo_u32 v0, v2, s36
	v_mul_lo_u32 v2, v2, s37
	s_cbranch_vccnz .LBB71_16
; %bb.15:
	v_mul_hi_u32 v3, s46, v1
	v_add_u32_e32 v3, v1, v3
	v_lshrrev_b32_e32 v3, s47, v3
	v_mul_lo_u32 v3, v3, s31
	v_sub_u32_e32 v3, v1, v3
	v_mad_u64_u32 v[0:1], s[0:1], v3, s38, v[0:1]
	v_mad_u64_u32 v[2:3], s[0:1], v3, s39, v[2:3]
.LBB71_16:
	v_mov_b32_e32 v3, s27
	s_and_b32 s10, 0xffff, s76
	v_add_co_u32_e32 v1, vcc, s26, v2
	s_cmp_lt_i32 s10, 11
	v_addc_co_u32_e32 v2, vcc, 0, v3, vcc
	s_cbranch_scc1 .LBB71_23
; %bb.17:
	s_cmp_gt_i32 s10, 25
	s_cbranch_scc0 .LBB71_29
; %bb.18:
	s_cmp_gt_i32 s10, 28
	s_cbranch_scc0 .LBB71_31
	;; [unrolled: 3-line block ×4, first 2 shown]
; %bb.21:
	s_cmp_eq_u32 s10, 46
	s_mov_b64 s[8:9], 0
	s_cbranch_scc0 .LBB71_57
; %bb.22:
	global_load_dword v3, v[1:2], off
	s_mov_b64 s[0:1], -1
	s_mov_b64 s[2:3], 0
	s_waitcnt vmcnt(0)
	v_lshlrev_b32_e32 v3, 16, v3
	v_cvt_i32_f32_e32 v3, v3
	s_branch .LBB71_59
.LBB71_23:
	s_mov_b64 s[2:3], 0
                                        ; implicit-def: $vgpr3
	s_mov_b64 s[0:1], 0
	s_cbranch_execnz .LBB71_228
.LBB71_24:
	s_andn2_b64 vcc, exec, s[0:1]
	s_cbranch_vccnz .LBB71_275
.LBB71_25:
	s_cmp_lt_i32 s44, 1
	s_mov_b64 s[0:1], 0
	s_cbranch_scc1 .LBB71_30
; %bb.26:
	s_cmp_gt_i32 s44, 1
	s_cbranch_scc0 .LBB71_32
; %bb.27:
	s_cmp_eq_u32 s44, 2
	s_cbranch_scc0 .LBB71_34
; %bb.28:
	s_waitcnt vmcnt(0)
	v_cmp_ge_i16_e64 s[8:9], s45, v3
	s_mov_b64 s[10:11], 0
	s_branch .LBB71_35
.LBB71_29:
	s_mov_b64 s[2:3], 0
	s_mov_b64 s[0:1], 0
                                        ; implicit-def: $vgpr3
	s_cbranch_execnz .LBB71_195
	s_branch .LBB71_227
.LBB71_30:
                                        ; implicit-def: $sgpr8_sgpr9
	s_mov_b64 s[10:11], 0
	s_cbranch_execnz .LBB71_39
	s_branch .LBB71_40
.LBB71_31:
	s_mov_b64 s[8:9], -1
	s_mov_b64 s[2:3], 0
	s_mov_b64 s[0:1], 0
                                        ; implicit-def: $vgpr3
	s_branch .LBB71_178
.LBB71_32:
	s_mov_b64 s[12:13], -1
	s_mov_b64 s[10:11], 0
                                        ; implicit-def: $sgpr8_sgpr9
	s_branch .LBB71_36
.LBB71_33:
	s_mov_b64 s[8:9], -1
	s_mov_b64 s[2:3], 0
	s_mov_b64 s[0:1], 0
                                        ; implicit-def: $vgpr3
	s_branch .LBB71_173
.LBB71_34:
	s_mov_b64 s[10:11], -1
                                        ; implicit-def: $sgpr8_sgpr9
.LBB71_35:
	s_mov_b64 s[12:13], 0
.LBB71_36:
	s_and_b64 vcc, exec, s[12:13]
	s_cbranch_vccz .LBB71_38
; %bb.37:
	s_waitcnt vmcnt(0)
	v_cmp_lt_i16_e32 vcc, s45, v3
	s_andn2_b64 s[8:9], s[8:9], exec
	s_and_b64 s[12:13], vcc, exec
	s_or_b64 s[8:9], s[8:9], s[12:13]
.LBB71_38:
	s_branch .LBB71_40
.LBB71_39:
	s_cmp_lg_u32 s44, 0
	s_mov_b64 s[0:1], -1
	s_cselect_b64 s[10:11], -1, 0
.LBB71_40:
	s_andn2_b64 vcc, exec, s[10:11]
	s_cbranch_vccnz .LBB71_42
; %bb.41:
	s_waitcnt vmcnt(0)
	v_cmp_gt_i16_e32 vcc, s45, v3
	s_andn2_b64 s[8:9], s[8:9], exec
	s_and_b64 s[10:11], vcc, exec
	s_or_b64 s[8:9], s[8:9], s[10:11]
	s_cbranch_execz .LBB71_43
	s_branch .LBB71_44
.LBB71_42:
	s_andn2_b64 vcc, exec, s[0:1]
	s_cbranch_vccnz .LBB71_44
.LBB71_43:
	s_waitcnt vmcnt(0)
	v_cmp_le_i16_e32 vcc, s45, v3
	s_andn2_b64 s[0:1], s[8:9], exec
	s_and_b64 s[8:9], vcc, exec
	s_or_b64 s[8:9], s[0:1], s[8:9]
.LBB71_44:
	v_mov_b32_e32 v1, s25
	s_and_b32 s16, s75, 0xff
	v_add_co_u32_e32 v0, vcc, s24, v0
	s_cmp_lt_i32 s16, 11
	v_addc_co_u32_e32 v1, vcc, 0, v1, vcc
	s_cbranch_scc1 .LBB71_51
; %bb.45:
	s_and_b32 s17, 0xffff, s16
	s_cmp_gt_i32 s17, 25
	s_cbranch_scc0 .LBB71_53
; %bb.46:
	s_cmp_gt_i32 s17, 28
	s_cbranch_scc0 .LBB71_54
; %bb.47:
	;; [unrolled: 3-line block ×4, first 2 shown]
	s_mov_b64 s[12:13], 0
	s_mov_b64 s[0:1], -1
	s_cmp_eq_u32 s17, 46
	s_mov_b64 s[10:11], 0
	s_cbranch_scc0 .LBB71_63
; %bb.50:
	v_cndmask_b32_e64 v2, 0, 1.0, s[8:9]
	s_waitcnt vmcnt(0)
	v_bfe_u32 v3, v2, 16, 1
	s_movk_i32 s0, 0x7fff
	v_add3_u32 v2, v2, v3, s0
	v_lshrrev_b32_e32 v2, 16, v2
	global_store_dword v[0:1], v2, off
	s_mov_b64 s[10:11], -1
	s_mov_b64 s[0:1], 0
	s_branch .LBB71_63
.LBB71_51:
	s_mov_b64 s[0:1], 0
	s_mov_b64 s[10:11], 0
	s_cbranch_execnz .LBB71_132
.LBB71_52:
	s_andn2_b64 vcc, exec, s[10:11]
	s_cbranch_vccnz .LBB71_276
	s_branch .LBB71_170
.LBB71_53:
	s_mov_b64 s[12:13], -1
	s_mov_b64 s[0:1], 0
	s_mov_b64 s[10:11], 0
	s_branch .LBB71_90
.LBB71_54:
	s_mov_b64 s[12:13], -1
	s_mov_b64 s[0:1], 0
	s_mov_b64 s[10:11], 0
	s_branch .LBB71_73
.LBB71_55:
	s_mov_b64 s[8:9], -1
	s_mov_b64 s[2:3], 0
	s_branch .LBB71_58
.LBB71_56:
	s_mov_b64 s[12:13], -1
	s_mov_b64 s[0:1], 0
	s_mov_b64 s[10:11], 0
	s_branch .LBB71_69
.LBB71_57:
	s_mov_b64 s[2:3], -1
.LBB71_58:
	s_mov_b64 s[0:1], 0
                                        ; implicit-def: $vgpr3
.LBB71_59:
	s_and_b64 vcc, exec, s[8:9]
	s_cbranch_vccz .LBB71_172
; %bb.60:
	s_cmp_eq_u32 s10, 44
	s_cbranch_scc0 .LBB71_171
; %bb.61:
	global_load_ubyte v3, v[1:2], off
	s_mov_b64 s[0:1], -1
	s_mov_b64 s[2:3], 0
	s_waitcnt vmcnt(0)
	v_lshlrev_b32_e32 v4, 23, v3
	v_cvt_i32_f32_e32 v4, v4
	v_cmp_ne_u32_e32 vcc, 0, v3
	v_cndmask_b32_e32 v3, 0, v4, vcc
	s_branch .LBB71_172
.LBB71_62:
	s_mov_b64 s[12:13], -1
	s_mov_b64 s[0:1], 0
	s_mov_b64 s[10:11], 0
.LBB71_63:
	s_and_b64 vcc, exec, s[12:13]
	s_cbranch_vccz .LBB71_68
; %bb.64:
	s_cmp_eq_u32 s17, 44
	s_mov_b64 s[0:1], -1
	s_cbranch_scc0 .LBB71_68
; %bb.65:
	s_waitcnt vmcnt(0)
	v_cndmask_b32_e64 v3, 0, 1.0, s[8:9]
	v_lshrrev_b32_e32 v2, 23, v3
	s_movk_i32 s0, 0xff
	v_cmp_ne_u32_e32 vcc, s0, v2
	v_mov_b32_e32 v4, 0xff
	s_and_saveexec_b64 s[10:11], vcc
; %bb.66:
	s_mov_b32 s0, 0x3fffff
	v_and_b32_e32 v4, 0x400000, v3
	v_and_or_b32 v3, v3, s0, v2
	v_cmp_ne_u32_e32 vcc, 0, v4
	v_cmp_ne_u32_e64 s[0:1], 0, v3
	s_and_b64 s[0:1], vcc, s[0:1]
	v_cndmask_b32_e64 v3, 0, 1, s[0:1]
	v_add_u32_e32 v4, v2, v3
; %bb.67:
	s_or_b64 exec, exec, s[10:11]
	s_mov_b64 s[10:11], -1
	s_mov_b64 s[0:1], 0
	global_store_byte v[0:1], v4, off
.LBB71_68:
	s_mov_b64 s[12:13], 0
.LBB71_69:
	s_and_b64 vcc, exec, s[12:13]
	s_cbranch_vccz .LBB71_72
; %bb.70:
	s_cmp_eq_u32 s17, 29
	s_mov_b64 s[0:1], -1
	s_cbranch_scc0 .LBB71_72
; %bb.71:
	s_mov_b32 s0, 0
	v_cndmask_b32_e64 v2, 0, 1, s[8:9]
	s_waitcnt vmcnt(0)
	v_mov_b32_e32 v3, s0
	global_store_dwordx2 v[0:1], v[2:3], off
	s_mov_b64 s[10:11], -1
	s_mov_b64 s[0:1], 0
.LBB71_72:
	s_mov_b64 s[12:13], 0
.LBB71_73:
	s_and_b64 vcc, exec, s[12:13]
	s_cbranch_vccz .LBB71_89
; %bb.74:
	s_cmp_lt_i32 s17, 27
	s_mov_b64 s[10:11], -1
	s_cbranch_scc1 .LBB71_80
; %bb.75:
	s_cmp_gt_i32 s17, 27
	s_cbranch_scc0 .LBB71_77
; %bb.76:
	v_cndmask_b32_e64 v2, 0, 1, s[8:9]
	s_mov_b64 s[10:11], 0
	global_store_dword v[0:1], v2, off
.LBB71_77:
	s_andn2_b64 vcc, exec, s[10:11]
	s_cbranch_vccnz .LBB71_79
; %bb.78:
	v_cndmask_b32_e64 v2, 0, 1, s[8:9]
	global_store_short v[0:1], v2, off
.LBB71_79:
	s_mov_b64 s[10:11], 0
.LBB71_80:
	s_andn2_b64 vcc, exec, s[10:11]
	s_cbranch_vccnz .LBB71_88
; %bb.81:
	s_waitcnt vmcnt(0)
	v_cndmask_b32_e64 v3, 0, 1.0, s[8:9]
	s_mov_b32 s10, 0x43800000
	v_cmp_gt_u32_e32 vcc, s10, v3
	v_mov_b32_e32 v4, 0x80
	s_and_saveexec_b64 s[10:11], vcc
	s_cbranch_execz .LBB71_87
; %bb.82:
	s_mov_b32 s12, 0x3bffffff
	v_cmp_lt_u32_e32 vcc, s12, v3
	s_mov_b64 s[12:13], 0
                                        ; implicit-def: $vgpr2
	s_and_saveexec_b64 s[14:15], vcc
	s_xor_b64 s[14:15], exec, s[14:15]
	s_cbranch_execz .LBB71_335
; %bb.83:
	v_bfe_u32 v2, v3, 20, 1
	s_mov_b32 s18, 0x487ffff
	v_add3_u32 v2, v3, v2, s18
	s_mov_b64 s[12:13], exec
	v_lshrrev_b32_e32 v2, 20, v2
                                        ; implicit-def: $vgpr3
	s_andn2_saveexec_b64 s[14:15], s[14:15]
	s_cbranch_execnz .LBB71_336
.LBB71_84:
	s_or_b64 exec, exec, s[14:15]
	v_mov_b32_e32 v4, 0
	s_and_saveexec_b64 s[14:15], s[12:13]
.LBB71_85:
	v_mov_b32_e32 v4, v2
.LBB71_86:
	s_or_b64 exec, exec, s[14:15]
.LBB71_87:
	s_or_b64 exec, exec, s[10:11]
	global_store_byte v[0:1], v4, off
.LBB71_88:
	s_mov_b64 s[10:11], -1
.LBB71_89:
	s_mov_b64 s[12:13], 0
.LBB71_90:
	s_and_b64 vcc, exec, s[12:13]
	s_cbranch_vccz .LBB71_131
; %bb.91:
	s_cmp_gt_i32 s17, 22
	s_mov_b64 s[12:13], -1
	s_cbranch_scc0 .LBB71_123
; %bb.92:
	s_cmp_lt_i32 s17, 24
	s_mov_b64 s[10:11], -1
	s_cbranch_scc1 .LBB71_112
; %bb.93:
	s_cmp_gt_i32 s17, 24
	s_cbranch_scc0 .LBB71_101
; %bb.94:
	s_waitcnt vmcnt(0)
	v_cndmask_b32_e64 v3, 0, 1.0, s[8:9]
	s_mov_b32 s10, 0x47800000
	v_cmp_gt_u32_e32 vcc, s10, v3
	v_mov_b32_e32 v4, 0x80
	s_and_saveexec_b64 s[10:11], vcc
	s_cbranch_execz .LBB71_100
; %bb.95:
	s_mov_b32 s12, 0x37ffffff
	v_cmp_lt_u32_e32 vcc, s12, v3
	s_mov_b64 s[12:13], 0
                                        ; implicit-def: $vgpr2
	s_and_saveexec_b64 s[14:15], vcc
	s_xor_b64 s[14:15], exec, s[14:15]
	s_cbranch_execz .LBB71_339
; %bb.96:
	v_bfe_u32 v2, v3, 21, 1
	s_mov_b32 s18, 0x88fffff
	v_add3_u32 v2, v3, v2, s18
	s_mov_b64 s[12:13], exec
	v_lshrrev_b32_e32 v2, 21, v2
                                        ; implicit-def: $vgpr3
	s_andn2_saveexec_b64 s[14:15], s[14:15]
	s_cbranch_execnz .LBB71_340
.LBB71_97:
	s_or_b64 exec, exec, s[14:15]
	v_mov_b32_e32 v4, 0
	s_and_saveexec_b64 s[14:15], s[12:13]
.LBB71_98:
	v_mov_b32_e32 v4, v2
.LBB71_99:
	s_or_b64 exec, exec, s[14:15]
.LBB71_100:
	s_or_b64 exec, exec, s[10:11]
	s_mov_b64 s[10:11], 0
	global_store_byte v[0:1], v4, off
.LBB71_101:
	s_and_b64 vcc, exec, s[10:11]
	s_cbranch_vccz .LBB71_111
; %bb.102:
	v_cndmask_b32_e64 v2, 0, 1.0, s[8:9]
	s_mov_b32 s10, 0x43f00000
	v_cmp_gt_u32_e32 vcc, s10, v2
                                        ; implicit-def: $vgpr3
	s_and_saveexec_b64 s[10:11], vcc
	s_xor_b64 s[10:11], exec, s[10:11]
	s_cbranch_execz .LBB71_108
; %bb.103:
	s_mov_b32 s12, 0x3c7fffff
	v_cmp_lt_u32_e32 vcc, s12, v2
                                        ; implicit-def: $vgpr3
	s_and_saveexec_b64 s[12:13], vcc
	s_xor_b64 s[12:13], exec, s[12:13]
	s_cbranch_execz .LBB71_105
; %bb.104:
	s_waitcnt vmcnt(0)
	v_bfe_u32 v3, v2, 20, 1
	s_mov_b32 s14, 0x407ffff
	v_add3_u32 v2, v2, v3, s14
	v_lshrrev_b32_e32 v3, 20, v2
	v_and_b32_e32 v2, 0xff00000, v2
	s_mov_b32 s14, 0x7f00000
	v_mov_b32_e32 v4, 0x7e
	v_cmp_ne_u32_e32 vcc, s14, v2
	v_cndmask_b32_e32 v3, v4, v3, vcc
                                        ; implicit-def: $vgpr2
.LBB71_105:
	s_andn2_saveexec_b64 s[12:13], s[12:13]
	s_cbranch_execz .LBB71_107
; %bb.106:
	s_waitcnt vmcnt(0)
	v_add_f32_e32 v3, 0x46800000, v2
.LBB71_107:
	s_or_b64 exec, exec, s[12:13]
                                        ; implicit-def: $vgpr2
.LBB71_108:
	s_andn2_saveexec_b64 s[10:11], s[10:11]
	s_cbranch_execz .LBB71_110
; %bb.109:
	s_mov_b32 s12, 0x7f800000
	s_waitcnt vmcnt(0)
	v_mov_b32_e32 v3, 0x7e
	v_mov_b32_e32 v4, 0x7f
	v_cmp_lt_u32_e32 vcc, s12, v2
	v_cndmask_b32_e32 v3, v3, v4, vcc
.LBB71_110:
	s_or_b64 exec, exec, s[10:11]
	s_waitcnt vmcnt(0)
	global_store_byte v[0:1], v3, off
.LBB71_111:
	s_mov_b64 s[10:11], 0
.LBB71_112:
	s_andn2_b64 vcc, exec, s[10:11]
	s_cbranch_vccnz .LBB71_122
; %bb.113:
	v_cndmask_b32_e64 v2, 0, 1.0, s[8:9]
	s_mov_b32 s10, 0x47800000
	v_cmp_gt_u32_e32 vcc, s10, v2
                                        ; implicit-def: $vgpr3
	s_and_saveexec_b64 s[10:11], vcc
	s_xor_b64 s[10:11], exec, s[10:11]
	s_cbranch_execz .LBB71_119
; %bb.114:
	s_mov_b32 s12, 0x387fffff
	v_cmp_lt_u32_e32 vcc, s12, v2
                                        ; implicit-def: $vgpr3
	s_and_saveexec_b64 s[12:13], vcc
	s_xor_b64 s[12:13], exec, s[12:13]
	s_cbranch_execz .LBB71_116
; %bb.115:
	s_waitcnt vmcnt(0)
	v_bfe_u32 v3, v2, 21, 1
	s_mov_b32 s14, 0x80fffff
	v_add3_u32 v2, v2, v3, s14
	v_lshrrev_b32_e32 v3, 21, v2
                                        ; implicit-def: $vgpr2
.LBB71_116:
	s_andn2_saveexec_b64 s[12:13], s[12:13]
	s_cbranch_execz .LBB71_118
; %bb.117:
	s_waitcnt vmcnt(0)
	v_add_f32_e32 v3, 0x43000000, v2
.LBB71_118:
	s_or_b64 exec, exec, s[12:13]
                                        ; implicit-def: $vgpr2
.LBB71_119:
	s_andn2_saveexec_b64 s[10:11], s[10:11]
	s_cbranch_execz .LBB71_121
; %bb.120:
	s_mov_b32 s12, 0x7f800000
	s_waitcnt vmcnt(0)
	v_mov_b32_e32 v3, 0x7c
	v_mov_b32_e32 v4, 0x7f
	v_cmp_lt_u32_e32 vcc, s12, v2
	v_cndmask_b32_e32 v3, v3, v4, vcc
.LBB71_121:
	s_or_b64 exec, exec, s[10:11]
	s_waitcnt vmcnt(0)
	global_store_byte v[0:1], v3, off
.LBB71_122:
	s_mov_b64 s[12:13], 0
	s_mov_b64 s[10:11], -1
.LBB71_123:
	s_andn2_b64 vcc, exec, s[12:13]
	s_cbranch_vccnz .LBB71_131
; %bb.124:
	s_cmp_gt_i32 s17, 14
	s_mov_b64 s[12:13], -1
	s_cbranch_scc0 .LBB71_128
; %bb.125:
	s_cmp_eq_u32 s17, 15
	s_mov_b64 s[0:1], -1
	s_cbranch_scc0 .LBB71_127
; %bb.126:
	v_cndmask_b32_e64 v2, 0, 1.0, s[8:9]
	s_waitcnt vmcnt(0)
	v_bfe_u32 v3, v2, 16, 1
	s_movk_i32 s0, 0x7fff
	v_add3_u32 v2, v2, v3, s0
	global_store_short_d16_hi v[0:1], v2, off
	s_mov_b64 s[10:11], -1
	s_mov_b64 s[0:1], 0
.LBB71_127:
	s_mov_b64 s[12:13], 0
.LBB71_128:
	s_and_b64 vcc, exec, s[12:13]
	s_cbranch_vccz .LBB71_131
; %bb.129:
	s_cmp_eq_u32 s17, 11
	s_mov_b64 s[0:1], -1
	s_cbranch_scc0 .LBB71_131
; %bb.130:
	v_cndmask_b32_e64 v2, 0, 1, s[8:9]
	s_mov_b64 s[10:11], -1
	s_mov_b64 s[0:1], 0
	global_store_byte v[0:1], v2, off
.LBB71_131:
	s_branch .LBB71_52
.LBB71_132:
	s_and_b32 s12, 0xffff, s16
	s_cmp_lt_i32 s12, 5
	s_mov_b64 s[10:11], -1
	s_cbranch_scc1 .LBB71_153
; %bb.133:
	s_cmp_lt_i32 s12, 8
	s_cbranch_scc1 .LBB71_143
; %bb.134:
	s_cmp_lt_i32 s12, 9
	s_cbranch_scc1 .LBB71_140
; %bb.135:
	s_cmp_gt_i32 s12, 9
	s_cbranch_scc0 .LBB71_137
; %bb.136:
	v_cndmask_b32_e64 v2, 0, 1, s[8:9]
	s_waitcnt vmcnt(0)
	v_cvt_f64_u32_e32 v[2:3], v2
	v_mov_b32_e32 v4, 0
	v_mov_b32_e32 v5, v4
	s_mov_b64 s[10:11], 0
	global_store_dwordx4 v[0:1], v[2:5], off
.LBB71_137:
	s_andn2_b64 vcc, exec, s[10:11]
	s_cbranch_vccnz .LBB71_139
; %bb.138:
	v_cndmask_b32_e64 v2, 0, 1.0, s[8:9]
	s_waitcnt vmcnt(0)
	v_mov_b32_e32 v3, 0
	global_store_dwordx2 v[0:1], v[2:3], off
.LBB71_139:
	s_mov_b64 s[10:11], 0
.LBB71_140:
	s_andn2_b64 vcc, exec, s[10:11]
	s_cbranch_vccnz .LBB71_142
; %bb.141:
	v_cndmask_b32_e64 v2, 0, 1.0, s[8:9]
	v_cvt_f16_f32_e32 v2, v2
	global_store_dword v[0:1], v2, off
.LBB71_142:
	s_mov_b64 s[10:11], 0
.LBB71_143:
	s_andn2_b64 vcc, exec, s[10:11]
	s_cbranch_vccnz .LBB71_152
; %bb.144:
	s_cmp_lt_i32 s12, 6
	s_mov_b64 s[10:11], -1
	s_cbranch_scc1 .LBB71_150
; %bb.145:
	s_cmp_gt_i32 s12, 6
	s_cbranch_scc0 .LBB71_147
; %bb.146:
	v_cndmask_b32_e64 v2, 0, 1, s[8:9]
	s_waitcnt vmcnt(0)
	v_cvt_f64_u32_e32 v[2:3], v2
	s_mov_b64 s[10:11], 0
	global_store_dwordx2 v[0:1], v[2:3], off
.LBB71_147:
	s_andn2_b64 vcc, exec, s[10:11]
	s_cbranch_vccnz .LBB71_149
; %bb.148:
	v_cndmask_b32_e64 v2, 0, 1.0, s[8:9]
	global_store_dword v[0:1], v2, off
.LBB71_149:
	s_mov_b64 s[10:11], 0
.LBB71_150:
	s_andn2_b64 vcc, exec, s[10:11]
	s_cbranch_vccnz .LBB71_152
; %bb.151:
	v_cndmask_b32_e64 v2, 0, 1.0, s[8:9]
	v_cvt_f16_f32_e32 v2, v2
	global_store_short v[0:1], v2, off
.LBB71_152:
	s_mov_b64 s[10:11], 0
.LBB71_153:
	s_andn2_b64 vcc, exec, s[10:11]
	s_cbranch_vccnz .LBB71_169
; %bb.154:
	s_cmp_lt_i32 s12, 2
	s_mov_b64 s[10:11], -1
	s_cbranch_scc1 .LBB71_164
; %bb.155:
	s_cmp_lt_i32 s12, 3
	s_cbranch_scc1 .LBB71_161
; %bb.156:
	s_cmp_gt_i32 s12, 3
	s_cbranch_scc0 .LBB71_158
; %bb.157:
	s_mov_b32 s10, 0
	v_cndmask_b32_e64 v2, 0, 1, s[8:9]
	s_waitcnt vmcnt(0)
	v_mov_b32_e32 v3, s10
	global_store_dwordx2 v[0:1], v[2:3], off
	s_mov_b64 s[10:11], 0
.LBB71_158:
	s_andn2_b64 vcc, exec, s[10:11]
	s_cbranch_vccnz .LBB71_160
; %bb.159:
	v_cndmask_b32_e64 v2, 0, 1, s[8:9]
	global_store_dword v[0:1], v2, off
.LBB71_160:
	s_mov_b64 s[10:11], 0
.LBB71_161:
	s_andn2_b64 vcc, exec, s[10:11]
	s_cbranch_vccnz .LBB71_163
; %bb.162:
	v_cndmask_b32_e64 v2, 0, 1, s[8:9]
	global_store_short v[0:1], v2, off
.LBB71_163:
	s_mov_b64 s[10:11], 0
.LBB71_164:
	s_andn2_b64 vcc, exec, s[10:11]
	s_cbranch_vccnz .LBB71_169
; %bb.165:
	s_cmp_gt_i32 s12, 0
	s_mov_b64 s[10:11], -1
	s_cbranch_scc0 .LBB71_167
; %bb.166:
	v_cndmask_b32_e64 v2, 0, 1, s[8:9]
	global_store_byte v[0:1], v2, off
	s_mov_b64 s[10:11], 0
.LBB71_167:
	s_andn2_b64 vcc, exec, s[10:11]
	s_cbranch_vccnz .LBB71_169
; %bb.168:
	v_cndmask_b32_e64 v2, 0, 1, s[8:9]
	global_store_byte v[0:1], v2, off
.LBB71_169:
.LBB71_170:
	v_add_u32_e32 v8, 0x80, v8
	s_mov_b64 s[8:9], -1
	s_branch .LBB71_277
.LBB71_171:
	s_mov_b64 s[2:3], -1
                                        ; implicit-def: $vgpr3
.LBB71_172:
	s_mov_b64 s[8:9], 0
.LBB71_173:
	s_and_b64 vcc, exec, s[8:9]
	s_cbranch_vccz .LBB71_177
; %bb.174:
	s_cmp_eq_u32 s10, 29
	s_cbranch_scc0 .LBB71_176
; %bb.175:
	global_load_dwordx2 v[3:4], v[1:2], off
	s_mov_b64 s[0:1], -1
	s_mov_b64 s[2:3], 0
	s_branch .LBB71_177
.LBB71_176:
	s_mov_b64 s[2:3], -1
                                        ; implicit-def: $vgpr3
.LBB71_177:
	s_mov_b64 s[8:9], 0
.LBB71_178:
	s_and_b64 vcc, exec, s[8:9]
	s_cbranch_vccz .LBB71_194
; %bb.179:
	s_cmp_lt_i32 s10, 27
	s_cbranch_scc1 .LBB71_182
; %bb.180:
	s_cmp_gt_i32 s10, 27
	s_cbranch_scc0 .LBB71_183
; %bb.181:
	global_load_dword v3, v[1:2], off
	s_mov_b64 s[0:1], 0
	s_branch .LBB71_184
.LBB71_182:
	s_mov_b64 s[0:1], -1
                                        ; implicit-def: $vgpr3
	s_branch .LBB71_187
.LBB71_183:
	s_mov_b64 s[0:1], -1
                                        ; implicit-def: $vgpr3
.LBB71_184:
	s_andn2_b64 vcc, exec, s[0:1]
	s_cbranch_vccnz .LBB71_186
; %bb.185:
	global_load_ushort v3, v[1:2], off
.LBB71_186:
	s_mov_b64 s[0:1], 0
.LBB71_187:
	s_andn2_b64 vcc, exec, s[0:1]
	s_cbranch_vccnz .LBB71_193
; %bb.188:
	global_load_ubyte v4, v[1:2], off
	s_movk_i32 s0, 0x7f
	s_mov_b64 s[8:9], 0
	s_waitcnt vmcnt(0)
	v_cmp_lt_i16_e32 vcc, s0, v4
	s_and_saveexec_b64 s[0:1], vcc
	s_xor_b64 s[0:1], exec, s[0:1]
	s_cbranch_execz .LBB71_204
; %bb.189:
	s_movk_i32 s8, 0x80
	v_cmp_ne_u16_e32 vcc, s8, v4
	s_and_b64 s[8:9], vcc, exec
	s_andn2_saveexec_b64 s[0:1], s[0:1]
	s_cbranch_execnz .LBB71_205
.LBB71_190:
	s_or_b64 exec, exec, s[0:1]
	v_mov_b32_e32 v3, 0
	s_and_saveexec_b64 s[0:1], s[8:9]
	s_cbranch_execz .LBB71_192
.LBB71_191:
	v_lshlrev_b32_e32 v3, 24, v4
	v_and_b32_e32 v4, 0xffff, v4
	v_and_b32_e32 v5, 7, v4
	v_ffbh_u32_e32 v7, v5
	v_min_u32_e32 v7, 32, v7
	v_subrev_u32_e32 v9, 28, v7
	v_bfe_u32 v6, v4, 3, 4
	v_lshlrev_b32_e32 v4, v9, v4
	v_sub_u32_e32 v7, 29, v7
	v_and_b32_e32 v4, 7, v4
	v_cmp_eq_u32_e32 vcc, 0, v6
	v_cndmask_b32_e32 v6, v6, v7, vcc
	v_cndmask_b32_e32 v4, v5, v4, vcc
	v_mov_b32_e32 v5, 0x3b800000
	v_lshlrev_b32_e32 v4, 20, v4
	v_and_b32_e32 v3, 0x80000000, v3
	v_lshl_add_u32 v5, v6, 23, v5
	v_or3_b32 v3, v3, v5, v4
	v_cvt_i32_f32_e32 v3, v3
.LBB71_192:
	s_or_b64 exec, exec, s[0:1]
.LBB71_193:
	s_mov_b64 s[0:1], -1
.LBB71_194:
	s_branch .LBB71_227
.LBB71_195:
	s_cmp_gt_i32 s10, 22
	s_cbranch_scc0 .LBB71_203
; %bb.196:
	s_cmp_lt_i32 s10, 24
	s_cbranch_scc1 .LBB71_206
; %bb.197:
	s_cmp_gt_i32 s10, 24
	s_cbranch_scc0 .LBB71_207
; %bb.198:
	global_load_ubyte v4, v[1:2], off
	s_movk_i32 s0, 0x7f
	s_mov_b64 s[8:9], 0
	s_waitcnt vmcnt(0)
	v_cmp_lt_i16_e32 vcc, s0, v4
	s_and_saveexec_b64 s[0:1], vcc
	s_xor_b64 s[0:1], exec, s[0:1]
	s_cbranch_execz .LBB71_219
; %bb.199:
	s_movk_i32 s8, 0x80
	v_cmp_ne_u16_e32 vcc, s8, v4
	s_and_b64 s[8:9], vcc, exec
	s_andn2_saveexec_b64 s[0:1], s[0:1]
	s_cbranch_execnz .LBB71_220
.LBB71_200:
	s_or_b64 exec, exec, s[0:1]
	v_mov_b32_e32 v3, 0
	s_and_saveexec_b64 s[0:1], s[8:9]
	s_cbranch_execz .LBB71_202
.LBB71_201:
	v_lshlrev_b32_e32 v3, 24, v4
	v_and_b32_e32 v4, 0xffff, v4
	v_and_b32_e32 v5, 3, v4
	v_ffbh_u32_e32 v7, v5
	v_min_u32_e32 v7, 32, v7
	v_subrev_u32_e32 v9, 29, v7
	v_bfe_u32 v6, v4, 2, 5
	v_lshlrev_b32_e32 v4, v9, v4
	v_sub_u32_e32 v7, 30, v7
	v_and_b32_e32 v4, 3, v4
	v_cmp_eq_u32_e32 vcc, 0, v6
	v_cndmask_b32_e32 v6, v6, v7, vcc
	v_cndmask_b32_e32 v4, v5, v4, vcc
	v_mov_b32_e32 v5, 0x37800000
	v_lshlrev_b32_e32 v4, 21, v4
	v_and_b32_e32 v3, 0x80000000, v3
	v_lshl_add_u32 v5, v6, 23, v5
	v_or3_b32 v3, v3, v5, v4
	v_cvt_i32_f32_e32 v3, v3
.LBB71_202:
	s_or_b64 exec, exec, s[0:1]
	s_mov_b64 s[0:1], 0
	s_branch .LBB71_208
.LBB71_203:
	s_mov_b64 s[8:9], -1
                                        ; implicit-def: $vgpr3
	s_branch .LBB71_214
.LBB71_204:
	s_andn2_saveexec_b64 s[0:1], s[0:1]
	s_cbranch_execz .LBB71_190
.LBB71_205:
	v_cmp_ne_u16_e32 vcc, 0, v4
	s_andn2_b64 s[8:9], s[8:9], exec
	s_and_b64 s[12:13], vcc, exec
	s_or_b64 s[8:9], s[8:9], s[12:13]
	s_or_b64 exec, exec, s[0:1]
	v_mov_b32_e32 v3, 0
	s_and_saveexec_b64 s[0:1], s[8:9]
	s_cbranch_execnz .LBB71_191
	s_branch .LBB71_192
.LBB71_206:
	s_mov_b64 s[0:1], -1
                                        ; implicit-def: $vgpr3
	s_branch .LBB71_211
.LBB71_207:
	s_mov_b64 s[0:1], -1
                                        ; implicit-def: $vgpr3
.LBB71_208:
	s_and_b64 vcc, exec, s[0:1]
	s_cbranch_vccz .LBB71_210
; %bb.209:
	global_load_ubyte v3, v[1:2], off
	s_mov_b32 s0, 0x7f800000
	s_waitcnt vmcnt(0)
	v_lshlrev_b32_e32 v3, 24, v3
	v_and_b32_e32 v4, 0x7f000000, v3
	v_ffbh_u32_e32 v5, v4
	v_min_u32_e32 v5, 32, v5
	v_sub_u32_e64 v5, v5, 4 clamp
	v_lshlrev_b32_e32 v7, v5, v4
	v_lshlrev_b32_e32 v5, 23, v5
	v_lshrrev_b32_e32 v7, 4, v7
	v_add_u32_e32 v6, 0x1000000, v4
	v_sub_u32_e32 v5, v7, v5
	v_ashrrev_i32_e32 v6, 8, v6
	v_add_u32_e32 v5, 0x3c000000, v5
	v_and_or_b32 v5, v6, s0, v5
	v_cmp_ne_u32_e32 vcc, 0, v4
	v_cndmask_b32_e32 v4, 0, v5, vcc
	s_brev_b32 s0, 1
	v_and_or_b32 v3, v3, s0, v4
	v_cvt_i32_f32_e32 v3, v3
.LBB71_210:
	s_mov_b64 s[0:1], 0
.LBB71_211:
	s_andn2_b64 vcc, exec, s[0:1]
	s_cbranch_vccnz .LBB71_213
; %bb.212:
	global_load_ubyte v3, v[1:2], off
	s_movk_i32 s0, 0x7f00
	s_brev_b32 s1, 16
	s_waitcnt vmcnt(0)
	v_lshlrev_b16_e32 v4, 8, v3
	v_lshlrev_b32_e32 v3, 25, v3
	v_lshrrev_b32_e32 v5, 4, v3
	v_and_or_b32 v6, v4, s0, 0.5
	v_or_b32_e32 v5, 0x70000000, v5
	v_add_f32_e32 v6, -0.5, v6
	v_mul_f32_e32 v5, 0x7800000, v5
	v_cmp_gt_u32_e32 vcc, s1, v3
	v_bfe_i32 v4, v4, 0, 16
	v_cndmask_b32_e32 v3, v5, v6, vcc
	s_brev_b32 s0, 1
	v_and_or_b32 v3, v4, s0, v3
	v_cvt_i32_f32_e32 v3, v3
.LBB71_213:
	s_mov_b64 s[8:9], 0
	s_mov_b64 s[0:1], -1
.LBB71_214:
	s_andn2_b64 vcc, exec, s[8:9]
	s_cbranch_vccnz .LBB71_227
; %bb.215:
	s_cmp_gt_i32 s10, 14
	s_cbranch_scc0 .LBB71_218
; %bb.216:
	s_cmp_eq_u32 s10, 15
	s_cbranch_scc0 .LBB71_221
; %bb.217:
	global_load_ushort v3, v[1:2], off
	s_mov_b64 s[0:1], -1
	s_mov_b64 s[2:3], 0
	s_waitcnt vmcnt(0)
	v_lshlrev_b32_e32 v3, 16, v3
	v_cvt_i32_f32_e32 v3, v3
	s_branch .LBB71_222
.LBB71_218:
	s_mov_b64 s[8:9], -1
                                        ; implicit-def: $vgpr3
	s_branch .LBB71_223
.LBB71_219:
	s_andn2_saveexec_b64 s[0:1], s[0:1]
	s_cbranch_execz .LBB71_200
.LBB71_220:
	v_cmp_ne_u16_e32 vcc, 0, v4
	s_andn2_b64 s[8:9], s[8:9], exec
	s_and_b64 s[12:13], vcc, exec
	s_or_b64 s[8:9], s[8:9], s[12:13]
	s_or_b64 exec, exec, s[0:1]
	v_mov_b32_e32 v3, 0
	s_and_saveexec_b64 s[0:1], s[8:9]
	s_cbranch_execnz .LBB71_201
	s_branch .LBB71_202
.LBB71_221:
	s_mov_b64 s[2:3], -1
                                        ; implicit-def: $vgpr3
.LBB71_222:
	s_mov_b64 s[8:9], 0
.LBB71_223:
	s_and_b64 vcc, exec, s[8:9]
	s_cbranch_vccz .LBB71_227
; %bb.224:
	s_cmp_eq_u32 s10, 11
	s_cbranch_scc0 .LBB71_226
; %bb.225:
	global_load_ubyte v3, v[1:2], off
	s_mov_b64 s[0:1], -1
	s_mov_b64 s[2:3], 0
	s_waitcnt vmcnt(0)
	v_cmp_ne_u16_e32 vcc, 0, v3
	v_cndmask_b32_e64 v3, 0, 1, vcc
	s_branch .LBB71_227
.LBB71_226:
	s_mov_b64 s[2:3], -1
                                        ; implicit-def: $vgpr3
.LBB71_227:
	s_branch .LBB71_24
.LBB71_228:
	s_cmp_lt_i32 s10, 5
	s_cbranch_scc1 .LBB71_233
; %bb.229:
	s_cmp_lt_i32 s10, 8
	s_cbranch_scc1 .LBB71_234
; %bb.230:
	;; [unrolled: 3-line block ×3, first 2 shown]
	s_cmp_gt_i32 s10, 9
	s_cbranch_scc0 .LBB71_236
; %bb.232:
	global_load_dwordx2 v[3:4], v[1:2], off
	s_mov_b64 s[0:1], 0
	s_waitcnt vmcnt(0)
	v_cvt_i32_f64_e32 v3, v[3:4]
	s_branch .LBB71_237
.LBB71_233:
                                        ; implicit-def: $vgpr3
	s_branch .LBB71_255
.LBB71_234:
	s_mov_b64 s[0:1], -1
                                        ; implicit-def: $vgpr3
	s_branch .LBB71_243
.LBB71_235:
	s_mov_b64 s[0:1], -1
                                        ; implicit-def: $vgpr3
	s_branch .LBB71_240
.LBB71_236:
	s_mov_b64 s[0:1], -1
                                        ; implicit-def: $vgpr3
.LBB71_237:
	s_andn2_b64 vcc, exec, s[0:1]
	s_cbranch_vccnz .LBB71_239
; %bb.238:
	global_load_dword v3, v[1:2], off
	s_waitcnt vmcnt(0)
	v_cvt_i32_f32_e32 v3, v3
.LBB71_239:
	s_mov_b64 s[0:1], 0
.LBB71_240:
	s_andn2_b64 vcc, exec, s[0:1]
	s_cbranch_vccnz .LBB71_242
; %bb.241:
	global_load_dword v3, v[1:2], off
	s_waitcnt vmcnt(0)
	v_cvt_i16_f16_e32 v3, v3
.LBB71_242:
	s_mov_b64 s[0:1], 0
.LBB71_243:
	s_andn2_b64 vcc, exec, s[0:1]
	s_cbranch_vccnz .LBB71_254
; %bb.244:
	s_cmp_lt_i32 s10, 6
	s_cbranch_scc1 .LBB71_247
; %bb.245:
	s_cmp_gt_i32 s10, 6
	s_cbranch_scc0 .LBB71_248
; %bb.246:
	global_load_dwordx2 v[3:4], v[1:2], off
	s_mov_b64 s[0:1], 0
	s_waitcnt vmcnt(0)
	v_cvt_i32_f64_e32 v3, v[3:4]
	s_branch .LBB71_249
.LBB71_247:
	s_mov_b64 s[0:1], -1
                                        ; implicit-def: $vgpr3
	s_branch .LBB71_252
.LBB71_248:
	s_mov_b64 s[0:1], -1
                                        ; implicit-def: $vgpr3
.LBB71_249:
	s_andn2_b64 vcc, exec, s[0:1]
	s_cbranch_vccnz .LBB71_251
; %bb.250:
	global_load_dword v3, v[1:2], off
	s_waitcnt vmcnt(0)
	v_cvt_i32_f32_e32 v3, v3
.LBB71_251:
	s_mov_b64 s[0:1], 0
.LBB71_252:
	s_andn2_b64 vcc, exec, s[0:1]
	s_cbranch_vccnz .LBB71_254
; %bb.253:
	global_load_ushort v3, v[1:2], off
	s_waitcnt vmcnt(0)
	v_cvt_i16_f16_e32 v3, v3
.LBB71_254:
	s_cbranch_execnz .LBB71_274
.LBB71_255:
	s_cmp_lt_i32 s10, 2
	s_cbranch_scc1 .LBB71_259
; %bb.256:
	s_cmp_lt_i32 s10, 3
	s_cbranch_scc1 .LBB71_260
; %bb.257:
	s_cmp_gt_i32 s10, 3
	s_cbranch_scc0 .LBB71_261
; %bb.258:
	global_load_dwordx2 v[3:4], v[1:2], off
	s_mov_b64 s[0:1], 0
	s_branch .LBB71_262
.LBB71_259:
	s_mov_b64 s[0:1], -1
                                        ; implicit-def: $vgpr3
	s_branch .LBB71_268
.LBB71_260:
	s_mov_b64 s[0:1], -1
                                        ; implicit-def: $vgpr3
	s_branch .LBB71_265
.LBB71_261:
	s_mov_b64 s[0:1], -1
                                        ; implicit-def: $vgpr3
.LBB71_262:
	s_andn2_b64 vcc, exec, s[0:1]
	s_cbranch_vccnz .LBB71_264
; %bb.263:
	global_load_dword v3, v[1:2], off
.LBB71_264:
	s_mov_b64 s[0:1], 0
.LBB71_265:
	s_andn2_b64 vcc, exec, s[0:1]
	s_cbranch_vccnz .LBB71_267
; %bb.266:
	global_load_ushort v3, v[1:2], off
.LBB71_267:
	s_mov_b64 s[0:1], 0
.LBB71_268:
	s_andn2_b64 vcc, exec, s[0:1]
	s_cbranch_vccnz .LBB71_274
; %bb.269:
	s_cmp_gt_i32 s10, 0
	s_cbranch_scc0 .LBB71_271
; %bb.270:
	global_load_sbyte v3, v[1:2], off
	s_mov_b64 s[0:1], 0
	s_branch .LBB71_272
.LBB71_271:
	s_mov_b64 s[0:1], -1
                                        ; implicit-def: $vgpr3
.LBB71_272:
	s_andn2_b64 vcc, exec, s[0:1]
	s_cbranch_vccnz .LBB71_274
; %bb.273:
	global_load_ubyte v3, v[1:2], off
.LBB71_274:
	s_branch .LBB71_25
.LBB71_275:
	s_mov_b64 s[0:1], 0
.LBB71_276:
	s_mov_b64 s[8:9], 0
                                        ; implicit-def: $vgpr8
.LBB71_277:
	s_and_b64 s[54:55], s[0:1], exec
	s_and_b64 s[56:57], s[2:3], exec
	s_orn2_b64 s[2:3], s[8:9], exec
.LBB71_278:
	s_or_b64 exec, exec, s[58:59]
	s_mov_b64 s[10:11], 0
	s_mov_b64 s[0:1], 0
                                        ; implicit-def: $vgpr1_vgpr2
                                        ; implicit-def: $vgpr0
                                        ; implicit-def: $vgpr3
	s_and_saveexec_b64 s[58:59], s[2:3]
	s_cbranch_execz .LBB71_285
; %bb.279:
	v_cmp_gt_i32_e32 vcc, s72, v8
	s_mov_b64 s[0:1], -1
	s_mov_b64 s[60:61], s[56:57]
	s_mov_b64 s[62:63], s[54:55]
	s_and_saveexec_b64 s[64:65], vcc
	s_cbranch_execz .LBB71_566
; %bb.280:
	s_andn2_b64 vcc, exec, s[40:41]
	s_cbranch_vccnz .LBB71_288
; %bb.281:
	s_andn2_b64 vcc, exec, s[52:53]
	s_cbranch_vccnz .LBB71_289
; %bb.282:
	s_add_i32 s67, s77, 1
	s_cmp_eq_u32 s74, 2
	s_cbranch_scc1 .LBB71_290
; %bb.283:
	s_and_b32 s66, s67, 28
	v_mov_b32_e32 v2, 0
	s_mov_b32 s68, 0
	s_mov_b64 s[60:61], s[34:35]
	s_mov_b64 s[62:63], s[50:51]
	v_mov_b32_e32 v0, 0
	v_mov_b32_e32 v1, v8
.LBB71_284:                             ; =>This Inner Loop Header: Depth=1
	s_load_dwordx8 s[16:23], s[60:61], 0x4
	s_load_dwordx4 s[0:3], s[60:61], 0x24
	s_load_dwordx8 s[8:15], s[62:63], 0x0
	s_add_u32 s60, s60, 48
	s_addc_u32 s61, s61, 0
	s_waitcnt vmcnt(0) lgkmcnt(0)
	v_mul_hi_u32 v3, s17, v1
	s_add_i32 s68, s68, 4
	s_add_u32 s62, s62, 32
	s_addc_u32 s63, s63, 0
	v_add_u32_e32 v3, v1, v3
	v_lshrrev_b32_e32 v3, s18, v3
	v_mul_lo_u32 v4, v3, s16
	v_mul_hi_u32 v5, s20, v3
	s_cmp_eq_u32 s66, s68
	v_sub_u32_e32 v1, v1, v4
	v_add_u32_e32 v4, v3, v5
	v_mul_lo_u32 v5, v1, s8
	v_mul_lo_u32 v6, v1, s9
	v_lshrrev_b32_e32 v1, s21, v4
	v_mul_lo_u32 v4, v1, s19
	v_mul_hi_u32 v7, s23, v1
	v_sub_u32_e32 v3, v3, v4
	v_add_u32_e32 v4, v1, v7
	v_lshrrev_b32_e32 v4, s0, v4
	v_mul_hi_u32 v9, s2, v4
	v_mul_lo_u32 v10, v4, s22
	v_mul_lo_u32 v7, v3, s10
	;; [unrolled: 1-line block ×3, first 2 shown]
	v_sub_u32_e32 v10, v1, v10
	v_add_u32_e32 v1, v4, v9
	v_lshrrev_b32_e32 v1, s3, v1
	v_mul_lo_u32 v9, v1, s1
	v_mul_lo_u32 v11, v10, s12
	;; [unrolled: 1-line block ×3, first 2 shown]
	v_add3_u32 v0, v5, v0, v7
	v_sub_u32_e32 v4, v4, v9
	v_mul_lo_u32 v9, v4, s14
	v_mul_lo_u32 v4, v4, s15
	v_add3_u32 v2, v6, v2, v3
	v_add3_u32 v0, v11, v0, v9
	;; [unrolled: 1-line block ×3, first 2 shown]
	s_cbranch_scc0 .LBB71_284
	s_branch .LBB71_291
.LBB71_285:
	s_or_b64 exec, exec, s[58:59]
	s_mov_b64 s[2:3], 0
	s_and_saveexec_b64 s[8:9], s[56:57]
	s_cbranch_execnz .LBB71_951
.LBB71_286:
	s_or_b64 exec, exec, s[8:9]
	s_and_saveexec_b64 s[8:9], s[62:63]
	s_xor_b64 s[8:9], exec, s[8:9]
	s_cbranch_execz .LBB71_952
.LBB71_287:
	global_load_ubyte v3, v[1:2], off
	s_or_b64 s[0:1], s[0:1], exec
	s_waitcnt vmcnt(0)
	v_cmp_ne_u16_e32 vcc, 0, v3
	v_cndmask_b32_e64 v3, 0, 1, vcc
	s_or_b64 exec, exec, s[8:9]
	s_and_saveexec_b64 s[8:9], s[10:11]
	s_cbranch_execz .LBB71_998
	s_branch .LBB71_953
.LBB71_288:
                                        ; implicit-def: $vgpr0
                                        ; implicit-def: $vgpr2
	s_andn2_b64 vcc, exec, s[0:1]
	s_cbranch_vccz .LBB71_295
	s_branch .LBB71_297
.LBB71_289:
	v_mov_b32_e32 v0, 0
	v_mov_b32_e32 v2, 0
	s_branch .LBB71_294
.LBB71_290:
	s_mov_b32 s66, 0
	v_mov_b32_e32 v0, 0
	v_mov_b32_e32 v2, 0
	;; [unrolled: 1-line block ×3, first 2 shown]
.LBB71_291:
	s_and_b32 s8, s67, 3
	s_cmp_eq_u32 s8, 0
	s_cbranch_scc1 .LBB71_294
; %bb.292:
	s_lshl_b32 s0, s66, 3
	s_add_u32 s0, s34, s0
	s_addc_u32 s1, s35, 0
	s_add_u32 s0, s0, 0xc4
	s_addc_u32 s1, s1, 0
	s_mul_i32 s2, s66, 12
	s_add_u32 s2, s34, s2
	s_addc_u32 s3, s35, 0
.LBB71_293:                             ; =>This Inner Loop Header: Depth=1
	s_load_dwordx2 s[10:11], s[2:3], 0x4
	s_load_dword s9, s[2:3], 0xc
	s_load_dwordx2 s[12:13], s[0:1], 0x0
	s_add_u32 s2, s2, 12
	s_addc_u32 s3, s3, 0
	s_waitcnt vmcnt(0) lgkmcnt(0)
	v_mul_hi_u32 v3, s11, v1
	s_add_u32 s0, s0, 8
	s_addc_u32 s1, s1, 0
	s_add_i32 s8, s8, -1
	v_add_u32_e32 v3, v1, v3
	v_lshrrev_b32_e32 v4, s9, v3
	v_mul_lo_u32 v3, v4, s10
	s_cmp_lg_u32 s8, 0
	v_sub_u32_e32 v3, v1, v3
	v_mad_u64_u32 v[0:1], s[10:11], v3, s12, v[0:1]
	v_mad_u64_u32 v[2:3], s[10:11], v3, s13, v[2:3]
	v_mov_b32_e32 v1, v4
	s_cbranch_scc1 .LBB71_293
.LBB71_294:
	s_cbranch_execnz .LBB71_297
.LBB71_295:
	v_mul_hi_u32 v0, s29, v8
	s_andn2_b64 vcc, exec, s[48:49]
	v_add_u32_e32 v0, v8, v0
	v_lshrrev_b32_e32 v1, s30, v0
	v_mul_lo_u32 v0, v1, s28
	v_sub_u32_e32 v2, v8, v0
	v_mul_lo_u32 v0, v2, s36
	v_mul_lo_u32 v2, v2, s37
	s_cbranch_vccnz .LBB71_297
; %bb.296:
	s_waitcnt vmcnt(0)
	v_mul_hi_u32 v3, s46, v1
	v_add_u32_e32 v3, v1, v3
	v_lshrrev_b32_e32 v3, s47, v3
	v_mul_lo_u32 v3, v3, s31
	v_sub_u32_e32 v3, v1, v3
	v_mad_u64_u32 v[0:1], s[0:1], v3, s38, v[0:1]
	v_mad_u64_u32 v[2:3], s[0:1], v3, s39, v[2:3]
.LBB71_297:
	s_waitcnt vmcnt(0)
	v_mov_b32_e32 v3, s27
	s_and_b32 s10, 0xffff, s76
	v_add_co_u32_e32 v1, vcc, s26, v2
	s_cmp_lt_i32 s10, 11
	v_addc_co_u32_e32 v2, vcc, 0, v3, vcc
	s_cbranch_scc1 .LBB71_304
; %bb.298:
	s_cmp_gt_i32 s10, 25
	s_cbranch_scc0 .LBB71_310
; %bb.299:
	s_cmp_gt_i32 s10, 28
	s_cbranch_scc0 .LBB71_314
; %bb.300:
	s_cmp_gt_i32 s10, 43
	s_cbranch_scc0 .LBB71_316
; %bb.301:
	s_cmp_gt_i32 s10, 45
	s_cbranch_scc0 .LBB71_337
; %bb.302:
	s_cmp_eq_u32 s10, 46
	s_mov_b64 s[8:9], 0
	s_cbranch_scc0 .LBB71_341
; %bb.303:
	global_load_dword v3, v[1:2], off
	s_mov_b64 s[0:1], -1
	s_mov_b64 s[2:3], 0
	s_waitcnt vmcnt(0)
	v_lshlrev_b32_e32 v3, 16, v3
	v_cvt_i32_f32_e32 v3, v3
	s_branch .LBB71_342
.LBB71_304:
	s_mov_b64 s[0:1], 0
                                        ; implicit-def: $vgpr3
	s_mov_b64 s[2:3], s[56:57]
	s_cbranch_execnz .LBB71_515
.LBB71_305:
	s_andn2_b64 vcc, exec, s[0:1]
	s_cbranch_vccnz .LBB71_563
.LBB71_306:
	s_cmp_lt_i32 s44, 1
	s_mov_b64 s[0:1], 0
	s_cbranch_scc1 .LBB71_311
; %bb.307:
	s_cmp_gt_i32 s44, 1
	s_cbranch_scc0 .LBB71_315
; %bb.308:
	s_cmp_eq_u32 s44, 2
	s_cbranch_scc0 .LBB71_317
; %bb.309:
	s_waitcnt vmcnt(0)
	v_cmp_ge_i16_e64 s[8:9], s45, v3
	s_mov_b64 s[10:11], 0
	s_branch .LBB71_318
.LBB71_310:
	s_mov_b64 s[8:9], -1
	s_mov_b64 s[0:1], 0
	s_mov_b64 s[2:3], s[56:57]
                                        ; implicit-def: $vgpr3
	s_branch .LBB71_481
.LBB71_311:
                                        ; implicit-def: $sgpr8_sgpr9
	s_mov_b64 s[10:11], 0
	s_cbranch_execnz .LBB71_322
.LBB71_312:
	s_andn2_b64 vcc, exec, s[10:11]
	s_cbranch_vccnz .LBB71_323
.LBB71_313:
	s_waitcnt vmcnt(0)
	v_cmp_gt_i16_e32 vcc, s45, v3
	s_andn2_b64 s[8:9], s[8:9], exec
	s_and_b64 s[10:11], vcc, exec
	s_or_b64 s[8:9], s[8:9], s[10:11]
	s_cbranch_execz .LBB71_324
	s_branch .LBB71_325
.LBB71_314:
	s_mov_b64 s[8:9], -1
	s_mov_b64 s[0:1], 0
	s_mov_b64 s[2:3], s[56:57]
                                        ; implicit-def: $vgpr3
	s_branch .LBB71_464
.LBB71_315:
	s_mov_b64 s[12:13], -1
	s_mov_b64 s[10:11], 0
                                        ; implicit-def: $sgpr8_sgpr9
	s_branch .LBB71_319
.LBB71_316:
	s_mov_b64 s[8:9], -1
	s_mov_b64 s[0:1], 0
	s_mov_b64 s[2:3], s[56:57]
                                        ; implicit-def: $vgpr3
	s_branch .LBB71_459
.LBB71_317:
	s_mov_b64 s[10:11], -1
                                        ; implicit-def: $sgpr8_sgpr9
.LBB71_318:
	s_mov_b64 s[12:13], 0
.LBB71_319:
	s_and_b64 vcc, exec, s[12:13]
	s_cbranch_vccz .LBB71_321
; %bb.320:
	s_waitcnt vmcnt(0)
	v_cmp_lt_i16_e32 vcc, s45, v3
	s_andn2_b64 s[8:9], s[8:9], exec
	s_and_b64 s[12:13], vcc, exec
	s_or_b64 s[8:9], s[8:9], s[12:13]
.LBB71_321:
	s_branch .LBB71_312
.LBB71_322:
	s_cmp_lg_u32 s44, 0
	s_mov_b64 s[0:1], -1
	s_cselect_b64 s[10:11], -1, 0
	s_andn2_b64 vcc, exec, s[10:11]
	s_cbranch_vccz .LBB71_313
.LBB71_323:
	s_andn2_b64 vcc, exec, s[0:1]
	s_cbranch_vccnz .LBB71_325
.LBB71_324:
	s_waitcnt vmcnt(0)
	v_cmp_le_i16_e32 vcc, s45, v3
	s_andn2_b64 s[0:1], s[8:9], exec
	s_and_b64 s[8:9], vcc, exec
	s_or_b64 s[8:9], s[0:1], s[8:9]
.LBB71_325:
	v_mov_b32_e32 v1, s25
	s_and_b32 s16, s75, 0xff
	v_add_co_u32_e32 v0, vcc, s24, v0
	s_cmp_lt_i32 s16, 11
	v_addc_co_u32_e32 v1, vcc, 0, v1, vcc
	s_cbranch_scc1 .LBB71_332
; %bb.326:
	s_and_b32 s17, 0xffff, s16
	s_cmp_gt_i32 s17, 25
	s_cbranch_scc0 .LBB71_333
; %bb.327:
	s_cmp_gt_i32 s17, 28
	s_cbranch_scc0 .LBB71_334
; %bb.328:
	;; [unrolled: 3-line block ×4, first 2 shown]
	s_mov_b64 s[12:13], 0
	s_mov_b64 s[0:1], -1
	s_cmp_eq_u32 s17, 46
	s_mov_b64 s[10:11], 0
	s_cbranch_scc0 .LBB71_346
; %bb.331:
	v_cndmask_b32_e64 v2, 0, 1.0, s[8:9]
	s_waitcnt vmcnt(0)
	v_bfe_u32 v3, v2, 16, 1
	s_movk_i32 s0, 0x7fff
	v_add3_u32 v2, v2, v3, s0
	v_lshrrev_b32_e32 v2, 16, v2
	global_store_dword v[0:1], v2, off
	s_mov_b64 s[10:11], -1
	s_mov_b64 s[0:1], 0
	s_branch .LBB71_346
.LBB71_332:
	s_mov_b64 s[12:13], -1
	s_mov_b64 s[10:11], 0
	s_mov_b64 s[0:1], s[54:55]
	s_branch .LBB71_415
.LBB71_333:
	s_mov_b64 s[12:13], -1
	s_mov_b64 s[10:11], 0
	s_mov_b64 s[0:1], s[54:55]
	s_branch .LBB71_373
.LBB71_334:
	s_mov_b64 s[12:13], -1
	s_mov_b64 s[10:11], 0
	s_mov_b64 s[0:1], s[54:55]
	s_branch .LBB71_356
.LBB71_335:
	s_andn2_saveexec_b64 s[14:15], s[14:15]
	s_cbranch_execz .LBB71_84
.LBB71_336:
	v_add_f32_e32 v2, 0x46000000, v3
	v_and_b32_e32 v2, 0xff, v2
	v_cmp_ne_u32_e32 vcc, 0, v2
	s_andn2_b64 s[12:13], s[12:13], exec
	s_and_b64 s[18:19], vcc, exec
	s_or_b64 s[12:13], s[12:13], s[18:19]
	s_or_b64 exec, exec, s[14:15]
	v_mov_b32_e32 v4, 0
	s_and_saveexec_b64 s[14:15], s[12:13]
	s_cbranch_execnz .LBB71_85
	s_branch .LBB71_86
.LBB71_337:
	s_mov_b64 s[8:9], -1
	s_mov_b64 s[0:1], 0
	s_mov_b64 s[2:3], s[56:57]
                                        ; implicit-def: $vgpr3
	s_branch .LBB71_342
.LBB71_338:
	s_mov_b64 s[12:13], -1
	s_mov_b64 s[10:11], 0
	s_mov_b64 s[0:1], s[54:55]
	s_branch .LBB71_352
.LBB71_339:
	s_andn2_saveexec_b64 s[14:15], s[14:15]
	s_cbranch_execz .LBB71_97
.LBB71_340:
	v_add_f32_e32 v2, 0x42800000, v3
	v_and_b32_e32 v2, 0xff, v2
	v_cmp_ne_u32_e32 vcc, 0, v2
	s_andn2_b64 s[12:13], s[12:13], exec
	s_and_b64 s[18:19], vcc, exec
	s_or_b64 s[12:13], s[12:13], s[18:19]
	s_or_b64 exec, exec, s[14:15]
	v_mov_b32_e32 v4, 0
	s_and_saveexec_b64 s[14:15], s[12:13]
	s_cbranch_execnz .LBB71_98
	s_branch .LBB71_99
.LBB71_341:
	s_mov_b64 s[2:3], -1
                                        ; implicit-def: $vgpr3
	s_mov_b64 s[0:1], 0
.LBB71_342:
	s_and_b64 vcc, exec, s[8:9]
	s_cbranch_vccz .LBB71_458
; %bb.343:
	s_cmp_eq_u32 s10, 44
	s_cbranch_scc0 .LBB71_457
; %bb.344:
	global_load_ubyte v3, v[1:2], off
	s_mov_b64 s[0:1], -1
	s_mov_b64 s[2:3], 0
	s_waitcnt vmcnt(0)
	v_lshlrev_b32_e32 v4, 23, v3
	v_cvt_i32_f32_e32 v4, v4
	v_cmp_ne_u32_e32 vcc, 0, v3
	v_cndmask_b32_e32 v3, 0, v4, vcc
	s_branch .LBB71_458
.LBB71_345:
	s_mov_b64 s[12:13], -1
	s_mov_b64 s[10:11], 0
	s_mov_b64 s[0:1], s[54:55]
.LBB71_346:
	s_and_b64 vcc, exec, s[12:13]
	s_cbranch_vccz .LBB71_351
; %bb.347:
	s_cmp_eq_u32 s17, 44
	s_mov_b64 s[0:1], -1
	s_cbranch_scc0 .LBB71_351
; %bb.348:
	s_waitcnt vmcnt(0)
	v_cndmask_b32_e64 v3, 0, 1.0, s[8:9]
	v_lshrrev_b32_e32 v2, 23, v3
	s_movk_i32 s0, 0xff
	v_cmp_ne_u32_e32 vcc, s0, v2
	v_mov_b32_e32 v4, 0xff
	s_and_saveexec_b64 s[10:11], vcc
; %bb.349:
	s_mov_b32 s0, 0x3fffff
	v_and_b32_e32 v4, 0x400000, v3
	v_and_or_b32 v3, v3, s0, v2
	v_cmp_ne_u32_e32 vcc, 0, v4
	v_cmp_ne_u32_e64 s[0:1], 0, v3
	s_and_b64 s[0:1], vcc, s[0:1]
	v_cndmask_b32_e64 v3, 0, 1, s[0:1]
	v_add_u32_e32 v4, v2, v3
; %bb.350:
	s_or_b64 exec, exec, s[10:11]
	s_mov_b64 s[10:11], -1
	s_mov_b64 s[0:1], 0
	global_store_byte v[0:1], v4, off
.LBB71_351:
	s_mov_b64 s[12:13], 0
.LBB71_352:
	s_and_b64 vcc, exec, s[12:13]
	s_cbranch_vccz .LBB71_355
; %bb.353:
	s_cmp_eq_u32 s17, 29
	s_mov_b64 s[0:1], -1
	s_cbranch_scc0 .LBB71_355
; %bb.354:
	s_mov_b32 s0, 0
	v_cndmask_b32_e64 v2, 0, 1, s[8:9]
	s_waitcnt vmcnt(0)
	v_mov_b32_e32 v3, s0
	global_store_dwordx2 v[0:1], v[2:3], off
	s_mov_b64 s[10:11], -1
	s_mov_b64 s[0:1], 0
.LBB71_355:
	s_mov_b64 s[12:13], 0
.LBB71_356:
	s_and_b64 vcc, exec, s[12:13]
	s_cbranch_vccz .LBB71_372
; %bb.357:
	s_cmp_lt_i32 s17, 27
	s_mov_b64 s[10:11], -1
	s_cbranch_scc1 .LBB71_363
; %bb.358:
	s_cmp_gt_i32 s17, 27
	s_cbranch_scc0 .LBB71_360
; %bb.359:
	v_cndmask_b32_e64 v2, 0, 1, s[8:9]
	s_mov_b64 s[10:11], 0
	global_store_dword v[0:1], v2, off
.LBB71_360:
	s_andn2_b64 vcc, exec, s[10:11]
	s_cbranch_vccnz .LBB71_362
; %bb.361:
	v_cndmask_b32_e64 v2, 0, 1, s[8:9]
	global_store_short v[0:1], v2, off
.LBB71_362:
	s_mov_b64 s[10:11], 0
.LBB71_363:
	s_andn2_b64 vcc, exec, s[10:11]
	s_cbranch_vccnz .LBB71_371
; %bb.364:
	s_waitcnt vmcnt(0)
	v_cndmask_b32_e64 v3, 0, 1.0, s[8:9]
	s_mov_b32 s10, 0x43800000
	v_cmp_gt_u32_e32 vcc, s10, v3
	v_mov_b32_e32 v4, 0x80
	s_and_saveexec_b64 s[10:11], vcc
	s_cbranch_execz .LBB71_370
; %bb.365:
	s_mov_b32 s12, 0x3bffffff
	v_cmp_lt_u32_e32 vcc, s12, v3
	s_mov_b64 s[12:13], 0
                                        ; implicit-def: $vgpr2
	s_and_saveexec_b64 s[14:15], vcc
	s_xor_b64 s[14:15], exec, s[14:15]
	s_cbranch_execz .LBB71_594
; %bb.366:
	v_bfe_u32 v2, v3, 20, 1
	s_mov_b32 s18, 0x487ffff
	v_add3_u32 v2, v3, v2, s18
	s_mov_b64 s[12:13], exec
	v_lshrrev_b32_e32 v2, 20, v2
                                        ; implicit-def: $vgpr3
	s_andn2_saveexec_b64 s[14:15], s[14:15]
	s_cbranch_execnz .LBB71_595
.LBB71_367:
	s_or_b64 exec, exec, s[14:15]
	v_mov_b32_e32 v4, 0
	s_and_saveexec_b64 s[14:15], s[12:13]
.LBB71_368:
	v_mov_b32_e32 v4, v2
.LBB71_369:
	s_or_b64 exec, exec, s[14:15]
.LBB71_370:
	s_or_b64 exec, exec, s[10:11]
	global_store_byte v[0:1], v4, off
.LBB71_371:
	s_mov_b64 s[10:11], -1
.LBB71_372:
	s_mov_b64 s[12:13], 0
.LBB71_373:
	s_and_b64 vcc, exec, s[12:13]
	s_cbranch_vccz .LBB71_414
; %bb.374:
	s_cmp_gt_i32 s17, 22
	s_mov_b64 s[12:13], -1
	s_cbranch_scc0 .LBB71_406
; %bb.375:
	s_cmp_lt_i32 s17, 24
	s_mov_b64 s[10:11], -1
	s_cbranch_scc1 .LBB71_395
; %bb.376:
	s_cmp_gt_i32 s17, 24
	s_cbranch_scc0 .LBB71_384
; %bb.377:
	s_waitcnt vmcnt(0)
	v_cndmask_b32_e64 v3, 0, 1.0, s[8:9]
	s_mov_b32 s10, 0x47800000
	v_cmp_gt_u32_e32 vcc, s10, v3
	v_mov_b32_e32 v4, 0x80
	s_and_saveexec_b64 s[10:11], vcc
	s_cbranch_execz .LBB71_383
; %bb.378:
	s_mov_b32 s12, 0x37ffffff
	v_cmp_lt_u32_e32 vcc, s12, v3
	s_mov_b64 s[12:13], 0
                                        ; implicit-def: $vgpr2
	s_and_saveexec_b64 s[14:15], vcc
	s_xor_b64 s[14:15], exec, s[14:15]
	s_cbranch_execz .LBB71_597
; %bb.379:
	v_bfe_u32 v2, v3, 21, 1
	s_mov_b32 s18, 0x88fffff
	v_add3_u32 v2, v3, v2, s18
	s_mov_b64 s[12:13], exec
	v_lshrrev_b32_e32 v2, 21, v2
                                        ; implicit-def: $vgpr3
	s_andn2_saveexec_b64 s[14:15], s[14:15]
	s_cbranch_execnz .LBB71_598
.LBB71_380:
	s_or_b64 exec, exec, s[14:15]
	v_mov_b32_e32 v4, 0
	s_and_saveexec_b64 s[14:15], s[12:13]
.LBB71_381:
	v_mov_b32_e32 v4, v2
.LBB71_382:
	s_or_b64 exec, exec, s[14:15]
.LBB71_383:
	s_or_b64 exec, exec, s[10:11]
	s_mov_b64 s[10:11], 0
	global_store_byte v[0:1], v4, off
.LBB71_384:
	s_and_b64 vcc, exec, s[10:11]
	s_cbranch_vccz .LBB71_394
; %bb.385:
	v_cndmask_b32_e64 v2, 0, 1.0, s[8:9]
	s_mov_b32 s10, 0x43f00000
	v_cmp_gt_u32_e32 vcc, s10, v2
                                        ; implicit-def: $vgpr3
	s_and_saveexec_b64 s[10:11], vcc
	s_xor_b64 s[10:11], exec, s[10:11]
	s_cbranch_execz .LBB71_391
; %bb.386:
	s_mov_b32 s12, 0x3c7fffff
	v_cmp_lt_u32_e32 vcc, s12, v2
                                        ; implicit-def: $vgpr3
	s_and_saveexec_b64 s[12:13], vcc
	s_xor_b64 s[12:13], exec, s[12:13]
	s_cbranch_execz .LBB71_388
; %bb.387:
	s_waitcnt vmcnt(0)
	v_bfe_u32 v3, v2, 20, 1
	s_mov_b32 s14, 0x407ffff
	v_add3_u32 v2, v2, v3, s14
	v_lshrrev_b32_e32 v3, 20, v2
	v_and_b32_e32 v2, 0xff00000, v2
	s_mov_b32 s14, 0x7f00000
	v_mov_b32_e32 v4, 0x7e
	v_cmp_ne_u32_e32 vcc, s14, v2
	v_cndmask_b32_e32 v3, v4, v3, vcc
                                        ; implicit-def: $vgpr2
.LBB71_388:
	s_andn2_saveexec_b64 s[12:13], s[12:13]
	s_cbranch_execz .LBB71_390
; %bb.389:
	s_waitcnt vmcnt(0)
	v_add_f32_e32 v3, 0x46800000, v2
.LBB71_390:
	s_or_b64 exec, exec, s[12:13]
                                        ; implicit-def: $vgpr2
.LBB71_391:
	s_andn2_saveexec_b64 s[10:11], s[10:11]
	s_cbranch_execz .LBB71_393
; %bb.392:
	s_mov_b32 s12, 0x7f800000
	s_waitcnt vmcnt(0)
	v_mov_b32_e32 v3, 0x7e
	v_mov_b32_e32 v4, 0x7f
	v_cmp_lt_u32_e32 vcc, s12, v2
	v_cndmask_b32_e32 v3, v3, v4, vcc
.LBB71_393:
	s_or_b64 exec, exec, s[10:11]
	s_waitcnt vmcnt(0)
	global_store_byte v[0:1], v3, off
.LBB71_394:
	s_mov_b64 s[10:11], 0
.LBB71_395:
	s_andn2_b64 vcc, exec, s[10:11]
	s_cbranch_vccnz .LBB71_405
; %bb.396:
	v_cndmask_b32_e64 v2, 0, 1.0, s[8:9]
	s_mov_b32 s10, 0x47800000
	v_cmp_gt_u32_e32 vcc, s10, v2
                                        ; implicit-def: $vgpr3
	s_and_saveexec_b64 s[10:11], vcc
	s_xor_b64 s[10:11], exec, s[10:11]
	s_cbranch_execz .LBB71_402
; %bb.397:
	s_mov_b32 s12, 0x387fffff
	v_cmp_lt_u32_e32 vcc, s12, v2
                                        ; implicit-def: $vgpr3
	s_and_saveexec_b64 s[12:13], vcc
	s_xor_b64 s[12:13], exec, s[12:13]
	s_cbranch_execz .LBB71_399
; %bb.398:
	s_waitcnt vmcnt(0)
	v_bfe_u32 v3, v2, 21, 1
	s_mov_b32 s14, 0x80fffff
	v_add3_u32 v2, v2, v3, s14
	v_lshrrev_b32_e32 v3, 21, v2
                                        ; implicit-def: $vgpr2
.LBB71_399:
	s_andn2_saveexec_b64 s[12:13], s[12:13]
	s_cbranch_execz .LBB71_401
; %bb.400:
	s_waitcnt vmcnt(0)
	v_add_f32_e32 v3, 0x43000000, v2
.LBB71_401:
	s_or_b64 exec, exec, s[12:13]
                                        ; implicit-def: $vgpr2
.LBB71_402:
	s_andn2_saveexec_b64 s[10:11], s[10:11]
	s_cbranch_execz .LBB71_404
; %bb.403:
	s_mov_b32 s12, 0x7f800000
	s_waitcnt vmcnt(0)
	v_mov_b32_e32 v3, 0x7c
	v_mov_b32_e32 v4, 0x7f
	v_cmp_lt_u32_e32 vcc, s12, v2
	v_cndmask_b32_e32 v3, v3, v4, vcc
.LBB71_404:
	s_or_b64 exec, exec, s[10:11]
	s_waitcnt vmcnt(0)
	global_store_byte v[0:1], v3, off
.LBB71_405:
	s_mov_b64 s[12:13], 0
	s_mov_b64 s[10:11], -1
.LBB71_406:
	s_andn2_b64 vcc, exec, s[12:13]
	s_cbranch_vccnz .LBB71_414
; %bb.407:
	s_cmp_gt_i32 s17, 14
	s_mov_b64 s[12:13], -1
	s_cbranch_scc0 .LBB71_411
; %bb.408:
	s_cmp_eq_u32 s17, 15
	s_mov_b64 s[0:1], -1
	s_cbranch_scc0 .LBB71_410
; %bb.409:
	v_cndmask_b32_e64 v2, 0, 1.0, s[8:9]
	s_waitcnt vmcnt(0)
	v_bfe_u32 v3, v2, 16, 1
	s_movk_i32 s0, 0x7fff
	v_add3_u32 v2, v2, v3, s0
	global_store_short_d16_hi v[0:1], v2, off
	s_mov_b64 s[10:11], -1
	s_mov_b64 s[0:1], 0
.LBB71_410:
	s_mov_b64 s[12:13], 0
.LBB71_411:
	s_and_b64 vcc, exec, s[12:13]
	s_cbranch_vccz .LBB71_414
; %bb.412:
	s_cmp_eq_u32 s17, 11
	s_mov_b64 s[0:1], -1
	s_cbranch_scc0 .LBB71_414
; %bb.413:
	v_cndmask_b32_e64 v2, 0, 1, s[8:9]
	s_mov_b64 s[10:11], -1
	s_mov_b64 s[0:1], 0
	global_store_byte v[0:1], v2, off
.LBB71_414:
	s_mov_b64 s[12:13], 0
.LBB71_415:
	s_and_b64 vcc, exec, s[12:13]
	s_cbranch_vccz .LBB71_454
; %bb.416:
	s_and_b32 s12, 0xffff, s16
	s_cmp_lt_i32 s12, 5
	s_mov_b64 s[10:11], -1
	s_cbranch_scc1 .LBB71_437
; %bb.417:
	s_cmp_lt_i32 s12, 8
	s_cbranch_scc1 .LBB71_427
; %bb.418:
	s_cmp_lt_i32 s12, 9
	s_cbranch_scc1 .LBB71_424
; %bb.419:
	s_cmp_gt_i32 s12, 9
	s_cbranch_scc0 .LBB71_421
; %bb.420:
	v_cndmask_b32_e64 v2, 0, 1, s[8:9]
	s_waitcnt vmcnt(0)
	v_cvt_f64_u32_e32 v[2:3], v2
	v_mov_b32_e32 v4, 0
	v_mov_b32_e32 v5, v4
	s_mov_b64 s[10:11], 0
	global_store_dwordx4 v[0:1], v[2:5], off
.LBB71_421:
	s_andn2_b64 vcc, exec, s[10:11]
	s_cbranch_vccnz .LBB71_423
; %bb.422:
	v_cndmask_b32_e64 v2, 0, 1.0, s[8:9]
	s_waitcnt vmcnt(0)
	v_mov_b32_e32 v3, 0
	global_store_dwordx2 v[0:1], v[2:3], off
.LBB71_423:
	s_mov_b64 s[10:11], 0
.LBB71_424:
	s_andn2_b64 vcc, exec, s[10:11]
	s_cbranch_vccnz .LBB71_426
; %bb.425:
	v_cndmask_b32_e64 v2, 0, 1.0, s[8:9]
	v_cvt_f16_f32_e32 v2, v2
	global_store_dword v[0:1], v2, off
.LBB71_426:
	s_mov_b64 s[10:11], 0
.LBB71_427:
	s_andn2_b64 vcc, exec, s[10:11]
	s_cbranch_vccnz .LBB71_436
; %bb.428:
	s_cmp_lt_i32 s12, 6
	s_mov_b64 s[10:11], -1
	s_cbranch_scc1 .LBB71_434
; %bb.429:
	s_cmp_gt_i32 s12, 6
	s_cbranch_scc0 .LBB71_431
; %bb.430:
	v_cndmask_b32_e64 v2, 0, 1, s[8:9]
	s_waitcnt vmcnt(0)
	v_cvt_f64_u32_e32 v[2:3], v2
	s_mov_b64 s[10:11], 0
	global_store_dwordx2 v[0:1], v[2:3], off
.LBB71_431:
	s_andn2_b64 vcc, exec, s[10:11]
	s_cbranch_vccnz .LBB71_433
; %bb.432:
	v_cndmask_b32_e64 v2, 0, 1.0, s[8:9]
	global_store_dword v[0:1], v2, off
.LBB71_433:
	s_mov_b64 s[10:11], 0
.LBB71_434:
	s_andn2_b64 vcc, exec, s[10:11]
	s_cbranch_vccnz .LBB71_436
; %bb.435:
	v_cndmask_b32_e64 v2, 0, 1.0, s[8:9]
	v_cvt_f16_f32_e32 v2, v2
	global_store_short v[0:1], v2, off
.LBB71_436:
	s_mov_b64 s[10:11], 0
.LBB71_437:
	s_andn2_b64 vcc, exec, s[10:11]
	s_cbranch_vccnz .LBB71_453
; %bb.438:
	s_cmp_lt_i32 s12, 2
	s_mov_b64 s[10:11], -1
	s_cbranch_scc1 .LBB71_448
; %bb.439:
	s_cmp_lt_i32 s12, 3
	s_cbranch_scc1 .LBB71_445
; %bb.440:
	s_cmp_gt_i32 s12, 3
	s_cbranch_scc0 .LBB71_442
; %bb.441:
	s_mov_b32 s10, 0
	v_cndmask_b32_e64 v2, 0, 1, s[8:9]
	s_waitcnt vmcnt(0)
	v_mov_b32_e32 v3, s10
	s_mov_b64 s[10:11], 0
	global_store_dwordx2 v[0:1], v[2:3], off
.LBB71_442:
	s_andn2_b64 vcc, exec, s[10:11]
	s_cbranch_vccnz .LBB71_444
; %bb.443:
	v_cndmask_b32_e64 v2, 0, 1, s[8:9]
	global_store_dword v[0:1], v2, off
.LBB71_444:
	s_mov_b64 s[10:11], 0
.LBB71_445:
	s_andn2_b64 vcc, exec, s[10:11]
	s_cbranch_vccnz .LBB71_447
; %bb.446:
	v_cndmask_b32_e64 v2, 0, 1, s[8:9]
	global_store_short v[0:1], v2, off
.LBB71_447:
	s_mov_b64 s[10:11], 0
.LBB71_448:
	s_andn2_b64 vcc, exec, s[10:11]
	s_cbranch_vccnz .LBB71_453
; %bb.449:
	s_mov_b64 s[10:11], -1
	s_cmp_gt_i32 s12, 0
	v_cndmask_b32_e64 v2, 0, 1, s[8:9]
	s_cbranch_scc0 .LBB71_451
; %bb.450:
	s_mov_b64 s[10:11], 0
	global_store_byte v[0:1], v2, off
.LBB71_451:
	s_andn2_b64 vcc, exec, s[10:11]
	s_cbranch_vccnz .LBB71_453
; %bb.452:
	global_store_byte v[0:1], v2, off
.LBB71_453:
	s_mov_b64 s[10:11], -1
.LBB71_454:
	s_andn2_b64 vcc, exec, s[10:11]
	s_cbranch_vccnz .LBB71_456
; %bb.455:
	v_add_u32_e32 v8, 0x80, v8
	s_mov_b64 s[8:9], -1
	s_branch .LBB71_565
.LBB71_456:
	s_mov_b64 s[8:9], 0
	s_branch .LBB71_564
.LBB71_457:
	s_mov_b64 s[2:3], -1
                                        ; implicit-def: $vgpr3
.LBB71_458:
	s_mov_b64 s[8:9], 0
.LBB71_459:
	s_and_b64 vcc, exec, s[8:9]
	s_cbranch_vccz .LBB71_463
; %bb.460:
	s_cmp_eq_u32 s10, 29
	s_cbranch_scc0 .LBB71_462
; %bb.461:
	global_load_dwordx2 v[3:4], v[1:2], off
	s_mov_b64 s[0:1], -1
	s_mov_b64 s[2:3], 0
	s_branch .LBB71_463
.LBB71_462:
	s_mov_b64 s[2:3], -1
                                        ; implicit-def: $vgpr3
.LBB71_463:
	s_mov_b64 s[8:9], 0
.LBB71_464:
	s_and_b64 vcc, exec, s[8:9]
	s_cbranch_vccz .LBB71_480
; %bb.465:
	s_cmp_lt_i32 s10, 27
	s_cbranch_scc1 .LBB71_468
; %bb.466:
	s_cmp_gt_i32 s10, 27
	s_cbranch_scc0 .LBB71_469
; %bb.467:
	global_load_dword v3, v[1:2], off
	s_mov_b64 s[0:1], 0
	s_branch .LBB71_470
.LBB71_468:
	s_mov_b64 s[0:1], -1
                                        ; implicit-def: $vgpr3
	s_branch .LBB71_473
.LBB71_469:
	s_mov_b64 s[0:1], -1
                                        ; implicit-def: $vgpr3
.LBB71_470:
	s_andn2_b64 vcc, exec, s[0:1]
	s_cbranch_vccnz .LBB71_472
; %bb.471:
	global_load_ushort v3, v[1:2], off
.LBB71_472:
	s_mov_b64 s[0:1], 0
.LBB71_473:
	s_andn2_b64 vcc, exec, s[0:1]
	s_cbranch_vccnz .LBB71_479
; %bb.474:
	global_load_ubyte v4, v[1:2], off
	s_movk_i32 s0, 0x7f
	s_mov_b64 s[8:9], 0
	s_waitcnt vmcnt(0)
	v_cmp_lt_i16_e32 vcc, s0, v4
	s_and_saveexec_b64 s[0:1], vcc
	s_xor_b64 s[0:1], exec, s[0:1]
	s_cbranch_execz .LBB71_491
; %bb.475:
	s_movk_i32 s8, 0x80
	v_cmp_ne_u16_e32 vcc, s8, v4
	s_and_b64 s[8:9], vcc, exec
	s_andn2_saveexec_b64 s[0:1], s[0:1]
	s_cbranch_execnz .LBB71_492
.LBB71_476:
	s_or_b64 exec, exec, s[0:1]
	v_mov_b32_e32 v3, 0
	s_and_saveexec_b64 s[0:1], s[8:9]
	s_cbranch_execz .LBB71_478
.LBB71_477:
	v_lshlrev_b32_e32 v3, 24, v4
	v_and_b32_e32 v4, 0xffff, v4
	v_and_b32_e32 v5, 7, v4
	v_ffbh_u32_e32 v7, v5
	v_min_u32_e32 v7, 32, v7
	v_subrev_u32_e32 v9, 28, v7
	v_bfe_u32 v6, v4, 3, 4
	v_lshlrev_b32_e32 v4, v9, v4
	v_sub_u32_e32 v7, 29, v7
	v_and_b32_e32 v4, 7, v4
	v_cmp_eq_u32_e32 vcc, 0, v6
	v_cndmask_b32_e32 v6, v6, v7, vcc
	v_cndmask_b32_e32 v4, v5, v4, vcc
	v_mov_b32_e32 v5, 0x3b800000
	v_lshlrev_b32_e32 v4, 20, v4
	v_and_b32_e32 v3, 0x80000000, v3
	v_lshl_add_u32 v5, v6, 23, v5
	v_or3_b32 v3, v3, v5, v4
	v_cvt_i32_f32_e32 v3, v3
.LBB71_478:
	s_or_b64 exec, exec, s[0:1]
.LBB71_479:
	s_mov_b64 s[0:1], -1
.LBB71_480:
	s_mov_b64 s[8:9], 0
.LBB71_481:
	s_and_b64 vcc, exec, s[8:9]
	s_cbranch_vccz .LBB71_514
; %bb.482:
	s_cmp_gt_i32 s10, 22
	s_cbranch_scc0 .LBB71_490
; %bb.483:
	s_cmp_lt_i32 s10, 24
	s_cbranch_scc1 .LBB71_493
; %bb.484:
	s_cmp_gt_i32 s10, 24
	s_cbranch_scc0 .LBB71_494
; %bb.485:
	global_load_ubyte v4, v[1:2], off
	s_movk_i32 s0, 0x7f
	s_mov_b64 s[8:9], 0
	s_waitcnt vmcnt(0)
	v_cmp_lt_i16_e32 vcc, s0, v4
	s_and_saveexec_b64 s[0:1], vcc
	s_xor_b64 s[0:1], exec, s[0:1]
	s_cbranch_execz .LBB71_506
; %bb.486:
	s_movk_i32 s8, 0x80
	v_cmp_ne_u16_e32 vcc, s8, v4
	s_and_b64 s[8:9], vcc, exec
	s_andn2_saveexec_b64 s[0:1], s[0:1]
	s_cbranch_execnz .LBB71_507
.LBB71_487:
	s_or_b64 exec, exec, s[0:1]
	v_mov_b32_e32 v3, 0
	s_and_saveexec_b64 s[0:1], s[8:9]
	s_cbranch_execz .LBB71_489
.LBB71_488:
	v_lshlrev_b32_e32 v3, 24, v4
	v_and_b32_e32 v4, 0xffff, v4
	v_and_b32_e32 v5, 3, v4
	v_ffbh_u32_e32 v7, v5
	v_min_u32_e32 v7, 32, v7
	v_subrev_u32_e32 v9, 29, v7
	v_bfe_u32 v6, v4, 2, 5
	v_lshlrev_b32_e32 v4, v9, v4
	v_sub_u32_e32 v7, 30, v7
	v_and_b32_e32 v4, 3, v4
	v_cmp_eq_u32_e32 vcc, 0, v6
	v_cndmask_b32_e32 v6, v6, v7, vcc
	v_cndmask_b32_e32 v4, v5, v4, vcc
	v_mov_b32_e32 v5, 0x37800000
	v_lshlrev_b32_e32 v4, 21, v4
	v_and_b32_e32 v3, 0x80000000, v3
	v_lshl_add_u32 v5, v6, 23, v5
	v_or3_b32 v3, v3, v5, v4
	v_cvt_i32_f32_e32 v3, v3
.LBB71_489:
	s_or_b64 exec, exec, s[0:1]
	s_mov_b64 s[0:1], 0
	s_branch .LBB71_495
.LBB71_490:
	s_mov_b64 s[8:9], -1
                                        ; implicit-def: $vgpr3
	s_branch .LBB71_501
.LBB71_491:
	s_andn2_saveexec_b64 s[0:1], s[0:1]
	s_cbranch_execz .LBB71_476
.LBB71_492:
	v_cmp_ne_u16_e32 vcc, 0, v4
	s_andn2_b64 s[8:9], s[8:9], exec
	s_and_b64 s[12:13], vcc, exec
	s_or_b64 s[8:9], s[8:9], s[12:13]
	s_or_b64 exec, exec, s[0:1]
	v_mov_b32_e32 v3, 0
	s_and_saveexec_b64 s[0:1], s[8:9]
	s_cbranch_execnz .LBB71_477
	s_branch .LBB71_478
.LBB71_493:
	s_mov_b64 s[0:1], -1
                                        ; implicit-def: $vgpr3
	s_branch .LBB71_498
.LBB71_494:
	s_mov_b64 s[0:1], -1
                                        ; implicit-def: $vgpr3
.LBB71_495:
	s_and_b64 vcc, exec, s[0:1]
	s_cbranch_vccz .LBB71_497
; %bb.496:
	global_load_ubyte v3, v[1:2], off
	s_mov_b32 s0, 0x7f800000
	s_waitcnt vmcnt(0)
	v_lshlrev_b32_e32 v3, 24, v3
	v_and_b32_e32 v4, 0x7f000000, v3
	v_ffbh_u32_e32 v5, v4
	v_min_u32_e32 v5, 32, v5
	v_sub_u32_e64 v5, v5, 4 clamp
	v_lshlrev_b32_e32 v7, v5, v4
	v_lshlrev_b32_e32 v5, 23, v5
	v_lshrrev_b32_e32 v7, 4, v7
	v_add_u32_e32 v6, 0x1000000, v4
	v_sub_u32_e32 v5, v7, v5
	v_ashrrev_i32_e32 v6, 8, v6
	v_add_u32_e32 v5, 0x3c000000, v5
	v_and_or_b32 v5, v6, s0, v5
	v_cmp_ne_u32_e32 vcc, 0, v4
	v_cndmask_b32_e32 v4, 0, v5, vcc
	s_brev_b32 s0, 1
	v_and_or_b32 v3, v3, s0, v4
	v_cvt_i32_f32_e32 v3, v3
.LBB71_497:
	s_mov_b64 s[0:1], 0
.LBB71_498:
	s_andn2_b64 vcc, exec, s[0:1]
	s_cbranch_vccnz .LBB71_500
; %bb.499:
	global_load_ubyte v3, v[1:2], off
	s_movk_i32 s0, 0x7f00
	s_brev_b32 s1, 16
	s_waitcnt vmcnt(0)
	v_lshlrev_b16_e32 v4, 8, v3
	v_lshlrev_b32_e32 v3, 25, v3
	v_lshrrev_b32_e32 v5, 4, v3
	v_and_or_b32 v6, v4, s0, 0.5
	v_or_b32_e32 v5, 0x70000000, v5
	v_add_f32_e32 v6, -0.5, v6
	v_mul_f32_e32 v5, 0x7800000, v5
	v_cmp_gt_u32_e32 vcc, s1, v3
	v_bfe_i32 v4, v4, 0, 16
	v_cndmask_b32_e32 v3, v5, v6, vcc
	s_brev_b32 s0, 1
	v_and_or_b32 v3, v4, s0, v3
	v_cvt_i32_f32_e32 v3, v3
.LBB71_500:
	s_mov_b64 s[8:9], 0
	s_mov_b64 s[0:1], -1
.LBB71_501:
	s_andn2_b64 vcc, exec, s[8:9]
	s_cbranch_vccnz .LBB71_514
; %bb.502:
	s_cmp_gt_i32 s10, 14
	s_cbranch_scc0 .LBB71_505
; %bb.503:
	s_cmp_eq_u32 s10, 15
	s_cbranch_scc0 .LBB71_508
; %bb.504:
	global_load_ushort v3, v[1:2], off
	s_mov_b64 s[0:1], -1
	s_mov_b64 s[2:3], 0
	s_waitcnt vmcnt(0)
	v_lshlrev_b32_e32 v3, 16, v3
	v_cvt_i32_f32_e32 v3, v3
	s_branch .LBB71_509
.LBB71_505:
	s_mov_b64 s[8:9], -1
                                        ; implicit-def: $vgpr3
	s_branch .LBB71_510
.LBB71_506:
	s_andn2_saveexec_b64 s[0:1], s[0:1]
	s_cbranch_execz .LBB71_487
.LBB71_507:
	v_cmp_ne_u16_e32 vcc, 0, v4
	s_andn2_b64 s[8:9], s[8:9], exec
	s_and_b64 s[12:13], vcc, exec
	s_or_b64 s[8:9], s[8:9], s[12:13]
	s_or_b64 exec, exec, s[0:1]
	v_mov_b32_e32 v3, 0
	s_and_saveexec_b64 s[0:1], s[8:9]
	s_cbranch_execnz .LBB71_488
	s_branch .LBB71_489
.LBB71_508:
	s_mov_b64 s[2:3], -1
                                        ; implicit-def: $vgpr3
.LBB71_509:
	s_mov_b64 s[8:9], 0
.LBB71_510:
	s_and_b64 vcc, exec, s[8:9]
	s_cbranch_vccz .LBB71_514
; %bb.511:
	s_cmp_eq_u32 s10, 11
	s_cbranch_scc0 .LBB71_513
; %bb.512:
	global_load_ubyte v3, v[1:2], off
	s_mov_b64 s[0:1], -1
	s_mov_b64 s[2:3], 0
	s_waitcnt vmcnt(0)
	v_cmp_ne_u16_e32 vcc, 0, v3
	v_cndmask_b32_e64 v3, 0, 1, vcc
	s_branch .LBB71_514
.LBB71_513:
	s_mov_b64 s[2:3], -1
                                        ; implicit-def: $vgpr3
.LBB71_514:
	s_branch .LBB71_305
.LBB71_515:
	s_cmp_lt_i32 s10, 5
	s_cbranch_scc1 .LBB71_520
; %bb.516:
	s_cmp_lt_i32 s10, 8
	s_cbranch_scc1 .LBB71_521
; %bb.517:
	;; [unrolled: 3-line block ×3, first 2 shown]
	s_cmp_gt_i32 s10, 9
	s_cbranch_scc0 .LBB71_523
; %bb.519:
	global_load_dwordx2 v[3:4], v[1:2], off
	s_mov_b64 s[0:1], 0
	s_waitcnt vmcnt(0)
	v_cvt_i32_f64_e32 v3, v[3:4]
	s_branch .LBB71_524
.LBB71_520:
	s_mov_b64 s[0:1], -1
                                        ; implicit-def: $vgpr3
	s_branch .LBB71_542
.LBB71_521:
	s_mov_b64 s[0:1], -1
                                        ; implicit-def: $vgpr3
	s_branch .LBB71_530
.LBB71_522:
	s_mov_b64 s[0:1], -1
                                        ; implicit-def: $vgpr3
	s_branch .LBB71_527
.LBB71_523:
	s_mov_b64 s[0:1], -1
                                        ; implicit-def: $vgpr3
.LBB71_524:
	s_andn2_b64 vcc, exec, s[0:1]
	s_cbranch_vccnz .LBB71_526
; %bb.525:
	global_load_dword v3, v[1:2], off
	s_waitcnt vmcnt(0)
	v_cvt_i32_f32_e32 v3, v3
.LBB71_526:
	s_mov_b64 s[0:1], 0
.LBB71_527:
	s_andn2_b64 vcc, exec, s[0:1]
	s_cbranch_vccnz .LBB71_529
; %bb.528:
	global_load_dword v3, v[1:2], off
	s_waitcnt vmcnt(0)
	v_cvt_i16_f16_e32 v3, v3
.LBB71_529:
	s_mov_b64 s[0:1], 0
.LBB71_530:
	s_andn2_b64 vcc, exec, s[0:1]
	s_cbranch_vccnz .LBB71_541
; %bb.531:
	s_cmp_lt_i32 s10, 6
	s_cbranch_scc1 .LBB71_534
; %bb.532:
	s_cmp_gt_i32 s10, 6
	s_cbranch_scc0 .LBB71_535
; %bb.533:
	global_load_dwordx2 v[3:4], v[1:2], off
	s_mov_b64 s[0:1], 0
	s_waitcnt vmcnt(0)
	v_cvt_i32_f64_e32 v3, v[3:4]
	s_branch .LBB71_536
.LBB71_534:
	s_mov_b64 s[0:1], -1
                                        ; implicit-def: $vgpr3
	s_branch .LBB71_539
.LBB71_535:
	s_mov_b64 s[0:1], -1
                                        ; implicit-def: $vgpr3
.LBB71_536:
	s_andn2_b64 vcc, exec, s[0:1]
	s_cbranch_vccnz .LBB71_538
; %bb.537:
	global_load_dword v3, v[1:2], off
	s_waitcnt vmcnt(0)
	v_cvt_i32_f32_e32 v3, v3
.LBB71_538:
	s_mov_b64 s[0:1], 0
.LBB71_539:
	s_andn2_b64 vcc, exec, s[0:1]
	s_cbranch_vccnz .LBB71_541
; %bb.540:
	global_load_ushort v3, v[1:2], off
	s_waitcnt vmcnt(0)
	v_cvt_i16_f16_e32 v3, v3
.LBB71_541:
	s_mov_b64 s[0:1], 0
.LBB71_542:
	s_andn2_b64 vcc, exec, s[0:1]
	s_cbranch_vccnz .LBB71_562
; %bb.543:
	s_cmp_lt_i32 s10, 2
	s_cbranch_scc1 .LBB71_547
; %bb.544:
	s_cmp_lt_i32 s10, 3
	s_cbranch_scc1 .LBB71_548
; %bb.545:
	s_cmp_gt_i32 s10, 3
	s_cbranch_scc0 .LBB71_549
; %bb.546:
	global_load_dwordx2 v[3:4], v[1:2], off
	s_mov_b64 s[0:1], 0
	s_branch .LBB71_550
.LBB71_547:
	s_mov_b64 s[0:1], -1
                                        ; implicit-def: $vgpr3
	s_branch .LBB71_556
.LBB71_548:
	s_mov_b64 s[0:1], -1
                                        ; implicit-def: $vgpr3
	s_branch .LBB71_553
.LBB71_549:
	s_mov_b64 s[0:1], -1
                                        ; implicit-def: $vgpr3
.LBB71_550:
	s_andn2_b64 vcc, exec, s[0:1]
	s_cbranch_vccnz .LBB71_552
; %bb.551:
	global_load_dword v3, v[1:2], off
.LBB71_552:
	s_mov_b64 s[0:1], 0
.LBB71_553:
	s_andn2_b64 vcc, exec, s[0:1]
	s_cbranch_vccnz .LBB71_555
; %bb.554:
	global_load_ushort v3, v[1:2], off
.LBB71_555:
	s_mov_b64 s[0:1], 0
.LBB71_556:
	s_andn2_b64 vcc, exec, s[0:1]
	s_cbranch_vccnz .LBB71_562
; %bb.557:
	s_cmp_gt_i32 s10, 0
	s_cbranch_scc0 .LBB71_559
; %bb.558:
	global_load_sbyte v3, v[1:2], off
	s_mov_b64 s[0:1], 0
	s_branch .LBB71_560
.LBB71_559:
	s_mov_b64 s[0:1], -1
                                        ; implicit-def: $vgpr3
.LBB71_560:
	s_andn2_b64 vcc, exec, s[0:1]
	s_cbranch_vccnz .LBB71_562
; %bb.561:
	global_load_ubyte v3, v[1:2], off
.LBB71_562:
	s_branch .LBB71_306
.LBB71_563:
	s_mov_b64 s[8:9], 0
	s_mov_b64 s[0:1], s[54:55]
.LBB71_564:
                                        ; implicit-def: $vgpr8
.LBB71_565:
	s_andn2_b64 s[10:11], s[54:55], exec
	s_and_b64 s[0:1], s[0:1], exec
	s_or_b64 s[62:63], s[10:11], s[0:1]
	s_andn2_b64 s[0:1], s[56:57], exec
	s_and_b64 s[2:3], s[2:3], exec
	s_or_b64 s[60:61], s[0:1], s[2:3]
	s_orn2_b64 s[0:1], s[8:9], exec
.LBB71_566:
	s_or_b64 exec, exec, s[64:65]
	s_mov_b64 s[2:3], 0
	s_mov_b64 s[8:9], 0
	s_mov_b64 s[10:11], 0
                                        ; implicit-def: $vgpr1_vgpr2
                                        ; implicit-def: $vgpr0
                                        ; implicit-def: $vgpr3
	s_and_saveexec_b64 s[64:65], s[0:1]
	s_cbranch_execz .LBB71_950
; %bb.567:
	v_cmp_gt_i32_e32 vcc, s72, v8
	s_mov_b64 s[2:3], -1
	s_mov_b64 s[68:69], s[60:61]
	s_mov_b64 s[70:71], s[62:63]
	s_and_saveexec_b64 s[66:67], vcc
	s_cbranch_execz .LBB71_854
; %bb.568:
	s_andn2_b64 vcc, exec, s[40:41]
	s_cbranch_vccnz .LBB71_573
; %bb.569:
	s_andn2_b64 vcc, exec, s[52:53]
	s_cbranch_vccnz .LBB71_574
; %bb.570:
	s_add_i32 s78, s77, 1
	s_cmp_eq_u32 s74, 2
	s_cbranch_scc1 .LBB71_575
; %bb.571:
	s_and_b32 s73, s78, 28
	v_mov_b32_e32 v2, 0
	s_mov_b32 s79, 0
	s_mov_b64 s[68:69], s[34:35]
	s_mov_b64 s[70:71], s[50:51]
	v_mov_b32_e32 v0, 0
	v_mov_b32_e32 v1, v8
.LBB71_572:                             ; =>This Inner Loop Header: Depth=1
	s_load_dwordx8 s[16:23], s[68:69], 0x4
	s_load_dwordx4 s[0:3], s[68:69], 0x24
	s_load_dwordx8 s[8:15], s[70:71], 0x0
	s_add_u32 s68, s68, 48
	s_addc_u32 s69, s69, 0
	s_waitcnt vmcnt(0) lgkmcnt(0)
	v_mul_hi_u32 v3, s17, v1
	s_add_i32 s79, s79, 4
	s_add_u32 s70, s70, 32
	s_addc_u32 s71, s71, 0
	v_add_u32_e32 v3, v1, v3
	v_lshrrev_b32_e32 v3, s18, v3
	v_mul_lo_u32 v4, v3, s16
	v_mul_hi_u32 v5, s20, v3
	s_cmp_eq_u32 s73, s79
	v_sub_u32_e32 v1, v1, v4
	v_add_u32_e32 v4, v3, v5
	v_mul_lo_u32 v5, v1, s8
	v_mul_lo_u32 v6, v1, s9
	v_lshrrev_b32_e32 v1, s21, v4
	v_mul_lo_u32 v4, v1, s19
	v_mul_hi_u32 v7, s23, v1
	v_sub_u32_e32 v3, v3, v4
	v_add_u32_e32 v4, v1, v7
	v_lshrrev_b32_e32 v4, s0, v4
	v_mul_hi_u32 v9, s2, v4
	v_mul_lo_u32 v10, v4, s22
	v_mul_lo_u32 v7, v3, s10
	;; [unrolled: 1-line block ×3, first 2 shown]
	v_sub_u32_e32 v10, v1, v10
	v_add_u32_e32 v1, v4, v9
	v_lshrrev_b32_e32 v1, s3, v1
	v_mul_lo_u32 v9, v1, s1
	v_mul_lo_u32 v11, v10, s12
	;; [unrolled: 1-line block ×3, first 2 shown]
	v_add3_u32 v0, v5, v0, v7
	v_sub_u32_e32 v4, v4, v9
	v_mul_lo_u32 v9, v4, s14
	v_mul_lo_u32 v4, v4, s15
	v_add3_u32 v2, v6, v2, v3
	v_add3_u32 v0, v11, v0, v9
	;; [unrolled: 1-line block ×3, first 2 shown]
	s_cbranch_scc0 .LBB71_572
	s_branch .LBB71_576
.LBB71_573:
	s_mov_b64 s[0:1], -1
                                        ; implicit-def: $vgpr0
                                        ; implicit-def: $vgpr2
	s_branch .LBB71_580
.LBB71_574:
	v_mov_b32_e32 v0, 0
	v_mov_b32_e32 v2, 0
	s_branch .LBB71_579
.LBB71_575:
	s_mov_b32 s73, 0
	v_mov_b32_e32 v0, 0
	v_mov_b32_e32 v2, 0
	;; [unrolled: 1-line block ×3, first 2 shown]
.LBB71_576:
	s_and_b32 s8, s78, 3
	s_cmp_eq_u32 s8, 0
	s_cbranch_scc1 .LBB71_579
; %bb.577:
	s_lshl_b32 s0, s73, 3
	s_add_u32 s0, s34, s0
	s_addc_u32 s1, s35, 0
	s_add_u32 s0, s0, 0xc4
	s_addc_u32 s1, s1, 0
	s_mul_i32 s2, s73, 12
	s_add_u32 s2, s34, s2
	s_addc_u32 s3, s35, 0
.LBB71_578:                             ; =>This Inner Loop Header: Depth=1
	s_load_dwordx2 s[10:11], s[2:3], 0x4
	s_load_dword s9, s[2:3], 0xc
	s_load_dwordx2 s[12:13], s[0:1], 0x0
	s_add_u32 s2, s2, 12
	s_addc_u32 s3, s3, 0
	s_waitcnt vmcnt(0) lgkmcnt(0)
	v_mul_hi_u32 v3, s11, v1
	s_add_u32 s0, s0, 8
	s_addc_u32 s1, s1, 0
	s_add_i32 s8, s8, -1
	v_add_u32_e32 v3, v1, v3
	v_lshrrev_b32_e32 v4, s9, v3
	v_mul_lo_u32 v3, v4, s10
	s_cmp_lg_u32 s8, 0
	v_sub_u32_e32 v3, v1, v3
	v_mad_u64_u32 v[0:1], s[10:11], v3, s12, v[0:1]
	v_mad_u64_u32 v[2:3], s[10:11], v3, s13, v[2:3]
	v_mov_b32_e32 v1, v4
	s_cbranch_scc1 .LBB71_578
.LBB71_579:
	s_mov_b64 s[0:1], 0
.LBB71_580:
	s_andn2_b64 vcc, exec, s[0:1]
	s_cbranch_vccnz .LBB71_583
; %bb.581:
	v_mul_hi_u32 v0, s29, v8
	s_andn2_b64 vcc, exec, s[48:49]
	v_add_u32_e32 v0, v8, v0
	v_lshrrev_b32_e32 v1, s30, v0
	v_mul_lo_u32 v0, v1, s28
	v_sub_u32_e32 v2, v8, v0
	v_mul_lo_u32 v0, v2, s36
	v_mul_lo_u32 v2, v2, s37
	s_cbranch_vccnz .LBB71_583
; %bb.582:
	s_waitcnt vmcnt(0)
	v_mul_hi_u32 v3, s46, v1
	v_add_u32_e32 v3, v1, v3
	v_lshrrev_b32_e32 v3, s47, v3
	v_mul_lo_u32 v3, v3, s31
	v_sub_u32_e32 v3, v1, v3
	v_mad_u64_u32 v[0:1], s[0:1], v3, s38, v[0:1]
	v_mad_u64_u32 v[2:3], s[0:1], v3, s39, v[2:3]
.LBB71_583:
	s_waitcnt vmcnt(0)
	v_mov_b32_e32 v3, s27
	s_and_b32 s10, 0xffff, s76
	v_add_co_u32_e32 v1, vcc, s26, v2
	s_cmp_lt_i32 s10, 11
	v_addc_co_u32_e32 v2, vcc, 0, v3, vcc
	s_cbranch_scc1 .LBB71_590
; %bb.584:
	s_cmp_gt_i32 s10, 25
	s_cbranch_scc0 .LBB71_591
; %bb.585:
	s_cmp_gt_i32 s10, 28
	s_cbranch_scc0 .LBB71_592
	;; [unrolled: 3-line block ×4, first 2 shown]
; %bb.588:
	s_cmp_eq_u32 s10, 46
	s_mov_b64 s[8:9], 0
	s_cbranch_scc0 .LBB71_599
; %bb.589:
	global_load_dword v3, v[1:2], off
	s_mov_b64 s[0:1], -1
	s_mov_b64 s[2:3], 0
	s_waitcnt vmcnt(0)
	v_lshlrev_b32_e32 v3, 16, v3
	v_cvt_i32_f32_e32 v3, v3
	s_branch .LBB71_600
.LBB71_590:
	s_mov_b64 s[8:9], -1
	s_mov_b64 s[0:1], 0
                                        ; implicit-def: $vgpr3
	s_mov_b64 s[2:3], s[60:61]
	s_branch .LBB71_661
.LBB71_591:
	s_mov_b64 s[8:9], -1
	s_mov_b64 s[0:1], 0
	s_mov_b64 s[2:3], s[60:61]
                                        ; implicit-def: $vgpr3
	s_branch .LBB71_627
.LBB71_592:
	s_mov_b64 s[8:9], -1
	s_mov_b64 s[0:1], 0
	s_mov_b64 s[2:3], s[60:61]
                                        ; implicit-def: $vgpr3
	s_branch .LBB71_610
.LBB71_593:
	s_mov_b64 s[8:9], -1
	s_mov_b64 s[0:1], 0
	s_mov_b64 s[2:3], s[60:61]
                                        ; implicit-def: $vgpr3
	s_branch .LBB71_605
.LBB71_594:
	s_andn2_saveexec_b64 s[14:15], s[14:15]
	s_cbranch_execz .LBB71_367
.LBB71_595:
	v_add_f32_e32 v2, 0x46000000, v3
	v_and_b32_e32 v2, 0xff, v2
	v_cmp_ne_u32_e32 vcc, 0, v2
	s_andn2_b64 s[12:13], s[12:13], exec
	s_and_b64 s[18:19], vcc, exec
	s_or_b64 s[12:13], s[12:13], s[18:19]
	s_or_b64 exec, exec, s[14:15]
	v_mov_b32_e32 v4, 0
	s_and_saveexec_b64 s[14:15], s[12:13]
	s_cbranch_execnz .LBB71_368
	s_branch .LBB71_369
.LBB71_596:
	s_mov_b64 s[8:9], -1
	s_mov_b64 s[0:1], 0
	s_mov_b64 s[2:3], s[60:61]
                                        ; implicit-def: $vgpr3
	s_branch .LBB71_600
.LBB71_597:
	s_andn2_saveexec_b64 s[14:15], s[14:15]
	s_cbranch_execz .LBB71_380
.LBB71_598:
	v_add_f32_e32 v2, 0x42800000, v3
	v_and_b32_e32 v2, 0xff, v2
	v_cmp_ne_u32_e32 vcc, 0, v2
	s_andn2_b64 s[12:13], s[12:13], exec
	s_and_b64 s[18:19], vcc, exec
	s_or_b64 s[12:13], s[12:13], s[18:19]
	s_or_b64 exec, exec, s[14:15]
	v_mov_b32_e32 v4, 0
	s_and_saveexec_b64 s[14:15], s[12:13]
	s_cbranch_execnz .LBB71_381
	s_branch .LBB71_382
.LBB71_599:
	s_mov_b64 s[2:3], -1
                                        ; implicit-def: $vgpr3
	s_mov_b64 s[0:1], 0
.LBB71_600:
	s_and_b64 vcc, exec, s[8:9]
	s_cbranch_vccz .LBB71_604
; %bb.601:
	s_cmp_eq_u32 s10, 44
	s_cbranch_scc0 .LBB71_603
; %bb.602:
	global_load_ubyte v3, v[1:2], off
	s_mov_b64 s[0:1], -1
	s_mov_b64 s[2:3], 0
	s_waitcnt vmcnt(0)
	v_lshlrev_b32_e32 v4, 23, v3
	v_cvt_i32_f32_e32 v4, v4
	v_cmp_ne_u32_e32 vcc, 0, v3
	v_cndmask_b32_e32 v3, 0, v4, vcc
	s_branch .LBB71_604
.LBB71_603:
	s_mov_b64 s[2:3], -1
                                        ; implicit-def: $vgpr3
.LBB71_604:
	s_mov_b64 s[8:9], 0
.LBB71_605:
	s_and_b64 vcc, exec, s[8:9]
	s_cbranch_vccz .LBB71_609
; %bb.606:
	s_cmp_eq_u32 s10, 29
	s_cbranch_scc0 .LBB71_608
; %bb.607:
	global_load_dwordx2 v[3:4], v[1:2], off
	s_mov_b64 s[0:1], -1
	s_mov_b64 s[2:3], 0
	s_branch .LBB71_609
.LBB71_608:
	s_mov_b64 s[2:3], -1
                                        ; implicit-def: $vgpr3
.LBB71_609:
	s_mov_b64 s[8:9], 0
.LBB71_610:
	s_and_b64 vcc, exec, s[8:9]
	s_cbranch_vccz .LBB71_626
; %bb.611:
	s_cmp_lt_i32 s10, 27
	s_cbranch_scc1 .LBB71_614
; %bb.612:
	s_cmp_gt_i32 s10, 27
	s_cbranch_scc0 .LBB71_615
; %bb.613:
	global_load_dword v3, v[1:2], off
	s_mov_b64 s[0:1], 0
	s_branch .LBB71_616
.LBB71_614:
	s_mov_b64 s[0:1], -1
                                        ; implicit-def: $vgpr3
	s_branch .LBB71_619
.LBB71_615:
	s_mov_b64 s[0:1], -1
                                        ; implicit-def: $vgpr3
.LBB71_616:
	s_andn2_b64 vcc, exec, s[0:1]
	s_cbranch_vccnz .LBB71_618
; %bb.617:
	global_load_ushort v3, v[1:2], off
.LBB71_618:
	s_mov_b64 s[0:1], 0
.LBB71_619:
	s_andn2_b64 vcc, exec, s[0:1]
	s_cbranch_vccnz .LBB71_625
; %bb.620:
	global_load_ubyte v4, v[1:2], off
	s_movk_i32 s0, 0x7f
	s_mov_b64 s[8:9], 0
	s_waitcnt vmcnt(0)
	v_cmp_lt_i16_e32 vcc, s0, v4
	s_and_saveexec_b64 s[0:1], vcc
	s_xor_b64 s[0:1], exec, s[0:1]
	s_cbranch_execz .LBB71_637
; %bb.621:
	s_movk_i32 s8, 0x80
	v_cmp_ne_u16_e32 vcc, s8, v4
	s_and_b64 s[8:9], vcc, exec
	s_andn2_saveexec_b64 s[0:1], s[0:1]
	s_cbranch_execnz .LBB71_638
.LBB71_622:
	s_or_b64 exec, exec, s[0:1]
	v_mov_b32_e32 v3, 0
	s_and_saveexec_b64 s[0:1], s[8:9]
	s_cbranch_execz .LBB71_624
.LBB71_623:
	v_lshlrev_b32_e32 v3, 24, v4
	v_and_b32_e32 v4, 0xffff, v4
	v_and_b32_e32 v5, 7, v4
	v_ffbh_u32_e32 v7, v5
	v_min_u32_e32 v7, 32, v7
	v_subrev_u32_e32 v9, 28, v7
	v_bfe_u32 v6, v4, 3, 4
	v_lshlrev_b32_e32 v4, v9, v4
	v_sub_u32_e32 v7, 29, v7
	v_and_b32_e32 v4, 7, v4
	v_cmp_eq_u32_e32 vcc, 0, v6
	v_cndmask_b32_e32 v6, v6, v7, vcc
	v_cndmask_b32_e32 v4, v5, v4, vcc
	v_mov_b32_e32 v5, 0x3b800000
	v_lshlrev_b32_e32 v4, 20, v4
	v_and_b32_e32 v3, 0x80000000, v3
	v_lshl_add_u32 v5, v6, 23, v5
	v_or3_b32 v3, v3, v5, v4
	v_cvt_i32_f32_e32 v3, v3
.LBB71_624:
	s_or_b64 exec, exec, s[0:1]
.LBB71_625:
	s_mov_b64 s[0:1], -1
.LBB71_626:
	s_mov_b64 s[8:9], 0
.LBB71_627:
	s_and_b64 vcc, exec, s[8:9]
	s_cbranch_vccz .LBB71_660
; %bb.628:
	s_cmp_gt_i32 s10, 22
	s_cbranch_scc0 .LBB71_636
; %bb.629:
	s_cmp_lt_i32 s10, 24
	s_cbranch_scc1 .LBB71_639
; %bb.630:
	s_cmp_gt_i32 s10, 24
	s_cbranch_scc0 .LBB71_640
; %bb.631:
	global_load_ubyte v4, v[1:2], off
	s_movk_i32 s0, 0x7f
	s_mov_b64 s[8:9], 0
	s_waitcnt vmcnt(0)
	v_cmp_lt_i16_e32 vcc, s0, v4
	s_and_saveexec_b64 s[0:1], vcc
	s_xor_b64 s[0:1], exec, s[0:1]
	s_cbranch_execz .LBB71_652
; %bb.632:
	s_movk_i32 s8, 0x80
	v_cmp_ne_u16_e32 vcc, s8, v4
	s_and_b64 s[8:9], vcc, exec
	s_andn2_saveexec_b64 s[0:1], s[0:1]
	s_cbranch_execnz .LBB71_653
.LBB71_633:
	s_or_b64 exec, exec, s[0:1]
	v_mov_b32_e32 v3, 0
	s_and_saveexec_b64 s[0:1], s[8:9]
	s_cbranch_execz .LBB71_635
.LBB71_634:
	v_lshlrev_b32_e32 v3, 24, v4
	v_and_b32_e32 v4, 0xffff, v4
	v_and_b32_e32 v5, 3, v4
	v_ffbh_u32_e32 v7, v5
	v_min_u32_e32 v7, 32, v7
	v_subrev_u32_e32 v9, 29, v7
	v_bfe_u32 v6, v4, 2, 5
	v_lshlrev_b32_e32 v4, v9, v4
	v_sub_u32_e32 v7, 30, v7
	v_and_b32_e32 v4, 3, v4
	v_cmp_eq_u32_e32 vcc, 0, v6
	v_cndmask_b32_e32 v6, v6, v7, vcc
	v_cndmask_b32_e32 v4, v5, v4, vcc
	v_mov_b32_e32 v5, 0x37800000
	v_lshlrev_b32_e32 v4, 21, v4
	v_and_b32_e32 v3, 0x80000000, v3
	v_lshl_add_u32 v5, v6, 23, v5
	v_or3_b32 v3, v3, v5, v4
	v_cvt_i32_f32_e32 v3, v3
.LBB71_635:
	s_or_b64 exec, exec, s[0:1]
	s_mov_b64 s[0:1], 0
	s_branch .LBB71_641
.LBB71_636:
	s_mov_b64 s[8:9], -1
                                        ; implicit-def: $vgpr3
	s_branch .LBB71_647
.LBB71_637:
	s_andn2_saveexec_b64 s[0:1], s[0:1]
	s_cbranch_execz .LBB71_622
.LBB71_638:
	v_cmp_ne_u16_e32 vcc, 0, v4
	s_andn2_b64 s[8:9], s[8:9], exec
	s_and_b64 s[12:13], vcc, exec
	s_or_b64 s[8:9], s[8:9], s[12:13]
	s_or_b64 exec, exec, s[0:1]
	v_mov_b32_e32 v3, 0
	s_and_saveexec_b64 s[0:1], s[8:9]
	s_cbranch_execnz .LBB71_623
	s_branch .LBB71_624
.LBB71_639:
	s_mov_b64 s[0:1], -1
                                        ; implicit-def: $vgpr3
	s_branch .LBB71_644
.LBB71_640:
	s_mov_b64 s[0:1], -1
                                        ; implicit-def: $vgpr3
.LBB71_641:
	s_and_b64 vcc, exec, s[0:1]
	s_cbranch_vccz .LBB71_643
; %bb.642:
	global_load_ubyte v3, v[1:2], off
	s_mov_b32 s0, 0x7f800000
	s_waitcnt vmcnt(0)
	v_lshlrev_b32_e32 v3, 24, v3
	v_and_b32_e32 v4, 0x7f000000, v3
	v_ffbh_u32_e32 v5, v4
	v_min_u32_e32 v5, 32, v5
	v_sub_u32_e64 v5, v5, 4 clamp
	v_lshlrev_b32_e32 v7, v5, v4
	v_lshlrev_b32_e32 v5, 23, v5
	v_lshrrev_b32_e32 v7, 4, v7
	v_add_u32_e32 v6, 0x1000000, v4
	v_sub_u32_e32 v5, v7, v5
	v_ashrrev_i32_e32 v6, 8, v6
	v_add_u32_e32 v5, 0x3c000000, v5
	v_and_or_b32 v5, v6, s0, v5
	v_cmp_ne_u32_e32 vcc, 0, v4
	v_cndmask_b32_e32 v4, 0, v5, vcc
	s_brev_b32 s0, 1
	v_and_or_b32 v3, v3, s0, v4
	v_cvt_i32_f32_e32 v3, v3
.LBB71_643:
	s_mov_b64 s[0:1], 0
.LBB71_644:
	s_andn2_b64 vcc, exec, s[0:1]
	s_cbranch_vccnz .LBB71_646
; %bb.645:
	global_load_ubyte v3, v[1:2], off
	s_movk_i32 s0, 0x7f00
	s_brev_b32 s1, 16
	s_waitcnt vmcnt(0)
	v_lshlrev_b16_e32 v4, 8, v3
	v_lshlrev_b32_e32 v3, 25, v3
	v_lshrrev_b32_e32 v5, 4, v3
	v_and_or_b32 v6, v4, s0, 0.5
	v_or_b32_e32 v5, 0x70000000, v5
	v_add_f32_e32 v6, -0.5, v6
	v_mul_f32_e32 v5, 0x7800000, v5
	v_cmp_gt_u32_e32 vcc, s1, v3
	v_bfe_i32 v4, v4, 0, 16
	v_cndmask_b32_e32 v3, v5, v6, vcc
	s_brev_b32 s0, 1
	v_and_or_b32 v3, v4, s0, v3
	v_cvt_i32_f32_e32 v3, v3
.LBB71_646:
	s_mov_b64 s[8:9], 0
	s_mov_b64 s[0:1], -1
.LBB71_647:
	s_andn2_b64 vcc, exec, s[8:9]
	s_cbranch_vccnz .LBB71_660
; %bb.648:
	s_cmp_gt_i32 s10, 14
	s_cbranch_scc0 .LBB71_651
; %bb.649:
	s_cmp_eq_u32 s10, 15
	s_cbranch_scc0 .LBB71_654
; %bb.650:
	global_load_ushort v3, v[1:2], off
	s_mov_b64 s[0:1], -1
	s_mov_b64 s[2:3], 0
	s_waitcnt vmcnt(0)
	v_lshlrev_b32_e32 v3, 16, v3
	v_cvt_i32_f32_e32 v3, v3
	s_branch .LBB71_655
.LBB71_651:
	s_mov_b64 s[8:9], -1
                                        ; implicit-def: $vgpr3
	s_branch .LBB71_656
.LBB71_652:
	s_andn2_saveexec_b64 s[0:1], s[0:1]
	s_cbranch_execz .LBB71_633
.LBB71_653:
	v_cmp_ne_u16_e32 vcc, 0, v4
	s_andn2_b64 s[8:9], s[8:9], exec
	s_and_b64 s[12:13], vcc, exec
	s_or_b64 s[8:9], s[8:9], s[12:13]
	s_or_b64 exec, exec, s[0:1]
	v_mov_b32_e32 v3, 0
	s_and_saveexec_b64 s[0:1], s[8:9]
	s_cbranch_execnz .LBB71_634
	s_branch .LBB71_635
.LBB71_654:
	s_mov_b64 s[2:3], -1
                                        ; implicit-def: $vgpr3
.LBB71_655:
	s_mov_b64 s[8:9], 0
.LBB71_656:
	s_and_b64 vcc, exec, s[8:9]
	s_cbranch_vccz .LBB71_660
; %bb.657:
	s_cmp_eq_u32 s10, 11
	s_cbranch_scc0 .LBB71_659
; %bb.658:
	global_load_ubyte v3, v[1:2], off
	s_mov_b64 s[0:1], -1
	s_mov_b64 s[2:3], 0
	s_waitcnt vmcnt(0)
	v_cmp_ne_u16_e32 vcc, 0, v3
	v_cndmask_b32_e64 v3, 0, 1, vcc
	s_branch .LBB71_660
.LBB71_659:
	s_mov_b64 s[2:3], -1
                                        ; implicit-def: $vgpr3
.LBB71_660:
	s_mov_b64 s[8:9], 0
.LBB71_661:
	s_and_b64 vcc, exec, s[8:9]
	s_cbranch_vccz .LBB71_710
; %bb.662:
	s_cmp_lt_i32 s10, 5
	s_cbranch_scc1 .LBB71_667
; %bb.663:
	s_cmp_lt_i32 s10, 8
	s_cbranch_scc1 .LBB71_668
	;; [unrolled: 3-line block ×3, first 2 shown]
; %bb.665:
	s_cmp_gt_i32 s10, 9
	s_cbranch_scc0 .LBB71_670
; %bb.666:
	global_load_dwordx2 v[3:4], v[1:2], off
	s_mov_b64 s[0:1], 0
	s_waitcnt vmcnt(0)
	v_cvt_i32_f64_e32 v3, v[3:4]
	s_branch .LBB71_671
.LBB71_667:
	s_mov_b64 s[0:1], -1
                                        ; implicit-def: $vgpr3
	s_branch .LBB71_689
.LBB71_668:
	s_mov_b64 s[0:1], -1
                                        ; implicit-def: $vgpr3
	s_branch .LBB71_677
.LBB71_669:
	s_mov_b64 s[0:1], -1
                                        ; implicit-def: $vgpr3
	s_branch .LBB71_674
.LBB71_670:
	s_mov_b64 s[0:1], -1
                                        ; implicit-def: $vgpr3
.LBB71_671:
	s_andn2_b64 vcc, exec, s[0:1]
	s_cbranch_vccnz .LBB71_673
; %bb.672:
	global_load_dword v3, v[1:2], off
	s_waitcnt vmcnt(0)
	v_cvt_i32_f32_e32 v3, v3
.LBB71_673:
	s_mov_b64 s[0:1], 0
.LBB71_674:
	s_andn2_b64 vcc, exec, s[0:1]
	s_cbranch_vccnz .LBB71_676
; %bb.675:
	global_load_dword v3, v[1:2], off
	s_waitcnt vmcnt(0)
	v_cvt_i16_f16_e32 v3, v3
.LBB71_676:
	s_mov_b64 s[0:1], 0
.LBB71_677:
	s_andn2_b64 vcc, exec, s[0:1]
	s_cbranch_vccnz .LBB71_688
; %bb.678:
	s_cmp_lt_i32 s10, 6
	s_cbranch_scc1 .LBB71_681
; %bb.679:
	s_cmp_gt_i32 s10, 6
	s_cbranch_scc0 .LBB71_682
; %bb.680:
	global_load_dwordx2 v[3:4], v[1:2], off
	s_mov_b64 s[0:1], 0
	s_waitcnt vmcnt(0)
	v_cvt_i32_f64_e32 v3, v[3:4]
	s_branch .LBB71_683
.LBB71_681:
	s_mov_b64 s[0:1], -1
                                        ; implicit-def: $vgpr3
	s_branch .LBB71_686
.LBB71_682:
	s_mov_b64 s[0:1], -1
                                        ; implicit-def: $vgpr3
.LBB71_683:
	s_andn2_b64 vcc, exec, s[0:1]
	s_cbranch_vccnz .LBB71_685
; %bb.684:
	global_load_dword v3, v[1:2], off
	s_waitcnt vmcnt(0)
	v_cvt_i32_f32_e32 v3, v3
.LBB71_685:
	s_mov_b64 s[0:1], 0
.LBB71_686:
	s_andn2_b64 vcc, exec, s[0:1]
	s_cbranch_vccnz .LBB71_688
; %bb.687:
	global_load_ushort v3, v[1:2], off
	s_waitcnt vmcnt(0)
	v_cvt_i16_f16_e32 v3, v3
.LBB71_688:
	s_mov_b64 s[0:1], 0
.LBB71_689:
	s_andn2_b64 vcc, exec, s[0:1]
	s_cbranch_vccnz .LBB71_709
; %bb.690:
	s_cmp_lt_i32 s10, 2
	s_cbranch_scc1 .LBB71_694
; %bb.691:
	s_cmp_lt_i32 s10, 3
	s_cbranch_scc1 .LBB71_695
; %bb.692:
	s_cmp_gt_i32 s10, 3
	s_cbranch_scc0 .LBB71_696
; %bb.693:
	global_load_dwordx2 v[3:4], v[1:2], off
	s_mov_b64 s[0:1], 0
	s_branch .LBB71_697
.LBB71_694:
	s_mov_b64 s[0:1], -1
                                        ; implicit-def: $vgpr3
	s_branch .LBB71_703
.LBB71_695:
	s_mov_b64 s[0:1], -1
                                        ; implicit-def: $vgpr3
	s_branch .LBB71_700
.LBB71_696:
	s_mov_b64 s[0:1], -1
                                        ; implicit-def: $vgpr3
.LBB71_697:
	s_andn2_b64 vcc, exec, s[0:1]
	s_cbranch_vccnz .LBB71_699
; %bb.698:
	global_load_dword v3, v[1:2], off
.LBB71_699:
	s_mov_b64 s[0:1], 0
.LBB71_700:
	s_andn2_b64 vcc, exec, s[0:1]
	s_cbranch_vccnz .LBB71_702
; %bb.701:
	global_load_ushort v3, v[1:2], off
.LBB71_702:
	s_mov_b64 s[0:1], 0
.LBB71_703:
	s_andn2_b64 vcc, exec, s[0:1]
	s_cbranch_vccnz .LBB71_709
; %bb.704:
	s_cmp_gt_i32 s10, 0
	s_cbranch_scc0 .LBB71_706
; %bb.705:
	global_load_sbyte v3, v[1:2], off
	s_mov_b64 s[0:1], 0
	s_branch .LBB71_707
.LBB71_706:
	s_mov_b64 s[0:1], -1
                                        ; implicit-def: $vgpr3
.LBB71_707:
	s_andn2_b64 vcc, exec, s[0:1]
	s_cbranch_vccnz .LBB71_709
; %bb.708:
	global_load_ubyte v3, v[1:2], off
.LBB71_709:
	s_mov_b64 s[0:1], -1
.LBB71_710:
	s_andn2_b64 vcc, exec, s[0:1]
	s_cbranch_vccnz .LBB71_715
; %bb.711:
	s_cmp_lt_i32 s44, 1
	s_mov_b64 s[0:1], 0
	s_cbranch_scc1 .LBB71_716
; %bb.712:
	s_cmp_gt_i32 s44, 1
	s_cbranch_scc0 .LBB71_717
; %bb.713:
	s_cmp_eq_u32 s44, 2
	s_cbranch_scc0 .LBB71_718
; %bb.714:
	s_waitcnt vmcnt(0)
	v_cmp_ge_i16_e64 s[8:9], s45, v3
	s_mov_b64 s[10:11], 0
	s_branch .LBB71_719
.LBB71_715:
	s_mov_b64 s[8:9], 0
	s_mov_b64 s[0:1], s[62:63]
	s_branch .LBB71_852
.LBB71_716:
	s_mov_b64 s[12:13], -1
                                        ; implicit-def: $sgpr8_sgpr9
	s_mov_b64 s[10:11], 0
	s_branch .LBB71_723
.LBB71_717:
	s_mov_b64 s[12:13], -1
	s_mov_b64 s[10:11], 0
                                        ; implicit-def: $sgpr8_sgpr9
	s_branch .LBB71_720
.LBB71_718:
	s_mov_b64 s[10:11], -1
                                        ; implicit-def: $sgpr8_sgpr9
.LBB71_719:
	s_mov_b64 s[12:13], 0
.LBB71_720:
	s_and_b64 vcc, exec, s[12:13]
	s_cbranch_vccz .LBB71_722
; %bb.721:
	s_waitcnt vmcnt(0)
	v_cmp_lt_i16_e32 vcc, s45, v3
	s_andn2_b64 s[8:9], s[8:9], exec
	s_and_b64 s[12:13], vcc, exec
	s_or_b64 s[8:9], s[8:9], s[12:13]
.LBB71_722:
	s_mov_b64 s[12:13], 0
.LBB71_723:
	s_and_b64 vcc, exec, s[12:13]
	s_cbranch_vccz .LBB71_734
; %bb.724:
	s_cmp_lg_u32 s44, 0
	s_mov_b64 s[0:1], -1
	s_cselect_b64 s[10:11], -1, 0
	s_andn2_b64 vcc, exec, s[10:11]
	s_cbranch_vccz .LBB71_735
.LBB71_725:
	s_andn2_b64 vcc, exec, s[0:1]
	s_cbranch_vccnz .LBB71_727
.LBB71_726:
	s_waitcnt vmcnt(0)
	v_cmp_le_i16_e32 vcc, s45, v3
	s_andn2_b64 s[0:1], s[8:9], exec
	s_and_b64 s[8:9], vcc, exec
	s_or_b64 s[8:9], s[0:1], s[8:9]
.LBB71_727:
	v_mov_b32_e32 v1, s25
	s_and_b32 s16, s75, 0xff
	v_add_co_u32_e32 v0, vcc, s24, v0
	s_cmp_lt_i32 s16, 11
	v_addc_co_u32_e32 v1, vcc, 0, v1, vcc
	s_cbranch_scc1 .LBB71_736
; %bb.728:
	s_and_b32 s17, 0xffff, s16
	s_cmp_gt_i32 s17, 25
	s_cbranch_scc0 .LBB71_737
; %bb.729:
	s_cmp_gt_i32 s17, 28
	s_cbranch_scc0 .LBB71_738
; %bb.730:
	;; [unrolled: 3-line block ×4, first 2 shown]
	s_mov_b64 s[12:13], 0
	s_mov_b64 s[0:1], -1
	s_cmp_eq_u32 s17, 46
	s_mov_b64 s[10:11], 0
	s_cbranch_scc0 .LBB71_741
; %bb.733:
	v_cndmask_b32_e64 v2, 0, 1.0, s[8:9]
	s_waitcnt vmcnt(0)
	v_bfe_u32 v3, v2, 16, 1
	s_movk_i32 s0, 0x7fff
	v_add3_u32 v2, v2, v3, s0
	v_lshrrev_b32_e32 v2, 16, v2
	global_store_dword v[0:1], v2, off
	s_mov_b64 s[10:11], -1
	s_mov_b64 s[0:1], 0
	s_branch .LBB71_741
.LBB71_734:
	s_andn2_b64 vcc, exec, s[10:11]
	s_cbranch_vccnz .LBB71_725
.LBB71_735:
	s_waitcnt vmcnt(0)
	v_cmp_gt_i16_e32 vcc, s45, v3
	s_andn2_b64 s[8:9], s[8:9], exec
	s_and_b64 s[10:11], vcc, exec
	s_or_b64 s[8:9], s[8:9], s[10:11]
	s_cbranch_execz .LBB71_726
	s_branch .LBB71_727
.LBB71_736:
	s_mov_b64 s[12:13], -1
	s_mov_b64 s[10:11], 0
	s_mov_b64 s[0:1], s[62:63]
	s_branch .LBB71_810
.LBB71_737:
	s_mov_b64 s[12:13], -1
	s_mov_b64 s[10:11], 0
	s_mov_b64 s[0:1], s[62:63]
	s_branch .LBB71_768
.LBB71_738:
	s_mov_b64 s[12:13], -1
	s_mov_b64 s[10:11], 0
	s_mov_b64 s[0:1], s[62:63]
	s_branch .LBB71_751
.LBB71_739:
	s_mov_b64 s[12:13], -1
	s_mov_b64 s[10:11], 0
	s_mov_b64 s[0:1], s[62:63]
	s_branch .LBB71_747
.LBB71_740:
	s_mov_b64 s[12:13], -1
	s_mov_b64 s[10:11], 0
	s_mov_b64 s[0:1], s[62:63]
.LBB71_741:
	s_and_b64 vcc, exec, s[12:13]
	s_cbranch_vccz .LBB71_746
; %bb.742:
	s_cmp_eq_u32 s17, 44
	s_mov_b64 s[0:1], -1
	s_cbranch_scc0 .LBB71_746
; %bb.743:
	s_waitcnt vmcnt(0)
	v_cndmask_b32_e64 v3, 0, 1.0, s[8:9]
	v_lshrrev_b32_e32 v2, 23, v3
	s_movk_i32 s0, 0xff
	v_cmp_ne_u32_e32 vcc, s0, v2
	v_mov_b32_e32 v4, 0xff
	s_and_saveexec_b64 s[10:11], vcc
; %bb.744:
	s_mov_b32 s0, 0x3fffff
	v_and_b32_e32 v4, 0x400000, v3
	v_and_or_b32 v3, v3, s0, v2
	v_cmp_ne_u32_e32 vcc, 0, v4
	v_cmp_ne_u32_e64 s[0:1], 0, v3
	s_and_b64 s[0:1], vcc, s[0:1]
	v_cndmask_b32_e64 v3, 0, 1, s[0:1]
	v_add_u32_e32 v4, v2, v3
; %bb.745:
	s_or_b64 exec, exec, s[10:11]
	s_mov_b64 s[10:11], -1
	s_mov_b64 s[0:1], 0
	global_store_byte v[0:1], v4, off
.LBB71_746:
	s_mov_b64 s[12:13], 0
.LBB71_747:
	s_and_b64 vcc, exec, s[12:13]
	s_cbranch_vccz .LBB71_750
; %bb.748:
	s_cmp_eq_u32 s17, 29
	s_mov_b64 s[0:1], -1
	s_cbranch_scc0 .LBB71_750
; %bb.749:
	s_mov_b32 s0, 0
	v_cndmask_b32_e64 v2, 0, 1, s[8:9]
	s_waitcnt vmcnt(0)
	v_mov_b32_e32 v3, s0
	global_store_dwordx2 v[0:1], v[2:3], off
	s_mov_b64 s[10:11], -1
	s_mov_b64 s[0:1], 0
.LBB71_750:
	s_mov_b64 s[12:13], 0
.LBB71_751:
	s_and_b64 vcc, exec, s[12:13]
	s_cbranch_vccz .LBB71_767
; %bb.752:
	s_cmp_lt_i32 s17, 27
	s_mov_b64 s[10:11], -1
	s_cbranch_scc1 .LBB71_758
; %bb.753:
	s_cmp_gt_i32 s17, 27
	s_cbranch_scc0 .LBB71_755
; %bb.754:
	v_cndmask_b32_e64 v2, 0, 1, s[8:9]
	s_mov_b64 s[10:11], 0
	global_store_dword v[0:1], v2, off
.LBB71_755:
	s_andn2_b64 vcc, exec, s[10:11]
	s_cbranch_vccnz .LBB71_757
; %bb.756:
	v_cndmask_b32_e64 v2, 0, 1, s[8:9]
	global_store_short v[0:1], v2, off
.LBB71_757:
	s_mov_b64 s[10:11], 0
.LBB71_758:
	s_andn2_b64 vcc, exec, s[10:11]
	s_cbranch_vccnz .LBB71_766
; %bb.759:
	s_waitcnt vmcnt(0)
	v_cndmask_b32_e64 v3, 0, 1.0, s[8:9]
	s_mov_b32 s10, 0x43800000
	v_cmp_gt_u32_e32 vcc, s10, v3
	v_mov_b32_e32 v4, 0x80
	s_and_saveexec_b64 s[10:11], vcc
	s_cbranch_execz .LBB71_765
; %bb.760:
	s_mov_b32 s12, 0x3bffffff
	v_cmp_lt_u32_e32 vcc, s12, v3
	s_mov_b64 s[12:13], 0
                                        ; implicit-def: $vgpr2
	s_and_saveexec_b64 s[14:15], vcc
	s_xor_b64 s[14:15], exec, s[14:15]
	s_cbranch_execz .LBB71_882
; %bb.761:
	v_bfe_u32 v2, v3, 20, 1
	s_mov_b32 s18, 0x487ffff
	v_add3_u32 v2, v3, v2, s18
	s_mov_b64 s[12:13], exec
	v_lshrrev_b32_e32 v2, 20, v2
                                        ; implicit-def: $vgpr3
	s_andn2_saveexec_b64 s[14:15], s[14:15]
	s_cbranch_execnz .LBB71_883
.LBB71_762:
	s_or_b64 exec, exec, s[14:15]
	v_mov_b32_e32 v4, 0
	s_and_saveexec_b64 s[14:15], s[12:13]
.LBB71_763:
	v_mov_b32_e32 v4, v2
.LBB71_764:
	s_or_b64 exec, exec, s[14:15]
.LBB71_765:
	s_or_b64 exec, exec, s[10:11]
	global_store_byte v[0:1], v4, off
.LBB71_766:
	s_mov_b64 s[10:11], -1
.LBB71_767:
	s_mov_b64 s[12:13], 0
.LBB71_768:
	s_and_b64 vcc, exec, s[12:13]
	s_cbranch_vccz .LBB71_809
; %bb.769:
	s_cmp_gt_i32 s17, 22
	s_mov_b64 s[12:13], -1
	s_cbranch_scc0 .LBB71_801
; %bb.770:
	s_cmp_lt_i32 s17, 24
	s_mov_b64 s[10:11], -1
	s_cbranch_scc1 .LBB71_790
; %bb.771:
	s_cmp_gt_i32 s17, 24
	s_cbranch_scc0 .LBB71_779
; %bb.772:
	s_waitcnt vmcnt(0)
	v_cndmask_b32_e64 v3, 0, 1.0, s[8:9]
	s_mov_b32 s10, 0x47800000
	v_cmp_gt_u32_e32 vcc, s10, v3
	v_mov_b32_e32 v4, 0x80
	s_and_saveexec_b64 s[10:11], vcc
	s_cbranch_execz .LBB71_778
; %bb.773:
	s_mov_b32 s12, 0x37ffffff
	v_cmp_lt_u32_e32 vcc, s12, v3
	s_mov_b64 s[12:13], 0
                                        ; implicit-def: $vgpr2
	s_and_saveexec_b64 s[14:15], vcc
	s_xor_b64 s[14:15], exec, s[14:15]
	s_cbranch_execz .LBB71_885
; %bb.774:
	v_bfe_u32 v2, v3, 21, 1
	s_mov_b32 s18, 0x88fffff
	v_add3_u32 v2, v3, v2, s18
	s_mov_b64 s[12:13], exec
	v_lshrrev_b32_e32 v2, 21, v2
                                        ; implicit-def: $vgpr3
	s_andn2_saveexec_b64 s[14:15], s[14:15]
	s_cbranch_execnz .LBB71_886
.LBB71_775:
	s_or_b64 exec, exec, s[14:15]
	v_mov_b32_e32 v4, 0
	s_and_saveexec_b64 s[14:15], s[12:13]
.LBB71_776:
	v_mov_b32_e32 v4, v2
.LBB71_777:
	s_or_b64 exec, exec, s[14:15]
.LBB71_778:
	s_or_b64 exec, exec, s[10:11]
	s_mov_b64 s[10:11], 0
	global_store_byte v[0:1], v4, off
.LBB71_779:
	s_and_b64 vcc, exec, s[10:11]
	s_cbranch_vccz .LBB71_789
; %bb.780:
	v_cndmask_b32_e64 v2, 0, 1.0, s[8:9]
	s_mov_b32 s10, 0x43f00000
	v_cmp_gt_u32_e32 vcc, s10, v2
                                        ; implicit-def: $vgpr3
	s_and_saveexec_b64 s[10:11], vcc
	s_xor_b64 s[10:11], exec, s[10:11]
	s_cbranch_execz .LBB71_786
; %bb.781:
	s_mov_b32 s12, 0x3c7fffff
	v_cmp_lt_u32_e32 vcc, s12, v2
                                        ; implicit-def: $vgpr3
	s_and_saveexec_b64 s[12:13], vcc
	s_xor_b64 s[12:13], exec, s[12:13]
	s_cbranch_execz .LBB71_783
; %bb.782:
	s_waitcnt vmcnt(0)
	v_bfe_u32 v3, v2, 20, 1
	s_mov_b32 s14, 0x407ffff
	v_add3_u32 v2, v2, v3, s14
	v_lshrrev_b32_e32 v3, 20, v2
	v_and_b32_e32 v2, 0xff00000, v2
	s_mov_b32 s14, 0x7f00000
	v_mov_b32_e32 v4, 0x7e
	v_cmp_ne_u32_e32 vcc, s14, v2
	v_cndmask_b32_e32 v3, v4, v3, vcc
                                        ; implicit-def: $vgpr2
.LBB71_783:
	s_andn2_saveexec_b64 s[12:13], s[12:13]
	s_cbranch_execz .LBB71_785
; %bb.784:
	s_waitcnt vmcnt(0)
	v_add_f32_e32 v3, 0x46800000, v2
.LBB71_785:
	s_or_b64 exec, exec, s[12:13]
                                        ; implicit-def: $vgpr2
.LBB71_786:
	s_andn2_saveexec_b64 s[10:11], s[10:11]
	s_cbranch_execz .LBB71_788
; %bb.787:
	s_mov_b32 s12, 0x7f800000
	s_waitcnt vmcnt(0)
	v_mov_b32_e32 v3, 0x7e
	v_mov_b32_e32 v4, 0x7f
	v_cmp_lt_u32_e32 vcc, s12, v2
	v_cndmask_b32_e32 v3, v3, v4, vcc
.LBB71_788:
	s_or_b64 exec, exec, s[10:11]
	s_waitcnt vmcnt(0)
	global_store_byte v[0:1], v3, off
.LBB71_789:
	s_mov_b64 s[10:11], 0
.LBB71_790:
	s_andn2_b64 vcc, exec, s[10:11]
	s_cbranch_vccnz .LBB71_800
; %bb.791:
	v_cndmask_b32_e64 v2, 0, 1.0, s[8:9]
	s_mov_b32 s10, 0x47800000
	v_cmp_gt_u32_e32 vcc, s10, v2
                                        ; implicit-def: $vgpr3
	s_and_saveexec_b64 s[10:11], vcc
	s_xor_b64 s[10:11], exec, s[10:11]
	s_cbranch_execz .LBB71_797
; %bb.792:
	s_mov_b32 s12, 0x387fffff
	v_cmp_lt_u32_e32 vcc, s12, v2
                                        ; implicit-def: $vgpr3
	s_and_saveexec_b64 s[12:13], vcc
	s_xor_b64 s[12:13], exec, s[12:13]
	s_cbranch_execz .LBB71_794
; %bb.793:
	s_waitcnt vmcnt(0)
	v_bfe_u32 v3, v2, 21, 1
	s_mov_b32 s14, 0x80fffff
	v_add3_u32 v2, v2, v3, s14
	v_lshrrev_b32_e32 v3, 21, v2
                                        ; implicit-def: $vgpr2
.LBB71_794:
	s_andn2_saveexec_b64 s[12:13], s[12:13]
	s_cbranch_execz .LBB71_796
; %bb.795:
	s_waitcnt vmcnt(0)
	v_add_f32_e32 v3, 0x43000000, v2
.LBB71_796:
	s_or_b64 exec, exec, s[12:13]
                                        ; implicit-def: $vgpr2
.LBB71_797:
	s_andn2_saveexec_b64 s[10:11], s[10:11]
	s_cbranch_execz .LBB71_799
; %bb.798:
	s_mov_b32 s12, 0x7f800000
	s_waitcnt vmcnt(0)
	v_mov_b32_e32 v3, 0x7c
	v_mov_b32_e32 v4, 0x7f
	v_cmp_lt_u32_e32 vcc, s12, v2
	v_cndmask_b32_e32 v3, v3, v4, vcc
.LBB71_799:
	s_or_b64 exec, exec, s[10:11]
	s_waitcnt vmcnt(0)
	global_store_byte v[0:1], v3, off
.LBB71_800:
	s_mov_b64 s[12:13], 0
	s_mov_b64 s[10:11], -1
.LBB71_801:
	s_andn2_b64 vcc, exec, s[12:13]
	s_cbranch_vccnz .LBB71_809
; %bb.802:
	s_cmp_gt_i32 s17, 14
	s_mov_b64 s[12:13], -1
	s_cbranch_scc0 .LBB71_806
; %bb.803:
	s_cmp_eq_u32 s17, 15
	s_mov_b64 s[0:1], -1
	s_cbranch_scc0 .LBB71_805
; %bb.804:
	v_cndmask_b32_e64 v2, 0, 1.0, s[8:9]
	s_waitcnt vmcnt(0)
	v_bfe_u32 v3, v2, 16, 1
	s_movk_i32 s0, 0x7fff
	v_add3_u32 v2, v2, v3, s0
	global_store_short_d16_hi v[0:1], v2, off
	s_mov_b64 s[10:11], -1
	s_mov_b64 s[0:1], 0
.LBB71_805:
	s_mov_b64 s[12:13], 0
.LBB71_806:
	s_and_b64 vcc, exec, s[12:13]
	s_cbranch_vccz .LBB71_809
; %bb.807:
	s_cmp_eq_u32 s17, 11
	s_mov_b64 s[0:1], -1
	s_cbranch_scc0 .LBB71_809
; %bb.808:
	v_cndmask_b32_e64 v2, 0, 1, s[8:9]
	s_mov_b64 s[10:11], -1
	s_mov_b64 s[0:1], 0
	global_store_byte v[0:1], v2, off
.LBB71_809:
	s_mov_b64 s[12:13], 0
.LBB71_810:
	s_and_b64 vcc, exec, s[12:13]
	s_cbranch_vccz .LBB71_849
; %bb.811:
	s_and_b32 s12, 0xffff, s16
	s_cmp_lt_i32 s12, 5
	s_mov_b64 s[10:11], -1
	s_cbranch_scc1 .LBB71_832
; %bb.812:
	s_cmp_lt_i32 s12, 8
	s_cbranch_scc1 .LBB71_822
; %bb.813:
	s_cmp_lt_i32 s12, 9
	s_cbranch_scc1 .LBB71_819
; %bb.814:
	s_cmp_gt_i32 s12, 9
	s_cbranch_scc0 .LBB71_816
; %bb.815:
	v_cndmask_b32_e64 v2, 0, 1, s[8:9]
	s_waitcnt vmcnt(0)
	v_cvt_f64_u32_e32 v[2:3], v2
	v_mov_b32_e32 v4, 0
	v_mov_b32_e32 v5, v4
	s_mov_b64 s[10:11], 0
	global_store_dwordx4 v[0:1], v[2:5], off
.LBB71_816:
	s_andn2_b64 vcc, exec, s[10:11]
	s_cbranch_vccnz .LBB71_818
; %bb.817:
	v_cndmask_b32_e64 v2, 0, 1.0, s[8:9]
	s_waitcnt vmcnt(0)
	v_mov_b32_e32 v3, 0
	global_store_dwordx2 v[0:1], v[2:3], off
.LBB71_818:
	s_mov_b64 s[10:11], 0
.LBB71_819:
	s_andn2_b64 vcc, exec, s[10:11]
	s_cbranch_vccnz .LBB71_821
; %bb.820:
	v_cndmask_b32_e64 v2, 0, 1.0, s[8:9]
	v_cvt_f16_f32_e32 v2, v2
	global_store_dword v[0:1], v2, off
.LBB71_821:
	s_mov_b64 s[10:11], 0
.LBB71_822:
	s_andn2_b64 vcc, exec, s[10:11]
	s_cbranch_vccnz .LBB71_831
; %bb.823:
	s_cmp_lt_i32 s12, 6
	s_mov_b64 s[10:11], -1
	s_cbranch_scc1 .LBB71_829
; %bb.824:
	s_cmp_gt_i32 s12, 6
	s_cbranch_scc0 .LBB71_826
; %bb.825:
	v_cndmask_b32_e64 v2, 0, 1, s[8:9]
	s_waitcnt vmcnt(0)
	v_cvt_f64_u32_e32 v[2:3], v2
	s_mov_b64 s[10:11], 0
	global_store_dwordx2 v[0:1], v[2:3], off
.LBB71_826:
	s_andn2_b64 vcc, exec, s[10:11]
	s_cbranch_vccnz .LBB71_828
; %bb.827:
	v_cndmask_b32_e64 v2, 0, 1.0, s[8:9]
	global_store_dword v[0:1], v2, off
.LBB71_828:
	s_mov_b64 s[10:11], 0
.LBB71_829:
	s_andn2_b64 vcc, exec, s[10:11]
	s_cbranch_vccnz .LBB71_831
; %bb.830:
	v_cndmask_b32_e64 v2, 0, 1.0, s[8:9]
	v_cvt_f16_f32_e32 v2, v2
	global_store_short v[0:1], v2, off
.LBB71_831:
	s_mov_b64 s[10:11], 0
.LBB71_832:
	s_andn2_b64 vcc, exec, s[10:11]
	s_cbranch_vccnz .LBB71_848
; %bb.833:
	s_cmp_lt_i32 s12, 2
	s_mov_b64 s[10:11], -1
	s_cbranch_scc1 .LBB71_843
; %bb.834:
	s_cmp_lt_i32 s12, 3
	s_cbranch_scc1 .LBB71_840
; %bb.835:
	s_cmp_gt_i32 s12, 3
	s_cbranch_scc0 .LBB71_837
; %bb.836:
	s_mov_b32 s10, 0
	v_cndmask_b32_e64 v2, 0, 1, s[8:9]
	s_waitcnt vmcnt(0)
	v_mov_b32_e32 v3, s10
	s_mov_b64 s[10:11], 0
	global_store_dwordx2 v[0:1], v[2:3], off
.LBB71_837:
	s_andn2_b64 vcc, exec, s[10:11]
	s_cbranch_vccnz .LBB71_839
; %bb.838:
	v_cndmask_b32_e64 v2, 0, 1, s[8:9]
	global_store_dword v[0:1], v2, off
.LBB71_839:
	s_mov_b64 s[10:11], 0
.LBB71_840:
	s_andn2_b64 vcc, exec, s[10:11]
	s_cbranch_vccnz .LBB71_842
; %bb.841:
	v_cndmask_b32_e64 v2, 0, 1, s[8:9]
	global_store_short v[0:1], v2, off
.LBB71_842:
	s_mov_b64 s[10:11], 0
.LBB71_843:
	s_andn2_b64 vcc, exec, s[10:11]
	s_cbranch_vccnz .LBB71_848
; %bb.844:
	s_mov_b64 s[10:11], -1
	s_cmp_gt_i32 s12, 0
	v_cndmask_b32_e64 v2, 0, 1, s[8:9]
	s_cbranch_scc0 .LBB71_846
; %bb.845:
	s_mov_b64 s[10:11], 0
	global_store_byte v[0:1], v2, off
.LBB71_846:
	s_andn2_b64 vcc, exec, s[10:11]
	s_cbranch_vccnz .LBB71_848
; %bb.847:
	global_store_byte v[0:1], v2, off
.LBB71_848:
	s_mov_b64 s[10:11], -1
.LBB71_849:
	s_andn2_b64 vcc, exec, s[10:11]
	s_cbranch_vccnz .LBB71_851
; %bb.850:
	v_add_u32_e32 v8, 0x80, v8
	s_mov_b64 s[8:9], -1
	s_branch .LBB71_853
.LBB71_851:
	s_mov_b64 s[8:9], 0
.LBB71_852:
                                        ; implicit-def: $vgpr8
.LBB71_853:
	s_andn2_b64 s[10:11], s[62:63], exec
	s_and_b64 s[0:1], s[0:1], exec
	s_or_b64 s[70:71], s[10:11], s[0:1]
	s_andn2_b64 s[0:1], s[60:61], exec
	s_and_b64 s[2:3], s[2:3], exec
	s_or_b64 s[68:69], s[0:1], s[2:3]
	s_orn2_b64 s[2:3], s[8:9], exec
.LBB71_854:
	s_or_b64 exec, exec, s[66:67]
	s_mov_b64 s[0:1], 0
	s_mov_b64 s[8:9], 0
	;; [unrolled: 1-line block ×3, first 2 shown]
                                        ; implicit-def: $vgpr1_vgpr2
                                        ; implicit-def: $vgpr0
                                        ; implicit-def: $vgpr3
	s_and_saveexec_b64 s[66:67], s[2:3]
	s_cbranch_execz .LBB71_949
; %bb.855:
	v_cmp_gt_i32_e32 vcc, s72, v8
	s_mov_b64 s[2:3], 0
	s_mov_b64 s[12:13], s[68:69]
                                        ; implicit-def: $vgpr1_vgpr2
                                        ; implicit-def: $vgpr0
                                        ; implicit-def: $vgpr3
	s_and_saveexec_b64 s[72:73], vcc
	s_cbranch_execz .LBB71_948
; %bb.856:
	s_andn2_b64 vcc, exec, s[40:41]
	s_cbranch_vccnz .LBB71_861
; %bb.857:
	s_andn2_b64 vcc, exec, s[52:53]
	s_cbranch_vccnz .LBB71_862
; %bb.858:
	s_add_i32 s78, s77, 1
	s_cmp_eq_u32 s74, 2
	s_cbranch_scc1 .LBB71_863
; %bb.859:
	s_and_b32 s77, s78, 28
	v_mov_b32_e32 v2, 0
	s_mov_b32 s79, 0
	s_mov_b64 s[52:53], s[34:35]
	v_mov_b32_e32 v0, 0
	v_mov_b32_e32 v1, v8
.LBB71_860:                             ; =>This Inner Loop Header: Depth=1
	s_load_dwordx8 s[16:23], s[52:53], 0x4
	s_load_dwordx4 s[0:3], s[52:53], 0x24
	s_load_dwordx8 s[8:15], s[50:51], 0x0
	s_add_u32 s52, s52, 48
	s_addc_u32 s53, s53, 0
	s_waitcnt vmcnt(0) lgkmcnt(0)
	v_mul_hi_u32 v3, s17, v1
	s_add_i32 s79, s79, 4
	s_add_u32 s50, s50, 32
	s_addc_u32 s51, s51, 0
	v_add_u32_e32 v3, v1, v3
	v_lshrrev_b32_e32 v3, s18, v3
	v_mul_lo_u32 v4, v3, s16
	v_mul_hi_u32 v5, s20, v3
	s_cmp_eq_u32 s77, s79
	v_sub_u32_e32 v1, v1, v4
	v_add_u32_e32 v4, v3, v5
	v_mul_lo_u32 v5, v1, s8
	v_mul_lo_u32 v6, v1, s9
	v_lshrrev_b32_e32 v1, s21, v4
	v_mul_lo_u32 v4, v1, s19
	v_mul_hi_u32 v7, s23, v1
	v_sub_u32_e32 v3, v3, v4
	v_add_u32_e32 v4, v1, v7
	v_lshrrev_b32_e32 v4, s0, v4
	v_mul_hi_u32 v9, s2, v4
	v_mul_lo_u32 v10, v4, s22
	v_mul_lo_u32 v7, v3, s10
	;; [unrolled: 1-line block ×3, first 2 shown]
	v_sub_u32_e32 v10, v1, v10
	v_add_u32_e32 v1, v4, v9
	v_lshrrev_b32_e32 v1, s3, v1
	v_mul_lo_u32 v9, v1, s1
	v_mul_lo_u32 v11, v10, s12
	;; [unrolled: 1-line block ×3, first 2 shown]
	v_add3_u32 v0, v5, v0, v7
	v_sub_u32_e32 v4, v4, v9
	v_mul_lo_u32 v9, v4, s14
	v_mul_lo_u32 v4, v4, s15
	v_add3_u32 v2, v6, v2, v3
	v_add3_u32 v0, v11, v0, v9
	;; [unrolled: 1-line block ×3, first 2 shown]
	s_cbranch_scc0 .LBB71_860
	s_branch .LBB71_864
.LBB71_861:
	s_mov_b64 s[0:1], -1
                                        ; implicit-def: $vgpr0
                                        ; implicit-def: $vgpr2
	s_branch .LBB71_868
.LBB71_862:
	v_mov_b32_e32 v0, 0
	v_mov_b32_e32 v2, 0
	s_branch .LBB71_867
.LBB71_863:
	s_mov_b32 s77, 0
	v_mov_b32_e32 v0, 0
	v_mov_b32_e32 v2, 0
	;; [unrolled: 1-line block ×3, first 2 shown]
.LBB71_864:
	s_and_b32 s8, s78, 3
	s_cmp_eq_u32 s8, 0
	s_cbranch_scc1 .LBB71_867
; %bb.865:
	s_lshl_b32 s0, s77, 3
	s_add_u32 s0, s34, s0
	s_addc_u32 s1, s35, 0
	s_add_u32 s0, s0, 0xc4
	s_addc_u32 s1, s1, 0
	s_mul_i32 s2, s77, 12
	s_add_u32 s2, s34, s2
	s_addc_u32 s3, s35, 0
.LBB71_866:                             ; =>This Inner Loop Header: Depth=1
	s_load_dwordx2 s[10:11], s[2:3], 0x4
	s_load_dword s9, s[2:3], 0xc
	s_load_dwordx2 s[12:13], s[0:1], 0x0
	s_add_u32 s2, s2, 12
	s_addc_u32 s3, s3, 0
	s_waitcnt vmcnt(0) lgkmcnt(0)
	v_mul_hi_u32 v3, s11, v1
	s_add_u32 s0, s0, 8
	s_addc_u32 s1, s1, 0
	s_add_i32 s8, s8, -1
	v_add_u32_e32 v3, v1, v3
	v_lshrrev_b32_e32 v4, s9, v3
	v_mul_lo_u32 v3, v4, s10
	s_cmp_lg_u32 s8, 0
	v_sub_u32_e32 v3, v1, v3
	v_mad_u64_u32 v[0:1], s[10:11], v3, s12, v[0:1]
	v_mad_u64_u32 v[2:3], s[10:11], v3, s13, v[2:3]
	v_mov_b32_e32 v1, v4
	s_cbranch_scc1 .LBB71_866
.LBB71_867:
	s_mov_b64 s[0:1], 0
.LBB71_868:
	s_andn2_b64 vcc, exec, s[0:1]
	s_cbranch_vccnz .LBB71_871
; %bb.869:
	v_mul_hi_u32 v0, s29, v8
	s_andn2_b64 vcc, exec, s[48:49]
	v_add_u32_e32 v0, v8, v0
	v_lshrrev_b32_e32 v1, s30, v0
	v_mul_lo_u32 v0, v1, s28
	v_sub_u32_e32 v2, v8, v0
	v_mul_lo_u32 v0, v2, s36
	v_mul_lo_u32 v2, v2, s37
	s_cbranch_vccnz .LBB71_871
; %bb.870:
	s_waitcnt vmcnt(0)
	v_mul_hi_u32 v3, s46, v1
	v_add_u32_e32 v3, v1, v3
	v_lshrrev_b32_e32 v3, s47, v3
	v_mul_lo_u32 v3, v3, s31
	v_sub_u32_e32 v3, v1, v3
	v_mad_u64_u32 v[0:1], s[0:1], v3, s38, v[0:1]
	v_mad_u64_u32 v[2:3], s[0:1], v3, s39, v[2:3]
.LBB71_871:
	s_waitcnt vmcnt(0)
	v_mov_b32_e32 v3, s27
	s_and_b32 s12, 0xffff, s76
	v_add_co_u32_e32 v1, vcc, s26, v2
	s_cmp_lt_i32 s12, 11
	v_addc_co_u32_e32 v2, vcc, 0, v3, vcc
	s_cbranch_scc1 .LBB71_878
; %bb.872:
	s_cmp_gt_i32 s12, 25
	s_mov_b64 s[2:3], 0
	s_cbranch_scc0 .LBB71_879
; %bb.873:
	s_cmp_gt_i32 s12, 28
	s_cbranch_scc0 .LBB71_880
; %bb.874:
	s_cmp_gt_i32 s12, 43
	;; [unrolled: 3-line block ×3, first 2 shown]
	s_cbranch_scc0 .LBB71_884
; %bb.876:
	s_cmp_eq_u32 s12, 46
	s_mov_b64 s[10:11], 0
	s_cbranch_scc0 .LBB71_887
; %bb.877:
	global_load_dword v3, v[1:2], off
	s_mov_b64 s[0:1], 0
	s_mov_b64 s[8:9], -1
	s_waitcnt vmcnt(0)
	v_lshlrev_b32_e32 v3, 16, v3
	v_cvt_i32_f32_e32 v3, v3
	s_branch .LBB71_888
.LBB71_878:
	s_mov_b64 s[12:13], -1
	s_mov_b64 s[8:9], 0
	s_mov_b64 s[2:3], 0
	;; [unrolled: 1-line block ×3, first 2 shown]
                                        ; implicit-def: $vgpr3
	s_branch .LBB71_947
.LBB71_879:
	s_mov_b64 s[10:11], -1
	s_mov_b64 s[8:9], 0
	s_mov_b64 s[0:1], s[68:69]
                                        ; implicit-def: $vgpr3
	s_branch .LBB71_915
.LBB71_880:
	s_mov_b64 s[10:11], -1
	s_mov_b64 s[8:9], 0
	s_mov_b64 s[0:1], s[68:69]
                                        ; implicit-def: $vgpr3
	s_branch .LBB71_898
.LBB71_881:
	s_mov_b64 s[10:11], -1
	s_mov_b64 s[8:9], 0
	s_mov_b64 s[0:1], s[68:69]
                                        ; implicit-def: $vgpr3
	s_branch .LBB71_893
.LBB71_882:
	s_andn2_saveexec_b64 s[14:15], s[14:15]
	s_cbranch_execz .LBB71_762
.LBB71_883:
	v_add_f32_e32 v2, 0x46000000, v3
	v_and_b32_e32 v2, 0xff, v2
	v_cmp_ne_u32_e32 vcc, 0, v2
	s_andn2_b64 s[12:13], s[12:13], exec
	s_and_b64 s[18:19], vcc, exec
	s_or_b64 s[12:13], s[12:13], s[18:19]
	s_or_b64 exec, exec, s[14:15]
	v_mov_b32_e32 v4, 0
	s_and_saveexec_b64 s[14:15], s[12:13]
	s_cbranch_execnz .LBB71_763
	s_branch .LBB71_764
.LBB71_884:
	s_mov_b64 s[10:11], -1
	s_mov_b64 s[8:9], 0
	s_mov_b64 s[0:1], s[68:69]
                                        ; implicit-def: $vgpr3
	s_branch .LBB71_888
.LBB71_885:
	s_andn2_saveexec_b64 s[14:15], s[14:15]
	s_cbranch_execz .LBB71_775
.LBB71_886:
	v_add_f32_e32 v2, 0x42800000, v3
	v_and_b32_e32 v2, 0xff, v2
	v_cmp_ne_u32_e32 vcc, 0, v2
	s_andn2_b64 s[12:13], s[12:13], exec
	s_and_b64 s[18:19], vcc, exec
	s_or_b64 s[12:13], s[12:13], s[18:19]
	s_or_b64 exec, exec, s[14:15]
	v_mov_b32_e32 v4, 0
	s_and_saveexec_b64 s[14:15], s[12:13]
	s_cbranch_execnz .LBB71_776
	s_branch .LBB71_777
.LBB71_887:
	s_mov_b64 s[0:1], -1
                                        ; implicit-def: $vgpr3
	s_mov_b64 s[8:9], 0
.LBB71_888:
	s_and_b64 vcc, exec, s[10:11]
	s_cbranch_vccz .LBB71_892
; %bb.889:
	s_cmp_eq_u32 s12, 44
	s_cbranch_scc0 .LBB71_891
; %bb.890:
	global_load_ubyte v3, v[1:2], off
	s_mov_b64 s[0:1], 0
	s_mov_b64 s[8:9], -1
	s_waitcnt vmcnt(0)
	v_lshlrev_b32_e32 v4, 23, v3
	v_cvt_i32_f32_e32 v4, v4
	v_cmp_ne_u32_e32 vcc, 0, v3
	v_cndmask_b32_e32 v3, 0, v4, vcc
	s_branch .LBB71_892
.LBB71_891:
	s_mov_b64 s[0:1], -1
                                        ; implicit-def: $vgpr3
.LBB71_892:
	s_mov_b64 s[10:11], 0
.LBB71_893:
	s_and_b64 vcc, exec, s[10:11]
	s_cbranch_vccz .LBB71_897
; %bb.894:
	s_cmp_eq_u32 s12, 29
	s_cbranch_scc0 .LBB71_896
; %bb.895:
	global_load_dwordx2 v[3:4], v[1:2], off
	s_mov_b64 s[0:1], 0
	s_mov_b64 s[8:9], -1
	s_branch .LBB71_897
.LBB71_896:
	s_mov_b64 s[0:1], -1
                                        ; implicit-def: $vgpr3
.LBB71_897:
	s_mov_b64 s[10:11], 0
.LBB71_898:
	s_and_b64 vcc, exec, s[10:11]
	s_cbranch_vccz .LBB71_914
; %bb.899:
	s_cmp_lt_i32 s12, 27
	s_cbranch_scc1 .LBB71_902
; %bb.900:
	s_cmp_gt_i32 s12, 27
	s_cbranch_scc0 .LBB71_903
; %bb.901:
	global_load_dword v3, v[1:2], off
	s_mov_b64 s[8:9], 0
	s_branch .LBB71_904
.LBB71_902:
	s_mov_b64 s[8:9], -1
                                        ; implicit-def: $vgpr3
	s_branch .LBB71_907
.LBB71_903:
	s_mov_b64 s[8:9], -1
                                        ; implicit-def: $vgpr3
.LBB71_904:
	s_andn2_b64 vcc, exec, s[8:9]
	s_cbranch_vccnz .LBB71_906
; %bb.905:
	global_load_ushort v3, v[1:2], off
.LBB71_906:
	s_mov_b64 s[8:9], 0
.LBB71_907:
	s_andn2_b64 vcc, exec, s[8:9]
	s_cbranch_vccnz .LBB71_913
; %bb.908:
	global_load_ubyte v4, v[1:2], off
	s_movk_i32 s8, 0x7f
	s_mov_b64 s[10:11], 0
	s_waitcnt vmcnt(0)
	v_cmp_lt_i16_e32 vcc, s8, v4
	s_and_saveexec_b64 s[8:9], vcc
	s_xor_b64 s[8:9], exec, s[8:9]
	s_cbranch_execz .LBB71_925
; %bb.909:
	s_movk_i32 s10, 0x80
	v_cmp_ne_u16_e32 vcc, s10, v4
	s_and_b64 s[10:11], vcc, exec
	s_andn2_saveexec_b64 s[8:9], s[8:9]
	s_cbranch_execnz .LBB71_926
.LBB71_910:
	s_or_b64 exec, exec, s[8:9]
	v_mov_b32_e32 v3, 0
	s_and_saveexec_b64 s[8:9], s[10:11]
	s_cbranch_execz .LBB71_912
.LBB71_911:
	v_lshlrev_b32_e32 v3, 24, v4
	v_and_b32_e32 v4, 0xffff, v4
	v_and_b32_e32 v5, 7, v4
	v_ffbh_u32_e32 v7, v5
	v_min_u32_e32 v7, 32, v7
	v_subrev_u32_e32 v8, 28, v7
	v_bfe_u32 v6, v4, 3, 4
	v_lshlrev_b32_e32 v4, v8, v4
	v_sub_u32_e32 v7, 29, v7
	v_and_b32_e32 v4, 7, v4
	v_cmp_eq_u32_e32 vcc, 0, v6
	v_cndmask_b32_e32 v6, v6, v7, vcc
	v_cndmask_b32_e32 v4, v5, v4, vcc
	v_mov_b32_e32 v5, 0x3b800000
	v_lshlrev_b32_e32 v4, 20, v4
	v_and_b32_e32 v3, 0x80000000, v3
	v_lshl_add_u32 v5, v6, 23, v5
	v_or3_b32 v3, v3, v5, v4
	v_cvt_i32_f32_e32 v3, v3
.LBB71_912:
	s_or_b64 exec, exec, s[8:9]
.LBB71_913:
	s_mov_b64 s[8:9], -1
.LBB71_914:
	s_mov_b64 s[10:11], 0
.LBB71_915:
	s_and_b64 vcc, exec, s[10:11]
	s_cbranch_vccz .LBB71_946
; %bb.916:
	s_cmp_gt_i32 s12, 22
	s_cbranch_scc0 .LBB71_924
; %bb.917:
	s_cmp_lt_i32 s12, 24
	s_cbranch_scc1 .LBB71_927
; %bb.918:
	s_cmp_gt_i32 s12, 24
	s_cbranch_scc0 .LBB71_928
; %bb.919:
	global_load_ubyte v4, v[1:2], off
	s_movk_i32 s2, 0x7f
	s_mov_b64 s[8:9], 0
	s_waitcnt vmcnt(0)
	v_cmp_lt_i16_e32 vcc, s2, v4
	s_and_saveexec_b64 s[2:3], vcc
	s_xor_b64 s[2:3], exec, s[2:3]
	s_cbranch_execz .LBB71_940
; %bb.920:
	s_movk_i32 s8, 0x80
	v_cmp_ne_u16_e32 vcc, s8, v4
	s_and_b64 s[8:9], vcc, exec
	s_andn2_saveexec_b64 s[2:3], s[2:3]
	s_cbranch_execnz .LBB71_941
.LBB71_921:
	s_or_b64 exec, exec, s[2:3]
	v_mov_b32_e32 v3, 0
	s_and_saveexec_b64 s[2:3], s[8:9]
	s_cbranch_execz .LBB71_923
.LBB71_922:
	v_lshlrev_b32_e32 v3, 24, v4
	v_and_b32_e32 v4, 0xffff, v4
	v_and_b32_e32 v5, 3, v4
	v_ffbh_u32_e32 v7, v5
	v_min_u32_e32 v7, 32, v7
	v_subrev_u32_e32 v8, 29, v7
	v_bfe_u32 v6, v4, 2, 5
	v_lshlrev_b32_e32 v4, v8, v4
	v_sub_u32_e32 v7, 30, v7
	v_and_b32_e32 v4, 3, v4
	v_cmp_eq_u32_e32 vcc, 0, v6
	v_cndmask_b32_e32 v6, v6, v7, vcc
	v_cndmask_b32_e32 v4, v5, v4, vcc
	v_mov_b32_e32 v5, 0x37800000
	v_lshlrev_b32_e32 v4, 21, v4
	v_and_b32_e32 v3, 0x80000000, v3
	v_lshl_add_u32 v5, v6, 23, v5
	v_or3_b32 v3, v3, v5, v4
	v_cvt_i32_f32_e32 v3, v3
.LBB71_923:
	s_or_b64 exec, exec, s[2:3]
	s_mov_b64 s[2:3], 0
	s_branch .LBB71_929
.LBB71_924:
	s_mov_b64 s[2:3], -1
                                        ; implicit-def: $vgpr3
	s_branch .LBB71_935
.LBB71_925:
	s_andn2_saveexec_b64 s[8:9], s[8:9]
	s_cbranch_execz .LBB71_910
.LBB71_926:
	v_cmp_ne_u16_e32 vcc, 0, v4
	s_andn2_b64 s[10:11], s[10:11], exec
	s_and_b64 s[14:15], vcc, exec
	s_or_b64 s[10:11], s[10:11], s[14:15]
	s_or_b64 exec, exec, s[8:9]
	v_mov_b32_e32 v3, 0
	s_and_saveexec_b64 s[8:9], s[10:11]
	s_cbranch_execnz .LBB71_911
	s_branch .LBB71_912
.LBB71_927:
	s_mov_b64 s[2:3], -1
                                        ; implicit-def: $vgpr3
	s_branch .LBB71_932
.LBB71_928:
	s_mov_b64 s[2:3], -1
                                        ; implicit-def: $vgpr3
.LBB71_929:
	s_and_b64 vcc, exec, s[2:3]
	s_cbranch_vccz .LBB71_931
; %bb.930:
	global_load_ubyte v3, v[1:2], off
	s_mov_b32 s2, 0x7f800000
	s_waitcnt vmcnt(0)
	v_lshlrev_b32_e32 v3, 24, v3
	v_and_b32_e32 v4, 0x7f000000, v3
	v_ffbh_u32_e32 v5, v4
	v_min_u32_e32 v5, 32, v5
	v_sub_u32_e64 v5, v5, 4 clamp
	v_lshlrev_b32_e32 v7, v5, v4
	v_lshlrev_b32_e32 v5, 23, v5
	v_lshrrev_b32_e32 v7, 4, v7
	v_add_u32_e32 v6, 0x1000000, v4
	v_sub_u32_e32 v5, v7, v5
	v_ashrrev_i32_e32 v6, 8, v6
	v_add_u32_e32 v5, 0x3c000000, v5
	v_and_or_b32 v5, v6, s2, v5
	v_cmp_ne_u32_e32 vcc, 0, v4
	v_cndmask_b32_e32 v4, 0, v5, vcc
	s_brev_b32 s2, 1
	v_and_or_b32 v3, v3, s2, v4
	v_cvt_i32_f32_e32 v3, v3
.LBB71_931:
	s_mov_b64 s[2:3], 0
.LBB71_932:
	s_andn2_b64 vcc, exec, s[2:3]
	s_cbranch_vccnz .LBB71_934
; %bb.933:
	global_load_ubyte v3, v[1:2], off
	s_movk_i32 s2, 0x7f00
	s_brev_b32 s3, 16
	s_waitcnt vmcnt(0)
	v_lshlrev_b16_e32 v4, 8, v3
	v_lshlrev_b32_e32 v3, 25, v3
	v_lshrrev_b32_e32 v5, 4, v3
	v_and_or_b32 v6, v4, s2, 0.5
	v_or_b32_e32 v5, 0x70000000, v5
	v_add_f32_e32 v6, -0.5, v6
	v_mul_f32_e32 v5, 0x7800000, v5
	v_cmp_gt_u32_e32 vcc, s3, v3
	v_bfe_i32 v4, v4, 0, 16
	v_cndmask_b32_e32 v3, v5, v6, vcc
	s_brev_b32 s2, 1
	v_and_or_b32 v3, v4, s2, v3
	v_cvt_i32_f32_e32 v3, v3
.LBB71_934:
	s_mov_b64 s[2:3], 0
	s_mov_b64 s[8:9], -1
.LBB71_935:
	s_andn2_b64 vcc, exec, s[2:3]
	s_mov_b64 s[2:3], 0
	s_cbranch_vccnz .LBB71_946
; %bb.936:
	s_cmp_gt_i32 s12, 14
	s_cbranch_scc0 .LBB71_939
; %bb.937:
	s_cmp_eq_u32 s12, 15
	s_cbranch_scc0 .LBB71_942
; %bb.938:
	global_load_ushort v3, v[1:2], off
	s_mov_b64 s[0:1], 0
	s_mov_b64 s[8:9], -1
	s_waitcnt vmcnt(0)
	v_lshlrev_b32_e32 v3, 16, v3
	v_cvt_i32_f32_e32 v3, v3
	s_branch .LBB71_943
.LBB71_939:
	s_mov_b64 s[10:11], -1
                                        ; implicit-def: $vgpr3
	s_branch .LBB71_944
.LBB71_940:
	s_andn2_saveexec_b64 s[2:3], s[2:3]
	s_cbranch_execz .LBB71_921
.LBB71_941:
	v_cmp_ne_u16_e32 vcc, 0, v4
	s_andn2_b64 s[8:9], s[8:9], exec
	s_and_b64 s[10:11], vcc, exec
	s_or_b64 s[8:9], s[8:9], s[10:11]
	s_or_b64 exec, exec, s[2:3]
	v_mov_b32_e32 v3, 0
	s_and_saveexec_b64 s[2:3], s[8:9]
	s_cbranch_execnz .LBB71_922
	s_branch .LBB71_923
.LBB71_942:
	s_mov_b64 s[0:1], -1
                                        ; implicit-def: $vgpr3
.LBB71_943:
	s_mov_b64 s[10:11], 0
.LBB71_944:
	s_and_b64 vcc, exec, s[10:11]
	s_cbranch_vccz .LBB71_946
; %bb.945:
	s_cmp_lg_u32 s12, 11
	s_cselect_b64 s[10:11], -1, 0
	s_andn2_b64 s[0:1], s[0:1], exec
	s_and_b64 s[10:11], s[10:11], exec
	s_mov_b64 s[2:3], -1
	s_or_b64 s[0:1], s[0:1], s[10:11]
.LBB71_946:
	s_mov_b64 s[12:13], 0
.LBB71_947:
	s_and_b64 s[10:11], s[8:9], exec
	s_and_b64 s[8:9], s[12:13], exec
	s_andn2_b64 s[12:13], s[68:69], exec
	s_and_b64 s[0:1], s[0:1], exec
	s_and_b64 s[2:3], s[2:3], exec
	s_or_b64 s[12:13], s[12:13], s[0:1]
.LBB71_948:
	s_or_b64 exec, exec, s[72:73]
	s_and_b64 s[0:1], s[2:3], exec
	s_andn2_b64 s[2:3], s[68:69], exec
	s_and_b64 s[12:13], s[12:13], exec
	s_and_b64 s[10:11], s[10:11], exec
	;; [unrolled: 1-line block ×3, first 2 shown]
	s_or_b64 s[68:69], s[2:3], s[12:13]
.LBB71_949:
	s_or_b64 exec, exec, s[66:67]
	s_andn2_b64 s[2:3], s[62:63], exec
	s_and_b64 s[12:13], s[70:71], exec
	s_or_b64 s[62:63], s[2:3], s[12:13]
	s_and_b64 s[2:3], s[0:1], exec
	s_andn2_b64 s[0:1], s[60:61], exec
	s_and_b64 s[12:13], s[68:69], exec
	s_and_b64 s[10:11], s[10:11], exec
	;; [unrolled: 1-line block ×3, first 2 shown]
	s_or_b64 s[60:61], s[0:1], s[12:13]
.LBB71_950:
	s_or_b64 exec, exec, s[64:65]
	s_andn2_b64 s[0:1], s[54:55], exec
	s_and_b64 s[12:13], s[62:63], exec
	s_or_b64 s[54:55], s[0:1], s[12:13]
	s_and_b64 s[0:1], s[10:11], exec
	s_and_b64 s[10:11], s[8:9], exec
	;; [unrolled: 1-line block ×3, first 2 shown]
	s_andn2_b64 s[2:3], s[56:57], exec
	s_and_b64 s[8:9], s[60:61], exec
	s_or_b64 s[56:57], s[2:3], s[8:9]
	s_or_b64 exec, exec, s[58:59]
	s_mov_b64 s[2:3], 0
	s_and_saveexec_b64 s[8:9], s[56:57]
	s_cbranch_execz .LBB71_286
.LBB71_951:
	s_mov_b64 s[2:3], exec
	s_andn2_b64 s[62:63], s[62:63], exec
	s_trap 2
	s_or_b64 exec, exec, s[8:9]
	s_and_saveexec_b64 s[8:9], s[62:63]
	s_xor_b64 s[8:9], exec, s[8:9]
	s_cbranch_execnz .LBB71_287
.LBB71_952:
	s_or_b64 exec, exec, s[8:9]
	s_and_saveexec_b64 s[8:9], s[10:11]
	s_cbranch_execz .LBB71_998
.LBB71_953:
	s_sext_i32_i16 s10, s76
	s_cmp_lt_i32 s10, 5
	s_cbranch_scc1 .LBB71_958
; %bb.954:
	s_cmp_lt_i32 s10, 8
	s_cbranch_scc1 .LBB71_959
; %bb.955:
	s_cmp_lt_i32 s10, 9
	s_cbranch_scc1 .LBB71_960
; %bb.956:
	s_cmp_gt_i32 s10, 9
	s_cbranch_scc0 .LBB71_961
; %bb.957:
	global_load_dwordx2 v[3:4], v[1:2], off
	s_mov_b64 s[10:11], 0
	s_waitcnt vmcnt(0)
	v_cvt_i32_f64_e32 v3, v[3:4]
	s_branch .LBB71_962
.LBB71_958:
                                        ; implicit-def: $vgpr3
	s_branch .LBB71_979
.LBB71_959:
                                        ; implicit-def: $vgpr3
	s_branch .LBB71_968
.LBB71_960:
	s_mov_b64 s[10:11], -1
                                        ; implicit-def: $vgpr3
	s_branch .LBB71_965
.LBB71_961:
	s_mov_b64 s[10:11], -1
                                        ; implicit-def: $vgpr3
.LBB71_962:
	s_andn2_b64 vcc, exec, s[10:11]
	s_cbranch_vccnz .LBB71_964
; %bb.963:
	global_load_dword v3, v[1:2], off
	s_waitcnt vmcnt(0)
	v_cvt_i32_f32_e32 v3, v3
.LBB71_964:
	s_mov_b64 s[10:11], 0
.LBB71_965:
	s_andn2_b64 vcc, exec, s[10:11]
	s_cbranch_vccnz .LBB71_967
; %bb.966:
	global_load_dword v3, v[1:2], off
	s_waitcnt vmcnt(0)
	v_cvt_i16_f16_e32 v3, v3
.LBB71_967:
	s_cbranch_execnz .LBB71_978
.LBB71_968:
	s_sext_i32_i16 s10, s76
	s_cmp_lt_i32 s10, 6
	s_cbranch_scc1 .LBB71_971
; %bb.969:
	s_cmp_gt_i32 s10, 6
	s_cbranch_scc0 .LBB71_972
; %bb.970:
	global_load_dwordx2 v[3:4], v[1:2], off
	s_mov_b64 s[10:11], 0
	s_waitcnt vmcnt(0)
	v_cvt_i32_f64_e32 v3, v[3:4]
	s_branch .LBB71_973
.LBB71_971:
	s_mov_b64 s[10:11], -1
                                        ; implicit-def: $vgpr3
	s_branch .LBB71_976
.LBB71_972:
	s_mov_b64 s[10:11], -1
                                        ; implicit-def: $vgpr3
.LBB71_973:
	s_andn2_b64 vcc, exec, s[10:11]
	s_cbranch_vccnz .LBB71_975
; %bb.974:
	global_load_dword v3, v[1:2], off
	s_waitcnt vmcnt(0)
	v_cvt_i32_f32_e32 v3, v3
.LBB71_975:
	s_mov_b64 s[10:11], 0
.LBB71_976:
	s_andn2_b64 vcc, exec, s[10:11]
	s_cbranch_vccnz .LBB71_978
; %bb.977:
	global_load_ushort v3, v[1:2], off
	s_waitcnt vmcnt(0)
	v_cvt_i16_f16_e32 v3, v3
.LBB71_978:
	s_cbranch_execnz .LBB71_997
.LBB71_979:
	s_sext_i32_i16 s10, s76
	s_cmp_lt_i32 s10, 2
	s_cbranch_scc1 .LBB71_983
; %bb.980:
	s_cmp_lt_i32 s10, 3
	s_cbranch_scc1 .LBB71_984
; %bb.981:
	s_cmp_gt_i32 s10, 3
	s_cbranch_scc0 .LBB71_985
; %bb.982:
	global_load_dwordx2 v[3:4], v[1:2], off
	s_mov_b64 s[10:11], 0
	s_branch .LBB71_986
.LBB71_983:
                                        ; implicit-def: $vgpr3
	s_branch .LBB71_992
.LBB71_984:
	s_mov_b64 s[10:11], -1
                                        ; implicit-def: $vgpr3
	s_branch .LBB71_989
.LBB71_985:
	s_mov_b64 s[10:11], -1
                                        ; implicit-def: $vgpr3
.LBB71_986:
	s_andn2_b64 vcc, exec, s[10:11]
	s_cbranch_vccnz .LBB71_988
; %bb.987:
	global_load_dword v3, v[1:2], off
.LBB71_988:
	s_mov_b64 s[10:11], 0
.LBB71_989:
	s_andn2_b64 vcc, exec, s[10:11]
	s_cbranch_vccnz .LBB71_991
; %bb.990:
	global_load_ushort v3, v[1:2], off
.LBB71_991:
	s_cbranch_execnz .LBB71_997
.LBB71_992:
	s_sext_i32_i16 s10, s76
	s_cmp_gt_i32 s10, 0
	s_cbranch_scc0 .LBB71_994
; %bb.993:
	global_load_sbyte v3, v[1:2], off
	s_mov_b64 s[10:11], 0
	s_branch .LBB71_995
.LBB71_994:
	s_mov_b64 s[10:11], -1
                                        ; implicit-def: $vgpr3
.LBB71_995:
	s_andn2_b64 vcc, exec, s[10:11]
	s_cbranch_vccnz .LBB71_997
; %bb.996:
	global_load_ubyte v3, v[1:2], off
.LBB71_997:
	s_or_b64 s[0:1], s[0:1], exec
.LBB71_998:
	s_or_b64 exec, exec, s[8:9]
	s_mov_b64 s[14:15], 0
	s_mov_b64 s[12:13], 0
                                        ; implicit-def: $sgpr8_sgpr9
                                        ; implicit-def: $sgpr20
                                        ; implicit-def: $vgpr1_vgpr2
	s_and_saveexec_b64 s[10:11], s[0:1]
	s_cbranch_execz .LBB71_1003
; %bb.999:
	s_cmp_lt_i32 s44, 1
	s_mov_b64 s[0:1], 0
	s_cbranch_scc1 .LBB71_1006
; %bb.1000:
	s_cmp_gt_i32 s44, 1
	s_cbranch_scc0 .LBB71_1007
; %bb.1001:
	s_cmp_eq_u32 s44, 2
	s_cbranch_scc0 .LBB71_1008
; %bb.1002:
	s_waitcnt vmcnt(0)
	v_cmp_ge_i16_e64 s[8:9], s45, v3
	s_branch .LBB71_1010
.LBB71_1003:
	s_or_b64 exec, exec, s[10:11]
	s_and_saveexec_b64 s[0:1], s[54:55]
	s_cbranch_execnz .LBB71_1095
.LBB71_1004:
	s_or_b64 exec, exec, s[0:1]
	s_and_saveexec_b64 s[0:1], s[14:15]
	s_xor_b64 s[0:1], exec, s[0:1]
	s_cbranch_execz .LBB71_1096
.LBB71_1005:
	v_cndmask_b32_e64 v0, 0, 1, s[8:9]
	global_store_byte v[1:2], v0, off
	s_or_b64 exec, exec, s[0:1]
	s_and_saveexec_b64 s[0:1], s[12:13]
	s_xor_b64 s[0:1], exec, s[0:1]
	s_cbranch_execz .LBB71_1134
	s_branch .LBB71_1097
.LBB71_1006:
                                        ; implicit-def: $sgpr8_sgpr9
	s_cbranch_execnz .LBB71_1013
	s_branch .LBB71_1014
.LBB71_1007:
	s_mov_b64 s[14:15], -1
	s_branch .LBB71_1009
.LBB71_1008:
	s_mov_b64 s[12:13], -1
.LBB71_1009:
                                        ; implicit-def: $sgpr8_sgpr9
.LBB71_1010:
	s_and_b64 vcc, exec, s[14:15]
	s_cbranch_vccz .LBB71_1012
; %bb.1011:
	s_waitcnt vmcnt(0)
	v_cmp_lt_i16_e32 vcc, s45, v3
	s_andn2_b64 s[8:9], s[8:9], exec
	s_and_b64 s[14:15], vcc, exec
	s_or_b64 s[8:9], s[8:9], s[14:15]
.LBB71_1012:
	s_branch .LBB71_1014
.LBB71_1013:
	s_cmp_lg_u32 s44, 0
	s_mov_b64 s[0:1], -1
	s_cselect_b64 s[12:13], -1, 0
.LBB71_1014:
	s_andn2_b64 vcc, exec, s[12:13]
	s_cbranch_vccnz .LBB71_1016
; %bb.1015:
	s_waitcnt vmcnt(0)
	v_cmp_gt_i16_e32 vcc, s45, v3
	s_andn2_b64 s[8:9], s[8:9], exec
	s_and_b64 s[12:13], vcc, exec
	s_or_b64 s[8:9], s[8:9], s[12:13]
	s_cbranch_execz .LBB71_1017
	s_branch .LBB71_1018
.LBB71_1016:
	s_andn2_b64 vcc, exec, s[0:1]
	s_cbranch_vccnz .LBB71_1018
.LBB71_1017:
	s_waitcnt vmcnt(0)
	v_cmp_le_i16_e32 vcc, s45, v3
	s_andn2_b64 s[0:1], s[8:9], exec
	s_and_b64 s[8:9], vcc, exec
	s_or_b64 s[8:9], s[0:1], s[8:9]
.LBB71_1018:
	v_mov_b32_e32 v2, s25
	s_and_b32 s20, s75, 0xff
	v_add_co_u32_e32 v1, vcc, s24, v0
	s_cmp_lt_i32 s20, 11
	v_addc_co_u32_e32 v2, vcc, 0, v2, vcc
	s_cbranch_scc1 .LBB71_1092
; %bb.1019:
	s_and_b32 s21, 0xffff, s20
	s_mov_b64 s[14:15], -1
	s_cmp_gt_i32 s21, 25
	s_mov_b64 s[0:1], s[54:55]
	s_cbranch_scc0 .LBB71_1052
; %bb.1020:
	s_mov_b64 s[12:13], -1
	s_cmp_gt_i32 s21, 28
	s_mov_b64 s[0:1], s[54:55]
	s_cbranch_scc0 .LBB71_1036
; %bb.1021:
	s_cmp_gt_i32 s21, 43
	s_mov_b64 s[0:1], s[54:55]
	s_cbranch_scc0 .LBB71_1032
; %bb.1022:
	s_cmp_gt_i32 s21, 45
	s_mov_b64 s[0:1], s[54:55]
	s_cbranch_scc0 .LBB71_1026
; %bb.1023:
	s_cmp_eq_u32 s21, 46
	s_mov_b64 s[0:1], -1
	s_cbranch_scc0 .LBB71_1025
; %bb.1024:
	v_cndmask_b32_e64 v0, 0, 1.0, s[8:9]
	s_waitcnt vmcnt(0)
	v_bfe_u32 v3, v0, 16, 1
	s_movk_i32 s0, 0x7fff
	v_add3_u32 v0, v0, v3, s0
	v_lshrrev_b32_e32 v0, 16, v0
	global_store_dword v[1:2], v0, off
	s_mov_b64 s[0:1], 0
.LBB71_1025:
	s_mov_b64 s[12:13], 0
.LBB71_1026:
	s_and_b64 vcc, exec, s[12:13]
	s_cbranch_vccz .LBB71_1031
; %bb.1027:
	s_cmp_eq_u32 s21, 44
	s_mov_b64 s[0:1], -1
	s_cbranch_scc0 .LBB71_1031
; %bb.1028:
	s_waitcnt vmcnt(0)
	v_cndmask_b32_e64 v3, 0, 1.0, s[8:9]
	v_lshrrev_b32_e32 v0, 23, v3
	s_movk_i32 s0, 0xff
	v_cmp_ne_u32_e32 vcc, s0, v0
	v_mov_b32_e32 v4, 0xff
	s_and_saveexec_b64 s[12:13], vcc
; %bb.1029:
	s_mov_b32 s0, 0x3fffff
	v_and_b32_e32 v4, 0x400000, v3
	v_and_or_b32 v3, v3, s0, v0
	v_cmp_ne_u32_e32 vcc, 0, v4
	v_cmp_ne_u32_e64 s[0:1], 0, v3
	s_and_b64 s[0:1], vcc, s[0:1]
	v_cndmask_b32_e64 v3, 0, 1, s[0:1]
	v_add_u32_e32 v4, v0, v3
; %bb.1030:
	s_or_b64 exec, exec, s[12:13]
	s_mov_b64 s[0:1], 0
	global_store_byte v[1:2], v4, off
.LBB71_1031:
	s_mov_b64 s[12:13], 0
.LBB71_1032:
	s_and_b64 vcc, exec, s[12:13]
	s_cbranch_vccz .LBB71_1035
; %bb.1033:
	s_cmp_eq_u32 s21, 29
	s_mov_b64 s[0:1], -1
	s_cbranch_scc0 .LBB71_1035
; %bb.1034:
	s_mov_b32 s0, 0
	s_waitcnt vmcnt(0)
	v_cndmask_b32_e64 v3, 0, 1, s[8:9]
	v_mov_b32_e32 v4, s0
	global_store_dwordx2 v[1:2], v[3:4], off
	s_mov_b64 s[0:1], 0
.LBB71_1035:
	s_mov_b64 s[12:13], 0
.LBB71_1036:
	s_and_b64 vcc, exec, s[12:13]
	s_cbranch_vccz .LBB71_1051
; %bb.1037:
	s_cmp_lt_i32 s21, 27
	s_mov_b64 s[12:13], -1
	s_cbranch_scc1 .LBB71_1043
; %bb.1038:
	s_cmp_gt_i32 s21, 27
	s_cbranch_scc0 .LBB71_1040
; %bb.1039:
	v_cndmask_b32_e64 v0, 0, 1, s[8:9]
	s_mov_b64 s[12:13], 0
	global_store_dword v[1:2], v0, off
.LBB71_1040:
	s_andn2_b64 vcc, exec, s[12:13]
	s_cbranch_vccnz .LBB71_1042
; %bb.1041:
	v_cndmask_b32_e64 v0, 0, 1, s[8:9]
	global_store_short v[1:2], v0, off
.LBB71_1042:
	s_mov_b64 s[12:13], 0
.LBB71_1043:
	s_andn2_b64 vcc, exec, s[12:13]
	s_cbranch_vccnz .LBB71_1051
; %bb.1044:
	s_waitcnt vmcnt(0)
	v_cndmask_b32_e64 v3, 0, 1.0, s[8:9]
	s_mov_b32 s12, 0x43800000
	v_cmp_gt_u32_e32 vcc, s12, v3
	v_mov_b32_e32 v4, 0x80
	s_and_saveexec_b64 s[12:13], vcc
	s_cbranch_execz .LBB71_1050
; %bb.1045:
	s_mov_b32 s14, 0x3bffffff
	v_cmp_lt_u32_e32 vcc, s14, v3
	s_mov_b64 s[14:15], 0
                                        ; implicit-def: $vgpr0
	s_and_saveexec_b64 s[16:17], vcc
	s_xor_b64 s[16:17], exec, s[16:17]
	s_cbranch_execz .LBB71_1205
; %bb.1046:
	v_bfe_u32 v0, v3, 20, 1
	s_mov_b32 s18, 0x487ffff
	v_add3_u32 v0, v3, v0, s18
	s_mov_b64 s[14:15], exec
	v_lshrrev_b32_e32 v0, 20, v0
                                        ; implicit-def: $vgpr3
	s_andn2_saveexec_b64 s[16:17], s[16:17]
	s_cbranch_execnz .LBB71_1206
.LBB71_1047:
	s_or_b64 exec, exec, s[16:17]
	v_mov_b32_e32 v4, 0
	s_and_saveexec_b64 s[16:17], s[14:15]
.LBB71_1048:
	v_mov_b32_e32 v4, v0
.LBB71_1049:
	s_or_b64 exec, exec, s[16:17]
.LBB71_1050:
	s_or_b64 exec, exec, s[12:13]
	global_store_byte v[1:2], v4, off
.LBB71_1051:
	s_mov_b64 s[14:15], 0
.LBB71_1052:
	s_mov_b64 s[12:13], 0
	s_and_b64 vcc, exec, s[14:15]
	s_cbranch_vccz .LBB71_1093
; %bb.1053:
	s_cmp_gt_i32 s21, 22
	s_mov_b64 s[14:15], -1
	s_cbranch_scc0 .LBB71_1085
; %bb.1054:
	s_cmp_lt_i32 s21, 24
	s_cbranch_scc1 .LBB71_1074
; %bb.1055:
	s_cmp_gt_i32 s21, 24
	s_cbranch_scc0 .LBB71_1063
; %bb.1056:
	s_waitcnt vmcnt(0)
	v_cndmask_b32_e64 v3, 0, 1.0, s[8:9]
	s_mov_b32 s14, 0x47800000
	v_cmp_gt_u32_e32 vcc, s14, v3
	v_mov_b32_e32 v4, 0x80
	s_and_saveexec_b64 s[14:15], vcc
	s_cbranch_execz .LBB71_1062
; %bb.1057:
	s_mov_b32 s16, 0x37ffffff
	v_cmp_lt_u32_e32 vcc, s16, v3
	s_mov_b64 s[16:17], 0
                                        ; implicit-def: $vgpr0
	s_and_saveexec_b64 s[18:19], vcc
	s_xor_b64 s[18:19], exec, s[18:19]
	s_cbranch_execz .LBB71_1340
; %bb.1058:
	v_bfe_u32 v0, v3, 21, 1
	s_mov_b32 s22, 0x88fffff
	v_add3_u32 v0, v3, v0, s22
	s_mov_b64 s[16:17], exec
	v_lshrrev_b32_e32 v0, 21, v0
                                        ; implicit-def: $vgpr3
	s_andn2_saveexec_b64 s[18:19], s[18:19]
	s_cbranch_execnz .LBB71_1341
.LBB71_1059:
	s_or_b64 exec, exec, s[18:19]
	v_mov_b32_e32 v4, 0
	s_and_saveexec_b64 s[18:19], s[16:17]
.LBB71_1060:
	v_mov_b32_e32 v4, v0
.LBB71_1061:
	s_or_b64 exec, exec, s[18:19]
.LBB71_1062:
	s_or_b64 exec, exec, s[14:15]
	s_mov_b64 s[14:15], 0
	global_store_byte v[1:2], v4, off
.LBB71_1063:
	s_and_b64 vcc, exec, s[14:15]
	s_cbranch_vccz .LBB71_1073
; %bb.1064:
	v_cndmask_b32_e64 v0, 0, 1.0, s[8:9]
	s_mov_b32 s14, 0x43f00000
	v_cmp_gt_u32_e32 vcc, s14, v0
                                        ; implicit-def: $vgpr3
	s_and_saveexec_b64 s[14:15], vcc
	s_xor_b64 s[14:15], exec, s[14:15]
	s_cbranch_execz .LBB71_1070
; %bb.1065:
	s_mov_b32 s16, 0x3c7fffff
	v_cmp_lt_u32_e32 vcc, s16, v0
                                        ; implicit-def: $vgpr3
	s_and_saveexec_b64 s[16:17], vcc
	s_xor_b64 s[16:17], exec, s[16:17]
	s_cbranch_execz .LBB71_1067
; %bb.1066:
	s_waitcnt vmcnt(0)
	v_bfe_u32 v3, v0, 20, 1
	s_mov_b32 s18, 0x407ffff
	v_add3_u32 v0, v0, v3, s18
	v_lshrrev_b32_e32 v3, 20, v0
	v_and_b32_e32 v0, 0xff00000, v0
	s_mov_b32 s18, 0x7f00000
	v_mov_b32_e32 v4, 0x7e
	v_cmp_ne_u32_e32 vcc, s18, v0
	v_cndmask_b32_e32 v3, v4, v3, vcc
                                        ; implicit-def: $vgpr0
.LBB71_1067:
	s_andn2_saveexec_b64 s[16:17], s[16:17]
	s_cbranch_execz .LBB71_1069
; %bb.1068:
	s_waitcnt vmcnt(0)
	v_add_f32_e32 v3, 0x46800000, v0
.LBB71_1069:
	s_or_b64 exec, exec, s[16:17]
                                        ; implicit-def: $vgpr0
.LBB71_1070:
	s_andn2_saveexec_b64 s[14:15], s[14:15]
	s_cbranch_execz .LBB71_1072
; %bb.1071:
	s_mov_b32 s16, 0x7f800000
	s_waitcnt vmcnt(0)
	v_mov_b32_e32 v3, 0x7e
	v_mov_b32_e32 v4, 0x7f
	v_cmp_lt_u32_e32 vcc, s16, v0
	v_cndmask_b32_e32 v3, v3, v4, vcc
.LBB71_1072:
	s_or_b64 exec, exec, s[14:15]
	s_waitcnt vmcnt(0)
	global_store_byte v[1:2], v3, off
.LBB71_1073:
	s_mov_b64 s[14:15], 0
.LBB71_1074:
	s_andn2_b64 vcc, exec, s[14:15]
	s_cbranch_vccnz .LBB71_1084
; %bb.1075:
	v_cndmask_b32_e64 v0, 0, 1.0, s[8:9]
	s_mov_b32 s14, 0x47800000
	v_cmp_gt_u32_e32 vcc, s14, v0
                                        ; implicit-def: $vgpr3
	s_and_saveexec_b64 s[14:15], vcc
	s_xor_b64 s[14:15], exec, s[14:15]
	s_cbranch_execz .LBB71_1081
; %bb.1076:
	s_mov_b32 s16, 0x387fffff
	v_cmp_lt_u32_e32 vcc, s16, v0
                                        ; implicit-def: $vgpr3
	s_and_saveexec_b64 s[16:17], vcc
	s_xor_b64 s[16:17], exec, s[16:17]
	s_cbranch_execz .LBB71_1078
; %bb.1077:
	s_waitcnt vmcnt(0)
	v_bfe_u32 v3, v0, 21, 1
	s_mov_b32 s18, 0x80fffff
	v_add3_u32 v0, v0, v3, s18
	v_lshrrev_b32_e32 v3, 21, v0
                                        ; implicit-def: $vgpr0
.LBB71_1078:
	s_andn2_saveexec_b64 s[16:17], s[16:17]
	s_cbranch_execz .LBB71_1080
; %bb.1079:
	s_waitcnt vmcnt(0)
	v_add_f32_e32 v3, 0x43000000, v0
.LBB71_1080:
	s_or_b64 exec, exec, s[16:17]
                                        ; implicit-def: $vgpr0
.LBB71_1081:
	s_andn2_saveexec_b64 s[14:15], s[14:15]
	s_cbranch_execz .LBB71_1083
; %bb.1082:
	s_mov_b32 s16, 0x7f800000
	s_waitcnt vmcnt(0)
	v_mov_b32_e32 v3, 0x7c
	v_mov_b32_e32 v4, 0x7f
	v_cmp_lt_u32_e32 vcc, s16, v0
	v_cndmask_b32_e32 v3, v3, v4, vcc
.LBB71_1083:
	s_or_b64 exec, exec, s[14:15]
	s_waitcnt vmcnt(0)
	global_store_byte v[1:2], v3, off
.LBB71_1084:
	s_mov_b64 s[14:15], 0
.LBB71_1085:
	s_andn2_b64 vcc, exec, s[14:15]
	s_mov_b64 s[14:15], 0
	s_cbranch_vccnz .LBB71_1094
; %bb.1086:
	s_cmp_gt_i32 s21, 14
	s_mov_b64 s[16:17], -1
	s_cbranch_scc0 .LBB71_1090
; %bb.1087:
	s_cmp_eq_u32 s21, 15
	s_mov_b64 s[0:1], -1
	s_cbranch_scc0 .LBB71_1089
; %bb.1088:
	v_cndmask_b32_e64 v0, 0, 1.0, s[8:9]
	s_waitcnt vmcnt(0)
	v_bfe_u32 v3, v0, 16, 1
	s_movk_i32 s0, 0x7fff
	v_add3_u32 v0, v0, v3, s0
	global_store_short_d16_hi v[1:2], v0, off
	s_mov_b64 s[0:1], 0
.LBB71_1089:
	s_mov_b64 s[16:17], 0
.LBB71_1090:
	s_and_b64 vcc, exec, s[16:17]
	s_cbranch_vccz .LBB71_1094
; %bb.1091:
	s_cmp_lg_u32 s21, 11
	s_cselect_b64 s[16:17], -1, 0
	s_andn2_b64 s[0:1], s[0:1], exec
	s_and_b64 s[16:17], s[16:17], exec
	s_mov_b64 s[14:15], -1
	s_or_b64 s[0:1], s[0:1], s[16:17]
	s_branch .LBB71_1094
.LBB71_1092:
	s_mov_b64 s[14:15], 0
	s_mov_b64 s[12:13], -1
	s_mov_b64 s[0:1], s[54:55]
	s_branch .LBB71_1094
.LBB71_1093:
	s_mov_b64 s[14:15], 0
.LBB71_1094:
	s_andn2_b64 s[16:17], s[54:55], exec
	s_and_b64 s[0:1], s[0:1], exec
	s_and_b64 s[12:13], s[12:13], exec
	;; [unrolled: 1-line block ×3, first 2 shown]
	s_or_b64 s[54:55], s[16:17], s[0:1]
	s_or_b64 exec, exec, s[10:11]
	s_and_saveexec_b64 s[0:1], s[54:55]
	s_cbranch_execz .LBB71_1004
.LBB71_1095:
	s_or_b64 s[2:3], s[2:3], exec
	s_andn2_b64 s[14:15], s[14:15], exec
	s_trap 2
	s_or_b64 exec, exec, s[0:1]
	s_and_saveexec_b64 s[0:1], s[14:15]
	s_xor_b64 s[0:1], exec, s[0:1]
	s_cbranch_execnz .LBB71_1005
.LBB71_1096:
	s_or_b64 exec, exec, s[0:1]
	s_and_saveexec_b64 s[0:1], s[12:13]
	s_xor_b64 s[0:1], exec, s[0:1]
	s_cbranch_execz .LBB71_1134
.LBB71_1097:
	s_sext_i32_i16 s12, s20
	s_cmp_lt_i32 s12, 5
	s_mov_b64 s[10:11], -1
	s_cbranch_scc1 .LBB71_1118
; %bb.1098:
	s_cmp_lt_i32 s12, 8
	s_cbranch_scc1 .LBB71_1108
; %bb.1099:
	s_cmp_lt_i32 s12, 9
	s_cbranch_scc1 .LBB71_1105
; %bb.1100:
	s_cmp_gt_i32 s12, 9
	s_cbranch_scc0 .LBB71_1102
; %bb.1101:
	v_cndmask_b32_e64 v0, 0, 1, s[8:9]
	s_waitcnt vmcnt(0)
	v_cvt_f64_u32_e32 v[3:4], v0
	v_mov_b32_e32 v5, 0
	v_mov_b32_e32 v6, v5
	s_mov_b64 s[10:11], 0
	global_store_dwordx4 v[1:2], v[3:6], off
.LBB71_1102:
	s_andn2_b64 vcc, exec, s[10:11]
	s_cbranch_vccnz .LBB71_1104
; %bb.1103:
	s_waitcnt vmcnt(0)
	v_cndmask_b32_e64 v3, 0, 1.0, s[8:9]
	v_mov_b32_e32 v4, 0
	global_store_dwordx2 v[1:2], v[3:4], off
.LBB71_1104:
	s_mov_b64 s[10:11], 0
.LBB71_1105:
	s_andn2_b64 vcc, exec, s[10:11]
	s_cbranch_vccnz .LBB71_1107
; %bb.1106:
	v_cndmask_b32_e64 v0, 0, 1.0, s[8:9]
	v_cvt_f16_f32_e32 v0, v0
	global_store_dword v[1:2], v0, off
.LBB71_1107:
	s_mov_b64 s[10:11], 0
.LBB71_1108:
	s_andn2_b64 vcc, exec, s[10:11]
	s_cbranch_vccnz .LBB71_1117
; %bb.1109:
	s_sext_i32_i16 s12, s20
	s_cmp_lt_i32 s12, 6
	s_mov_b64 s[10:11], -1
	s_cbranch_scc1 .LBB71_1115
; %bb.1110:
	s_cmp_gt_i32 s12, 6
	s_cbranch_scc0 .LBB71_1112
; %bb.1111:
	v_cndmask_b32_e64 v0, 0, 1, s[8:9]
	s_waitcnt vmcnt(0)
	v_cvt_f64_u32_e32 v[3:4], v0
	s_mov_b64 s[10:11], 0
	global_store_dwordx2 v[1:2], v[3:4], off
.LBB71_1112:
	s_andn2_b64 vcc, exec, s[10:11]
	s_cbranch_vccnz .LBB71_1114
; %bb.1113:
	v_cndmask_b32_e64 v0, 0, 1.0, s[8:9]
	global_store_dword v[1:2], v0, off
.LBB71_1114:
	s_mov_b64 s[10:11], 0
.LBB71_1115:
	s_andn2_b64 vcc, exec, s[10:11]
	s_cbranch_vccnz .LBB71_1117
; %bb.1116:
	v_cndmask_b32_e64 v0, 0, 1.0, s[8:9]
	v_cvt_f16_f32_e32 v0, v0
	global_store_short v[1:2], v0, off
.LBB71_1117:
	s_mov_b64 s[10:11], 0
.LBB71_1118:
	s_andn2_b64 vcc, exec, s[10:11]
	s_cbranch_vccnz .LBB71_1134
; %bb.1119:
	s_sext_i32_i16 s12, s20
	s_cmp_lt_i32 s12, 2
	s_mov_b64 s[10:11], -1
	s_cbranch_scc1 .LBB71_1129
; %bb.1120:
	s_cmp_lt_i32 s12, 3
	s_cbranch_scc1 .LBB71_1126
; %bb.1121:
	s_cmp_gt_i32 s12, 3
	s_cbranch_scc0 .LBB71_1123
; %bb.1122:
	s_mov_b32 s10, 0
	s_waitcnt vmcnt(0)
	v_cndmask_b32_e64 v3, 0, 1, s[8:9]
	v_mov_b32_e32 v4, s10
	s_mov_b64 s[10:11], 0
	global_store_dwordx2 v[1:2], v[3:4], off
.LBB71_1123:
	s_andn2_b64 vcc, exec, s[10:11]
	s_cbranch_vccnz .LBB71_1125
; %bb.1124:
	v_cndmask_b32_e64 v0, 0, 1, s[8:9]
	global_store_dword v[1:2], v0, off
.LBB71_1125:
	s_mov_b64 s[10:11], 0
.LBB71_1126:
	s_andn2_b64 vcc, exec, s[10:11]
	s_cbranch_vccnz .LBB71_1128
; %bb.1127:
	v_cndmask_b32_e64 v0, 0, 1, s[8:9]
	global_store_short v[1:2], v0, off
.LBB71_1128:
	s_mov_b64 s[10:11], 0
.LBB71_1129:
	s_andn2_b64 vcc, exec, s[10:11]
	s_cbranch_vccnz .LBB71_1134
; %bb.1130:
	s_sext_i32_i16 s10, s20
	s_cmp_gt_i32 s10, 0
	s_mov_b64 s[10:11], -1
	s_cbranch_scc0 .LBB71_1132
; %bb.1131:
	v_cndmask_b32_e64 v0, 0, 1, s[8:9]
	s_mov_b64 s[10:11], 0
	global_store_byte v[1:2], v0, off
.LBB71_1132:
	s_andn2_b64 vcc, exec, s[10:11]
	s_cbranch_vccnz .LBB71_1134
; %bb.1133:
	v_cndmask_b32_e64 v0, 0, 1, s[8:9]
	global_store_byte v[1:2], v0, off
.LBB71_1134:
	s_or_b64 exec, exec, s[0:1]
	s_and_b64 s[28:29], s[2:3], exec
                                        ; implicit-def: $vgpr15
                                        ; implicit-def: $vgpr8
.LBB71_1135:
	s_or_saveexec_b64 s[30:31], s[42:43]
	s_mov_b64 s[0:1], 0
                                        ; implicit-def: $sgpr10_sgpr11
                                        ; implicit-def: $vgpr0_vgpr1
                                        ; implicit-def: $sgpr22
	s_xor_b64 exec, exec, s[30:31]
	s_cbranch_execz .LBB71_1741
; %bb.1136:
	v_cndmask_b32_e64 v0, 0, 1, s[40:41]
	v_cmp_ne_u32_e64 s[0:1], 1, v0
	s_andn2_b64 vcc, exec, s[40:41]
	s_cbranch_vccnz .LBB71_1142
; %bb.1137:
	s_cmp_lg_u32 s33, 0
	s_mov_b32 s36, 0
	s_cbranch_scc0 .LBB71_1143
; %bb.1138:
	s_min_u32 s37, s74, 15
	s_add_i32 s37, s37, 1
	s_cmp_eq_u32 s74, 2
	s_cbranch_scc1 .LBB71_1144
; %bb.1139:
	s_and_b32 s36, s37, 28
	s_add_u32 s2, s34, 0xc4
	s_addc_u32 s3, s35, 0
	v_mov_b32_e32 v13, 0
	s_mov_b32 s38, 0
	s_mov_b64 s[6:7], s[34:35]
	v_mov_b32_e32 v6, 0
	v_mov_b32_e32 v0, v8
.LBB71_1140:                            ; =>This Inner Loop Header: Depth=1
	s_load_dwordx8 s[16:23], s[6:7], 0x4
	s_load_dwordx4 s[24:27], s[6:7], 0x24
	s_load_dwordx8 s[8:15], s[2:3], 0x0
	s_add_u32 s6, s6, 48
	s_addc_u32 s7, s7, 0
	s_waitcnt lgkmcnt(0)
	v_mul_hi_u32 v1, s17, v0
	s_add_i32 s38, s38, 4
	s_add_u32 s2, s2, 32
	s_addc_u32 s3, s3, 0
	v_add_u32_e32 v1, v0, v1
	v_lshrrev_b32_e32 v1, s18, v1
	v_mul_lo_u32 v2, v1, s16
	s_waitcnt vmcnt(0)
	v_mul_hi_u32 v3, s20, v1
	s_cmp_lg_u32 s36, s38
	v_sub_u32_e32 v0, v0, v2
	v_add_u32_e32 v2, v1, v3
	v_mul_lo_u32 v3, v0, s8
	v_mul_lo_u32 v4, v0, s9
	v_lshrrev_b32_e32 v0, s21, v2
	v_mul_lo_u32 v2, v0, s19
	v_mul_hi_u32 v5, s23, v0
	v_sub_u32_e32 v1, v1, v2
	v_add_u32_e32 v2, v0, v5
	v_lshrrev_b32_e32 v2, s24, v2
	v_mul_hi_u32 v7, s26, v2
	v_mul_lo_u32 v9, v2, s22
	v_mul_lo_u32 v5, v1, s10
	;; [unrolled: 1-line block ×3, first 2 shown]
	v_sub_u32_e32 v9, v0, v9
	v_add_u32_e32 v0, v2, v7
	v_lshrrev_b32_e32 v0, s27, v0
	v_mul_lo_u32 v7, v0, s25
	v_mul_lo_u32 v10, v9, s12
	v_mul_lo_u32 v9, v9, s13
	v_add3_u32 v3, v3, v6, v5
	v_sub_u32_e32 v2, v2, v7
	v_mul_lo_u32 v7, v2, s14
	v_mul_lo_u32 v2, v2, s15
	v_add3_u32 v1, v4, v13, v1
	v_add3_u32 v6, v10, v3, v7
	;; [unrolled: 1-line block ×3, first 2 shown]
	s_cbranch_scc1 .LBB71_1140
; %bb.1141:
	s_and_b32 s8, s37, 3
	s_cmp_eq_u32 s8, 0
	s_cbranch_scc0 .LBB71_1145
	s_branch .LBB71_1147
.LBB71_1142:
                                        ; implicit-def: $vgpr6
                                        ; implicit-def: $vgpr13
	s_branch .LBB71_1148
.LBB71_1143:
	v_mov_b32_e32 v6, 0
	v_mov_b32_e32 v13, 0
	s_branch .LBB71_1147
.LBB71_1144:
	v_mov_b32_e32 v6, 0
	v_mov_b32_e32 v13, 0
	;; [unrolled: 1-line block ×3, first 2 shown]
	s_and_b32 s8, s37, 3
	s_cmp_eq_u32 s8, 0
	s_cbranch_scc1 .LBB71_1147
.LBB71_1145:
	s_lshl_b32 s2, s36, 3
	s_add_u32 s2, s34, s2
	s_addc_u32 s3, s35, 0
	s_add_u32 s2, s2, 0xc4
	s_addc_u32 s3, s3, 0
	s_mul_i32 s6, s36, 12
	s_add_u32 s6, s34, s6
	s_addc_u32 s7, s35, 0
.LBB71_1146:                            ; =>This Inner Loop Header: Depth=1
	s_load_dwordx2 s[10:11], s[6:7], 0x4
	s_load_dword s9, s[6:7], 0xc
	s_load_dwordx2 s[12:13], s[2:3], 0x0
	s_add_u32 s6, s6, 12
	s_addc_u32 s7, s7, 0
	s_waitcnt lgkmcnt(0)
	v_mul_hi_u32 v1, s11, v0
	s_add_u32 s2, s2, 8
	s_addc_u32 s3, s3, 0
	s_add_i32 s8, s8, -1
	v_add_u32_e32 v1, v0, v1
	v_lshrrev_b32_e32 v1, s9, v1
	v_mul_lo_u32 v2, v1, s10
	s_cmp_lg_u32 s8, 0
	v_sub_u32_e32 v0, v0, v2
	v_mad_u64_u32 v[6:7], s[10:11], v0, s12, v[6:7]
	v_mad_u64_u32 v[13:14], s[10:11], v0, s13, v[13:14]
	v_mov_b32_e32 v0, v1
	s_cbranch_scc1 .LBB71_1146
.LBB71_1147:
	s_cbranch_execnz .LBB71_1150
.LBB71_1148:
	s_load_dwordx4 s[8:11], s[34:35], 0x4
	s_load_dwordx2 s[2:3], s[34:35], 0xc4
	s_cmp_lt_u32 s33, 2
	s_waitcnt lgkmcnt(0)
	v_mul_hi_u32 v0, s9, v8
	v_add_u32_e32 v0, v8, v0
	v_lshrrev_b32_e32 v0, s10, v0
	v_mul_lo_u32 v1, v0, s8
	v_sub_u32_e32 v1, v8, v1
	v_mul_lo_u32 v6, v1, s2
	v_mul_lo_u32 v13, v1, s3
	s_cbranch_scc1 .LBB71_1150
; %bb.1149:
	s_load_dwordx4 s[8:11], s[34:35], 0x10
	s_load_dwordx2 s[2:3], s[34:35], 0xcc
	s_waitcnt lgkmcnt(0)
	v_mul_hi_u32 v1, s9, v0
	v_add_u32_e32 v1, v0, v1
	v_lshrrev_b32_e32 v1, s10, v1
	v_mul_lo_u32 v1, v1, s8
	v_sub_u32_e32 v0, v0, v1
	v_mad_u64_u32 v[6:7], s[6:7], v0, s2, v[6:7]
	v_mad_u64_u32 v[13:14], s[2:3], v0, s3, v[13:14]
.LBB71_1150:
	s_and_b64 vcc, exec, s[0:1]
	v_add_u32_e32 v0, 0x80, v8
	s_cbranch_vccnz .LBB71_1156
; %bb.1151:
	s_cmp_lg_u32 s33, 0
	s_mov_b32 s36, 0
	s_cbranch_scc0 .LBB71_1157
; %bb.1152:
	s_min_u32 s37, s74, 15
	s_add_i32 s37, s37, 1
	s_cmp_eq_u32 s74, 2
	s_cbranch_scc1 .LBB71_1158
; %bb.1153:
	s_and_b32 s36, s37, 28
	s_add_u32 s2, s34, 0xc4
	s_addc_u32 s3, s35, 0
	v_mov_b32_e32 v11, 0
	s_mov_b32 s38, 0
	s_mov_b64 s[6:7], s[34:35]
	s_waitcnt vmcnt(0)
	v_mov_b32_e32 v4, 0
	v_mov_b32_e32 v1, v0
.LBB71_1154:                            ; =>This Inner Loop Header: Depth=1
	s_load_dwordx8 s[16:23], s[6:7], 0x4
	s_load_dwordx4 s[24:27], s[6:7], 0x24
	s_load_dwordx8 s[8:15], s[2:3], 0x0
	s_add_u32 s6, s6, 48
	s_addc_u32 s7, s7, 0
	s_waitcnt lgkmcnt(0)
	v_mul_hi_u32 v2, s17, v1
	s_add_i32 s38, s38, 4
	s_add_u32 s2, s2, 32
	s_addc_u32 s3, s3, 0
	v_add_u32_e32 v2, v1, v2
	v_lshrrev_b32_e32 v2, s18, v2
	v_mul_lo_u32 v3, v2, s16
	v_mul_hi_u32 v5, s20, v2
	s_cmp_lg_u32 s36, s38
	v_sub_u32_e32 v1, v1, v3
	v_add_u32_e32 v3, v2, v5
	v_mul_lo_u32 v5, v1, s8
	v_mul_lo_u32 v7, v1, s9
	v_lshrrev_b32_e32 v1, s21, v3
	v_mul_lo_u32 v3, v1, s19
	v_mul_hi_u32 v9, s23, v1
	v_sub_u32_e32 v2, v2, v3
	v_add_u32_e32 v3, v1, v9
	v_lshrrev_b32_e32 v3, s24, v3
	v_mul_hi_u32 v10, s26, v3
	v_mul_lo_u32 v12, v3, s22
	v_mul_lo_u32 v9, v2, s10
	;; [unrolled: 1-line block ×3, first 2 shown]
	v_sub_u32_e32 v12, v1, v12
	v_add_u32_e32 v1, v3, v10
	v_lshrrev_b32_e32 v1, s27, v1
	v_mul_lo_u32 v10, v1, s25
	v_mul_lo_u32 v14, v12, s12
	;; [unrolled: 1-line block ×3, first 2 shown]
	v_add3_u32 v4, v5, v4, v9
	v_sub_u32_e32 v3, v3, v10
	v_mul_lo_u32 v10, v3, s14
	v_mul_lo_u32 v3, v3, s15
	v_add3_u32 v2, v7, v11, v2
	v_add3_u32 v4, v14, v4, v10
	;; [unrolled: 1-line block ×3, first 2 shown]
	s_cbranch_scc1 .LBB71_1154
; %bb.1155:
	s_and_b32 s8, s37, 3
	s_cmp_eq_u32 s8, 0
	s_cbranch_scc0 .LBB71_1159
	s_branch .LBB71_1161
.LBB71_1156:
                                        ; implicit-def: $vgpr4
                                        ; implicit-def: $vgpr11
	s_branch .LBB71_1162
.LBB71_1157:
	s_waitcnt vmcnt(0)
	v_mov_b32_e32 v4, 0
	v_mov_b32_e32 v11, 0
	s_branch .LBB71_1161
.LBB71_1158:
	s_waitcnt vmcnt(0)
	v_mov_b32_e32 v4, 0
	v_mov_b32_e32 v11, 0
	;; [unrolled: 1-line block ×3, first 2 shown]
	s_and_b32 s8, s37, 3
	s_cmp_eq_u32 s8, 0
	s_cbranch_scc1 .LBB71_1161
.LBB71_1159:
	s_lshl_b32 s2, s36, 3
	s_add_u32 s2, s34, s2
	s_addc_u32 s3, s35, 0
	s_add_u32 s2, s2, 0xc4
	s_addc_u32 s3, s3, 0
	s_mul_i32 s6, s36, 12
	s_add_u32 s6, s34, s6
	s_addc_u32 s7, s35, 0
.LBB71_1160:                            ; =>This Inner Loop Header: Depth=1
	s_load_dwordx2 s[10:11], s[6:7], 0x4
	s_load_dword s9, s[6:7], 0xc
	s_load_dwordx2 s[12:13], s[2:3], 0x0
	s_add_u32 s6, s6, 12
	s_addc_u32 s7, s7, 0
	s_waitcnt lgkmcnt(0)
	v_mul_hi_u32 v2, s11, v1
	s_add_u32 s2, s2, 8
	s_addc_u32 s3, s3, 0
	s_add_i32 s8, s8, -1
	v_add_u32_e32 v2, v1, v2
	v_lshrrev_b32_e32 v2, s9, v2
	v_mul_lo_u32 v3, v2, s10
	s_cmp_lg_u32 s8, 0
	v_sub_u32_e32 v1, v1, v3
	v_mad_u64_u32 v[4:5], s[10:11], v1, s12, v[4:5]
	v_mad_u64_u32 v[11:12], s[10:11], v1, s13, v[11:12]
	v_mov_b32_e32 v1, v2
	s_cbranch_scc1 .LBB71_1160
.LBB71_1161:
	s_cbranch_execnz .LBB71_1164
.LBB71_1162:
	s_load_dwordx4 s[8:11], s[34:35], 0x4
	s_load_dwordx2 s[2:3], s[34:35], 0xc4
	s_cmp_lt_u32 s33, 2
	s_waitcnt lgkmcnt(0)
	v_mul_hi_u32 v1, s9, v0
	v_add_u32_e32 v1, v0, v1
	v_lshrrev_b32_e32 v1, s10, v1
	v_mul_lo_u32 v2, v1, s8
	v_sub_u32_e32 v0, v0, v2
	s_waitcnt vmcnt(0)
	v_mul_lo_u32 v4, v0, s2
	v_mul_lo_u32 v11, v0, s3
	s_cbranch_scc1 .LBB71_1164
; %bb.1163:
	s_load_dwordx4 s[8:11], s[34:35], 0x10
	s_load_dwordx2 s[2:3], s[34:35], 0xcc
	s_waitcnt lgkmcnt(0)
	v_mul_hi_u32 v0, s9, v1
	v_add_u32_e32 v0, v1, v0
	v_lshrrev_b32_e32 v0, s10, v0
	v_mul_lo_u32 v0, v0, s8
	v_sub_u32_e32 v0, v1, v0
	v_mad_u64_u32 v[4:5], s[6:7], v0, s2, v[4:5]
	v_mad_u64_u32 v[11:12], s[2:3], v0, s3, v[11:12]
.LBB71_1164:
	s_and_b64 vcc, exec, s[0:1]
	v_add_u32_e32 v0, 0x100, v8
	s_cbranch_vccnz .LBB71_1170
; %bb.1165:
	s_cmp_lg_u32 s33, 0
	s_mov_b32 s36, 0
	s_cbranch_scc0 .LBB71_1171
; %bb.1166:
	s_min_u32 s37, s74, 15
	s_add_i32 s37, s37, 1
	s_cmp_eq_u32 s74, 2
	s_cbranch_scc1 .LBB71_1172
; %bb.1167:
	s_and_b32 s36, s37, 28
	s_add_u32 s2, s34, 0xc4
	s_addc_u32 s3, s35, 0
	v_mov_b32_e32 v9, 0
	s_mov_b32 s38, 0
	s_mov_b64 s[6:7], s[34:35]
	v_mov_b32_e32 v2, 0
	v_mov_b32_e32 v1, v0
.LBB71_1168:                            ; =>This Inner Loop Header: Depth=1
	s_load_dwordx8 s[16:23], s[6:7], 0x4
	s_load_dwordx4 s[24:27], s[6:7], 0x24
	s_load_dwordx8 s[8:15], s[2:3], 0x0
	s_add_u32 s6, s6, 48
	s_addc_u32 s7, s7, 0
	s_waitcnt vmcnt(0) lgkmcnt(0)
	v_mul_hi_u32 v3, s17, v1
	s_add_i32 s38, s38, 4
	s_add_u32 s2, s2, 32
	s_addc_u32 s3, s3, 0
	v_add_u32_e32 v3, v1, v3
	v_lshrrev_b32_e32 v3, s18, v3
	v_mul_lo_u32 v5, v3, s16
	v_mul_hi_u32 v7, s20, v3
	s_cmp_lg_u32 s36, s38
	v_sub_u32_e32 v1, v1, v5
	v_add_u32_e32 v5, v3, v7
	v_mul_lo_u32 v7, v1, s8
	v_mul_lo_u32 v8, v1, s9
	v_lshrrev_b32_e32 v1, s21, v5
	v_mul_lo_u32 v5, v1, s19
	v_mul_hi_u32 v10, s23, v1
	v_sub_u32_e32 v3, v3, v5
	v_add_u32_e32 v5, v1, v10
	v_lshrrev_b32_e32 v5, s24, v5
	v_mul_hi_u32 v12, s26, v5
	v_mul_lo_u32 v14, v5, s22
	v_mul_lo_u32 v10, v3, s10
	;; [unrolled: 1-line block ×3, first 2 shown]
	v_sub_u32_e32 v14, v1, v14
	v_add_u32_e32 v1, v5, v12
	v_lshrrev_b32_e32 v1, s27, v1
	v_mul_lo_u32 v12, v1, s25
	v_mul_lo_u32 v16, v14, s12
	;; [unrolled: 1-line block ×3, first 2 shown]
	v_add3_u32 v2, v7, v2, v10
	v_sub_u32_e32 v5, v5, v12
	v_mul_lo_u32 v12, v5, s14
	v_mul_lo_u32 v5, v5, s15
	v_add3_u32 v3, v8, v9, v3
	v_add3_u32 v2, v16, v2, v12
	;; [unrolled: 1-line block ×3, first 2 shown]
	s_cbranch_scc1 .LBB71_1168
; %bb.1169:
	s_and_b32 s8, s37, 3
	s_cmp_eq_u32 s8, 0
	s_cbranch_scc0 .LBB71_1173
	s_branch .LBB71_1175
.LBB71_1170:
                                        ; implicit-def: $vgpr2
                                        ; implicit-def: $vgpr9
	s_branch .LBB71_1176
.LBB71_1171:
	v_mov_b32_e32 v2, 0
	v_mov_b32_e32 v9, 0
	s_branch .LBB71_1175
.LBB71_1172:
	v_mov_b32_e32 v2, 0
	v_mov_b32_e32 v9, 0
	;; [unrolled: 1-line block ×3, first 2 shown]
	s_and_b32 s8, s37, 3
	s_cmp_eq_u32 s8, 0
	s_cbranch_scc1 .LBB71_1175
.LBB71_1173:
	s_lshl_b32 s2, s36, 3
	s_add_u32 s2, s34, s2
	s_addc_u32 s3, s35, 0
	s_add_u32 s2, s2, 0xc4
	s_addc_u32 s3, s3, 0
	s_mul_i32 s6, s36, 12
	s_add_u32 s6, s34, s6
	s_addc_u32 s7, s35, 0
.LBB71_1174:                            ; =>This Inner Loop Header: Depth=1
	s_load_dwordx2 s[10:11], s[6:7], 0x4
	s_load_dword s9, s[6:7], 0xc
	s_load_dwordx2 s[12:13], s[2:3], 0x0
	s_add_u32 s6, s6, 12
	s_addc_u32 s7, s7, 0
	s_waitcnt vmcnt(0) lgkmcnt(0)
	v_mul_hi_u32 v3, s11, v1
	s_add_u32 s2, s2, 8
	s_addc_u32 s3, s3, 0
	s_add_i32 s8, s8, -1
	v_add_u32_e32 v3, v1, v3
	v_lshrrev_b32_e32 v5, s9, v3
	v_mul_lo_u32 v3, v5, s10
	s_cmp_lg_u32 s8, 0
	v_sub_u32_e32 v1, v1, v3
	v_mad_u64_u32 v[2:3], s[10:11], v1, s12, v[2:3]
	v_mad_u64_u32 v[9:10], s[10:11], v1, s13, v[9:10]
	v_mov_b32_e32 v1, v5
	s_cbranch_scc1 .LBB71_1174
.LBB71_1175:
	s_cbranch_execnz .LBB71_1178
.LBB71_1176:
	s_load_dwordx4 s[8:11], s[34:35], 0x4
	s_load_dwordx2 s[2:3], s[34:35], 0xc4
	s_cmp_lt_u32 s33, 2
	s_waitcnt lgkmcnt(0)
	v_mul_hi_u32 v1, s9, v0
	v_add_u32_e32 v1, v0, v1
	v_lshrrev_b32_e32 v1, s10, v1
	v_mul_lo_u32 v2, v1, s8
	v_sub_u32_e32 v0, v0, v2
	v_mul_lo_u32 v2, v0, s2
	v_mul_lo_u32 v9, v0, s3
	s_cbranch_scc1 .LBB71_1178
; %bb.1177:
	s_load_dwordx4 s[8:11], s[34:35], 0x10
	s_load_dwordx2 s[2:3], s[34:35], 0xcc
	s_waitcnt lgkmcnt(0)
	v_mul_hi_u32 v0, s9, v1
	v_add_u32_e32 v0, v1, v0
	v_lshrrev_b32_e32 v0, s10, v0
	v_mul_lo_u32 v0, v0, s8
	v_sub_u32_e32 v0, v1, v0
	s_waitcnt vmcnt(0)
	v_mad_u64_u32 v[2:3], s[6:7], v0, s2, v[2:3]
	v_mad_u64_u32 v[9:10], s[2:3], v0, s3, v[9:10]
.LBB71_1178:
	s_and_b64 vcc, exec, s[0:1]
	s_cbranch_vccnz .LBB71_1184
; %bb.1179:
	s_cmp_lg_u32 s33, 0
	s_mov_b32 s26, 0
	s_cbranch_scc0 .LBB71_1185
; %bb.1180:
	s_min_u32 s27, s74, 15
	s_add_i32 s27, s27, 1
	s_cmp_eq_u32 s74, 2
	s_cbranch_scc1 .LBB71_1186
; %bb.1181:
	s_and_b32 s26, s27, 28
	s_add_u32 s6, s34, 0xc4
	s_addc_u32 s7, s35, 0
	v_mov_b32_e32 v7, 0
	s_mov_b32 s36, 0
	s_mov_b64 s[24:25], s[34:35]
	v_mov_b32_e32 v0, 0
	v_mov_b32_e32 v1, v15
.LBB71_1182:                            ; =>This Inner Loop Header: Depth=1
	s_load_dwordx8 s[16:23], s[24:25], 0x4
	s_load_dwordx4 s[0:3], s[24:25], 0x24
	s_load_dwordx8 s[8:15], s[6:7], 0x0
	s_add_u32 s24, s24, 48
	s_addc_u32 s25, s25, 0
	s_waitcnt vmcnt(0) lgkmcnt(0)
	v_mul_hi_u32 v3, s17, v1
	s_add_i32 s36, s36, 4
	s_add_u32 s6, s6, 32
	s_addc_u32 s7, s7, 0
	v_add_u32_e32 v3, v1, v3
	v_lshrrev_b32_e32 v3, s18, v3
	v_mul_lo_u32 v5, v3, s16
	v_mul_hi_u32 v8, s20, v3
	s_cmp_lg_u32 s26, s36
	v_sub_u32_e32 v1, v1, v5
	v_add_u32_e32 v5, v3, v8
	v_mul_lo_u32 v8, v1, s8
	v_mul_lo_u32 v10, v1, s9
	v_lshrrev_b32_e32 v1, s21, v5
	v_mul_lo_u32 v5, v1, s19
	v_mul_hi_u32 v12, s23, v1
	v_sub_u32_e32 v3, v3, v5
	v_add_u32_e32 v5, v1, v12
	v_lshrrev_b32_e32 v5, s0, v5
	v_mul_hi_u32 v14, s2, v5
	v_mul_lo_u32 v16, v5, s22
	v_mul_lo_u32 v12, v3, s10
	;; [unrolled: 1-line block ×3, first 2 shown]
	v_sub_u32_e32 v16, v1, v16
	v_add_u32_e32 v1, v5, v14
	v_lshrrev_b32_e32 v1, s3, v1
	v_mul_lo_u32 v14, v1, s1
	v_mul_lo_u32 v17, v16, s12
	;; [unrolled: 1-line block ×3, first 2 shown]
	v_add3_u32 v0, v8, v0, v12
	v_sub_u32_e32 v5, v5, v14
	v_mul_lo_u32 v14, v5, s14
	v_mul_lo_u32 v5, v5, s15
	v_add3_u32 v3, v10, v7, v3
	v_add3_u32 v0, v17, v0, v14
	;; [unrolled: 1-line block ×3, first 2 shown]
	s_cbranch_scc1 .LBB71_1182
; %bb.1183:
	s_and_b32 s6, s27, 3
	s_cmp_eq_u32 s6, 0
	s_cbranch_scc0 .LBB71_1187
	s_branch .LBB71_1189
.LBB71_1184:
                                        ; implicit-def: $vgpr0
                                        ; implicit-def: $vgpr7
	s_branch .LBB71_1190
.LBB71_1185:
	v_mov_b32_e32 v0, 0
	v_mov_b32_e32 v7, 0
	s_branch .LBB71_1189
.LBB71_1186:
	v_mov_b32_e32 v0, 0
	v_mov_b32_e32 v7, 0
	;; [unrolled: 1-line block ×3, first 2 shown]
	s_and_b32 s6, s27, 3
	s_cmp_eq_u32 s6, 0
	s_cbranch_scc1 .LBB71_1189
.LBB71_1187:
	s_lshl_b32 s0, s26, 3
	s_add_u32 s0, s34, s0
	s_addc_u32 s1, s35, 0
	s_add_u32 s0, s0, 0xc4
	s_addc_u32 s1, s1, 0
	s_mul_i32 s2, s26, 12
	s_add_u32 s2, s34, s2
	s_addc_u32 s3, s35, 0
.LBB71_1188:                            ; =>This Inner Loop Header: Depth=1
	s_load_dwordx2 s[8:9], s[2:3], 0x4
	s_load_dword s7, s[2:3], 0xc
	s_load_dwordx2 s[10:11], s[0:1], 0x0
	s_add_u32 s2, s2, 12
	s_addc_u32 s3, s3, 0
	s_waitcnt vmcnt(0) lgkmcnt(0)
	v_mul_hi_u32 v3, s9, v1
	s_add_u32 s0, s0, 8
	s_addc_u32 s1, s1, 0
	s_add_i32 s6, s6, -1
	v_add_u32_e32 v3, v1, v3
	v_lshrrev_b32_e32 v3, s7, v3
	v_mul_lo_u32 v5, v3, s8
	s_cmp_lg_u32 s6, 0
	v_sub_u32_e32 v5, v1, v5
	v_mad_u64_u32 v[0:1], s[8:9], v5, s10, v[0:1]
	v_mad_u64_u32 v[7:8], s[8:9], v5, s11, v[7:8]
	v_mov_b32_e32 v1, v3
	s_cbranch_scc1 .LBB71_1188
.LBB71_1189:
	s_cbranch_execnz .LBB71_1192
.LBB71_1190:
	s_load_dwordx4 s[0:3], s[34:35], 0x4
	s_load_dwordx2 s[6:7], s[34:35], 0xc4
	s_cmp_lt_u32 s33, 2
	s_waitcnt lgkmcnt(0)
	v_mul_hi_u32 v0, s1, v15
	v_add_u32_e32 v0, v15, v0
	v_lshrrev_b32_e32 v1, s2, v0
	v_mul_lo_u32 v0, v1, s0
	s_waitcnt vmcnt(0)
	v_sub_u32_e32 v3, v15, v0
	v_mul_lo_u32 v0, v3, s6
	v_mul_lo_u32 v7, v3, s7
	s_cbranch_scc1 .LBB71_1192
; %bb.1191:
	s_load_dwordx4 s[0:3], s[34:35], 0x10
	s_load_dwordx2 s[6:7], s[34:35], 0xcc
	s_waitcnt lgkmcnt(0)
	v_mul_hi_u32 v3, s1, v1
	v_add_u32_e32 v3, v1, v3
	v_lshrrev_b32_e32 v3, s2, v3
	v_mul_lo_u32 v3, v3, s0
	v_sub_u32_e32 v3, v1, v3
	v_mad_u64_u32 v[0:1], s[0:1], v3, s6, v[0:1]
	v_mad_u64_u32 v[7:8], s[0:1], v3, s7, v[7:8]
.LBB71_1192:
	s_load_dwordx4 s[8:11], s[34:35], 0x148
	s_load_dword s16, s[4:5], 0x168
	s_waitcnt lgkmcnt(0)
	v_mov_b32_e32 v1, s11
	s_bfe_u32 s12, s16, 0x80008
	v_add_co_u32_e32 v12, vcc, s10, v13
	s_cmp_lt_i32 s12, 11
	v_addc_co_u32_e32 v13, vcc, 0, v1, vcc
	s_cbranch_scc1 .LBB71_1199
; %bb.1193:
	s_and_b32 s13, 0xffff, s12
	s_cmp_gt_i32 s13, 25
	s_mov_b64 s[4:5], 0
	s_cbranch_scc0 .LBB71_1201
; %bb.1194:
	s_cmp_gt_i32 s13, 28
	s_cbranch_scc0 .LBB71_1202
; %bb.1195:
	s_cmp_gt_i32 s13, 43
	;; [unrolled: 3-line block ×3, first 2 shown]
	s_cbranch_scc0 .LBB71_1204
; %bb.1197:
	s_cmp_eq_u32 s13, 46
	s_mov_b64 s[2:3], 0
	s_cbranch_scc0 .LBB71_1207
; %bb.1198:
	global_load_dword v1, v[12:13], off
	s_mov_b64 s[0:1], 0
	s_mov_b64 s[6:7], -1
	s_waitcnt vmcnt(0)
	v_lshlrev_b32_e32 v1, 16, v1
	v_cvt_i32_f32_e32 v14, v1
	s_branch .LBB71_1208
.LBB71_1199:
	s_mov_b64 s[6:7], 0
                                        ; implicit-def: $vgpr14
	s_mov_b64 s[2:3], s[28:29]
	s_cbranch_execnz .LBB71_1266
.LBB71_1200:
	s_andn2_b64 vcc, exec, s[6:7]
	s_cbranch_vccz .LBB71_1311
	s_branch .LBB71_1738
.LBB71_1201:
	s_mov_b64 s[6:7], 0
	s_mov_b64 s[0:1], 0
                                        ; implicit-def: $vgpr14
	s_cbranch_execnz .LBB71_1233
	s_branch .LBB71_1262
.LBB71_1202:
	s_mov_b64 s[6:7], 0
	s_mov_b64 s[0:1], 0
                                        ; implicit-def: $vgpr14
	s_cbranch_execz .LBB71_1232
	s_branch .LBB71_1217
.LBB71_1203:
	s_mov_b64 s[6:7], 0
	s_mov_b64 s[0:1], 0
                                        ; implicit-def: $vgpr14
	s_cbranch_execnz .LBB71_1213
	s_branch .LBB71_1216
.LBB71_1204:
	s_mov_b64 s[2:3], -1
	s_mov_b64 s[6:7], 0
	s_mov_b64 s[0:1], 0
                                        ; implicit-def: $vgpr14
	s_branch .LBB71_1208
.LBB71_1205:
	s_andn2_saveexec_b64 s[16:17], s[16:17]
	s_cbranch_execz .LBB71_1047
.LBB71_1206:
	v_add_f32_e32 v0, 0x46000000, v3
	v_and_b32_e32 v0, 0xff, v0
	v_cmp_ne_u32_e32 vcc, 0, v0
	s_andn2_b64 s[14:15], s[14:15], exec
	s_and_b64 s[18:19], vcc, exec
	s_or_b64 s[14:15], s[14:15], s[18:19]
	s_or_b64 exec, exec, s[16:17]
	v_mov_b32_e32 v4, 0
	s_and_saveexec_b64 s[16:17], s[14:15]
	s_cbranch_execnz .LBB71_1048
	s_branch .LBB71_1049
.LBB71_1207:
	s_mov_b64 s[0:1], -1
                                        ; implicit-def: $vgpr14
	s_mov_b64 s[6:7], 0
.LBB71_1208:
	s_and_b64 vcc, exec, s[2:3]
	s_cbranch_vccz .LBB71_1211
; %bb.1209:
	s_cmp_eq_u32 s13, 44
	s_cbranch_scc0 .LBB71_1212
; %bb.1210:
	global_load_ubyte v1, v[12:13], off
	s_mov_b64 s[0:1], 0
	s_mov_b64 s[6:7], -1
	s_waitcnt vmcnt(0)
	v_lshlrev_b32_e32 v3, 23, v1
	v_cvt_i32_f32_e32 v3, v3
	v_cmp_ne_u32_e32 vcc, 0, v1
	v_cndmask_b32_e32 v14, 0, v3, vcc
.LBB71_1211:
	s_branch .LBB71_1216
.LBB71_1212:
	s_mov_b64 s[0:1], -1
                                        ; implicit-def: $vgpr14
	s_branch .LBB71_1216
.LBB71_1213:
	s_cmp_eq_u32 s13, 29
	s_cbranch_scc0 .LBB71_1215
; %bb.1214:
	global_load_dwordx2 v[14:15], v[12:13], off
	s_mov_b64 s[0:1], 0
	s_mov_b64 s[6:7], -1
	s_branch .LBB71_1216
.LBB71_1215:
	s_mov_b64 s[0:1], -1
                                        ; implicit-def: $vgpr14
.LBB71_1216:
	s_branch .LBB71_1232
.LBB71_1217:
	s_cmp_lt_i32 s13, 27
	s_cbranch_scc1 .LBB71_1220
; %bb.1218:
	s_cmp_gt_i32 s13, 27
	s_cbranch_scc0 .LBB71_1221
; %bb.1219:
	global_load_dword v14, v[12:13], off
	s_mov_b64 s[2:3], 0
	s_branch .LBB71_1222
.LBB71_1220:
	s_mov_b64 s[2:3], -1
                                        ; implicit-def: $vgpr14
	s_branch .LBB71_1225
.LBB71_1221:
	s_mov_b64 s[2:3], -1
                                        ; implicit-def: $vgpr14
.LBB71_1222:
	s_andn2_b64 vcc, exec, s[2:3]
	s_cbranch_vccnz .LBB71_1224
; %bb.1223:
	global_load_ushort v14, v[12:13], off
.LBB71_1224:
	s_mov_b64 s[2:3], 0
.LBB71_1225:
	s_andn2_b64 vcc, exec, s[2:3]
	s_cbranch_vccnz .LBB71_1231
; %bb.1226:
	global_load_ubyte v1, v[12:13], off
	s_movk_i32 s2, 0x7f
	s_mov_b64 s[6:7], 0
	s_waitcnt vmcnt(0)
	v_cmp_lt_i16_e32 vcc, s2, v1
	s_and_saveexec_b64 s[2:3], vcc
	s_xor_b64 s[2:3], exec, s[2:3]
	s_cbranch_execz .LBB71_1242
; %bb.1227:
	s_movk_i32 s6, 0x80
	v_cmp_ne_u16_e32 vcc, s6, v1
	s_and_b64 s[6:7], vcc, exec
	s_andn2_saveexec_b64 s[2:3], s[2:3]
	s_cbranch_execnz .LBB71_1243
.LBB71_1228:
	s_or_b64 exec, exec, s[2:3]
	v_mov_b32_e32 v14, 0
	s_and_saveexec_b64 s[2:3], s[6:7]
	s_cbranch_execz .LBB71_1230
.LBB71_1229:
	v_lshlrev_b32_e32 v3, 24, v1
	v_and_b32_e32 v1, 0xffff, v1
	v_and_b32_e32 v5, 7, v1
	v_ffbh_u32_e32 v10, v5
	v_min_u32_e32 v10, 32, v10
	v_subrev_u32_e32 v14, 28, v10
	v_bfe_u32 v8, v1, 3, 4
	v_lshlrev_b32_e32 v1, v14, v1
	v_sub_u32_e32 v10, 29, v10
	v_and_b32_e32 v1, 7, v1
	v_cmp_eq_u32_e32 vcc, 0, v8
	v_cndmask_b32_e32 v8, v8, v10, vcc
	v_cndmask_b32_e32 v1, v5, v1, vcc
	v_mov_b32_e32 v5, 0x3b800000
	v_lshlrev_b32_e32 v1, 20, v1
	v_and_b32_e32 v3, 0x80000000, v3
	v_lshl_add_u32 v5, v8, 23, v5
	v_or3_b32 v1, v3, v5, v1
	v_cvt_i32_f32_e32 v14, v1
.LBB71_1230:
	s_or_b64 exec, exec, s[2:3]
.LBB71_1231:
	s_mov_b64 s[6:7], -1
.LBB71_1232:
	s_branch .LBB71_1262
.LBB71_1233:
	s_cmp_gt_i32 s13, 22
	s_cbranch_scc0 .LBB71_1241
; %bb.1234:
	s_cmp_lt_i32 s13, 24
	s_cbranch_scc1 .LBB71_1244
; %bb.1235:
	s_cmp_gt_i32 s13, 24
	s_cbranch_scc0 .LBB71_1245
; %bb.1236:
	global_load_ubyte v1, v[12:13], off
	s_movk_i32 s2, 0x7f
	s_waitcnt vmcnt(0)
	v_cmp_lt_i16_e32 vcc, s2, v1
	s_and_saveexec_b64 s[2:3], vcc
	s_xor_b64 s[2:3], exec, s[2:3]
	s_cbranch_execz .LBB71_1256
; %bb.1237:
	s_movk_i32 s4, 0x80
	v_cmp_ne_u16_e32 vcc, s4, v1
	s_and_b64 s[4:5], vcc, exec
	s_andn2_saveexec_b64 s[2:3], s[2:3]
	s_cbranch_execnz .LBB71_1257
.LBB71_1238:
	s_or_b64 exec, exec, s[2:3]
	v_mov_b32_e32 v14, 0
	s_and_saveexec_b64 s[2:3], s[4:5]
	s_cbranch_execz .LBB71_1240
.LBB71_1239:
	v_lshlrev_b32_e32 v3, 24, v1
	v_and_b32_e32 v1, 0xffff, v1
	v_and_b32_e32 v5, 3, v1
	v_ffbh_u32_e32 v10, v5
	v_min_u32_e32 v10, 32, v10
	v_subrev_u32_e32 v14, 29, v10
	v_bfe_u32 v8, v1, 2, 5
	v_lshlrev_b32_e32 v1, v14, v1
	v_sub_u32_e32 v10, 30, v10
	v_and_b32_e32 v1, 3, v1
	v_cmp_eq_u32_e32 vcc, 0, v8
	v_cndmask_b32_e32 v8, v8, v10, vcc
	v_cndmask_b32_e32 v1, v5, v1, vcc
	v_mov_b32_e32 v5, 0x37800000
	v_lshlrev_b32_e32 v1, 21, v1
	v_and_b32_e32 v3, 0x80000000, v3
	v_lshl_add_u32 v5, v8, 23, v5
	v_or3_b32 v1, v3, v5, v1
	v_cvt_i32_f32_e32 v14, v1
.LBB71_1240:
	s_or_b64 exec, exec, s[2:3]
	s_mov_b64 s[2:3], 0
	s_branch .LBB71_1246
.LBB71_1241:
                                        ; implicit-def: $vgpr14
	s_mov_b64 s[4:5], 0
	s_branch .LBB71_1252
.LBB71_1242:
	s_andn2_saveexec_b64 s[2:3], s[2:3]
	s_cbranch_execz .LBB71_1228
.LBB71_1243:
	v_cmp_ne_u16_e32 vcc, 0, v1
	s_andn2_b64 s[6:7], s[6:7], exec
	s_and_b64 s[14:15], vcc, exec
	s_or_b64 s[6:7], s[6:7], s[14:15]
	s_or_b64 exec, exec, s[2:3]
	v_mov_b32_e32 v14, 0
	s_and_saveexec_b64 s[2:3], s[6:7]
	s_cbranch_execnz .LBB71_1229
	s_branch .LBB71_1230
.LBB71_1244:
	s_mov_b64 s[2:3], -1
                                        ; implicit-def: $vgpr14
	s_branch .LBB71_1249
.LBB71_1245:
	s_mov_b64 s[2:3], -1
                                        ; implicit-def: $vgpr14
.LBB71_1246:
	s_and_b64 vcc, exec, s[2:3]
	s_cbranch_vccz .LBB71_1248
; %bb.1247:
	global_load_ubyte v1, v[12:13], off
	s_mov_b32 s2, 0x7f800000
	s_waitcnt vmcnt(0)
	v_lshlrev_b32_e32 v1, 24, v1
	v_and_b32_e32 v3, 0x7f000000, v1
	v_ffbh_u32_e32 v5, v3
	v_min_u32_e32 v5, 32, v5
	v_sub_u32_e64 v5, v5, 4 clamp
	v_lshlrev_b32_e32 v10, v5, v3
	v_lshlrev_b32_e32 v5, 23, v5
	v_lshrrev_b32_e32 v10, 4, v10
	v_add_u32_e32 v8, 0x1000000, v3
	v_sub_u32_e32 v5, v10, v5
	v_ashrrev_i32_e32 v8, 8, v8
	v_add_u32_e32 v5, 0x3c000000, v5
	v_and_or_b32 v5, v8, s2, v5
	v_cmp_ne_u32_e32 vcc, 0, v3
	v_cndmask_b32_e32 v3, 0, v5, vcc
	s_brev_b32 s2, 1
	v_and_or_b32 v1, v1, s2, v3
	v_cvt_i32_f32_e32 v14, v1
.LBB71_1248:
	s_mov_b64 s[2:3], 0
.LBB71_1249:
	s_andn2_b64 vcc, exec, s[2:3]
	s_cbranch_vccnz .LBB71_1251
; %bb.1250:
	global_load_ubyte v1, v[12:13], off
	s_movk_i32 s2, 0x7f00
	s_brev_b32 s3, 16
	s_waitcnt vmcnt(0)
	v_lshlrev_b16_e32 v3, 8, v1
	v_lshlrev_b32_e32 v1, 25, v1
	v_lshrrev_b32_e32 v5, 4, v1
	v_and_or_b32 v8, v3, s2, 0.5
	v_or_b32_e32 v5, 0x70000000, v5
	v_add_f32_e32 v8, -0.5, v8
	v_mul_f32_e32 v5, 0x7800000, v5
	v_cmp_gt_u32_e32 vcc, s3, v1
	v_bfe_i32 v3, v3, 0, 16
	v_cndmask_b32_e32 v1, v5, v8, vcc
	s_brev_b32 s2, 1
	v_and_or_b32 v1, v3, s2, v1
	v_cvt_i32_f32_e32 v14, v1
.LBB71_1251:
	s_mov_b64 s[6:7], -1
	s_mov_b64 s[4:5], 0
	s_cbranch_execnz .LBB71_1262
.LBB71_1252:
	s_cmp_gt_i32 s13, 14
	s_cbranch_scc0 .LBB71_1255
; %bb.1253:
	s_cmp_eq_u32 s13, 15
	s_cbranch_scc0 .LBB71_1258
; %bb.1254:
	global_load_ushort v1, v[12:13], off
	s_mov_b64 s[0:1], 0
	s_mov_b64 s[6:7], -1
	s_waitcnt vmcnt(0)
	v_lshlrev_b32_e32 v1, 16, v1
	v_cvt_i32_f32_e32 v14, v1
	s_branch .LBB71_1259
.LBB71_1255:
	s_mov_b64 s[2:3], -1
                                        ; implicit-def: $vgpr14
	s_branch .LBB71_1260
.LBB71_1256:
	s_andn2_saveexec_b64 s[2:3], s[2:3]
	s_cbranch_execz .LBB71_1238
.LBB71_1257:
	v_cmp_ne_u16_e32 vcc, 0, v1
	s_andn2_b64 s[4:5], s[4:5], exec
	s_and_b64 s[6:7], vcc, exec
	s_or_b64 s[4:5], s[4:5], s[6:7]
	s_or_b64 exec, exec, s[2:3]
	v_mov_b32_e32 v14, 0
	s_and_saveexec_b64 s[2:3], s[4:5]
	s_cbranch_execnz .LBB71_1239
	s_branch .LBB71_1240
.LBB71_1258:
	s_mov_b64 s[0:1], -1
                                        ; implicit-def: $vgpr14
.LBB71_1259:
	s_mov_b64 s[2:3], 0
.LBB71_1260:
	s_and_b64 vcc, exec, s[2:3]
	s_cbranch_vccz .LBB71_1262
; %bb.1261:
	s_cmp_lg_u32 s13, 11
	s_mov_b64 s[4:5], -1
	s_cselect_b64 s[0:1], -1, 0
.LBB71_1262:
	s_and_b64 vcc, exec, s[0:1]
	s_mov_b64 s[2:3], s[28:29]
	s_cbranch_vccnz .LBB71_1338
; %bb.1263:
	s_andn2_b64 vcc, exec, s[4:5]
	s_cbranch_vccnz .LBB71_1265
.LBB71_1264:
	global_load_ubyte v1, v[12:13], off
	s_mov_b64 s[6:7], -1
	s_waitcnt vmcnt(0)
	v_cmp_ne_u16_e32 vcc, 0, v1
	v_cndmask_b32_e64 v14, 0, 1, vcc
.LBB71_1265:
	s_branch .LBB71_1200
.LBB71_1266:
	s_and_b32 s4, 0xffff, s12
	s_cmp_lt_i32 s4, 5
	s_cbranch_scc1 .LBB71_1271
; %bb.1267:
	s_cmp_lt_i32 s4, 8
	s_cbranch_scc1 .LBB71_1272
; %bb.1268:
	;; [unrolled: 3-line block ×3, first 2 shown]
	s_cmp_gt_i32 s4, 9
	s_cbranch_scc0 .LBB71_1274
; %bb.1270:
	global_load_dwordx2 v[14:15], v[12:13], off
	s_mov_b64 s[0:1], 0
	s_waitcnt vmcnt(0)
	v_cvt_i32_f64_e32 v14, v[14:15]
	s_branch .LBB71_1275
.LBB71_1271:
                                        ; implicit-def: $vgpr14
	s_branch .LBB71_1292
.LBB71_1272:
                                        ; implicit-def: $vgpr14
	s_branch .LBB71_1281
.LBB71_1273:
	s_mov_b64 s[0:1], -1
                                        ; implicit-def: $vgpr14
	s_branch .LBB71_1278
.LBB71_1274:
	s_mov_b64 s[0:1], -1
                                        ; implicit-def: $vgpr14
.LBB71_1275:
	s_andn2_b64 vcc, exec, s[0:1]
	s_cbranch_vccnz .LBB71_1277
; %bb.1276:
	global_load_dword v1, v[12:13], off
	s_waitcnt vmcnt(0)
	v_cvt_i32_f32_e32 v14, v1
.LBB71_1277:
	s_mov_b64 s[0:1], 0
.LBB71_1278:
	s_andn2_b64 vcc, exec, s[0:1]
	s_cbranch_vccnz .LBB71_1280
; %bb.1279:
	global_load_dword v1, v[12:13], off
	s_waitcnt vmcnt(0)
	v_cvt_i16_f16_e32 v14, v1
.LBB71_1280:
	s_cbranch_execnz .LBB71_1291
.LBB71_1281:
	s_cmp_lt_i32 s4, 6
	s_cbranch_scc1 .LBB71_1284
; %bb.1282:
	s_cmp_gt_i32 s4, 6
	s_cbranch_scc0 .LBB71_1285
; %bb.1283:
	global_load_dwordx2 v[14:15], v[12:13], off
	s_mov_b64 s[0:1], 0
	s_waitcnt vmcnt(0)
	v_cvt_i32_f64_e32 v14, v[14:15]
	s_branch .LBB71_1286
.LBB71_1284:
	s_mov_b64 s[0:1], -1
                                        ; implicit-def: $vgpr14
	s_branch .LBB71_1289
.LBB71_1285:
	s_mov_b64 s[0:1], -1
                                        ; implicit-def: $vgpr14
.LBB71_1286:
	s_andn2_b64 vcc, exec, s[0:1]
	s_cbranch_vccnz .LBB71_1288
; %bb.1287:
	global_load_dword v1, v[12:13], off
	s_waitcnt vmcnt(0)
	v_cvt_i32_f32_e32 v14, v1
.LBB71_1288:
	s_mov_b64 s[0:1], 0
.LBB71_1289:
	s_andn2_b64 vcc, exec, s[0:1]
	s_cbranch_vccnz .LBB71_1291
; %bb.1290:
	global_load_ushort v1, v[12:13], off
	s_waitcnt vmcnt(0)
	v_cvt_i16_f16_e32 v14, v1
.LBB71_1291:
	s_cbranch_execnz .LBB71_1310
.LBB71_1292:
	s_cmp_lt_i32 s4, 2
	s_cbranch_scc1 .LBB71_1296
; %bb.1293:
	s_cmp_lt_i32 s4, 3
	s_cbranch_scc1 .LBB71_1297
; %bb.1294:
	s_cmp_gt_i32 s4, 3
	s_cbranch_scc0 .LBB71_1298
; %bb.1295:
	global_load_dwordx2 v[14:15], v[12:13], off
	s_mov_b64 s[0:1], 0
	s_branch .LBB71_1299
.LBB71_1296:
                                        ; implicit-def: $vgpr14
	s_branch .LBB71_1305
.LBB71_1297:
	s_mov_b64 s[0:1], -1
                                        ; implicit-def: $vgpr14
	s_branch .LBB71_1302
.LBB71_1298:
	s_mov_b64 s[0:1], -1
                                        ; implicit-def: $vgpr14
.LBB71_1299:
	s_andn2_b64 vcc, exec, s[0:1]
	s_cbranch_vccnz .LBB71_1301
; %bb.1300:
	global_load_dword v14, v[12:13], off
.LBB71_1301:
	s_mov_b64 s[0:1], 0
.LBB71_1302:
	s_andn2_b64 vcc, exec, s[0:1]
	s_cbranch_vccnz .LBB71_1304
; %bb.1303:
	global_load_ushort v14, v[12:13], off
.LBB71_1304:
	s_cbranch_execnz .LBB71_1310
.LBB71_1305:
	s_cmp_gt_i32 s4, 0
	s_cbranch_scc0 .LBB71_1307
; %bb.1306:
	global_load_sbyte v14, v[12:13], off
	s_mov_b64 s[0:1], 0
	s_branch .LBB71_1308
.LBB71_1307:
	s_mov_b64 s[0:1], -1
                                        ; implicit-def: $vgpr14
.LBB71_1308:
	s_andn2_b64 vcc, exec, s[0:1]
	s_cbranch_vccnz .LBB71_1310
; %bb.1309:
	global_load_ubyte v14, v[12:13], off
.LBB71_1310:
.LBB71_1311:
	s_load_dwordx2 s[0:1], s[34:35], 0x158
	s_mov_b64 s[6:7], 0
	s_waitcnt lgkmcnt(0)
	s_cmp_lt_i32 s0, 1
	s_cbranch_scc1 .LBB71_1315
; %bb.1312:
	s_cmp_gt_i32 s0, 1
	s_cbranch_scc0 .LBB71_1316
; %bb.1313:
	s_cmp_eq_u32 s0, 2
	s_cbranch_scc0 .LBB71_1317
; %bb.1314:
	s_waitcnt vmcnt(0)
	v_cmp_ge_i16_e64 s[4:5], s1, v14
	s_mov_b64 s[12:13], 0
	s_branch .LBB71_1318
.LBB71_1315:
                                        ; implicit-def: $sgpr4_sgpr5
	s_mov_b64 s[12:13], 0
	s_cbranch_execnz .LBB71_1321
	s_branch .LBB71_1322
.LBB71_1316:
	s_mov_b64 s[12:13], 0
                                        ; implicit-def: $sgpr4_sgpr5
	s_cbranch_execnz .LBB71_1319
	s_branch .LBB71_1320
.LBB71_1317:
	s_mov_b64 s[12:13], -1
                                        ; implicit-def: $sgpr4_sgpr5
.LBB71_1318:
	s_branch .LBB71_1320
.LBB71_1319:
	s_waitcnt vmcnt(0)
	v_cmp_lt_i16_e32 vcc, s1, v14
	s_andn2_b64 s[4:5], s[4:5], exec
	s_and_b64 s[14:15], vcc, exec
	s_or_b64 s[4:5], s[4:5], s[14:15]
.LBB71_1320:
	s_branch .LBB71_1322
.LBB71_1321:
	s_cmp_lg_u32 s0, 0
	s_mov_b64 s[6:7], -1
	s_cselect_b64 s[12:13], -1, 0
.LBB71_1322:
	s_andn2_b64 vcc, exec, s[12:13]
	s_cbranch_vccnz .LBB71_1324
; %bb.1323:
	s_waitcnt vmcnt(0)
	v_cmp_gt_i16_e32 vcc, s1, v14
	s_andn2_b64 s[4:5], s[4:5], exec
	s_and_b64 s[12:13], vcc, exec
	s_or_b64 s[4:5], s[4:5], s[12:13]
	s_cbranch_execz .LBB71_1325
	s_branch .LBB71_1326
.LBB71_1324:
	s_andn2_b64 vcc, exec, s[6:7]
	s_cbranch_vccnz .LBB71_1326
.LBB71_1325:
	s_waitcnt vmcnt(0)
	v_cmp_le_i16_e32 vcc, s1, v14
	s_andn2_b64 s[4:5], s[4:5], exec
	s_and_b64 s[6:7], vcc, exec
	s_or_b64 s[4:5], s[4:5], s[6:7]
.LBB71_1326:
	s_lshr_b32 s6, s16, 8
	v_mov_b32_e32 v1, s11
	s_and_b32 s20, s6, 0xff
	v_add_co_u32_e32 v10, vcc, s10, v11
	s_cmp_lt_i32 s20, 11
	v_addc_co_u32_e32 v11, vcc, 0, v1, vcc
	s_cbranch_scc1 .LBB71_1333
; %bb.1327:
	s_and_b32 s18, 0xffff, s20
	s_cmp_gt_i32 s18, 25
	s_mov_b64 s[12:13], 0
	s_cbranch_scc0 .LBB71_1335
; %bb.1328:
	s_cmp_gt_i32 s18, 28
	s_cbranch_scc0 .LBB71_1336
; %bb.1329:
	s_cmp_gt_i32 s18, 43
	;; [unrolled: 3-line block ×3, first 2 shown]
	s_cbranch_scc0 .LBB71_1339
; %bb.1331:
	s_cmp_eq_u32 s18, 46
	s_mov_b64 s[16:17], 0
	s_cbranch_scc0 .LBB71_1342
; %bb.1332:
	global_load_dword v1, v[10:11], off
	s_mov_b64 s[6:7], 0
	s_mov_b64 s[14:15], -1
	s_waitcnt vmcnt(0)
	v_lshlrev_b32_e32 v1, 16, v1
	v_cvt_i32_f32_e32 v12, v1
	s_branch .LBB71_1343
.LBB71_1333:
	s_mov_b64 s[14:15], 0
                                        ; implicit-def: $vgpr12
	s_cbranch_execnz .LBB71_1404
.LBB71_1334:
	s_andn2_b64 vcc, exec, s[14:15]
	s_cbranch_vccnz .LBB71_1738
	s_branch .LBB71_1451
.LBB71_1335:
	s_mov_b64 s[14:15], 0
	s_mov_b64 s[6:7], 0
                                        ; implicit-def: $vgpr12
	s_cbranch_execnz .LBB71_1370
	s_branch .LBB71_1400
.LBB71_1336:
	s_mov_b64 s[16:17], -1
	s_mov_b64 s[14:15], 0
	s_mov_b64 s[6:7], 0
                                        ; implicit-def: $vgpr12
	s_branch .LBB71_1353
.LBB71_1337:
	s_mov_b64 s[16:17], -1
	s_mov_b64 s[14:15], 0
	s_mov_b64 s[6:7], 0
                                        ; implicit-def: $vgpr12
	s_branch .LBB71_1348
.LBB71_1338:
	s_or_b64 s[2:3], s[28:29], exec
	s_trap 2
	s_cbranch_execz .LBB71_1264
	s_branch .LBB71_1265
.LBB71_1339:
	s_mov_b64 s[16:17], -1
	s_mov_b64 s[14:15], 0
	s_mov_b64 s[6:7], 0
                                        ; implicit-def: $vgpr12
	s_branch .LBB71_1343
.LBB71_1340:
	s_andn2_saveexec_b64 s[18:19], s[18:19]
	s_cbranch_execz .LBB71_1059
.LBB71_1341:
	v_add_f32_e32 v0, 0x42800000, v3
	v_and_b32_e32 v0, 0xff, v0
	v_cmp_ne_u32_e32 vcc, 0, v0
	s_andn2_b64 s[16:17], s[16:17], exec
	s_and_b64 s[22:23], vcc, exec
	s_or_b64 s[16:17], s[16:17], s[22:23]
	s_or_b64 exec, exec, s[18:19]
	v_mov_b32_e32 v4, 0
	s_and_saveexec_b64 s[18:19], s[16:17]
	s_cbranch_execnz .LBB71_1060
	s_branch .LBB71_1061
.LBB71_1342:
	s_mov_b64 s[6:7], -1
                                        ; implicit-def: $vgpr12
	s_mov_b64 s[14:15], 0
.LBB71_1343:
	s_and_b64 vcc, exec, s[16:17]
	s_cbranch_vccz .LBB71_1347
; %bb.1344:
	s_cmp_eq_u32 s18, 44
	s_cbranch_scc0 .LBB71_1346
; %bb.1345:
	global_load_ubyte v1, v[10:11], off
	s_mov_b64 s[6:7], 0
	s_mov_b64 s[14:15], -1
	s_waitcnt vmcnt(0)
	v_lshlrev_b32_e32 v3, 23, v1
	v_cvt_i32_f32_e32 v3, v3
	v_cmp_ne_u32_e32 vcc, 0, v1
	v_cndmask_b32_e32 v12, 0, v3, vcc
	s_branch .LBB71_1347
.LBB71_1346:
	s_mov_b64 s[6:7], -1
                                        ; implicit-def: $vgpr12
.LBB71_1347:
	s_mov_b64 s[16:17], 0
.LBB71_1348:
	s_and_b64 vcc, exec, s[16:17]
	s_cbranch_vccz .LBB71_1352
; %bb.1349:
	s_cmp_eq_u32 s18, 29
	s_cbranch_scc0 .LBB71_1351
; %bb.1350:
	global_load_dwordx2 v[12:13], v[10:11], off
	s_mov_b64 s[6:7], 0
	s_mov_b64 s[14:15], -1
	s_branch .LBB71_1352
.LBB71_1351:
	s_mov_b64 s[6:7], -1
                                        ; implicit-def: $vgpr12
.LBB71_1352:
	s_mov_b64 s[16:17], 0
.LBB71_1353:
	s_and_b64 vcc, exec, s[16:17]
	s_cbranch_vccz .LBB71_1369
; %bb.1354:
	s_cmp_lt_i32 s18, 27
	s_cbranch_scc1 .LBB71_1357
; %bb.1355:
	s_cmp_gt_i32 s18, 27
	s_cbranch_scc0 .LBB71_1358
; %bb.1356:
	global_load_dword v12, v[10:11], off
	s_mov_b64 s[14:15], 0
	s_branch .LBB71_1359
.LBB71_1357:
	s_mov_b64 s[14:15], -1
                                        ; implicit-def: $vgpr12
	s_branch .LBB71_1362
.LBB71_1358:
	s_mov_b64 s[14:15], -1
                                        ; implicit-def: $vgpr12
.LBB71_1359:
	s_andn2_b64 vcc, exec, s[14:15]
	s_cbranch_vccnz .LBB71_1361
; %bb.1360:
	global_load_ushort v12, v[10:11], off
.LBB71_1361:
	s_mov_b64 s[14:15], 0
.LBB71_1362:
	s_andn2_b64 vcc, exec, s[14:15]
	s_cbranch_vccnz .LBB71_1368
; %bb.1363:
	global_load_ubyte v1, v[10:11], off
	s_movk_i32 s14, 0x7f
	s_mov_b64 s[16:17], 0
	s_waitcnt vmcnt(0)
	v_cmp_lt_i16_e32 vcc, s14, v1
	s_and_saveexec_b64 s[14:15], vcc
	s_xor_b64 s[14:15], exec, s[14:15]
	s_cbranch_execz .LBB71_1379
; %bb.1364:
	s_movk_i32 s16, 0x80
	v_cmp_ne_u16_e32 vcc, s16, v1
	s_and_b64 s[16:17], vcc, exec
	s_andn2_saveexec_b64 s[14:15], s[14:15]
	s_cbranch_execnz .LBB71_1380
.LBB71_1365:
	s_or_b64 exec, exec, s[14:15]
	v_mov_b32_e32 v12, 0
	s_and_saveexec_b64 s[14:15], s[16:17]
	s_cbranch_execz .LBB71_1367
.LBB71_1366:
	v_lshlrev_b32_e32 v3, 24, v1
	v_and_b32_e32 v1, 0xffff, v1
	v_and_b32_e32 v5, 7, v1
	v_ffbh_u32_e32 v12, v5
	v_min_u32_e32 v12, 32, v12
	v_subrev_u32_e32 v13, 28, v12
	v_bfe_u32 v8, v1, 3, 4
	v_lshlrev_b32_e32 v1, v13, v1
	v_sub_u32_e32 v12, 29, v12
	v_and_b32_e32 v1, 7, v1
	v_cmp_eq_u32_e32 vcc, 0, v8
	v_cndmask_b32_e32 v8, v8, v12, vcc
	v_cndmask_b32_e32 v1, v5, v1, vcc
	v_mov_b32_e32 v5, 0x3b800000
	v_lshlrev_b32_e32 v1, 20, v1
	v_and_b32_e32 v3, 0x80000000, v3
	v_lshl_add_u32 v5, v8, 23, v5
	v_or3_b32 v1, v3, v5, v1
	v_cvt_i32_f32_e32 v12, v1
.LBB71_1367:
	s_or_b64 exec, exec, s[14:15]
.LBB71_1368:
	s_mov_b64 s[14:15], -1
.LBB71_1369:
	s_branch .LBB71_1400
.LBB71_1370:
	s_cmp_gt_i32 s18, 22
	s_cbranch_scc0 .LBB71_1378
; %bb.1371:
	s_cmp_lt_i32 s18, 24
	s_cbranch_scc1 .LBB71_1381
; %bb.1372:
	s_cmp_gt_i32 s18, 24
	s_cbranch_scc0 .LBB71_1382
; %bb.1373:
	global_load_ubyte v1, v[10:11], off
	s_movk_i32 s12, 0x7f
	s_mov_b64 s[14:15], 0
	s_waitcnt vmcnt(0)
	v_cmp_lt_i16_e32 vcc, s12, v1
	s_and_saveexec_b64 s[12:13], vcc
	s_xor_b64 s[12:13], exec, s[12:13]
	s_cbranch_execz .LBB71_1394
; %bb.1374:
	s_movk_i32 s14, 0x80
	v_cmp_ne_u16_e32 vcc, s14, v1
	s_and_b64 s[14:15], vcc, exec
	s_andn2_saveexec_b64 s[12:13], s[12:13]
	s_cbranch_execnz .LBB71_1395
.LBB71_1375:
	s_or_b64 exec, exec, s[12:13]
	v_mov_b32_e32 v12, 0
	s_and_saveexec_b64 s[12:13], s[14:15]
	s_cbranch_execz .LBB71_1377
.LBB71_1376:
	v_lshlrev_b32_e32 v3, 24, v1
	v_and_b32_e32 v1, 0xffff, v1
	v_and_b32_e32 v5, 3, v1
	v_ffbh_u32_e32 v12, v5
	v_min_u32_e32 v12, 32, v12
	v_subrev_u32_e32 v13, 29, v12
	v_bfe_u32 v8, v1, 2, 5
	v_lshlrev_b32_e32 v1, v13, v1
	v_sub_u32_e32 v12, 30, v12
	v_and_b32_e32 v1, 3, v1
	v_cmp_eq_u32_e32 vcc, 0, v8
	v_cndmask_b32_e32 v8, v8, v12, vcc
	v_cndmask_b32_e32 v1, v5, v1, vcc
	v_mov_b32_e32 v5, 0x37800000
	v_lshlrev_b32_e32 v1, 21, v1
	v_and_b32_e32 v3, 0x80000000, v3
	v_lshl_add_u32 v5, v8, 23, v5
	v_or3_b32 v1, v3, v5, v1
	v_cvt_i32_f32_e32 v12, v1
.LBB71_1377:
	s_or_b64 exec, exec, s[12:13]
	s_mov_b64 s[12:13], 0
	s_branch .LBB71_1383
.LBB71_1378:
	s_mov_b64 s[12:13], -1
                                        ; implicit-def: $vgpr12
	s_branch .LBB71_1389
.LBB71_1379:
	s_andn2_saveexec_b64 s[14:15], s[14:15]
	s_cbranch_execz .LBB71_1365
.LBB71_1380:
	v_cmp_ne_u16_e32 vcc, 0, v1
	s_andn2_b64 s[16:17], s[16:17], exec
	s_and_b64 s[22:23], vcc, exec
	s_or_b64 s[16:17], s[16:17], s[22:23]
	s_or_b64 exec, exec, s[14:15]
	v_mov_b32_e32 v12, 0
	s_and_saveexec_b64 s[14:15], s[16:17]
	s_cbranch_execnz .LBB71_1366
	s_branch .LBB71_1367
.LBB71_1381:
	s_mov_b64 s[12:13], -1
                                        ; implicit-def: $vgpr12
	s_branch .LBB71_1386
.LBB71_1382:
	s_mov_b64 s[12:13], -1
                                        ; implicit-def: $vgpr12
.LBB71_1383:
	s_and_b64 vcc, exec, s[12:13]
	s_cbranch_vccz .LBB71_1385
; %bb.1384:
	global_load_ubyte v1, v[10:11], off
	s_mov_b32 s12, 0x7f800000
	s_waitcnt vmcnt(0)
	v_lshlrev_b32_e32 v1, 24, v1
	v_and_b32_e32 v3, 0x7f000000, v1
	v_ffbh_u32_e32 v5, v3
	v_min_u32_e32 v5, 32, v5
	v_sub_u32_e64 v5, v5, 4 clamp
	v_lshlrev_b32_e32 v12, v5, v3
	v_lshlrev_b32_e32 v5, 23, v5
	v_lshrrev_b32_e32 v12, 4, v12
	v_add_u32_e32 v8, 0x1000000, v3
	v_sub_u32_e32 v5, v12, v5
	v_ashrrev_i32_e32 v8, 8, v8
	v_add_u32_e32 v5, 0x3c000000, v5
	v_and_or_b32 v5, v8, s12, v5
	v_cmp_ne_u32_e32 vcc, 0, v3
	v_cndmask_b32_e32 v3, 0, v5, vcc
	s_brev_b32 s12, 1
	v_and_or_b32 v1, v1, s12, v3
	v_cvt_i32_f32_e32 v12, v1
.LBB71_1385:
	s_mov_b64 s[12:13], 0
.LBB71_1386:
	s_andn2_b64 vcc, exec, s[12:13]
	s_cbranch_vccnz .LBB71_1388
; %bb.1387:
	global_load_ubyte v1, v[10:11], off
	s_movk_i32 s12, 0x7f00
	s_brev_b32 s13, 16
	s_waitcnt vmcnt(0)
	v_lshlrev_b16_e32 v3, 8, v1
	v_lshlrev_b32_e32 v1, 25, v1
	v_lshrrev_b32_e32 v5, 4, v1
	v_and_or_b32 v8, v3, s12, 0.5
	v_or_b32_e32 v5, 0x70000000, v5
	v_add_f32_e32 v8, -0.5, v8
	v_mul_f32_e32 v5, 0x7800000, v5
	v_cmp_gt_u32_e32 vcc, s13, v1
	v_bfe_i32 v3, v3, 0, 16
	v_cndmask_b32_e32 v1, v5, v8, vcc
	s_brev_b32 s12, 1
	v_and_or_b32 v1, v3, s12, v1
	v_cvt_i32_f32_e32 v12, v1
.LBB71_1388:
	s_mov_b64 s[12:13], 0
	s_mov_b64 s[14:15], -1
.LBB71_1389:
	s_andn2_b64 vcc, exec, s[12:13]
	s_mov_b64 s[12:13], 0
	s_cbranch_vccnz .LBB71_1400
; %bb.1390:
	s_cmp_gt_i32 s18, 14
	s_cbranch_scc0 .LBB71_1393
; %bb.1391:
	s_cmp_eq_u32 s18, 15
	s_cbranch_scc0 .LBB71_1396
; %bb.1392:
	global_load_ushort v1, v[10:11], off
	s_mov_b64 s[6:7], 0
	s_mov_b64 s[14:15], -1
	s_waitcnt vmcnt(0)
	v_lshlrev_b32_e32 v1, 16, v1
	v_cvt_i32_f32_e32 v12, v1
	s_branch .LBB71_1397
.LBB71_1393:
	s_mov_b64 s[16:17], -1
                                        ; implicit-def: $vgpr12
	s_branch .LBB71_1398
.LBB71_1394:
	s_andn2_saveexec_b64 s[12:13], s[12:13]
	s_cbranch_execz .LBB71_1375
.LBB71_1395:
	v_cmp_ne_u16_e32 vcc, 0, v1
	s_andn2_b64 s[14:15], s[14:15], exec
	s_and_b64 s[16:17], vcc, exec
	s_or_b64 s[14:15], s[14:15], s[16:17]
	s_or_b64 exec, exec, s[12:13]
	v_mov_b32_e32 v12, 0
	s_and_saveexec_b64 s[12:13], s[14:15]
	s_cbranch_execnz .LBB71_1376
	s_branch .LBB71_1377
.LBB71_1396:
	s_mov_b64 s[6:7], -1
                                        ; implicit-def: $vgpr12
.LBB71_1397:
	s_mov_b64 s[16:17], 0
.LBB71_1398:
	s_and_b64 vcc, exec, s[16:17]
	s_cbranch_vccz .LBB71_1400
; %bb.1399:
	s_cmp_lg_u32 s18, 11
	s_mov_b64 s[12:13], -1
	s_cselect_b64 s[6:7], -1, 0
.LBB71_1400:
	s_and_b64 vcc, exec, s[6:7]
	s_cbranch_vccnz .LBB71_1479
; %bb.1401:
	s_andn2_b64 vcc, exec, s[12:13]
	s_cbranch_vccnz .LBB71_1403
.LBB71_1402:
	global_load_ubyte v1, v[10:11], off
	s_mov_b64 s[14:15], -1
	s_waitcnt vmcnt(0)
	v_cmp_ne_u16_e32 vcc, 0, v1
	v_cndmask_b32_e64 v12, 0, 1, vcc
.LBB71_1403:
	s_branch .LBB71_1334
.LBB71_1404:
	s_and_b32 s12, 0xffff, s20
	s_cmp_lt_i32 s12, 5
	s_cbranch_scc1 .LBB71_1409
; %bb.1405:
	s_cmp_lt_i32 s12, 8
	s_cbranch_scc1 .LBB71_1410
; %bb.1406:
	;; [unrolled: 3-line block ×3, first 2 shown]
	s_cmp_gt_i32 s12, 9
	s_cbranch_scc0 .LBB71_1412
; %bb.1408:
	global_load_dwordx2 v[12:13], v[10:11], off
	s_mov_b64 s[6:7], 0
	s_waitcnt vmcnt(0)
	v_cvt_i32_f64_e32 v12, v[12:13]
	s_branch .LBB71_1413
.LBB71_1409:
                                        ; implicit-def: $vgpr12
	s_branch .LBB71_1431
.LBB71_1410:
	s_mov_b64 s[6:7], -1
                                        ; implicit-def: $vgpr12
	s_branch .LBB71_1419
.LBB71_1411:
	s_mov_b64 s[6:7], -1
                                        ; implicit-def: $vgpr12
	s_branch .LBB71_1416
.LBB71_1412:
	s_mov_b64 s[6:7], -1
                                        ; implicit-def: $vgpr12
.LBB71_1413:
	s_andn2_b64 vcc, exec, s[6:7]
	s_cbranch_vccnz .LBB71_1415
; %bb.1414:
	global_load_dword v1, v[10:11], off
	s_waitcnt vmcnt(0)
	v_cvt_i32_f32_e32 v12, v1
.LBB71_1415:
	s_mov_b64 s[6:7], 0
.LBB71_1416:
	s_andn2_b64 vcc, exec, s[6:7]
	s_cbranch_vccnz .LBB71_1418
; %bb.1417:
	global_load_dword v1, v[10:11], off
	s_waitcnt vmcnt(0)
	v_cvt_i16_f16_e32 v12, v1
.LBB71_1418:
	s_mov_b64 s[6:7], 0
.LBB71_1419:
	s_andn2_b64 vcc, exec, s[6:7]
	s_cbranch_vccnz .LBB71_1430
; %bb.1420:
	s_cmp_lt_i32 s12, 6
	s_cbranch_scc1 .LBB71_1423
; %bb.1421:
	s_cmp_gt_i32 s12, 6
	s_cbranch_scc0 .LBB71_1424
; %bb.1422:
	global_load_dwordx2 v[12:13], v[10:11], off
	s_mov_b64 s[6:7], 0
	s_waitcnt vmcnt(0)
	v_cvt_i32_f64_e32 v12, v[12:13]
	s_branch .LBB71_1425
.LBB71_1423:
	s_mov_b64 s[6:7], -1
                                        ; implicit-def: $vgpr12
	s_branch .LBB71_1428
.LBB71_1424:
	s_mov_b64 s[6:7], -1
                                        ; implicit-def: $vgpr12
.LBB71_1425:
	s_andn2_b64 vcc, exec, s[6:7]
	s_cbranch_vccnz .LBB71_1427
; %bb.1426:
	global_load_dword v1, v[10:11], off
	s_waitcnt vmcnt(0)
	v_cvt_i32_f32_e32 v12, v1
.LBB71_1427:
	s_mov_b64 s[6:7], 0
.LBB71_1428:
	s_andn2_b64 vcc, exec, s[6:7]
	s_cbranch_vccnz .LBB71_1430
; %bb.1429:
	global_load_ushort v1, v[10:11], off
	s_waitcnt vmcnt(0)
	v_cvt_i16_f16_e32 v12, v1
.LBB71_1430:
	s_cbranch_execnz .LBB71_1450
.LBB71_1431:
	s_cmp_lt_i32 s12, 2
	s_cbranch_scc1 .LBB71_1435
; %bb.1432:
	s_cmp_lt_i32 s12, 3
	s_cbranch_scc1 .LBB71_1436
; %bb.1433:
	s_cmp_gt_i32 s12, 3
	s_cbranch_scc0 .LBB71_1437
; %bb.1434:
	global_load_dwordx2 v[12:13], v[10:11], off
	s_mov_b64 s[6:7], 0
	s_branch .LBB71_1438
.LBB71_1435:
	s_mov_b64 s[6:7], -1
                                        ; implicit-def: $vgpr12
	s_branch .LBB71_1444
.LBB71_1436:
	s_mov_b64 s[6:7], -1
                                        ; implicit-def: $vgpr12
	s_branch .LBB71_1441
.LBB71_1437:
	s_mov_b64 s[6:7], -1
                                        ; implicit-def: $vgpr12
.LBB71_1438:
	s_andn2_b64 vcc, exec, s[6:7]
	s_cbranch_vccnz .LBB71_1440
; %bb.1439:
	global_load_dword v12, v[10:11], off
.LBB71_1440:
	s_mov_b64 s[6:7], 0
.LBB71_1441:
	s_andn2_b64 vcc, exec, s[6:7]
	s_cbranch_vccnz .LBB71_1443
; %bb.1442:
	global_load_ushort v12, v[10:11], off
.LBB71_1443:
	s_mov_b64 s[6:7], 0
.LBB71_1444:
	s_andn2_b64 vcc, exec, s[6:7]
	s_cbranch_vccnz .LBB71_1450
; %bb.1445:
	s_cmp_gt_i32 s12, 0
	s_cbranch_scc0 .LBB71_1447
; %bb.1446:
	global_load_sbyte v12, v[10:11], off
	s_mov_b64 s[6:7], 0
	s_branch .LBB71_1448
.LBB71_1447:
	s_mov_b64 s[6:7], -1
                                        ; implicit-def: $vgpr12
.LBB71_1448:
	s_andn2_b64 vcc, exec, s[6:7]
	s_cbranch_vccnz .LBB71_1450
; %bb.1449:
	global_load_ubyte v12, v[10:11], off
.LBB71_1450:
.LBB71_1451:
	s_cmp_lt_i32 s0, 1
	s_mov_b64 s[12:13], 0
	s_cbranch_scc1 .LBB71_1455
; %bb.1452:
	s_cmp_gt_i32 s0, 1
	s_cbranch_scc0 .LBB71_1456
; %bb.1453:
	s_cmp_eq_u32 s0, 2
	s_cbranch_scc0 .LBB71_1457
; %bb.1454:
	s_waitcnt vmcnt(0)
	v_cmp_ge_i16_e64 s[6:7], s1, v12
	s_mov_b64 s[14:15], 0
	s_branch .LBB71_1458
.LBB71_1455:
                                        ; implicit-def: $sgpr6_sgpr7
	s_mov_b64 s[14:15], 0
	s_cbranch_execnz .LBB71_1462
	s_branch .LBB71_1463
.LBB71_1456:
	s_mov_b64 s[16:17], -1
	s_mov_b64 s[14:15], 0
                                        ; implicit-def: $sgpr6_sgpr7
	s_branch .LBB71_1459
.LBB71_1457:
	s_mov_b64 s[14:15], -1
                                        ; implicit-def: $sgpr6_sgpr7
.LBB71_1458:
	s_mov_b64 s[16:17], 0
.LBB71_1459:
	s_and_b64 vcc, exec, s[16:17]
	s_cbranch_vccz .LBB71_1461
; %bb.1460:
	s_waitcnt vmcnt(0)
	v_cmp_lt_i16_e32 vcc, s1, v12
	s_andn2_b64 s[6:7], s[6:7], exec
	s_and_b64 s[16:17], vcc, exec
	s_or_b64 s[6:7], s[6:7], s[16:17]
.LBB71_1461:
	s_branch .LBB71_1463
.LBB71_1462:
	s_cmp_lg_u32 s0, 0
	s_mov_b64 s[12:13], -1
	s_cselect_b64 s[14:15], -1, 0
.LBB71_1463:
	s_andn2_b64 vcc, exec, s[14:15]
	s_cbranch_vccnz .LBB71_1465
; %bb.1464:
	s_waitcnt vmcnt(0)
	v_cmp_gt_i16_e32 vcc, s1, v12
	s_andn2_b64 s[6:7], s[6:7], exec
	s_and_b64 s[14:15], vcc, exec
	s_or_b64 s[6:7], s[6:7], s[14:15]
	s_cbranch_execz .LBB71_1466
	s_branch .LBB71_1467
.LBB71_1465:
	s_andn2_b64 vcc, exec, s[12:13]
	s_cbranch_vccnz .LBB71_1467
.LBB71_1466:
	s_waitcnt vmcnt(0)
	v_cmp_le_i16_e32 vcc, s1, v12
	s_andn2_b64 s[6:7], s[6:7], exec
	s_and_b64 s[12:13], vcc, exec
	s_or_b64 s[6:7], s[6:7], s[12:13]
.LBB71_1467:
	v_mov_b32_e32 v1, s11
	v_add_co_u32_e32 v8, vcc, s10, v9
	s_cmp_lt_i32 s20, 11
	v_addc_co_u32_e32 v9, vcc, 0, v1, vcc
	s_cbranch_scc1 .LBB71_1474
; %bb.1468:
	s_and_b32 s21, 0xffff, s20
	s_cmp_gt_i32 s21, 25
	s_mov_b64 s[14:15], 0
	s_cbranch_scc0 .LBB71_1476
; %bb.1469:
	s_cmp_gt_i32 s21, 28
	s_cbranch_scc0 .LBB71_1477
; %bb.1470:
	s_cmp_gt_i32 s21, 43
	;; [unrolled: 3-line block ×3, first 2 shown]
	s_cbranch_scc0 .LBB71_1480
; %bb.1472:
	s_cmp_eq_u32 s21, 46
	s_mov_b64 s[18:19], 0
	s_cbranch_scc0 .LBB71_1481
; %bb.1473:
	global_load_dword v1, v[8:9], off
	s_mov_b64 s[12:13], 0
	s_mov_b64 s[16:17], -1
	s_waitcnt vmcnt(0)
	v_lshlrev_b32_e32 v1, 16, v1
	v_cvt_i32_f32_e32 v10, v1
	s_branch .LBB71_1482
.LBB71_1474:
	s_mov_b64 s[16:17], 0
                                        ; implicit-def: $vgpr10
	s_cbranch_execnz .LBB71_1544
.LBB71_1475:
	s_andn2_b64 vcc, exec, s[16:17]
	s_cbranch_vccnz .LBB71_1738
	s_branch .LBB71_1592
.LBB71_1476:
	s_mov_b64 s[18:19], -1
	s_mov_b64 s[16:17], 0
	s_mov_b64 s[12:13], 0
                                        ; implicit-def: $vgpr10
	s_branch .LBB71_1509
.LBB71_1477:
	s_mov_b64 s[18:19], -1
	s_mov_b64 s[16:17], 0
	s_mov_b64 s[12:13], 0
                                        ; implicit-def: $vgpr10
	s_branch .LBB71_1492
.LBB71_1478:
	s_mov_b64 s[18:19], -1
	s_mov_b64 s[16:17], 0
	s_mov_b64 s[12:13], 0
                                        ; implicit-def: $vgpr10
	s_branch .LBB71_1487
.LBB71_1479:
	s_trap 2
	s_or_b64 s[2:3], s[2:3], exec
	s_cbranch_execz .LBB71_1402
	s_branch .LBB71_1403
.LBB71_1480:
	s_mov_b64 s[18:19], -1
	s_mov_b64 s[16:17], 0
	s_mov_b64 s[12:13], 0
                                        ; implicit-def: $vgpr10
	s_branch .LBB71_1482
.LBB71_1481:
	s_mov_b64 s[12:13], -1
                                        ; implicit-def: $vgpr10
	s_mov_b64 s[16:17], 0
.LBB71_1482:
	s_and_b64 vcc, exec, s[18:19]
	s_cbranch_vccz .LBB71_1486
; %bb.1483:
	s_cmp_eq_u32 s21, 44
	s_cbranch_scc0 .LBB71_1485
; %bb.1484:
	global_load_ubyte v1, v[8:9], off
	s_mov_b64 s[12:13], 0
	s_mov_b64 s[16:17], -1
	s_waitcnt vmcnt(0)
	v_lshlrev_b32_e32 v3, 23, v1
	v_cvt_i32_f32_e32 v3, v3
	v_cmp_ne_u32_e32 vcc, 0, v1
	v_cndmask_b32_e32 v10, 0, v3, vcc
	s_branch .LBB71_1486
.LBB71_1485:
	s_mov_b64 s[12:13], -1
                                        ; implicit-def: $vgpr10
.LBB71_1486:
	s_mov_b64 s[18:19], 0
.LBB71_1487:
	s_and_b64 vcc, exec, s[18:19]
	s_cbranch_vccz .LBB71_1491
; %bb.1488:
	s_cmp_eq_u32 s21, 29
	s_cbranch_scc0 .LBB71_1490
; %bb.1489:
	global_load_dwordx2 v[10:11], v[8:9], off
	s_mov_b64 s[12:13], 0
	s_mov_b64 s[16:17], -1
	s_branch .LBB71_1491
.LBB71_1490:
	s_mov_b64 s[12:13], -1
                                        ; implicit-def: $vgpr10
.LBB71_1491:
	s_mov_b64 s[18:19], 0
.LBB71_1492:
	s_and_b64 vcc, exec, s[18:19]
	s_cbranch_vccz .LBB71_1508
; %bb.1493:
	s_cmp_lt_i32 s21, 27
	s_cbranch_scc1 .LBB71_1496
; %bb.1494:
	s_cmp_gt_i32 s21, 27
	s_cbranch_scc0 .LBB71_1497
; %bb.1495:
	global_load_dword v10, v[8:9], off
	s_mov_b64 s[16:17], 0
	s_branch .LBB71_1498
.LBB71_1496:
	s_mov_b64 s[16:17], -1
                                        ; implicit-def: $vgpr10
	s_branch .LBB71_1501
.LBB71_1497:
	s_mov_b64 s[16:17], -1
                                        ; implicit-def: $vgpr10
.LBB71_1498:
	s_andn2_b64 vcc, exec, s[16:17]
	s_cbranch_vccnz .LBB71_1500
; %bb.1499:
	global_load_ushort v10, v[8:9], off
.LBB71_1500:
	s_mov_b64 s[16:17], 0
.LBB71_1501:
	s_andn2_b64 vcc, exec, s[16:17]
	s_cbranch_vccnz .LBB71_1507
; %bb.1502:
	global_load_ubyte v1, v[8:9], off
	s_movk_i32 s16, 0x7f
	s_mov_b64 s[18:19], 0
	s_waitcnt vmcnt(0)
	v_cmp_lt_i16_e32 vcc, s16, v1
	s_and_saveexec_b64 s[16:17], vcc
	s_xor_b64 s[16:17], exec, s[16:17]
	s_cbranch_execz .LBB71_1519
; %bb.1503:
	s_movk_i32 s18, 0x80
	v_cmp_ne_u16_e32 vcc, s18, v1
	s_and_b64 s[18:19], vcc, exec
	s_andn2_saveexec_b64 s[16:17], s[16:17]
	s_cbranch_execnz .LBB71_1520
.LBB71_1504:
	s_or_b64 exec, exec, s[16:17]
	v_mov_b32_e32 v10, 0
	s_and_saveexec_b64 s[16:17], s[18:19]
	s_cbranch_execz .LBB71_1506
.LBB71_1505:
	v_lshlrev_b32_e32 v3, 24, v1
	v_and_b32_e32 v1, 0xffff, v1
	v_and_b32_e32 v5, 7, v1
	v_ffbh_u32_e32 v11, v5
	v_min_u32_e32 v11, 32, v11
	v_subrev_u32_e32 v12, 28, v11
	v_bfe_u32 v10, v1, 3, 4
	v_lshlrev_b32_e32 v1, v12, v1
	v_sub_u32_e32 v11, 29, v11
	v_and_b32_e32 v1, 7, v1
	v_cmp_eq_u32_e32 vcc, 0, v10
	v_cndmask_b32_e32 v10, v10, v11, vcc
	v_cndmask_b32_e32 v1, v5, v1, vcc
	v_mov_b32_e32 v5, 0x3b800000
	v_lshlrev_b32_e32 v1, 20, v1
	v_and_b32_e32 v3, 0x80000000, v3
	v_lshl_add_u32 v5, v10, 23, v5
	v_or3_b32 v1, v3, v5, v1
	v_cvt_i32_f32_e32 v10, v1
.LBB71_1506:
	s_or_b64 exec, exec, s[16:17]
.LBB71_1507:
	s_mov_b64 s[16:17], -1
.LBB71_1508:
	s_mov_b64 s[18:19], 0
.LBB71_1509:
	s_and_b64 vcc, exec, s[18:19]
	s_cbranch_vccz .LBB71_1540
; %bb.1510:
	s_cmp_gt_i32 s21, 22
	s_cbranch_scc0 .LBB71_1518
; %bb.1511:
	s_cmp_lt_i32 s21, 24
	s_cbranch_scc1 .LBB71_1521
; %bb.1512:
	s_cmp_gt_i32 s21, 24
	s_cbranch_scc0 .LBB71_1522
; %bb.1513:
	global_load_ubyte v1, v[8:9], off
	s_movk_i32 s14, 0x7f
	s_mov_b64 s[16:17], 0
	s_waitcnt vmcnt(0)
	v_cmp_lt_i16_e32 vcc, s14, v1
	s_and_saveexec_b64 s[14:15], vcc
	s_xor_b64 s[14:15], exec, s[14:15]
	s_cbranch_execz .LBB71_1534
; %bb.1514:
	s_movk_i32 s16, 0x80
	v_cmp_ne_u16_e32 vcc, s16, v1
	s_and_b64 s[16:17], vcc, exec
	s_andn2_saveexec_b64 s[14:15], s[14:15]
	s_cbranch_execnz .LBB71_1535
.LBB71_1515:
	s_or_b64 exec, exec, s[14:15]
	v_mov_b32_e32 v10, 0
	s_and_saveexec_b64 s[14:15], s[16:17]
	s_cbranch_execz .LBB71_1517
.LBB71_1516:
	v_lshlrev_b32_e32 v3, 24, v1
	v_and_b32_e32 v1, 0xffff, v1
	v_and_b32_e32 v5, 3, v1
	v_ffbh_u32_e32 v11, v5
	v_min_u32_e32 v11, 32, v11
	v_subrev_u32_e32 v12, 29, v11
	v_bfe_u32 v10, v1, 2, 5
	v_lshlrev_b32_e32 v1, v12, v1
	v_sub_u32_e32 v11, 30, v11
	v_and_b32_e32 v1, 3, v1
	v_cmp_eq_u32_e32 vcc, 0, v10
	v_cndmask_b32_e32 v10, v10, v11, vcc
	v_cndmask_b32_e32 v1, v5, v1, vcc
	v_mov_b32_e32 v5, 0x37800000
	v_lshlrev_b32_e32 v1, 21, v1
	v_and_b32_e32 v3, 0x80000000, v3
	v_lshl_add_u32 v5, v10, 23, v5
	v_or3_b32 v1, v3, v5, v1
	v_cvt_i32_f32_e32 v10, v1
.LBB71_1517:
	s_or_b64 exec, exec, s[14:15]
	s_mov_b64 s[14:15], 0
	s_branch .LBB71_1523
.LBB71_1518:
	s_mov_b64 s[14:15], -1
                                        ; implicit-def: $vgpr10
	s_branch .LBB71_1529
.LBB71_1519:
	s_andn2_saveexec_b64 s[16:17], s[16:17]
	s_cbranch_execz .LBB71_1504
.LBB71_1520:
	v_cmp_ne_u16_e32 vcc, 0, v1
	s_andn2_b64 s[18:19], s[18:19], exec
	s_and_b64 s[22:23], vcc, exec
	s_or_b64 s[18:19], s[18:19], s[22:23]
	s_or_b64 exec, exec, s[16:17]
	v_mov_b32_e32 v10, 0
	s_and_saveexec_b64 s[16:17], s[18:19]
	s_cbranch_execnz .LBB71_1505
	s_branch .LBB71_1506
.LBB71_1521:
	s_mov_b64 s[14:15], -1
                                        ; implicit-def: $vgpr10
	s_branch .LBB71_1526
.LBB71_1522:
	s_mov_b64 s[14:15], -1
                                        ; implicit-def: $vgpr10
.LBB71_1523:
	s_and_b64 vcc, exec, s[14:15]
	s_cbranch_vccz .LBB71_1525
; %bb.1524:
	global_load_ubyte v1, v[8:9], off
	s_mov_b32 s14, 0x7f800000
	s_waitcnt vmcnt(0)
	v_lshlrev_b32_e32 v1, 24, v1
	v_and_b32_e32 v3, 0x7f000000, v1
	v_ffbh_u32_e32 v5, v3
	v_min_u32_e32 v5, 32, v5
	v_sub_u32_e64 v5, v5, 4 clamp
	v_lshlrev_b32_e32 v11, v5, v3
	v_lshlrev_b32_e32 v5, 23, v5
	v_lshrrev_b32_e32 v11, 4, v11
	v_add_u32_e32 v10, 0x1000000, v3
	v_sub_u32_e32 v5, v11, v5
	v_ashrrev_i32_e32 v10, 8, v10
	v_add_u32_e32 v5, 0x3c000000, v5
	v_and_or_b32 v5, v10, s14, v5
	v_cmp_ne_u32_e32 vcc, 0, v3
	v_cndmask_b32_e32 v3, 0, v5, vcc
	s_brev_b32 s14, 1
	v_and_or_b32 v1, v1, s14, v3
	v_cvt_i32_f32_e32 v10, v1
.LBB71_1525:
	s_mov_b64 s[14:15], 0
.LBB71_1526:
	s_andn2_b64 vcc, exec, s[14:15]
	s_cbranch_vccnz .LBB71_1528
; %bb.1527:
	global_load_ubyte v1, v[8:9], off
	s_movk_i32 s14, 0x7f00
	s_brev_b32 s15, 16
	s_waitcnt vmcnt(0)
	v_lshlrev_b16_e32 v3, 8, v1
	v_lshlrev_b32_e32 v1, 25, v1
	v_lshrrev_b32_e32 v5, 4, v1
	v_and_or_b32 v10, v3, s14, 0.5
	v_or_b32_e32 v5, 0x70000000, v5
	v_add_f32_e32 v10, -0.5, v10
	v_mul_f32_e32 v5, 0x7800000, v5
	v_cmp_gt_u32_e32 vcc, s15, v1
	v_bfe_i32 v3, v3, 0, 16
	v_cndmask_b32_e32 v1, v5, v10, vcc
	s_brev_b32 s14, 1
	v_and_or_b32 v1, v3, s14, v1
	v_cvt_i32_f32_e32 v10, v1
.LBB71_1528:
	s_mov_b64 s[14:15], 0
	s_mov_b64 s[16:17], -1
.LBB71_1529:
	s_andn2_b64 vcc, exec, s[14:15]
	s_mov_b64 s[14:15], 0
	s_cbranch_vccnz .LBB71_1540
; %bb.1530:
	s_cmp_gt_i32 s21, 14
	s_cbranch_scc0 .LBB71_1533
; %bb.1531:
	s_cmp_eq_u32 s21, 15
	s_cbranch_scc0 .LBB71_1536
; %bb.1532:
	global_load_ushort v1, v[8:9], off
	s_mov_b64 s[12:13], 0
	s_mov_b64 s[16:17], -1
	s_waitcnt vmcnt(0)
	v_lshlrev_b32_e32 v1, 16, v1
	v_cvt_i32_f32_e32 v10, v1
	s_branch .LBB71_1537
.LBB71_1533:
	s_mov_b64 s[18:19], -1
                                        ; implicit-def: $vgpr10
	s_branch .LBB71_1538
.LBB71_1534:
	s_andn2_saveexec_b64 s[14:15], s[14:15]
	s_cbranch_execz .LBB71_1515
.LBB71_1535:
	v_cmp_ne_u16_e32 vcc, 0, v1
	s_andn2_b64 s[16:17], s[16:17], exec
	s_and_b64 s[18:19], vcc, exec
	s_or_b64 s[16:17], s[16:17], s[18:19]
	s_or_b64 exec, exec, s[14:15]
	v_mov_b32_e32 v10, 0
	s_and_saveexec_b64 s[14:15], s[16:17]
	s_cbranch_execnz .LBB71_1516
	s_branch .LBB71_1517
.LBB71_1536:
	s_mov_b64 s[12:13], -1
                                        ; implicit-def: $vgpr10
.LBB71_1537:
	s_mov_b64 s[18:19], 0
.LBB71_1538:
	s_and_b64 vcc, exec, s[18:19]
	s_cbranch_vccz .LBB71_1540
; %bb.1539:
	s_cmp_lg_u32 s21, 11
	s_mov_b64 s[14:15], -1
	s_cselect_b64 s[12:13], -1, 0
.LBB71_1540:
	s_and_b64 vcc, exec, s[12:13]
	s_cbranch_vccnz .LBB71_1619
; %bb.1541:
	s_andn2_b64 vcc, exec, s[14:15]
	s_cbranch_vccnz .LBB71_1543
.LBB71_1542:
	global_load_ubyte v1, v[8:9], off
	s_mov_b64 s[16:17], -1
	s_waitcnt vmcnt(0)
	v_cmp_ne_u16_e32 vcc, 0, v1
	v_cndmask_b32_e64 v10, 0, 1, vcc
.LBB71_1543:
	s_branch .LBB71_1475
.LBB71_1544:
	s_and_b32 s14, 0xffff, s20
	s_cmp_lt_i32 s14, 5
	s_cbranch_scc1 .LBB71_1549
; %bb.1545:
	s_cmp_lt_i32 s14, 8
	s_cbranch_scc1 .LBB71_1550
; %bb.1546:
	;; [unrolled: 3-line block ×3, first 2 shown]
	s_cmp_gt_i32 s14, 9
	s_cbranch_scc0 .LBB71_1552
; %bb.1548:
	global_load_dwordx2 v[10:11], v[8:9], off
	s_mov_b64 s[12:13], 0
	s_waitcnt vmcnt(0)
	v_cvt_i32_f64_e32 v10, v[10:11]
	s_branch .LBB71_1553
.LBB71_1549:
	s_mov_b64 s[12:13], -1
                                        ; implicit-def: $vgpr10
	s_branch .LBB71_1571
.LBB71_1550:
	s_mov_b64 s[12:13], -1
                                        ; implicit-def: $vgpr10
	s_branch .LBB71_1559
.LBB71_1551:
	s_mov_b64 s[12:13], -1
                                        ; implicit-def: $vgpr10
	s_branch .LBB71_1556
.LBB71_1552:
	s_mov_b64 s[12:13], -1
                                        ; implicit-def: $vgpr10
.LBB71_1553:
	s_andn2_b64 vcc, exec, s[12:13]
	s_cbranch_vccnz .LBB71_1555
; %bb.1554:
	global_load_dword v1, v[8:9], off
	s_waitcnt vmcnt(0)
	v_cvt_i32_f32_e32 v10, v1
.LBB71_1555:
	s_mov_b64 s[12:13], 0
.LBB71_1556:
	s_andn2_b64 vcc, exec, s[12:13]
	s_cbranch_vccnz .LBB71_1558
; %bb.1557:
	global_load_dword v1, v[8:9], off
	s_waitcnt vmcnt(0)
	v_cvt_i16_f16_e32 v10, v1
.LBB71_1558:
	s_mov_b64 s[12:13], 0
.LBB71_1559:
	s_andn2_b64 vcc, exec, s[12:13]
	s_cbranch_vccnz .LBB71_1570
; %bb.1560:
	s_cmp_lt_i32 s14, 6
	s_cbranch_scc1 .LBB71_1563
; %bb.1561:
	s_cmp_gt_i32 s14, 6
	s_cbranch_scc0 .LBB71_1564
; %bb.1562:
	global_load_dwordx2 v[10:11], v[8:9], off
	s_mov_b64 s[12:13], 0
	s_waitcnt vmcnt(0)
	v_cvt_i32_f64_e32 v10, v[10:11]
	s_branch .LBB71_1565
.LBB71_1563:
	s_mov_b64 s[12:13], -1
                                        ; implicit-def: $vgpr10
	s_branch .LBB71_1568
.LBB71_1564:
	s_mov_b64 s[12:13], -1
                                        ; implicit-def: $vgpr10
.LBB71_1565:
	s_andn2_b64 vcc, exec, s[12:13]
	s_cbranch_vccnz .LBB71_1567
; %bb.1566:
	global_load_dword v1, v[8:9], off
	s_waitcnt vmcnt(0)
	v_cvt_i32_f32_e32 v10, v1
.LBB71_1567:
	s_mov_b64 s[12:13], 0
.LBB71_1568:
	s_andn2_b64 vcc, exec, s[12:13]
	s_cbranch_vccnz .LBB71_1570
; %bb.1569:
	global_load_ushort v1, v[8:9], off
	s_waitcnt vmcnt(0)
	v_cvt_i16_f16_e32 v10, v1
.LBB71_1570:
	s_mov_b64 s[12:13], 0
.LBB71_1571:
	s_andn2_b64 vcc, exec, s[12:13]
	s_cbranch_vccnz .LBB71_1591
; %bb.1572:
	s_cmp_lt_i32 s14, 2
	s_cbranch_scc1 .LBB71_1576
; %bb.1573:
	s_cmp_lt_i32 s14, 3
	s_cbranch_scc1 .LBB71_1577
; %bb.1574:
	s_cmp_gt_i32 s14, 3
	s_cbranch_scc0 .LBB71_1578
; %bb.1575:
	global_load_dwordx2 v[10:11], v[8:9], off
	s_mov_b64 s[12:13], 0
	s_branch .LBB71_1579
.LBB71_1576:
	s_mov_b64 s[12:13], -1
                                        ; implicit-def: $vgpr10
	s_branch .LBB71_1585
.LBB71_1577:
	s_mov_b64 s[12:13], -1
                                        ; implicit-def: $vgpr10
	s_branch .LBB71_1582
.LBB71_1578:
	s_mov_b64 s[12:13], -1
                                        ; implicit-def: $vgpr10
.LBB71_1579:
	s_andn2_b64 vcc, exec, s[12:13]
	s_cbranch_vccnz .LBB71_1581
; %bb.1580:
	global_load_dword v10, v[8:9], off
.LBB71_1581:
	s_mov_b64 s[12:13], 0
.LBB71_1582:
	s_andn2_b64 vcc, exec, s[12:13]
	s_cbranch_vccnz .LBB71_1584
; %bb.1583:
	global_load_ushort v10, v[8:9], off
.LBB71_1584:
	s_mov_b64 s[12:13], 0
.LBB71_1585:
	s_andn2_b64 vcc, exec, s[12:13]
	s_cbranch_vccnz .LBB71_1591
; %bb.1586:
	s_cmp_gt_i32 s14, 0
	s_cbranch_scc0 .LBB71_1588
; %bb.1587:
	global_load_sbyte v10, v[8:9], off
	s_mov_b64 s[12:13], 0
	s_branch .LBB71_1589
.LBB71_1588:
	s_mov_b64 s[12:13], -1
                                        ; implicit-def: $vgpr10
.LBB71_1589:
	s_andn2_b64 vcc, exec, s[12:13]
	s_cbranch_vccnz .LBB71_1591
; %bb.1590:
	global_load_ubyte v10, v[8:9], off
.LBB71_1591:
.LBB71_1592:
	s_cmp_lt_i32 s0, 1
	s_mov_b64 s[14:15], 0
	s_cbranch_scc1 .LBB71_1596
; %bb.1593:
	s_cmp_gt_i32 s0, 1
	s_cbranch_scc0 .LBB71_1599
; %bb.1594:
	s_cmp_eq_u32 s0, 2
	s_cbranch_scc0 .LBB71_1600
; %bb.1595:
	s_waitcnt vmcnt(0)
	v_cmp_ge_i16_e64 s[12:13], s1, v10
	s_mov_b64 s[16:17], 0
	s_branch .LBB71_1601
.LBB71_1596:
                                        ; implicit-def: $sgpr12_sgpr13
	s_mov_b64 s[16:17], 0
	s_cbranch_execnz .LBB71_1605
.LBB71_1597:
	s_andn2_b64 vcc, exec, s[16:17]
	s_cbranch_vccnz .LBB71_1606
.LBB71_1598:
	s_waitcnt vmcnt(0)
	v_cmp_gt_i16_e32 vcc, s1, v10
	s_andn2_b64 s[12:13], s[12:13], exec
	s_and_b64 s[16:17], vcc, exec
	s_or_b64 s[12:13], s[12:13], s[16:17]
	s_cbranch_execz .LBB71_1607
	s_branch .LBB71_1608
.LBB71_1599:
	s_mov_b64 s[18:19], -1
	s_mov_b64 s[16:17], 0
                                        ; implicit-def: $sgpr12_sgpr13
	s_branch .LBB71_1602
.LBB71_1600:
	s_mov_b64 s[16:17], -1
                                        ; implicit-def: $sgpr12_sgpr13
.LBB71_1601:
	s_mov_b64 s[18:19], 0
.LBB71_1602:
	s_and_b64 vcc, exec, s[18:19]
	s_cbranch_vccz .LBB71_1604
; %bb.1603:
	s_waitcnt vmcnt(0)
	v_cmp_lt_i16_e32 vcc, s1, v10
	s_andn2_b64 s[12:13], s[12:13], exec
	s_and_b64 s[18:19], vcc, exec
	s_or_b64 s[12:13], s[12:13], s[18:19]
.LBB71_1604:
	s_branch .LBB71_1597
.LBB71_1605:
	s_cmp_lg_u32 s0, 0
	s_mov_b64 s[14:15], -1
	s_cselect_b64 s[16:17], -1, 0
	s_andn2_b64 vcc, exec, s[16:17]
	s_cbranch_vccz .LBB71_1598
.LBB71_1606:
	s_andn2_b64 vcc, exec, s[14:15]
	s_cbranch_vccnz .LBB71_1608
.LBB71_1607:
	s_waitcnt vmcnt(0)
	v_cmp_le_i16_e32 vcc, s1, v10
	s_andn2_b64 s[12:13], s[12:13], exec
	s_and_b64 s[14:15], vcc, exec
	s_or_b64 s[12:13], s[12:13], s[14:15]
.LBB71_1608:
	v_mov_b32_e32 v1, s11
	v_add_co_u32_e32 v7, vcc, s10, v7
	s_cmp_lt_i32 s20, 11
	v_addc_co_u32_e32 v8, vcc, 0, v1, vcc
	s_cbranch_scc1 .LBB71_1615
; %bb.1609:
	s_and_b32 s21, 0xffff, s20
	s_cmp_gt_i32 s21, 25
	s_mov_b64 s[14:15], 0
	s_cbranch_scc0 .LBB71_1616
; %bb.1610:
	s_cmp_gt_i32 s21, 28
	s_cbranch_scc0 .LBB71_1617
; %bb.1611:
	s_cmp_gt_i32 s21, 43
	;; [unrolled: 3-line block ×3, first 2 shown]
	s_cbranch_scc0 .LBB71_1620
; %bb.1613:
	s_cmp_eq_u32 s21, 46
	s_mov_b64 s[18:19], 0
	s_cbranch_scc0 .LBB71_1621
; %bb.1614:
	global_load_dword v1, v[7:8], off
	s_mov_b64 s[10:11], 0
	s_mov_b64 s[16:17], -1
	s_waitcnt vmcnt(0)
	v_lshlrev_b32_e32 v1, 16, v1
	v_cvt_i32_f32_e32 v9, v1
	s_branch .LBB71_1622
.LBB71_1615:
	s_mov_b64 s[10:11], -1
	s_mov_b64 s[16:17], 0
                                        ; implicit-def: $vgpr9
	s_branch .LBB71_1684
.LBB71_1616:
	s_mov_b64 s[18:19], -1
	s_mov_b64 s[16:17], 0
	s_mov_b64 s[10:11], 0
                                        ; implicit-def: $vgpr9
	s_branch .LBB71_1649
.LBB71_1617:
	s_mov_b64 s[18:19], -1
	s_mov_b64 s[16:17], 0
	s_mov_b64 s[10:11], 0
                                        ; implicit-def: $vgpr9
	s_branch .LBB71_1632
.LBB71_1618:
	s_mov_b64 s[18:19], -1
	s_mov_b64 s[16:17], 0
	s_mov_b64 s[10:11], 0
                                        ; implicit-def: $vgpr9
	s_branch .LBB71_1627
.LBB71_1619:
	s_trap 2
	s_or_b64 s[2:3], s[2:3], exec
	s_cbranch_execz .LBB71_1542
	s_branch .LBB71_1543
.LBB71_1620:
	s_mov_b64 s[18:19], -1
	s_mov_b64 s[16:17], 0
	s_mov_b64 s[10:11], 0
                                        ; implicit-def: $vgpr9
	s_branch .LBB71_1622
.LBB71_1621:
	s_mov_b64 s[10:11], -1
                                        ; implicit-def: $vgpr9
	s_mov_b64 s[16:17], 0
.LBB71_1622:
	s_and_b64 vcc, exec, s[18:19]
	s_cbranch_vccz .LBB71_1626
; %bb.1623:
	s_cmp_eq_u32 s21, 44
	s_cbranch_scc0 .LBB71_1625
; %bb.1624:
	global_load_ubyte v1, v[7:8], off
	s_mov_b64 s[10:11], 0
	s_mov_b64 s[16:17], -1
	s_waitcnt vmcnt(0)
	v_lshlrev_b32_e32 v3, 23, v1
	v_cvt_i32_f32_e32 v3, v3
	v_cmp_ne_u32_e32 vcc, 0, v1
	v_cndmask_b32_e32 v9, 0, v3, vcc
	s_branch .LBB71_1626
.LBB71_1625:
	s_mov_b64 s[10:11], -1
                                        ; implicit-def: $vgpr9
.LBB71_1626:
	s_mov_b64 s[18:19], 0
.LBB71_1627:
	s_and_b64 vcc, exec, s[18:19]
	s_cbranch_vccz .LBB71_1631
; %bb.1628:
	s_cmp_eq_u32 s21, 29
	s_cbranch_scc0 .LBB71_1630
; %bb.1629:
	global_load_dwordx2 v[9:10], v[7:8], off
	s_mov_b64 s[10:11], 0
	s_mov_b64 s[16:17], -1
	s_branch .LBB71_1631
.LBB71_1630:
	s_mov_b64 s[10:11], -1
                                        ; implicit-def: $vgpr9
.LBB71_1631:
	s_mov_b64 s[18:19], 0
.LBB71_1632:
	s_and_b64 vcc, exec, s[18:19]
	s_cbranch_vccz .LBB71_1648
; %bb.1633:
	s_cmp_lt_i32 s21, 27
	s_cbranch_scc1 .LBB71_1636
; %bb.1634:
	s_cmp_gt_i32 s21, 27
	s_cbranch_scc0 .LBB71_1637
; %bb.1635:
	global_load_dword v9, v[7:8], off
	s_mov_b64 s[16:17], 0
	s_branch .LBB71_1638
.LBB71_1636:
	s_mov_b64 s[16:17], -1
                                        ; implicit-def: $vgpr9
	s_branch .LBB71_1641
.LBB71_1637:
	s_mov_b64 s[16:17], -1
                                        ; implicit-def: $vgpr9
.LBB71_1638:
	s_andn2_b64 vcc, exec, s[16:17]
	s_cbranch_vccnz .LBB71_1640
; %bb.1639:
	global_load_ushort v9, v[7:8], off
.LBB71_1640:
	s_mov_b64 s[16:17], 0
.LBB71_1641:
	s_andn2_b64 vcc, exec, s[16:17]
	s_cbranch_vccnz .LBB71_1647
; %bb.1642:
	global_load_ubyte v1, v[7:8], off
	s_movk_i32 s16, 0x7f
	s_mov_b64 s[18:19], 0
	s_waitcnt vmcnt(0)
	v_cmp_lt_i16_e32 vcc, s16, v1
	s_and_saveexec_b64 s[16:17], vcc
	s_xor_b64 s[16:17], exec, s[16:17]
	s_cbranch_execz .LBB71_1659
; %bb.1643:
	s_movk_i32 s18, 0x80
	v_cmp_ne_u16_e32 vcc, s18, v1
	s_and_b64 s[18:19], vcc, exec
	s_andn2_saveexec_b64 s[16:17], s[16:17]
	s_cbranch_execnz .LBB71_1660
.LBB71_1644:
	s_or_b64 exec, exec, s[16:17]
	v_mov_b32_e32 v9, 0
	s_and_saveexec_b64 s[16:17], s[18:19]
	s_cbranch_execz .LBB71_1646
.LBB71_1645:
	v_lshlrev_b32_e32 v3, 24, v1
	v_and_b32_e32 v1, 0xffff, v1
	v_and_b32_e32 v5, 7, v1
	v_ffbh_u32_e32 v10, v5
	v_min_u32_e32 v10, 32, v10
	v_subrev_u32_e32 v11, 28, v10
	v_bfe_u32 v9, v1, 3, 4
	v_lshlrev_b32_e32 v1, v11, v1
	v_sub_u32_e32 v10, 29, v10
	v_and_b32_e32 v1, 7, v1
	v_cmp_eq_u32_e32 vcc, 0, v9
	v_cndmask_b32_e32 v9, v9, v10, vcc
	v_cndmask_b32_e32 v1, v5, v1, vcc
	v_mov_b32_e32 v5, 0x3b800000
	v_lshlrev_b32_e32 v1, 20, v1
	v_and_b32_e32 v3, 0x80000000, v3
	v_lshl_add_u32 v5, v9, 23, v5
	v_or3_b32 v1, v3, v5, v1
	v_cvt_i32_f32_e32 v9, v1
.LBB71_1646:
	s_or_b64 exec, exec, s[16:17]
.LBB71_1647:
	s_mov_b64 s[16:17], -1
.LBB71_1648:
	s_mov_b64 s[18:19], 0
.LBB71_1649:
	s_and_b64 vcc, exec, s[18:19]
	s_cbranch_vccz .LBB71_1680
; %bb.1650:
	s_cmp_gt_i32 s21, 22
	s_cbranch_scc0 .LBB71_1658
; %bb.1651:
	s_cmp_lt_i32 s21, 24
	s_cbranch_scc1 .LBB71_1661
; %bb.1652:
	s_cmp_gt_i32 s21, 24
	s_cbranch_scc0 .LBB71_1662
; %bb.1653:
	global_load_ubyte v1, v[7:8], off
	s_movk_i32 s14, 0x7f
	s_mov_b64 s[16:17], 0
	s_waitcnt vmcnt(0)
	v_cmp_lt_i16_e32 vcc, s14, v1
	s_and_saveexec_b64 s[14:15], vcc
	s_xor_b64 s[14:15], exec, s[14:15]
	s_cbranch_execz .LBB71_1674
; %bb.1654:
	s_movk_i32 s16, 0x80
	v_cmp_ne_u16_e32 vcc, s16, v1
	s_and_b64 s[16:17], vcc, exec
	s_andn2_saveexec_b64 s[14:15], s[14:15]
	s_cbranch_execnz .LBB71_1675
.LBB71_1655:
	s_or_b64 exec, exec, s[14:15]
	v_mov_b32_e32 v9, 0
	s_and_saveexec_b64 s[14:15], s[16:17]
	s_cbranch_execz .LBB71_1657
.LBB71_1656:
	v_lshlrev_b32_e32 v3, 24, v1
	v_and_b32_e32 v1, 0xffff, v1
	v_and_b32_e32 v5, 3, v1
	v_ffbh_u32_e32 v10, v5
	v_min_u32_e32 v10, 32, v10
	v_subrev_u32_e32 v11, 29, v10
	v_bfe_u32 v9, v1, 2, 5
	v_lshlrev_b32_e32 v1, v11, v1
	v_sub_u32_e32 v10, 30, v10
	v_and_b32_e32 v1, 3, v1
	v_cmp_eq_u32_e32 vcc, 0, v9
	v_cndmask_b32_e32 v9, v9, v10, vcc
	v_cndmask_b32_e32 v1, v5, v1, vcc
	v_mov_b32_e32 v5, 0x37800000
	v_lshlrev_b32_e32 v1, 21, v1
	v_and_b32_e32 v3, 0x80000000, v3
	v_lshl_add_u32 v5, v9, 23, v5
	v_or3_b32 v1, v3, v5, v1
	v_cvt_i32_f32_e32 v9, v1
.LBB71_1657:
	s_or_b64 exec, exec, s[14:15]
	s_mov_b64 s[14:15], 0
	s_branch .LBB71_1663
.LBB71_1658:
	s_mov_b64 s[14:15], -1
                                        ; implicit-def: $vgpr9
	s_branch .LBB71_1669
.LBB71_1659:
	s_andn2_saveexec_b64 s[16:17], s[16:17]
	s_cbranch_execz .LBB71_1644
.LBB71_1660:
	v_cmp_ne_u16_e32 vcc, 0, v1
	s_andn2_b64 s[18:19], s[18:19], exec
	s_and_b64 s[22:23], vcc, exec
	s_or_b64 s[18:19], s[18:19], s[22:23]
	s_or_b64 exec, exec, s[16:17]
	v_mov_b32_e32 v9, 0
	s_and_saveexec_b64 s[16:17], s[18:19]
	s_cbranch_execnz .LBB71_1645
	s_branch .LBB71_1646
.LBB71_1661:
	s_mov_b64 s[14:15], -1
                                        ; implicit-def: $vgpr9
	s_branch .LBB71_1666
.LBB71_1662:
	s_mov_b64 s[14:15], -1
                                        ; implicit-def: $vgpr9
.LBB71_1663:
	s_and_b64 vcc, exec, s[14:15]
	s_cbranch_vccz .LBB71_1665
; %bb.1664:
	global_load_ubyte v1, v[7:8], off
	s_mov_b32 s14, 0x7f800000
	s_waitcnt vmcnt(0)
	v_lshlrev_b32_e32 v1, 24, v1
	v_and_b32_e32 v3, 0x7f000000, v1
	v_ffbh_u32_e32 v5, v3
	v_min_u32_e32 v5, 32, v5
	v_sub_u32_e64 v5, v5, 4 clamp
	v_lshlrev_b32_e32 v10, v5, v3
	v_lshlrev_b32_e32 v5, 23, v5
	v_lshrrev_b32_e32 v10, 4, v10
	v_add_u32_e32 v9, 0x1000000, v3
	v_sub_u32_e32 v5, v10, v5
	v_ashrrev_i32_e32 v9, 8, v9
	v_add_u32_e32 v5, 0x3c000000, v5
	v_and_or_b32 v5, v9, s14, v5
	v_cmp_ne_u32_e32 vcc, 0, v3
	v_cndmask_b32_e32 v3, 0, v5, vcc
	s_brev_b32 s14, 1
	v_and_or_b32 v1, v1, s14, v3
	v_cvt_i32_f32_e32 v9, v1
.LBB71_1665:
	s_mov_b64 s[14:15], 0
.LBB71_1666:
	s_andn2_b64 vcc, exec, s[14:15]
	s_cbranch_vccnz .LBB71_1668
; %bb.1667:
	global_load_ubyte v1, v[7:8], off
	s_movk_i32 s14, 0x7f00
	s_brev_b32 s15, 16
	s_waitcnt vmcnt(0)
	v_lshlrev_b16_e32 v3, 8, v1
	v_lshlrev_b32_e32 v1, 25, v1
	v_lshrrev_b32_e32 v5, 4, v1
	v_and_or_b32 v9, v3, s14, 0.5
	v_or_b32_e32 v5, 0x70000000, v5
	v_add_f32_e32 v9, -0.5, v9
	v_mul_f32_e32 v5, 0x7800000, v5
	v_cmp_gt_u32_e32 vcc, s15, v1
	v_bfe_i32 v3, v3, 0, 16
	v_cndmask_b32_e32 v1, v5, v9, vcc
	s_brev_b32 s14, 1
	v_and_or_b32 v1, v3, s14, v1
	v_cvt_i32_f32_e32 v9, v1
.LBB71_1668:
	s_mov_b64 s[14:15], 0
	s_mov_b64 s[16:17], -1
.LBB71_1669:
	s_andn2_b64 vcc, exec, s[14:15]
	s_mov_b64 s[14:15], 0
	s_cbranch_vccnz .LBB71_1680
; %bb.1670:
	s_cmp_gt_i32 s21, 14
	s_cbranch_scc0 .LBB71_1673
; %bb.1671:
	s_cmp_eq_u32 s21, 15
	s_cbranch_scc0 .LBB71_1676
; %bb.1672:
	global_load_ushort v1, v[7:8], off
	s_mov_b64 s[10:11], 0
	s_mov_b64 s[16:17], -1
	s_waitcnt vmcnt(0)
	v_lshlrev_b32_e32 v1, 16, v1
	v_cvt_i32_f32_e32 v9, v1
	s_branch .LBB71_1677
.LBB71_1673:
	s_mov_b64 s[18:19], -1
                                        ; implicit-def: $vgpr9
	s_branch .LBB71_1678
.LBB71_1674:
	s_andn2_saveexec_b64 s[14:15], s[14:15]
	s_cbranch_execz .LBB71_1655
.LBB71_1675:
	v_cmp_ne_u16_e32 vcc, 0, v1
	s_andn2_b64 s[16:17], s[16:17], exec
	s_and_b64 s[18:19], vcc, exec
	s_or_b64 s[16:17], s[16:17], s[18:19]
	s_or_b64 exec, exec, s[14:15]
	v_mov_b32_e32 v9, 0
	s_and_saveexec_b64 s[14:15], s[16:17]
	s_cbranch_execnz .LBB71_1656
	s_branch .LBB71_1657
.LBB71_1676:
	s_mov_b64 s[10:11], -1
                                        ; implicit-def: $vgpr9
.LBB71_1677:
	s_mov_b64 s[18:19], 0
.LBB71_1678:
	s_and_b64 vcc, exec, s[18:19]
	s_cbranch_vccz .LBB71_1680
; %bb.1679:
	s_cmp_lg_u32 s21, 11
	s_mov_b64 s[14:15], -1
	s_cselect_b64 s[10:11], -1, 0
.LBB71_1680:
	s_and_b64 vcc, exec, s[10:11]
	s_cbranch_vccnz .LBB71_2232
; %bb.1681:
	s_andn2_b64 vcc, exec, s[14:15]
	s_cbranch_vccnz .LBB71_1683
.LBB71_1682:
	global_load_ubyte v1, v[7:8], off
	s_mov_b64 s[16:17], -1
	s_waitcnt vmcnt(0)
	v_cmp_ne_u16_e32 vcc, 0, v1
	v_cndmask_b32_e64 v9, 0, 1, vcc
.LBB71_1683:
	s_mov_b64 s[10:11], 0
.LBB71_1684:
	s_and_b64 vcc, exec, s[10:11]
	s_cbranch_vccz .LBB71_1733
; %bb.1685:
	s_and_b32 s14, 0xffff, s20
	s_cmp_lt_i32 s14, 5
	s_cbranch_scc1 .LBB71_1690
; %bb.1686:
	s_cmp_lt_i32 s14, 8
	s_cbranch_scc1 .LBB71_1691
; %bb.1687:
	;; [unrolled: 3-line block ×3, first 2 shown]
	s_cmp_gt_i32 s14, 9
	s_cbranch_scc0 .LBB71_1693
; %bb.1689:
	global_load_dwordx2 v[9:10], v[7:8], off
	s_mov_b64 s[10:11], 0
	s_waitcnt vmcnt(0)
	v_cvt_i32_f64_e32 v9, v[9:10]
	s_branch .LBB71_1694
.LBB71_1690:
	s_mov_b64 s[10:11], -1
                                        ; implicit-def: $vgpr9
	s_branch .LBB71_1712
.LBB71_1691:
	s_mov_b64 s[10:11], -1
                                        ; implicit-def: $vgpr9
	s_branch .LBB71_1700
.LBB71_1692:
	s_mov_b64 s[10:11], -1
                                        ; implicit-def: $vgpr9
	s_branch .LBB71_1697
.LBB71_1693:
	s_mov_b64 s[10:11], -1
                                        ; implicit-def: $vgpr9
.LBB71_1694:
	s_andn2_b64 vcc, exec, s[10:11]
	s_cbranch_vccnz .LBB71_1696
; %bb.1695:
	global_load_dword v1, v[7:8], off
	s_waitcnt vmcnt(0)
	v_cvt_i32_f32_e32 v9, v1
.LBB71_1696:
	s_mov_b64 s[10:11], 0
.LBB71_1697:
	s_andn2_b64 vcc, exec, s[10:11]
	s_cbranch_vccnz .LBB71_1699
; %bb.1698:
	global_load_dword v1, v[7:8], off
	s_waitcnt vmcnt(0)
	v_cvt_i16_f16_e32 v9, v1
.LBB71_1699:
	s_mov_b64 s[10:11], 0
.LBB71_1700:
	s_andn2_b64 vcc, exec, s[10:11]
	s_cbranch_vccnz .LBB71_1711
; %bb.1701:
	s_cmp_lt_i32 s14, 6
	s_cbranch_scc1 .LBB71_1704
; %bb.1702:
	s_cmp_gt_i32 s14, 6
	s_cbranch_scc0 .LBB71_1705
; %bb.1703:
	global_load_dwordx2 v[9:10], v[7:8], off
	s_mov_b64 s[10:11], 0
	s_waitcnt vmcnt(0)
	v_cvt_i32_f64_e32 v9, v[9:10]
	s_branch .LBB71_1706
.LBB71_1704:
	s_mov_b64 s[10:11], -1
                                        ; implicit-def: $vgpr9
	s_branch .LBB71_1709
.LBB71_1705:
	s_mov_b64 s[10:11], -1
                                        ; implicit-def: $vgpr9
.LBB71_1706:
	s_andn2_b64 vcc, exec, s[10:11]
	s_cbranch_vccnz .LBB71_1708
; %bb.1707:
	global_load_dword v1, v[7:8], off
	s_waitcnt vmcnt(0)
	v_cvt_i32_f32_e32 v9, v1
.LBB71_1708:
	s_mov_b64 s[10:11], 0
.LBB71_1709:
	s_andn2_b64 vcc, exec, s[10:11]
	s_cbranch_vccnz .LBB71_1711
; %bb.1710:
	global_load_ushort v1, v[7:8], off
	s_waitcnt vmcnt(0)
	v_cvt_i16_f16_e32 v9, v1
.LBB71_1711:
	s_mov_b64 s[10:11], 0
.LBB71_1712:
	s_andn2_b64 vcc, exec, s[10:11]
	s_cbranch_vccnz .LBB71_1732
; %bb.1713:
	s_cmp_lt_i32 s14, 2
	s_cbranch_scc1 .LBB71_1717
; %bb.1714:
	s_cmp_lt_i32 s14, 3
	s_cbranch_scc1 .LBB71_1718
; %bb.1715:
	s_cmp_gt_i32 s14, 3
	s_cbranch_scc0 .LBB71_1719
; %bb.1716:
	global_load_dwordx2 v[9:10], v[7:8], off
	s_mov_b64 s[10:11], 0
	s_branch .LBB71_1720
.LBB71_1717:
	s_mov_b64 s[10:11], -1
                                        ; implicit-def: $vgpr9
	s_branch .LBB71_1726
.LBB71_1718:
	s_mov_b64 s[10:11], -1
                                        ; implicit-def: $vgpr9
	s_branch .LBB71_1723
.LBB71_1719:
	s_mov_b64 s[10:11], -1
                                        ; implicit-def: $vgpr9
.LBB71_1720:
	s_andn2_b64 vcc, exec, s[10:11]
	s_cbranch_vccnz .LBB71_1722
; %bb.1721:
	global_load_dword v9, v[7:8], off
.LBB71_1722:
	s_mov_b64 s[10:11], 0
.LBB71_1723:
	s_andn2_b64 vcc, exec, s[10:11]
	s_cbranch_vccnz .LBB71_1725
; %bb.1724:
	global_load_ushort v9, v[7:8], off
.LBB71_1725:
	s_mov_b64 s[10:11], 0
.LBB71_1726:
	s_andn2_b64 vcc, exec, s[10:11]
	s_cbranch_vccnz .LBB71_1732
; %bb.1727:
	s_cmp_gt_i32 s14, 0
	s_cbranch_scc0 .LBB71_1729
; %bb.1728:
	global_load_sbyte v9, v[7:8], off
	s_mov_b64 s[10:11], 0
	s_branch .LBB71_1730
.LBB71_1729:
	s_mov_b64 s[10:11], -1
                                        ; implicit-def: $vgpr9
.LBB71_1730:
	s_andn2_b64 vcc, exec, s[10:11]
	s_cbranch_vccnz .LBB71_1732
; %bb.1731:
	global_load_ubyte v9, v[7:8], off
.LBB71_1732:
	s_mov_b64 s[16:17], -1
.LBB71_1733:
	s_andn2_b64 vcc, exec, s[16:17]
	s_cbranch_vccnz .LBB71_1738
; %bb.1734:
	s_cmp_lt_i32 s0, 1
	s_mov_b64 s[14:15], 0
	s_cbranch_scc1 .LBB71_1784
; %bb.1735:
	s_cmp_gt_i32 s0, 1
	s_cbranch_scc0 .LBB71_1785
; %bb.1736:
	s_cmp_eq_u32 s0, 2
	s_cbranch_scc0 .LBB71_1786
; %bb.1737:
	s_waitcnt vmcnt(0)
	v_cmp_ge_i16_e64 s[10:11], s1, v9
	s_mov_b64 s[16:17], 0
	s_branch .LBB71_1787
.LBB71_1738:
	s_mov_b64 s[0:1], 0
                                        ; implicit-def: $sgpr10_sgpr11
.LBB71_1739:
	s_mov_b64 s[4:5], 0
                                        ; implicit-def: $vgpr0_vgpr1
                                        ; implicit-def: $sgpr22
.LBB71_1740:
	s_and_b64 s[6:7], s[4:5], exec
	s_andn2_b64 s[4:5], s[28:29], exec
	s_and_b64 s[2:3], s[2:3], exec
	s_and_b64 s[0:1], s[0:1], exec
	s_or_b64 s[28:29], s[4:5], s[2:3]
.LBB71_1741:
	s_or_b64 exec, exec, s[30:31]
	s_and_saveexec_b64 s[2:3], s[28:29]
	s_cbranch_execz .LBB71_1744
; %bb.1742:
	; divergent unreachable
	s_or_b64 exec, exec, s[2:3]
	s_and_saveexec_b64 s[2:3], s[6:7]
	s_xor_b64 s[2:3], exec, s[2:3]
	s_cbranch_execnz .LBB71_1745
.LBB71_1743:
	s_or_b64 exec, exec, s[2:3]
	s_and_saveexec_b64 s[2:3], s[0:1]
	s_cbranch_execnz .LBB71_1746
	s_branch .LBB71_1783
.LBB71_1744:
	s_or_b64 exec, exec, s[2:3]
	s_and_saveexec_b64 s[2:3], s[6:7]
	s_xor_b64 s[2:3], exec, s[2:3]
	s_cbranch_execz .LBB71_1743
.LBB71_1745:
	v_cndmask_b32_e64 v2, 0, 1, s[10:11]
	global_store_byte v[0:1], v2, off
	s_or_b64 exec, exec, s[2:3]
	s_and_saveexec_b64 s[2:3], s[0:1]
	s_cbranch_execz .LBB71_1783
.LBB71_1746:
	s_sext_i32_i16 s2, s22
	s_cmp_lt_i32 s2, 5
	s_mov_b64 s[0:1], -1
	s_cbranch_scc1 .LBB71_1767
; %bb.1747:
	s_cmp_lt_i32 s2, 8
	s_cbranch_scc1 .LBB71_1757
; %bb.1748:
	s_cmp_lt_i32 s2, 9
	s_cbranch_scc1 .LBB71_1754
; %bb.1749:
	s_cmp_gt_i32 s2, 9
	s_cbranch_scc0 .LBB71_1751
; %bb.1750:
	v_cndmask_b32_e64 v2, 0, 1, s[10:11]
	s_waitcnt vmcnt(0)
	v_cvt_f64_u32_e32 v[2:3], v2
	v_mov_b32_e32 v4, 0
	v_mov_b32_e32 v5, v4
	s_mov_b64 s[0:1], 0
	global_store_dwordx4 v[0:1], v[2:5], off
.LBB71_1751:
	s_andn2_b64 vcc, exec, s[0:1]
	s_cbranch_vccnz .LBB71_1753
; %bb.1752:
	v_cndmask_b32_e64 v2, 0, 1.0, s[10:11]
	s_waitcnt vmcnt(0)
	v_mov_b32_e32 v3, 0
	global_store_dwordx2 v[0:1], v[2:3], off
.LBB71_1753:
	s_mov_b64 s[0:1], 0
.LBB71_1754:
	s_andn2_b64 vcc, exec, s[0:1]
	s_cbranch_vccnz .LBB71_1756
; %bb.1755:
	v_cndmask_b32_e64 v2, 0, 1.0, s[10:11]
	v_cvt_f16_f32_e32 v2, v2
	global_store_dword v[0:1], v2, off
.LBB71_1756:
	s_mov_b64 s[0:1], 0
.LBB71_1757:
	s_andn2_b64 vcc, exec, s[0:1]
	s_cbranch_vccnz .LBB71_1766
; %bb.1758:
	s_sext_i32_i16 s2, s22
	s_cmp_lt_i32 s2, 6
	s_mov_b64 s[0:1], -1
	s_cbranch_scc1 .LBB71_1764
; %bb.1759:
	s_cmp_gt_i32 s2, 6
	s_cbranch_scc0 .LBB71_1761
; %bb.1760:
	v_cndmask_b32_e64 v2, 0, 1, s[10:11]
	s_waitcnt vmcnt(0)
	v_cvt_f64_u32_e32 v[2:3], v2
	s_mov_b64 s[0:1], 0
	global_store_dwordx2 v[0:1], v[2:3], off
.LBB71_1761:
	s_andn2_b64 vcc, exec, s[0:1]
	s_cbranch_vccnz .LBB71_1763
; %bb.1762:
	v_cndmask_b32_e64 v2, 0, 1.0, s[10:11]
	global_store_dword v[0:1], v2, off
.LBB71_1763:
	s_mov_b64 s[0:1], 0
.LBB71_1764:
	s_andn2_b64 vcc, exec, s[0:1]
	s_cbranch_vccnz .LBB71_1766
; %bb.1765:
	v_cndmask_b32_e64 v2, 0, 1.0, s[10:11]
	v_cvt_f16_f32_e32 v2, v2
	global_store_short v[0:1], v2, off
.LBB71_1766:
	s_mov_b64 s[0:1], 0
.LBB71_1767:
	s_andn2_b64 vcc, exec, s[0:1]
	s_cbranch_vccnz .LBB71_1783
; %bb.1768:
	s_sext_i32_i16 s2, s22
	s_cmp_lt_i32 s2, 2
	s_mov_b64 s[0:1], -1
	s_cbranch_scc1 .LBB71_1778
; %bb.1769:
	s_cmp_lt_i32 s2, 3
	s_cbranch_scc1 .LBB71_1775
; %bb.1770:
	s_cmp_gt_i32 s2, 3
	s_cbranch_scc0 .LBB71_1772
; %bb.1771:
	s_mov_b32 s0, 0
	v_cndmask_b32_e64 v2, 0, 1, s[10:11]
	s_waitcnt vmcnt(0)
	v_mov_b32_e32 v3, s0
	global_store_dwordx2 v[0:1], v[2:3], off
	s_mov_b64 s[0:1], 0
.LBB71_1772:
	s_andn2_b64 vcc, exec, s[0:1]
	s_cbranch_vccnz .LBB71_1774
; %bb.1773:
	v_cndmask_b32_e64 v2, 0, 1, s[10:11]
	global_store_dword v[0:1], v2, off
.LBB71_1774:
	s_mov_b64 s[0:1], 0
.LBB71_1775:
	s_andn2_b64 vcc, exec, s[0:1]
	s_cbranch_vccnz .LBB71_1777
; %bb.1776:
	v_cndmask_b32_e64 v2, 0, 1, s[10:11]
	global_store_short v[0:1], v2, off
.LBB71_1777:
	s_mov_b64 s[0:1], 0
.LBB71_1778:
	s_andn2_b64 vcc, exec, s[0:1]
	s_cbranch_vccnz .LBB71_1783
; %bb.1779:
	s_sext_i32_i16 s0, s22
	s_cmp_gt_i32 s0, 0
	s_mov_b64 s[0:1], -1
	s_cbranch_scc0 .LBB71_1781
; %bb.1780:
	v_cndmask_b32_e64 v2, 0, 1, s[10:11]
	global_store_byte v[0:1], v2, off
	s_mov_b64 s[0:1], 0
.LBB71_1781:
	s_andn2_b64 vcc, exec, s[0:1]
	s_cbranch_vccnz .LBB71_1783
; %bb.1782:
	v_cndmask_b32_e64 v2, 0, 1, s[10:11]
	global_store_byte v[0:1], v2, off
	s_endpgm
.LBB71_1783:
	s_endpgm
.LBB71_1784:
	s_mov_b64 s[18:19], -1
                                        ; implicit-def: $sgpr10_sgpr11
	s_mov_b64 s[16:17], 0
	s_branch .LBB71_1791
.LBB71_1785:
	s_mov_b64 s[18:19], -1
	s_mov_b64 s[16:17], 0
                                        ; implicit-def: $sgpr10_sgpr11
	s_branch .LBB71_1788
.LBB71_1786:
	s_mov_b64 s[16:17], -1
                                        ; implicit-def: $sgpr10_sgpr11
.LBB71_1787:
	s_mov_b64 s[18:19], 0
.LBB71_1788:
	s_and_b64 vcc, exec, s[18:19]
	s_cbranch_vccz .LBB71_1790
; %bb.1789:
	s_waitcnt vmcnt(0)
	v_cmp_lt_i16_e32 vcc, s1, v9
	s_andn2_b64 s[10:11], s[10:11], exec
	s_and_b64 s[18:19], vcc, exec
	s_or_b64 s[10:11], s[10:11], s[18:19]
.LBB71_1790:
	s_mov_b64 s[18:19], 0
.LBB71_1791:
	s_and_b64 vcc, exec, s[18:19]
	s_cbranch_vccz .LBB71_1873
; %bb.1792:
	s_cmp_lg_u32 s0, 0
	s_mov_b64 s[14:15], -1
	s_cselect_b64 s[16:17], -1, 0
	s_andn2_b64 vcc, exec, s[16:17]
	s_cbranch_vccz .LBB71_1874
.LBB71_1793:
	s_andn2_b64 vcc, exec, s[14:15]
	s_cbranch_vccnz .LBB71_1795
.LBB71_1794:
	s_waitcnt vmcnt(0)
	v_cmp_le_i16_e32 vcc, s1, v9
	s_andn2_b64 s[0:1], s[10:11], exec
	s_and_b64 s[10:11], vcc, exec
	s_or_b64 s[10:11], s[0:1], s[10:11]
.LBB71_1795:
	s_load_dword s0, s[34:35], 0x160
	v_mov_b32_e32 v1, s9
	v_add_co_u32_e32 v5, vcc, s8, v6
	v_addc_co_u32_e32 v6, vcc, 0, v1, vcc
	s_waitcnt lgkmcnt(0)
	s_and_b32 s22, s0, 0xff
	s_cmp_lt_i32 s22, 11
	s_cbranch_scc1 .LBB71_1875
; %bb.1796:
	s_and_b32 s23, 0xffff, s22
	s_mov_b64 s[18:19], -1
	s_mov_b64 s[14:15], 0
	s_cmp_gt_i32 s23, 25
	s_mov_b64 s[16:17], 0
	s_mov_b64 s[0:1], 0
	s_cbranch_scc0 .LBB71_1829
; %bb.1797:
	s_cmp_gt_i32 s23, 28
	s_cbranch_scc0 .LBB71_1812
; %bb.1798:
	s_cmp_gt_i32 s23, 43
	;; [unrolled: 3-line block ×3, first 2 shown]
	s_cbranch_scc0 .LBB71_1802
; %bb.1800:
	s_mov_b64 s[0:1], -1
	s_mov_b64 s[18:19], 0
	s_cmp_eq_u32 s23, 46
	s_cbranch_scc0 .LBB71_1802
; %bb.1801:
	v_cndmask_b32_e64 v1, 0, 1.0, s[4:5]
	s_waitcnt vmcnt(0)
	v_bfe_u32 v3, v1, 16, 1
	s_movk_i32 s0, 0x7fff
	v_add3_u32 v1, v1, v3, s0
	v_lshrrev_b32_e32 v1, 16, v1
	global_store_dword v[5:6], v1, off
	s_mov_b64 s[0:1], 0
	s_mov_b64 s[16:17], -1
.LBB71_1802:
	s_and_b64 vcc, exec, s[18:19]
	s_cbranch_vccz .LBB71_1807
; %bb.1803:
	s_cmp_eq_u32 s23, 44
	s_mov_b64 s[0:1], -1
	s_cbranch_scc0 .LBB71_1807
; %bb.1804:
	s_waitcnt vmcnt(0)
	v_cndmask_b32_e64 v3, 0, 1.0, s[4:5]
	v_lshrrev_b32_e32 v1, 23, v3
	s_movk_i32 s0, 0xff
	v_cmp_ne_u32_e32 vcc, s0, v1
	v_mov_b32_e32 v7, 0xff
	s_and_saveexec_b64 s[16:17], vcc
; %bb.1805:
	s_mov_b32 s0, 0x3fffff
	v_and_b32_e32 v7, 0x400000, v3
	v_and_or_b32 v3, v3, s0, v1
	v_cmp_ne_u32_e32 vcc, 0, v7
	v_cmp_ne_u32_e64 s[0:1], 0, v3
	s_and_b64 s[0:1], vcc, s[0:1]
	v_cndmask_b32_e64 v3, 0, 1, s[0:1]
	v_add_u32_e32 v7, v1, v3
; %bb.1806:
	s_or_b64 exec, exec, s[16:17]
	s_mov_b64 s[0:1], 0
	s_mov_b64 s[16:17], -1
	global_store_byte v[5:6], v7, off
.LBB71_1807:
	s_mov_b64 s[18:19], 0
.LBB71_1808:
	s_and_b64 vcc, exec, s[18:19]
	s_cbranch_vccz .LBB71_1811
; %bb.1809:
	s_cmp_eq_u32 s23, 29
	s_mov_b64 s[0:1], -1
	s_cbranch_scc0 .LBB71_1811
; %bb.1810:
	s_mov_b32 s0, 0
	v_cndmask_b32_e64 v7, 0, 1, s[4:5]
	v_mov_b32_e32 v8, s0
	global_store_dwordx2 v[5:6], v[7:8], off
	s_mov_b64 s[0:1], 0
	s_mov_b64 s[16:17], -1
.LBB71_1811:
	s_mov_b64 s[18:19], 0
.LBB71_1812:
	s_and_b64 vcc, exec, s[18:19]
	s_cbranch_vccz .LBB71_1828
; %bb.1813:
	s_cmp_lt_i32 s23, 27
	s_mov_b64 s[16:17], -1
	s_cbranch_scc1 .LBB71_1819
; %bb.1814:
	s_cmp_gt_i32 s23, 27
	s_cbranch_scc0 .LBB71_1816
; %bb.1815:
	v_cndmask_b32_e64 v1, 0, 1, s[4:5]
	s_mov_b64 s[16:17], 0
	global_store_dword v[5:6], v1, off
.LBB71_1816:
	s_andn2_b64 vcc, exec, s[16:17]
	s_cbranch_vccnz .LBB71_1818
; %bb.1817:
	v_cndmask_b32_e64 v1, 0, 1, s[4:5]
	global_store_short v[5:6], v1, off
.LBB71_1818:
	s_mov_b64 s[16:17], 0
.LBB71_1819:
	s_andn2_b64 vcc, exec, s[16:17]
	s_cbranch_vccnz .LBB71_1827
; %bb.1820:
	s_waitcnt vmcnt(0)
	v_cndmask_b32_e64 v3, 0, 1.0, s[4:5]
	s_mov_b32 s16, 0x43800000
	v_cmp_gt_u32_e32 vcc, s16, v3
	v_mov_b32_e32 v7, 0x80
	s_and_saveexec_b64 s[16:17], vcc
	s_cbranch_execz .LBB71_1826
; %bb.1821:
	s_mov_b32 s18, 0x3bffffff
	v_cmp_lt_u32_e32 vcc, s18, v3
	s_mov_b64 s[18:19], 0
                                        ; implicit-def: $vgpr1
	s_and_saveexec_b64 s[20:21], vcc
	s_xor_b64 s[20:21], exec, s[20:21]
	s_cbranch_execz .LBB71_2233
; %bb.1822:
	v_bfe_u32 v1, v3, 20, 1
	s_mov_b32 s24, 0x487ffff
	v_add3_u32 v1, v3, v1, s24
	s_mov_b64 s[18:19], exec
	v_lshrrev_b32_e32 v1, 20, v1
                                        ; implicit-def: $vgpr3
	s_andn2_saveexec_b64 s[20:21], s[20:21]
	s_cbranch_execnz .LBB71_2234
.LBB71_1823:
	s_or_b64 exec, exec, s[20:21]
	v_mov_b32_e32 v7, 0
	s_and_saveexec_b64 s[20:21], s[18:19]
.LBB71_1824:
	v_mov_b32_e32 v7, v1
.LBB71_1825:
	s_or_b64 exec, exec, s[20:21]
.LBB71_1826:
	s_or_b64 exec, exec, s[16:17]
	global_store_byte v[5:6], v7, off
.LBB71_1827:
	s_mov_b64 s[16:17], -1
.LBB71_1828:
	s_mov_b64 s[18:19], 0
.LBB71_1829:
	s_and_b64 vcc, exec, s[18:19]
	s_cbranch_vccz .LBB71_1869
; %bb.1830:
	s_cmp_gt_i32 s23, 22
	s_mov_b64 s[14:15], -1
	s_cbranch_scc0 .LBB71_1862
; %bb.1831:
	s_cmp_lt_i32 s23, 24
	s_cbranch_scc1 .LBB71_1851
; %bb.1832:
	s_cmp_gt_i32 s23, 24
	s_cbranch_scc0 .LBB71_1840
; %bb.1833:
	s_waitcnt vmcnt(0)
	v_cndmask_b32_e64 v3, 0, 1.0, s[4:5]
	s_mov_b32 s14, 0x47800000
	v_cmp_gt_u32_e32 vcc, s14, v3
	v_mov_b32_e32 v7, 0x80
	s_and_saveexec_b64 s[14:15], vcc
	s_cbranch_execz .LBB71_1839
; %bb.1834:
	s_mov_b32 s16, 0x37ffffff
	v_cmp_lt_u32_e32 vcc, s16, v3
	s_mov_b64 s[16:17], 0
                                        ; implicit-def: $vgpr1
	s_and_saveexec_b64 s[18:19], vcc
	s_xor_b64 s[18:19], exec, s[18:19]
	s_cbranch_execz .LBB71_2236
; %bb.1835:
	v_bfe_u32 v1, v3, 21, 1
	s_mov_b32 s20, 0x88fffff
	v_add3_u32 v1, v3, v1, s20
	s_mov_b64 s[16:17], exec
	v_lshrrev_b32_e32 v1, 21, v1
                                        ; implicit-def: $vgpr3
	s_andn2_saveexec_b64 s[18:19], s[18:19]
	s_cbranch_execnz .LBB71_2237
.LBB71_1836:
	s_or_b64 exec, exec, s[18:19]
	v_mov_b32_e32 v7, 0
	s_and_saveexec_b64 s[18:19], s[16:17]
.LBB71_1837:
	v_mov_b32_e32 v7, v1
.LBB71_1838:
	s_or_b64 exec, exec, s[18:19]
.LBB71_1839:
	s_or_b64 exec, exec, s[14:15]
	s_mov_b64 s[14:15], 0
	global_store_byte v[5:6], v7, off
.LBB71_1840:
	s_and_b64 vcc, exec, s[14:15]
	s_cbranch_vccz .LBB71_1850
; %bb.1841:
	v_cndmask_b32_e64 v1, 0, 1.0, s[4:5]
	s_mov_b32 s14, 0x43f00000
	v_cmp_gt_u32_e32 vcc, s14, v1
                                        ; implicit-def: $vgpr3
	s_and_saveexec_b64 s[14:15], vcc
	s_xor_b64 s[14:15], exec, s[14:15]
	s_cbranch_execz .LBB71_1847
; %bb.1842:
	s_mov_b32 s16, 0x3c7fffff
	v_cmp_lt_u32_e32 vcc, s16, v1
                                        ; implicit-def: $vgpr3
	s_and_saveexec_b64 s[16:17], vcc
	s_xor_b64 s[16:17], exec, s[16:17]
	s_cbranch_execz .LBB71_1844
; %bb.1843:
	s_waitcnt vmcnt(0)
	v_bfe_u32 v3, v1, 20, 1
	s_mov_b32 s18, 0x407ffff
	v_add3_u32 v1, v1, v3, s18
	v_lshrrev_b32_e32 v3, 20, v1
	v_and_b32_e32 v1, 0xff00000, v1
	s_mov_b32 s18, 0x7f00000
	v_mov_b32_e32 v7, 0x7e
	v_cmp_ne_u32_e32 vcc, s18, v1
	v_cndmask_b32_e32 v3, v7, v3, vcc
                                        ; implicit-def: $vgpr1
.LBB71_1844:
	s_andn2_saveexec_b64 s[16:17], s[16:17]
	s_cbranch_execz .LBB71_1846
; %bb.1845:
	s_waitcnt vmcnt(0)
	v_add_f32_e32 v3, 0x46800000, v1
.LBB71_1846:
	s_or_b64 exec, exec, s[16:17]
                                        ; implicit-def: $vgpr1
.LBB71_1847:
	s_andn2_saveexec_b64 s[14:15], s[14:15]
	s_cbranch_execz .LBB71_1849
; %bb.1848:
	s_mov_b32 s16, 0x7f800000
	s_waitcnt vmcnt(0)
	v_mov_b32_e32 v3, 0x7e
	v_mov_b32_e32 v7, 0x7f
	v_cmp_lt_u32_e32 vcc, s16, v1
	v_cndmask_b32_e32 v3, v3, v7, vcc
.LBB71_1849:
	s_or_b64 exec, exec, s[14:15]
	s_waitcnt vmcnt(0)
	global_store_byte v[5:6], v3, off
.LBB71_1850:
	s_mov_b64 s[14:15], 0
.LBB71_1851:
	s_andn2_b64 vcc, exec, s[14:15]
	s_cbranch_vccnz .LBB71_1861
; %bb.1852:
	v_cndmask_b32_e64 v1, 0, 1.0, s[4:5]
	s_mov_b32 s14, 0x47800000
	v_cmp_gt_u32_e32 vcc, s14, v1
                                        ; implicit-def: $vgpr3
	s_and_saveexec_b64 s[14:15], vcc
	s_xor_b64 s[14:15], exec, s[14:15]
	s_cbranch_execz .LBB71_1858
; %bb.1853:
	s_mov_b32 s16, 0x387fffff
	v_cmp_lt_u32_e32 vcc, s16, v1
                                        ; implicit-def: $vgpr3
	s_and_saveexec_b64 s[16:17], vcc
	s_xor_b64 s[16:17], exec, s[16:17]
	s_cbranch_execz .LBB71_1855
; %bb.1854:
	s_waitcnt vmcnt(0)
	v_bfe_u32 v3, v1, 21, 1
	s_mov_b32 s18, 0x80fffff
	v_add3_u32 v1, v1, v3, s18
	v_lshrrev_b32_e32 v3, 21, v1
                                        ; implicit-def: $vgpr1
.LBB71_1855:
	s_andn2_saveexec_b64 s[16:17], s[16:17]
	s_cbranch_execz .LBB71_1857
; %bb.1856:
	s_waitcnt vmcnt(0)
	v_add_f32_e32 v3, 0x43000000, v1
.LBB71_1857:
	s_or_b64 exec, exec, s[16:17]
                                        ; implicit-def: $vgpr1
.LBB71_1858:
	s_andn2_saveexec_b64 s[14:15], s[14:15]
	s_cbranch_execz .LBB71_1860
; %bb.1859:
	s_mov_b32 s16, 0x7f800000
	s_waitcnt vmcnt(0)
	v_mov_b32_e32 v3, 0x7c
	v_mov_b32_e32 v7, 0x7f
	v_cmp_lt_u32_e32 vcc, s16, v1
	v_cndmask_b32_e32 v3, v3, v7, vcc
.LBB71_1860:
	s_or_b64 exec, exec, s[14:15]
	s_waitcnt vmcnt(0)
	global_store_byte v[5:6], v3, off
.LBB71_1861:
	s_mov_b64 s[14:15], 0
	s_mov_b64 s[16:17], -1
.LBB71_1862:
	s_andn2_b64 vcc, exec, s[14:15]
	s_mov_b64 s[14:15], 0
	s_cbranch_vccnz .LBB71_1869
; %bb.1863:
	s_cmp_gt_i32 s23, 14
	s_mov_b64 s[18:19], -1
	s_cbranch_scc0 .LBB71_1867
; %bb.1864:
	s_cmp_eq_u32 s23, 15
	s_mov_b64 s[0:1], -1
	s_cbranch_scc0 .LBB71_1866
; %bb.1865:
	v_cndmask_b32_e64 v1, 0, 1.0, s[4:5]
	s_waitcnt vmcnt(0)
	v_bfe_u32 v3, v1, 16, 1
	s_movk_i32 s0, 0x7fff
	v_add3_u32 v1, v1, v3, s0
	global_store_short_d16_hi v[5:6], v1, off
	s_mov_b64 s[0:1], 0
	s_mov_b64 s[16:17], -1
.LBB71_1866:
	s_mov_b64 s[18:19], 0
.LBB71_1867:
	s_and_b64 vcc, exec, s[18:19]
	s_cbranch_vccz .LBB71_1869
; %bb.1868:
	s_cmp_lg_u32 s23, 11
	s_mov_b64 s[14:15], -1
	s_cselect_b64 s[0:1], -1, 0
.LBB71_1869:
	s_and_b64 vcc, exec, s[0:1]
	s_cbranch_vccnz .LBB71_2235
; %bb.1870:
	s_andn2_b64 vcc, exec, s[14:15]
	s_cbranch_vccnz .LBB71_1872
.LBB71_1871:
	v_cndmask_b32_e64 v1, 0, 1, s[4:5]
	s_mov_b64 s[16:17], -1
	global_store_byte v[5:6], v1, off
.LBB71_1872:
	s_mov_b64 s[0:1], 0
	s_branch .LBB71_1876
.LBB71_1873:
	s_andn2_b64 vcc, exec, s[16:17]
	s_cbranch_vccnz .LBB71_1793
.LBB71_1874:
	s_waitcnt vmcnt(0)
	v_cmp_gt_i16_e32 vcc, s1, v9
	s_andn2_b64 s[10:11], s[10:11], exec
	s_and_b64 s[16:17], vcc, exec
	s_or_b64 s[10:11], s[10:11], s[16:17]
	s_cbranch_execz .LBB71_1794
	s_branch .LBB71_1795
.LBB71_1875:
	s_mov_b64 s[0:1], -1
	s_mov_b64 s[16:17], 0
.LBB71_1876:
	s_and_b64 vcc, exec, s[0:1]
	s_cbranch_vccz .LBB71_1915
; %bb.1877:
	s_and_b32 s14, 0xffff, s22
	s_cmp_lt_i32 s14, 5
	s_mov_b64 s[0:1], -1
	s_cbranch_scc1 .LBB71_1898
; %bb.1878:
	s_cmp_lt_i32 s14, 8
	s_cbranch_scc1 .LBB71_1888
; %bb.1879:
	s_cmp_lt_i32 s14, 9
	s_cbranch_scc1 .LBB71_1885
; %bb.1880:
	s_cmp_gt_i32 s14, 9
	s_cbranch_scc0 .LBB71_1882
; %bb.1881:
	v_cndmask_b32_e64 v1, 0, 1, s[4:5]
	v_cvt_f64_u32_e32 v[7:8], v1
	s_waitcnt vmcnt(0)
	v_mov_b32_e32 v9, 0
	v_mov_b32_e32 v10, v9
	s_mov_b64 s[0:1], 0
	global_store_dwordx4 v[5:6], v[7:10], off
.LBB71_1882:
	s_andn2_b64 vcc, exec, s[0:1]
	s_cbranch_vccnz .LBB71_1884
; %bb.1883:
	v_cndmask_b32_e64 v7, 0, 1.0, s[4:5]
	v_mov_b32_e32 v8, 0
	global_store_dwordx2 v[5:6], v[7:8], off
.LBB71_1884:
	s_mov_b64 s[0:1], 0
.LBB71_1885:
	s_andn2_b64 vcc, exec, s[0:1]
	s_cbranch_vccnz .LBB71_1887
; %bb.1886:
	v_cndmask_b32_e64 v1, 0, 1.0, s[4:5]
	v_cvt_f16_f32_e32 v1, v1
	global_store_dword v[5:6], v1, off
.LBB71_1887:
	s_mov_b64 s[0:1], 0
.LBB71_1888:
	s_andn2_b64 vcc, exec, s[0:1]
	s_cbranch_vccnz .LBB71_1897
; %bb.1889:
	s_cmp_lt_i32 s14, 6
	s_mov_b64 s[0:1], -1
	s_cbranch_scc1 .LBB71_1895
; %bb.1890:
	s_cmp_gt_i32 s14, 6
	s_cbranch_scc0 .LBB71_1892
; %bb.1891:
	v_cndmask_b32_e64 v1, 0, 1, s[4:5]
	v_cvt_f64_u32_e32 v[7:8], v1
	s_mov_b64 s[0:1], 0
	global_store_dwordx2 v[5:6], v[7:8], off
.LBB71_1892:
	s_andn2_b64 vcc, exec, s[0:1]
	s_cbranch_vccnz .LBB71_1894
; %bb.1893:
	v_cndmask_b32_e64 v1, 0, 1.0, s[4:5]
	global_store_dword v[5:6], v1, off
.LBB71_1894:
	s_mov_b64 s[0:1], 0
.LBB71_1895:
	s_andn2_b64 vcc, exec, s[0:1]
	s_cbranch_vccnz .LBB71_1897
; %bb.1896:
	v_cndmask_b32_e64 v1, 0, 1.0, s[4:5]
	v_cvt_f16_f32_e32 v1, v1
	global_store_short v[5:6], v1, off
.LBB71_1897:
	s_mov_b64 s[0:1], 0
.LBB71_1898:
	s_andn2_b64 vcc, exec, s[0:1]
	s_cbranch_vccnz .LBB71_1914
; %bb.1899:
	s_cmp_lt_i32 s14, 2
	s_mov_b64 s[0:1], -1
	s_cbranch_scc1 .LBB71_1909
; %bb.1900:
	s_cmp_lt_i32 s14, 3
	s_cbranch_scc1 .LBB71_1906
; %bb.1901:
	s_cmp_gt_i32 s14, 3
	s_cbranch_scc0 .LBB71_1903
; %bb.1902:
	s_mov_b32 s0, 0
	v_cndmask_b32_e64 v7, 0, 1, s[4:5]
	v_mov_b32_e32 v8, s0
	global_store_dwordx2 v[5:6], v[7:8], off
	s_mov_b64 s[0:1], 0
.LBB71_1903:
	s_andn2_b64 vcc, exec, s[0:1]
	s_cbranch_vccnz .LBB71_1905
; %bb.1904:
	v_cndmask_b32_e64 v1, 0, 1, s[4:5]
	global_store_dword v[5:6], v1, off
.LBB71_1905:
	s_mov_b64 s[0:1], 0
.LBB71_1906:
	s_andn2_b64 vcc, exec, s[0:1]
	s_cbranch_vccnz .LBB71_1908
; %bb.1907:
	v_cndmask_b32_e64 v1, 0, 1, s[4:5]
	global_store_short v[5:6], v1, off
.LBB71_1908:
	s_mov_b64 s[0:1], 0
.LBB71_1909:
	s_andn2_b64 vcc, exec, s[0:1]
	s_cbranch_vccnz .LBB71_1914
; %bb.1910:
	s_mov_b64 s[0:1], -1
	s_cmp_gt_i32 s14, 0
	v_cndmask_b32_e64 v1, 0, 1, s[4:5]
	s_cbranch_scc0 .LBB71_1912
; %bb.1911:
	global_store_byte v[5:6], v1, off
	s_mov_b64 s[0:1], 0
.LBB71_1912:
	s_andn2_b64 vcc, exec, s[0:1]
	s_cbranch_vccnz .LBB71_1914
; %bb.1913:
	global_store_byte v[5:6], v1, off
.LBB71_1914:
	s_mov_b64 s[16:17], -1
.LBB71_1915:
	s_andn2_b64 vcc, exec, s[16:17]
	s_cbranch_vccnz .LBB71_2230
; %bb.1916:
	v_mov_b32_e32 v1, s9
	s_and_b32 s20, 0xffff, s22
	s_waitcnt vmcnt(0)
	v_add_co_u32_e32 v3, vcc, s8, v4
	s_cmp_lt_i32 s20, 11
	v_addc_co_u32_e32 v4, vcc, 0, v1, vcc
	s_cbranch_scc1 .LBB71_1994
; %bb.1917:
	s_mov_b64 s[16:17], -1
	s_mov_b64 s[4:5], 0
	s_cmp_gt_i32 s20, 25
	s_mov_b64 s[14:15], 0
	s_mov_b64 s[0:1], 0
	s_cbranch_scc0 .LBB71_1950
; %bb.1918:
	s_cmp_gt_i32 s20, 28
	s_cbranch_scc0 .LBB71_1933
; %bb.1919:
	s_cmp_gt_i32 s20, 43
	;; [unrolled: 3-line block ×3, first 2 shown]
	s_cbranch_scc0 .LBB71_1923
; %bb.1921:
	s_mov_b64 s[0:1], -1
	s_mov_b64 s[16:17], 0
	s_cmp_eq_u32 s20, 46
	s_cbranch_scc0 .LBB71_1923
; %bb.1922:
	v_cndmask_b32_e64 v1, 0, 1.0, s[6:7]
	v_bfe_u32 v5, v1, 16, 1
	s_movk_i32 s0, 0x7fff
	v_add3_u32 v1, v1, v5, s0
	v_lshrrev_b32_e32 v1, 16, v1
	global_store_dword v[3:4], v1, off
	s_mov_b64 s[0:1], 0
	s_mov_b64 s[14:15], -1
.LBB71_1923:
	s_and_b64 vcc, exec, s[16:17]
	s_cbranch_vccz .LBB71_1928
; %bb.1924:
	s_cmp_eq_u32 s20, 44
	s_mov_b64 s[0:1], -1
	s_cbranch_scc0 .LBB71_1928
; %bb.1925:
	v_cndmask_b32_e64 v5, 0, 1.0, s[6:7]
	v_lshrrev_b32_e32 v1, 23, v5
	s_movk_i32 s0, 0xff
	v_cmp_ne_u32_e32 vcc, s0, v1
	v_mov_b32_e32 v6, 0xff
	s_and_saveexec_b64 s[14:15], vcc
; %bb.1926:
	s_mov_b32 s0, 0x3fffff
	v_and_b32_e32 v6, 0x400000, v5
	v_and_or_b32 v5, v5, s0, v1
	v_cmp_ne_u32_e32 vcc, 0, v6
	v_cmp_ne_u32_e64 s[0:1], 0, v5
	s_and_b64 s[0:1], vcc, s[0:1]
	v_cndmask_b32_e64 v5, 0, 1, s[0:1]
	v_add_u32_e32 v6, v1, v5
; %bb.1927:
	s_or_b64 exec, exec, s[14:15]
	s_mov_b64 s[0:1], 0
	s_mov_b64 s[14:15], -1
	global_store_byte v[3:4], v6, off
.LBB71_1928:
	s_mov_b64 s[16:17], 0
.LBB71_1929:
	s_and_b64 vcc, exec, s[16:17]
	s_cbranch_vccz .LBB71_1932
; %bb.1930:
	s_cmp_eq_u32 s20, 29
	s_mov_b64 s[0:1], -1
	s_cbranch_scc0 .LBB71_1932
; %bb.1931:
	s_mov_b32 s0, 0
	v_cndmask_b32_e64 v5, 0, 1, s[6:7]
	v_mov_b32_e32 v6, s0
	global_store_dwordx2 v[3:4], v[5:6], off
	s_mov_b64 s[0:1], 0
	s_mov_b64 s[14:15], -1
.LBB71_1932:
	s_mov_b64 s[16:17], 0
.LBB71_1933:
	s_and_b64 vcc, exec, s[16:17]
	s_cbranch_vccz .LBB71_1949
; %bb.1934:
	s_cmp_lt_i32 s20, 27
	s_mov_b64 s[14:15], -1
	s_cbranch_scc1 .LBB71_1940
; %bb.1935:
	s_cmp_gt_i32 s20, 27
	s_cbranch_scc0 .LBB71_1937
; %bb.1936:
	v_cndmask_b32_e64 v1, 0, 1, s[6:7]
	s_mov_b64 s[14:15], 0
	global_store_dword v[3:4], v1, off
.LBB71_1937:
	s_andn2_b64 vcc, exec, s[14:15]
	s_cbranch_vccnz .LBB71_1939
; %bb.1938:
	v_cndmask_b32_e64 v1, 0, 1, s[6:7]
	global_store_short v[3:4], v1, off
.LBB71_1939:
	s_mov_b64 s[14:15], 0
.LBB71_1940:
	s_andn2_b64 vcc, exec, s[14:15]
	s_cbranch_vccnz .LBB71_1948
; %bb.1941:
	v_cndmask_b32_e64 v5, 0, 1.0, s[6:7]
	s_mov_b32 s14, 0x43800000
	v_cmp_gt_u32_e32 vcc, s14, v5
	v_mov_b32_e32 v6, 0x80
	s_and_saveexec_b64 s[14:15], vcc
	s_cbranch_execz .LBB71_1947
; %bb.1942:
	s_mov_b32 s16, 0x3bffffff
	v_cmp_lt_u32_e32 vcc, s16, v5
	s_mov_b64 s[16:17], 0
                                        ; implicit-def: $vgpr1
	s_and_saveexec_b64 s[18:19], vcc
	s_xor_b64 s[18:19], exec, s[18:19]
	s_cbranch_execz .LBB71_2238
; %bb.1943:
	v_bfe_u32 v1, v5, 20, 1
	s_mov_b32 s21, 0x487ffff
	v_add3_u32 v1, v5, v1, s21
	s_mov_b64 s[16:17], exec
	v_lshrrev_b32_e32 v1, 20, v1
                                        ; implicit-def: $vgpr5
	s_andn2_saveexec_b64 s[18:19], s[18:19]
	s_cbranch_execnz .LBB71_2239
.LBB71_1944:
	s_or_b64 exec, exec, s[18:19]
	v_mov_b32_e32 v6, 0
	s_and_saveexec_b64 s[18:19], s[16:17]
.LBB71_1945:
	v_mov_b32_e32 v6, v1
.LBB71_1946:
	s_or_b64 exec, exec, s[18:19]
.LBB71_1947:
	s_or_b64 exec, exec, s[14:15]
	global_store_byte v[3:4], v6, off
.LBB71_1948:
	s_mov_b64 s[14:15], -1
.LBB71_1949:
	s_mov_b64 s[16:17], 0
.LBB71_1950:
	s_and_b64 vcc, exec, s[16:17]
	s_cbranch_vccz .LBB71_1990
; %bb.1951:
	s_cmp_gt_i32 s20, 22
	s_mov_b64 s[4:5], -1
	s_cbranch_scc0 .LBB71_1983
; %bb.1952:
	s_cmp_lt_i32 s20, 24
	s_cbranch_scc1 .LBB71_1972
; %bb.1953:
	s_cmp_gt_i32 s20, 24
	s_cbranch_scc0 .LBB71_1961
; %bb.1954:
	v_cndmask_b32_e64 v5, 0, 1.0, s[6:7]
	s_mov_b32 s4, 0x47800000
	v_cmp_gt_u32_e32 vcc, s4, v5
	v_mov_b32_e32 v6, 0x80
	s_and_saveexec_b64 s[4:5], vcc
	s_cbranch_execz .LBB71_1960
; %bb.1955:
	s_mov_b32 s14, 0x37ffffff
	v_cmp_lt_u32_e32 vcc, s14, v5
	s_mov_b64 s[14:15], 0
                                        ; implicit-def: $vgpr1
	s_and_saveexec_b64 s[16:17], vcc
	s_xor_b64 s[16:17], exec, s[16:17]
	s_cbranch_execz .LBB71_2241
; %bb.1956:
	v_bfe_u32 v1, v5, 21, 1
	s_mov_b32 s18, 0x88fffff
	v_add3_u32 v1, v5, v1, s18
	s_mov_b64 s[14:15], exec
	v_lshrrev_b32_e32 v1, 21, v1
                                        ; implicit-def: $vgpr5
	s_andn2_saveexec_b64 s[16:17], s[16:17]
	s_cbranch_execnz .LBB71_2242
.LBB71_1957:
	s_or_b64 exec, exec, s[16:17]
	v_mov_b32_e32 v6, 0
	s_and_saveexec_b64 s[16:17], s[14:15]
.LBB71_1958:
	v_mov_b32_e32 v6, v1
.LBB71_1959:
	s_or_b64 exec, exec, s[16:17]
.LBB71_1960:
	s_or_b64 exec, exec, s[4:5]
	s_mov_b64 s[4:5], 0
	global_store_byte v[3:4], v6, off
.LBB71_1961:
	s_and_b64 vcc, exec, s[4:5]
	s_cbranch_vccz .LBB71_1971
; %bb.1962:
	v_cndmask_b32_e64 v1, 0, 1.0, s[6:7]
	s_mov_b32 s4, 0x43f00000
	v_cmp_gt_u32_e32 vcc, s4, v1
                                        ; implicit-def: $vgpr5
	s_and_saveexec_b64 s[4:5], vcc
	s_xor_b64 s[4:5], exec, s[4:5]
	s_cbranch_execz .LBB71_1968
; %bb.1963:
	s_mov_b32 s14, 0x3c7fffff
	v_cmp_lt_u32_e32 vcc, s14, v1
                                        ; implicit-def: $vgpr5
	s_and_saveexec_b64 s[14:15], vcc
	s_xor_b64 s[14:15], exec, s[14:15]
; %bb.1964:
	v_bfe_u32 v5, v1, 20, 1
	s_mov_b32 s16, 0x407ffff
	v_add3_u32 v1, v1, v5, s16
	v_lshrrev_b32_e32 v5, 20, v1
	v_and_b32_e32 v1, 0xff00000, v1
	s_mov_b32 s16, 0x7f00000
	v_mov_b32_e32 v6, 0x7e
	v_cmp_ne_u32_e32 vcc, s16, v1
	v_cndmask_b32_e32 v5, v6, v5, vcc
                                        ; implicit-def: $vgpr1
; %bb.1965:
	s_andn2_saveexec_b64 s[14:15], s[14:15]
; %bb.1966:
	v_add_f32_e32 v5, 0x46800000, v1
; %bb.1967:
	s_or_b64 exec, exec, s[14:15]
                                        ; implicit-def: $vgpr1
.LBB71_1968:
	s_andn2_saveexec_b64 s[4:5], s[4:5]
; %bb.1969:
	s_mov_b32 s14, 0x7f800000
	v_mov_b32_e32 v5, 0x7e
	v_mov_b32_e32 v6, 0x7f
	v_cmp_lt_u32_e32 vcc, s14, v1
	v_cndmask_b32_e32 v5, v5, v6, vcc
; %bb.1970:
	s_or_b64 exec, exec, s[4:5]
	global_store_byte v[3:4], v5, off
.LBB71_1971:
	s_mov_b64 s[4:5], 0
.LBB71_1972:
	s_andn2_b64 vcc, exec, s[4:5]
	s_cbranch_vccnz .LBB71_1982
; %bb.1973:
	v_cndmask_b32_e64 v1, 0, 1.0, s[6:7]
	s_mov_b32 s4, 0x47800000
	v_cmp_gt_u32_e32 vcc, s4, v1
                                        ; implicit-def: $vgpr5
	s_and_saveexec_b64 s[4:5], vcc
	s_xor_b64 s[4:5], exec, s[4:5]
	s_cbranch_execz .LBB71_1979
; %bb.1974:
	s_mov_b32 s14, 0x387fffff
	v_cmp_lt_u32_e32 vcc, s14, v1
                                        ; implicit-def: $vgpr5
	s_and_saveexec_b64 s[14:15], vcc
	s_xor_b64 s[14:15], exec, s[14:15]
; %bb.1975:
	v_bfe_u32 v5, v1, 21, 1
	s_mov_b32 s16, 0x80fffff
	v_add3_u32 v1, v1, v5, s16
	v_lshrrev_b32_e32 v5, 21, v1
                                        ; implicit-def: $vgpr1
; %bb.1976:
	s_andn2_saveexec_b64 s[14:15], s[14:15]
; %bb.1977:
	v_add_f32_e32 v5, 0x43000000, v1
; %bb.1978:
	s_or_b64 exec, exec, s[14:15]
                                        ; implicit-def: $vgpr1
.LBB71_1979:
	s_andn2_saveexec_b64 s[4:5], s[4:5]
; %bb.1980:
	s_mov_b32 s14, 0x7f800000
	v_mov_b32_e32 v5, 0x7c
	v_mov_b32_e32 v6, 0x7f
	v_cmp_lt_u32_e32 vcc, s14, v1
	v_cndmask_b32_e32 v5, v5, v6, vcc
; %bb.1981:
	s_or_b64 exec, exec, s[4:5]
	global_store_byte v[3:4], v5, off
.LBB71_1982:
	s_mov_b64 s[4:5], 0
	s_mov_b64 s[14:15], -1
.LBB71_1983:
	s_andn2_b64 vcc, exec, s[4:5]
	s_mov_b64 s[4:5], 0
	s_cbranch_vccnz .LBB71_1990
; %bb.1984:
	s_cmp_gt_i32 s20, 14
	s_mov_b64 s[16:17], -1
	s_cbranch_scc0 .LBB71_1988
; %bb.1985:
	s_cmp_eq_u32 s20, 15
	s_mov_b64 s[0:1], -1
	s_cbranch_scc0 .LBB71_1987
; %bb.1986:
	v_cndmask_b32_e64 v1, 0, 1.0, s[6:7]
	v_bfe_u32 v5, v1, 16, 1
	s_movk_i32 s0, 0x7fff
	v_add3_u32 v1, v1, v5, s0
	global_store_short_d16_hi v[3:4], v1, off
	s_mov_b64 s[0:1], 0
	s_mov_b64 s[14:15], -1
.LBB71_1987:
	s_mov_b64 s[16:17], 0
.LBB71_1988:
	s_and_b64 vcc, exec, s[16:17]
	s_cbranch_vccz .LBB71_1990
; %bb.1989:
	s_cmp_lg_u32 s20, 11
	s_mov_b64 s[4:5], -1
	s_cselect_b64 s[0:1], -1, 0
.LBB71_1990:
	s_and_b64 vcc, exec, s[0:1]
	s_cbranch_vccnz .LBB71_2240
; %bb.1991:
	s_andn2_b64 vcc, exec, s[4:5]
	s_cbranch_vccnz .LBB71_1993
.LBB71_1992:
	v_cndmask_b32_e64 v1, 0, 1, s[6:7]
	s_mov_b64 s[14:15], -1
	global_store_byte v[3:4], v1, off
.LBB71_1993:
	s_mov_b64 s[0:1], 0
	s_branch .LBB71_1995
.LBB71_1994:
	s_mov_b64 s[0:1], -1
	s_mov_b64 s[14:15], 0
.LBB71_1995:
	s_and_b64 vcc, exec, s[0:1]
	s_cbranch_vccz .LBB71_2034
; %bb.1996:
	s_cmp_lt_i32 s20, 5
	s_mov_b64 s[0:1], -1
	s_cbranch_scc1 .LBB71_2017
; %bb.1997:
	s_cmp_lt_i32 s20, 8
	s_cbranch_scc1 .LBB71_2007
; %bb.1998:
	s_cmp_lt_i32 s20, 9
	s_cbranch_scc1 .LBB71_2004
; %bb.1999:
	s_cmp_gt_i32 s20, 9
	s_cbranch_scc0 .LBB71_2001
; %bb.2000:
	v_cndmask_b32_e64 v1, 0, 1, s[6:7]
	v_cvt_f64_u32_e32 v[5:6], v1
	v_mov_b32_e32 v7, 0
	v_mov_b32_e32 v8, v7
	s_mov_b64 s[0:1], 0
	global_store_dwordx4 v[3:4], v[5:8], off
.LBB71_2001:
	s_andn2_b64 vcc, exec, s[0:1]
	s_cbranch_vccnz .LBB71_2003
; %bb.2002:
	v_cndmask_b32_e64 v5, 0, 1.0, s[6:7]
	v_mov_b32_e32 v6, 0
	global_store_dwordx2 v[3:4], v[5:6], off
.LBB71_2003:
	s_mov_b64 s[0:1], 0
.LBB71_2004:
	s_andn2_b64 vcc, exec, s[0:1]
	s_cbranch_vccnz .LBB71_2006
; %bb.2005:
	v_cndmask_b32_e64 v1, 0, 1.0, s[6:7]
	v_cvt_f16_f32_e32 v1, v1
	global_store_dword v[3:4], v1, off
.LBB71_2006:
	s_mov_b64 s[0:1], 0
.LBB71_2007:
	s_andn2_b64 vcc, exec, s[0:1]
	s_cbranch_vccnz .LBB71_2016
; %bb.2008:
	s_cmp_lt_i32 s20, 6
	s_mov_b64 s[0:1], -1
	s_cbranch_scc1 .LBB71_2014
; %bb.2009:
	s_cmp_gt_i32 s20, 6
	s_cbranch_scc0 .LBB71_2011
; %bb.2010:
	v_cndmask_b32_e64 v1, 0, 1, s[6:7]
	v_cvt_f64_u32_e32 v[5:6], v1
	s_mov_b64 s[0:1], 0
	global_store_dwordx2 v[3:4], v[5:6], off
.LBB71_2011:
	s_andn2_b64 vcc, exec, s[0:1]
	s_cbranch_vccnz .LBB71_2013
; %bb.2012:
	v_cndmask_b32_e64 v1, 0, 1.0, s[6:7]
	global_store_dword v[3:4], v1, off
.LBB71_2013:
	s_mov_b64 s[0:1], 0
.LBB71_2014:
	s_andn2_b64 vcc, exec, s[0:1]
	s_cbranch_vccnz .LBB71_2016
; %bb.2015:
	v_cndmask_b32_e64 v1, 0, 1.0, s[6:7]
	v_cvt_f16_f32_e32 v1, v1
	global_store_short v[3:4], v1, off
.LBB71_2016:
	s_mov_b64 s[0:1], 0
.LBB71_2017:
	s_andn2_b64 vcc, exec, s[0:1]
	s_cbranch_vccnz .LBB71_2033
; %bb.2018:
	s_cmp_lt_i32 s20, 2
	s_mov_b64 s[0:1], -1
	s_cbranch_scc1 .LBB71_2028
; %bb.2019:
	s_cmp_lt_i32 s20, 3
	s_cbranch_scc1 .LBB71_2025
; %bb.2020:
	s_cmp_gt_i32 s20, 3
	s_cbranch_scc0 .LBB71_2022
; %bb.2021:
	s_mov_b32 s0, 0
	v_cndmask_b32_e64 v5, 0, 1, s[6:7]
	v_mov_b32_e32 v6, s0
	global_store_dwordx2 v[3:4], v[5:6], off
	s_mov_b64 s[0:1], 0
.LBB71_2022:
	s_andn2_b64 vcc, exec, s[0:1]
	s_cbranch_vccnz .LBB71_2024
; %bb.2023:
	v_cndmask_b32_e64 v1, 0, 1, s[6:7]
	global_store_dword v[3:4], v1, off
.LBB71_2024:
	s_mov_b64 s[0:1], 0
.LBB71_2025:
	s_andn2_b64 vcc, exec, s[0:1]
	s_cbranch_vccnz .LBB71_2027
; %bb.2026:
	v_cndmask_b32_e64 v1, 0, 1, s[6:7]
	global_store_short v[3:4], v1, off
.LBB71_2027:
	s_mov_b64 s[0:1], 0
.LBB71_2028:
	s_andn2_b64 vcc, exec, s[0:1]
	s_cbranch_vccnz .LBB71_2033
; %bb.2029:
	s_mov_b64 s[0:1], -1
	s_cmp_gt_i32 s20, 0
	v_cndmask_b32_e64 v1, 0, 1, s[6:7]
	s_cbranch_scc0 .LBB71_2031
; %bb.2030:
	global_store_byte v[3:4], v1, off
	s_mov_b64 s[0:1], 0
.LBB71_2031:
	s_andn2_b64 vcc, exec, s[0:1]
	s_cbranch_vccnz .LBB71_2033
; %bb.2032:
	global_store_byte v[3:4], v1, off
.LBB71_2033:
	s_mov_b64 s[14:15], -1
.LBB71_2034:
	s_andn2_b64 vcc, exec, s[14:15]
	s_cbranch_vccnz .LBB71_2230
; %bb.2035:
	v_mov_b32_e32 v3, s9
	v_add_co_u32_e32 v1, vcc, s8, v2
	s_cmp_lt_i32 s20, 11
	v_addc_co_u32_e32 v2, vcc, 0, v3, vcc
	s_cbranch_scc1 .LBB71_2113
; %bb.2036:
	s_mov_b64 s[14:15], -1
	s_mov_b64 s[4:5], 0
	s_cmp_gt_i32 s20, 25
	s_mov_b64 s[6:7], 0
	s_mov_b64 s[0:1], 0
	s_cbranch_scc0 .LBB71_2069
; %bb.2037:
	s_cmp_gt_i32 s20, 28
	s_cbranch_scc0 .LBB71_2052
; %bb.2038:
	s_cmp_gt_i32 s20, 43
	;; [unrolled: 3-line block ×3, first 2 shown]
	s_cbranch_scc0 .LBB71_2042
; %bb.2040:
	s_mov_b64 s[0:1], -1
	s_mov_b64 s[14:15], 0
	s_cmp_eq_u32 s20, 46
	s_cbranch_scc0 .LBB71_2042
; %bb.2041:
	v_cndmask_b32_e64 v3, 0, 1.0, s[12:13]
	v_bfe_u32 v4, v3, 16, 1
	s_movk_i32 s0, 0x7fff
	v_add3_u32 v3, v3, v4, s0
	v_lshrrev_b32_e32 v3, 16, v3
	global_store_dword v[1:2], v3, off
	s_mov_b64 s[0:1], 0
	s_mov_b64 s[6:7], -1
.LBB71_2042:
	s_and_b64 vcc, exec, s[14:15]
	s_cbranch_vccz .LBB71_2047
; %bb.2043:
	s_cmp_eq_u32 s20, 44
	s_mov_b64 s[0:1], -1
	s_cbranch_scc0 .LBB71_2047
; %bb.2044:
	v_cndmask_b32_e64 v4, 0, 1.0, s[12:13]
	v_lshrrev_b32_e32 v3, 23, v4
	s_movk_i32 s0, 0xff
	v_cmp_ne_u32_e32 vcc, s0, v3
	v_mov_b32_e32 v5, 0xff
	s_and_saveexec_b64 s[6:7], vcc
; %bb.2045:
	s_mov_b32 s0, 0x3fffff
	v_and_b32_e32 v5, 0x400000, v4
	v_and_or_b32 v4, v4, s0, v3
	v_cmp_ne_u32_e32 vcc, 0, v5
	v_cmp_ne_u32_e64 s[0:1], 0, v4
	s_and_b64 s[0:1], vcc, s[0:1]
	v_cndmask_b32_e64 v4, 0, 1, s[0:1]
	v_add_u32_e32 v5, v3, v4
; %bb.2046:
	s_or_b64 exec, exec, s[6:7]
	s_mov_b64 s[0:1], 0
	s_mov_b64 s[6:7], -1
	global_store_byte v[1:2], v5, off
.LBB71_2047:
	s_mov_b64 s[14:15], 0
.LBB71_2048:
	s_and_b64 vcc, exec, s[14:15]
	s_cbranch_vccz .LBB71_2051
; %bb.2049:
	s_cmp_eq_u32 s20, 29
	s_mov_b64 s[0:1], -1
	s_cbranch_scc0 .LBB71_2051
; %bb.2050:
	s_mov_b32 s0, 0
	v_cndmask_b32_e64 v3, 0, 1, s[12:13]
	v_mov_b32_e32 v4, s0
	global_store_dwordx2 v[1:2], v[3:4], off
	s_mov_b64 s[0:1], 0
	s_mov_b64 s[6:7], -1
.LBB71_2051:
	s_mov_b64 s[14:15], 0
.LBB71_2052:
	s_and_b64 vcc, exec, s[14:15]
	s_cbranch_vccz .LBB71_2068
; %bb.2053:
	s_cmp_lt_i32 s20, 27
	s_mov_b64 s[6:7], -1
	s_cbranch_scc1 .LBB71_2059
; %bb.2054:
	s_cmp_gt_i32 s20, 27
	s_cbranch_scc0 .LBB71_2056
; %bb.2055:
	v_cndmask_b32_e64 v3, 0, 1, s[12:13]
	s_mov_b64 s[6:7], 0
	global_store_dword v[1:2], v3, off
.LBB71_2056:
	s_andn2_b64 vcc, exec, s[6:7]
	s_cbranch_vccnz .LBB71_2058
; %bb.2057:
	v_cndmask_b32_e64 v3, 0, 1, s[12:13]
	global_store_short v[1:2], v3, off
.LBB71_2058:
	s_mov_b64 s[6:7], 0
.LBB71_2059:
	s_andn2_b64 vcc, exec, s[6:7]
	s_cbranch_vccnz .LBB71_2067
; %bb.2060:
	v_cndmask_b32_e64 v4, 0, 1.0, s[12:13]
	s_mov_b32 s6, 0x43800000
	v_cmp_gt_u32_e32 vcc, s6, v4
	v_mov_b32_e32 v5, 0x80
	s_and_saveexec_b64 s[6:7], vcc
	s_cbranch_execz .LBB71_2066
; %bb.2061:
	s_mov_b32 s14, 0x3bffffff
	v_cmp_lt_u32_e32 vcc, s14, v4
	s_mov_b64 s[14:15], 0
                                        ; implicit-def: $vgpr3
	s_and_saveexec_b64 s[16:17], vcc
	s_xor_b64 s[16:17], exec, s[16:17]
	s_cbranch_execz .LBB71_2243
; %bb.2062:
	v_bfe_u32 v3, v4, 20, 1
	s_mov_b32 s18, 0x487ffff
	v_add3_u32 v3, v4, v3, s18
	s_mov_b64 s[14:15], exec
	v_lshrrev_b32_e32 v3, 20, v3
                                        ; implicit-def: $vgpr4
	s_andn2_saveexec_b64 s[16:17], s[16:17]
	s_cbranch_execnz .LBB71_2244
.LBB71_2063:
	s_or_b64 exec, exec, s[16:17]
	v_mov_b32_e32 v5, 0
	s_and_saveexec_b64 s[16:17], s[14:15]
.LBB71_2064:
	v_mov_b32_e32 v5, v3
.LBB71_2065:
	s_or_b64 exec, exec, s[16:17]
.LBB71_2066:
	s_or_b64 exec, exec, s[6:7]
	global_store_byte v[1:2], v5, off
.LBB71_2067:
	s_mov_b64 s[6:7], -1
.LBB71_2068:
	s_mov_b64 s[14:15], 0
.LBB71_2069:
	s_and_b64 vcc, exec, s[14:15]
	s_cbranch_vccz .LBB71_2109
; %bb.2070:
	s_cmp_gt_i32 s20, 22
	s_mov_b64 s[4:5], -1
	s_cbranch_scc0 .LBB71_2102
; %bb.2071:
	s_cmp_lt_i32 s20, 24
	s_cbranch_scc1 .LBB71_2091
; %bb.2072:
	s_cmp_gt_i32 s20, 24
	s_cbranch_scc0 .LBB71_2080
; %bb.2073:
	v_cndmask_b32_e64 v4, 0, 1.0, s[12:13]
	s_mov_b32 s4, 0x47800000
	v_cmp_gt_u32_e32 vcc, s4, v4
	v_mov_b32_e32 v5, 0x80
	s_and_saveexec_b64 s[4:5], vcc
	s_cbranch_execz .LBB71_2079
; %bb.2074:
	s_mov_b32 s6, 0x37ffffff
	v_cmp_lt_u32_e32 vcc, s6, v4
	s_mov_b64 s[6:7], 0
                                        ; implicit-def: $vgpr3
	s_and_saveexec_b64 s[14:15], vcc
	s_xor_b64 s[14:15], exec, s[14:15]
	s_cbranch_execz .LBB71_2246
; %bb.2075:
	v_bfe_u32 v3, v4, 21, 1
	s_mov_b32 s16, 0x88fffff
	v_add3_u32 v3, v4, v3, s16
	s_mov_b64 s[6:7], exec
	v_lshrrev_b32_e32 v3, 21, v3
                                        ; implicit-def: $vgpr4
	s_andn2_saveexec_b64 s[14:15], s[14:15]
	s_cbranch_execnz .LBB71_2247
.LBB71_2076:
	s_or_b64 exec, exec, s[14:15]
	v_mov_b32_e32 v5, 0
	s_and_saveexec_b64 s[14:15], s[6:7]
.LBB71_2077:
	v_mov_b32_e32 v5, v3
.LBB71_2078:
	s_or_b64 exec, exec, s[14:15]
.LBB71_2079:
	s_or_b64 exec, exec, s[4:5]
	s_mov_b64 s[4:5], 0
	global_store_byte v[1:2], v5, off
.LBB71_2080:
	s_and_b64 vcc, exec, s[4:5]
	s_cbranch_vccz .LBB71_2090
; %bb.2081:
	v_cndmask_b32_e64 v3, 0, 1.0, s[12:13]
	s_mov_b32 s4, 0x43f00000
	v_cmp_gt_u32_e32 vcc, s4, v3
                                        ; implicit-def: $vgpr4
	s_and_saveexec_b64 s[4:5], vcc
	s_xor_b64 s[4:5], exec, s[4:5]
	s_cbranch_execz .LBB71_2087
; %bb.2082:
	s_mov_b32 s6, 0x3c7fffff
	v_cmp_lt_u32_e32 vcc, s6, v3
                                        ; implicit-def: $vgpr4
	s_and_saveexec_b64 s[6:7], vcc
	s_xor_b64 s[6:7], exec, s[6:7]
; %bb.2083:
	v_bfe_u32 v4, v3, 20, 1
	s_mov_b32 s14, 0x407ffff
	v_add3_u32 v3, v3, v4, s14
	v_lshrrev_b32_e32 v4, 20, v3
	v_and_b32_e32 v3, 0xff00000, v3
	s_mov_b32 s14, 0x7f00000
	v_mov_b32_e32 v5, 0x7e
	v_cmp_ne_u32_e32 vcc, s14, v3
	v_cndmask_b32_e32 v4, v5, v4, vcc
                                        ; implicit-def: $vgpr3
; %bb.2084:
	s_andn2_saveexec_b64 s[6:7], s[6:7]
; %bb.2085:
	v_add_f32_e32 v4, 0x46800000, v3
; %bb.2086:
	s_or_b64 exec, exec, s[6:7]
                                        ; implicit-def: $vgpr3
.LBB71_2087:
	s_andn2_saveexec_b64 s[4:5], s[4:5]
; %bb.2088:
	s_mov_b32 s6, 0x7f800000
	v_mov_b32_e32 v4, 0x7e
	v_mov_b32_e32 v5, 0x7f
	v_cmp_lt_u32_e32 vcc, s6, v3
	v_cndmask_b32_e32 v4, v4, v5, vcc
; %bb.2089:
	s_or_b64 exec, exec, s[4:5]
	global_store_byte v[1:2], v4, off
.LBB71_2090:
	s_mov_b64 s[4:5], 0
.LBB71_2091:
	s_andn2_b64 vcc, exec, s[4:5]
	s_cbranch_vccnz .LBB71_2101
; %bb.2092:
	v_cndmask_b32_e64 v3, 0, 1.0, s[12:13]
	s_mov_b32 s4, 0x47800000
	v_cmp_gt_u32_e32 vcc, s4, v3
                                        ; implicit-def: $vgpr4
	s_and_saveexec_b64 s[4:5], vcc
	s_xor_b64 s[4:5], exec, s[4:5]
	s_cbranch_execz .LBB71_2098
; %bb.2093:
	s_mov_b32 s6, 0x387fffff
	v_cmp_lt_u32_e32 vcc, s6, v3
                                        ; implicit-def: $vgpr4
	s_and_saveexec_b64 s[6:7], vcc
	s_xor_b64 s[6:7], exec, s[6:7]
; %bb.2094:
	v_bfe_u32 v4, v3, 21, 1
	s_mov_b32 s14, 0x80fffff
	v_add3_u32 v3, v3, v4, s14
	v_lshrrev_b32_e32 v4, 21, v3
                                        ; implicit-def: $vgpr3
; %bb.2095:
	s_andn2_saveexec_b64 s[6:7], s[6:7]
; %bb.2096:
	v_add_f32_e32 v4, 0x43000000, v3
; %bb.2097:
	s_or_b64 exec, exec, s[6:7]
                                        ; implicit-def: $vgpr3
.LBB71_2098:
	s_andn2_saveexec_b64 s[4:5], s[4:5]
; %bb.2099:
	s_mov_b32 s6, 0x7f800000
	v_mov_b32_e32 v4, 0x7c
	v_mov_b32_e32 v5, 0x7f
	v_cmp_lt_u32_e32 vcc, s6, v3
	v_cndmask_b32_e32 v4, v4, v5, vcc
; %bb.2100:
	s_or_b64 exec, exec, s[4:5]
	global_store_byte v[1:2], v4, off
.LBB71_2101:
	s_mov_b64 s[4:5], 0
	s_mov_b64 s[6:7], -1
.LBB71_2102:
	s_andn2_b64 vcc, exec, s[4:5]
	s_mov_b64 s[4:5], 0
	s_cbranch_vccnz .LBB71_2109
; %bb.2103:
	s_cmp_gt_i32 s20, 14
	s_mov_b64 s[14:15], -1
	s_cbranch_scc0 .LBB71_2107
; %bb.2104:
	s_cmp_eq_u32 s20, 15
	s_mov_b64 s[0:1], -1
	s_cbranch_scc0 .LBB71_2106
; %bb.2105:
	v_cndmask_b32_e64 v3, 0, 1.0, s[12:13]
	v_bfe_u32 v4, v3, 16, 1
	s_movk_i32 s0, 0x7fff
	v_add3_u32 v3, v3, v4, s0
	global_store_short_d16_hi v[1:2], v3, off
	s_mov_b64 s[0:1], 0
	s_mov_b64 s[6:7], -1
.LBB71_2106:
	s_mov_b64 s[14:15], 0
.LBB71_2107:
	s_and_b64 vcc, exec, s[14:15]
	s_cbranch_vccz .LBB71_2109
; %bb.2108:
	s_cmp_lg_u32 s20, 11
	s_mov_b64 s[4:5], -1
	s_cselect_b64 s[0:1], -1, 0
.LBB71_2109:
	s_and_b64 vcc, exec, s[0:1]
	s_cbranch_vccnz .LBB71_2245
; %bb.2110:
	s_andn2_b64 vcc, exec, s[4:5]
	s_cbranch_vccnz .LBB71_2112
.LBB71_2111:
	v_cndmask_b32_e64 v3, 0, 1, s[12:13]
	s_mov_b64 s[6:7], -1
	global_store_byte v[1:2], v3, off
.LBB71_2112:
	s_mov_b64 s[0:1], 0
	s_branch .LBB71_2114
.LBB71_2113:
	s_mov_b64 s[0:1], -1
	s_mov_b64 s[6:7], 0
.LBB71_2114:
	s_and_b64 vcc, exec, s[0:1]
	s_cbranch_vccz .LBB71_2153
; %bb.2115:
	s_cmp_lt_i32 s20, 5
	s_mov_b64 s[0:1], -1
	s_cbranch_scc1 .LBB71_2136
; %bb.2116:
	s_cmp_lt_i32 s20, 8
	s_cbranch_scc1 .LBB71_2126
; %bb.2117:
	s_cmp_lt_i32 s20, 9
	s_cbranch_scc1 .LBB71_2123
; %bb.2118:
	s_cmp_gt_i32 s20, 9
	s_cbranch_scc0 .LBB71_2120
; %bb.2119:
	v_cndmask_b32_e64 v3, 0, 1, s[12:13]
	v_cvt_f64_u32_e32 v[3:4], v3
	v_mov_b32_e32 v5, 0
	v_mov_b32_e32 v6, v5
	s_mov_b64 s[0:1], 0
	global_store_dwordx4 v[1:2], v[3:6], off
.LBB71_2120:
	s_andn2_b64 vcc, exec, s[0:1]
	s_cbranch_vccnz .LBB71_2122
; %bb.2121:
	v_cndmask_b32_e64 v3, 0, 1.0, s[12:13]
	v_mov_b32_e32 v4, 0
	global_store_dwordx2 v[1:2], v[3:4], off
.LBB71_2122:
	s_mov_b64 s[0:1], 0
.LBB71_2123:
	s_andn2_b64 vcc, exec, s[0:1]
	s_cbranch_vccnz .LBB71_2125
; %bb.2124:
	v_cndmask_b32_e64 v3, 0, 1.0, s[12:13]
	v_cvt_f16_f32_e32 v3, v3
	global_store_dword v[1:2], v3, off
.LBB71_2125:
	s_mov_b64 s[0:1], 0
.LBB71_2126:
	s_andn2_b64 vcc, exec, s[0:1]
	s_cbranch_vccnz .LBB71_2135
; %bb.2127:
	s_cmp_lt_i32 s20, 6
	s_mov_b64 s[0:1], -1
	s_cbranch_scc1 .LBB71_2133
; %bb.2128:
	s_cmp_gt_i32 s20, 6
	s_cbranch_scc0 .LBB71_2130
; %bb.2129:
	v_cndmask_b32_e64 v3, 0, 1, s[12:13]
	v_cvt_f64_u32_e32 v[3:4], v3
	s_mov_b64 s[0:1], 0
	global_store_dwordx2 v[1:2], v[3:4], off
.LBB71_2130:
	s_andn2_b64 vcc, exec, s[0:1]
	s_cbranch_vccnz .LBB71_2132
; %bb.2131:
	v_cndmask_b32_e64 v3, 0, 1.0, s[12:13]
	global_store_dword v[1:2], v3, off
.LBB71_2132:
	s_mov_b64 s[0:1], 0
.LBB71_2133:
	s_andn2_b64 vcc, exec, s[0:1]
	s_cbranch_vccnz .LBB71_2135
; %bb.2134:
	v_cndmask_b32_e64 v3, 0, 1.0, s[12:13]
	v_cvt_f16_f32_e32 v3, v3
	global_store_short v[1:2], v3, off
.LBB71_2135:
	s_mov_b64 s[0:1], 0
.LBB71_2136:
	s_andn2_b64 vcc, exec, s[0:1]
	s_cbranch_vccnz .LBB71_2152
; %bb.2137:
	s_cmp_lt_i32 s20, 2
	s_mov_b64 s[0:1], -1
	s_cbranch_scc1 .LBB71_2147
; %bb.2138:
	s_cmp_lt_i32 s20, 3
	s_cbranch_scc1 .LBB71_2144
; %bb.2139:
	s_cmp_gt_i32 s20, 3
	s_cbranch_scc0 .LBB71_2141
; %bb.2140:
	s_mov_b32 s0, 0
	v_cndmask_b32_e64 v3, 0, 1, s[12:13]
	v_mov_b32_e32 v4, s0
	global_store_dwordx2 v[1:2], v[3:4], off
	s_mov_b64 s[0:1], 0
.LBB71_2141:
	s_andn2_b64 vcc, exec, s[0:1]
	s_cbranch_vccnz .LBB71_2143
; %bb.2142:
	v_cndmask_b32_e64 v3, 0, 1, s[12:13]
	global_store_dword v[1:2], v3, off
.LBB71_2143:
	s_mov_b64 s[0:1], 0
.LBB71_2144:
	s_andn2_b64 vcc, exec, s[0:1]
	s_cbranch_vccnz .LBB71_2146
; %bb.2145:
	v_cndmask_b32_e64 v3, 0, 1, s[12:13]
	global_store_short v[1:2], v3, off
.LBB71_2146:
	s_mov_b64 s[0:1], 0
.LBB71_2147:
	s_andn2_b64 vcc, exec, s[0:1]
	s_cbranch_vccnz .LBB71_2152
; %bb.2148:
	s_cmp_gt_i32 s20, 0
	s_mov_b64 s[0:1], -1
	s_cbranch_scc0 .LBB71_2150
; %bb.2149:
	v_cndmask_b32_e64 v3, 0, 1, s[12:13]
	global_store_byte v[1:2], v3, off
	s_mov_b64 s[0:1], 0
.LBB71_2150:
	s_andn2_b64 vcc, exec, s[0:1]
	s_cbranch_vccnz .LBB71_2152
; %bb.2151:
	v_cndmask_b32_e64 v3, 0, 1, s[12:13]
	global_store_byte v[1:2], v3, off
.LBB71_2152:
	s_mov_b64 s[6:7], -1
.LBB71_2153:
	s_andn2_b64 vcc, exec, s[6:7]
	s_cbranch_vccnz .LBB71_2230
; %bb.2154:
	v_mov_b32_e32 v1, s9
	v_add_co_u32_e32 v0, vcc, s8, v0
	s_cmp_lt_i32 s20, 11
	v_addc_co_u32_e32 v1, vcc, 0, v1, vcc
	s_cbranch_scc1 .LBB71_2231
; %bb.2155:
	s_mov_b64 s[6:7], -1
	s_mov_b64 s[4:5], 0
	s_cmp_gt_i32 s20, 25
	s_mov_b64 s[0:1], 0
	s_cbranch_scc0 .LBB71_2188
; %bb.2156:
	s_cmp_gt_i32 s20, 28
	s_cbranch_scc0 .LBB71_2172
; %bb.2157:
	s_cmp_gt_i32 s20, 43
	;; [unrolled: 3-line block ×3, first 2 shown]
	s_cbranch_scc0 .LBB71_2162
; %bb.2159:
	s_cmp_eq_u32 s20, 46
	s_mov_b64 s[0:1], -1
	s_cbranch_scc0 .LBB71_2161
; %bb.2160:
	v_cndmask_b32_e64 v2, 0, 1.0, s[10:11]
	v_bfe_u32 v3, v2, 16, 1
	s_movk_i32 s0, 0x7fff
	v_add3_u32 v2, v2, v3, s0
	v_lshrrev_b32_e32 v2, 16, v2
	global_store_dword v[0:1], v2, off
	s_mov_b64 s[0:1], 0
.LBB71_2161:
	s_mov_b64 s[6:7], 0
.LBB71_2162:
	s_and_b64 vcc, exec, s[6:7]
	s_cbranch_vccz .LBB71_2167
; %bb.2163:
	s_cmp_eq_u32 s20, 44
	s_mov_b64 s[0:1], -1
	s_cbranch_scc0 .LBB71_2167
; %bb.2164:
	v_cndmask_b32_e64 v3, 0, 1.0, s[10:11]
	v_lshrrev_b32_e32 v2, 23, v3
	s_movk_i32 s0, 0xff
	v_cmp_ne_u32_e32 vcc, s0, v2
	v_mov_b32_e32 v4, 0xff
	s_and_saveexec_b64 s[6:7], vcc
; %bb.2165:
	s_mov_b32 s0, 0x3fffff
	v_and_b32_e32 v4, 0x400000, v3
	v_and_or_b32 v3, v3, s0, v2
	v_cmp_ne_u32_e32 vcc, 0, v4
	v_cmp_ne_u32_e64 s[0:1], 0, v3
	s_and_b64 s[0:1], vcc, s[0:1]
	v_cndmask_b32_e64 v3, 0, 1, s[0:1]
	v_add_u32_e32 v4, v2, v3
; %bb.2166:
	s_or_b64 exec, exec, s[6:7]
	s_mov_b64 s[0:1], 0
	global_store_byte v[0:1], v4, off
.LBB71_2167:
	s_mov_b64 s[6:7], 0
.LBB71_2168:
	s_and_b64 vcc, exec, s[6:7]
	s_cbranch_vccz .LBB71_2171
; %bb.2169:
	s_cmp_eq_u32 s20, 29
	s_mov_b64 s[0:1], -1
	s_cbranch_scc0 .LBB71_2171
; %bb.2170:
	s_mov_b32 s0, 0
	v_cndmask_b32_e64 v2, 0, 1, s[10:11]
	v_mov_b32_e32 v3, s0
	global_store_dwordx2 v[0:1], v[2:3], off
	s_mov_b64 s[0:1], 0
.LBB71_2171:
	s_mov_b64 s[6:7], 0
.LBB71_2172:
	s_and_b64 vcc, exec, s[6:7]
	s_cbranch_vccz .LBB71_2187
; %bb.2173:
	s_cmp_lt_i32 s20, 27
	s_mov_b64 s[6:7], -1
	s_cbranch_scc1 .LBB71_2179
; %bb.2174:
	s_cmp_gt_i32 s20, 27
	s_cbranch_scc0 .LBB71_2176
; %bb.2175:
	v_cndmask_b32_e64 v2, 0, 1, s[10:11]
	global_store_dword v[0:1], v2, off
	s_mov_b64 s[6:7], 0
.LBB71_2176:
	s_andn2_b64 vcc, exec, s[6:7]
	s_cbranch_vccnz .LBB71_2178
; %bb.2177:
	v_cndmask_b32_e64 v2, 0, 1, s[10:11]
	global_store_short v[0:1], v2, off
.LBB71_2178:
	s_mov_b64 s[6:7], 0
.LBB71_2179:
	s_andn2_b64 vcc, exec, s[6:7]
	s_cbranch_vccnz .LBB71_2187
; %bb.2180:
	v_cndmask_b32_e64 v3, 0, 1.0, s[10:11]
	s_mov_b32 s6, 0x43800000
	v_cmp_gt_u32_e32 vcc, s6, v3
	v_mov_b32_e32 v4, 0x80
	s_and_saveexec_b64 s[6:7], vcc
	s_cbranch_execz .LBB71_2186
; %bb.2181:
	s_mov_b32 s8, 0x3bffffff
	v_cmp_lt_u32_e32 vcc, s8, v3
	s_mov_b64 s[8:9], 0
                                        ; implicit-def: $vgpr2
	s_and_saveexec_b64 s[12:13], vcc
	s_xor_b64 s[12:13], exec, s[12:13]
	s_cbranch_execz .LBB71_2248
; %bb.2182:
	v_bfe_u32 v2, v3, 20, 1
	s_mov_b32 s14, 0x487ffff
	v_add3_u32 v2, v3, v2, s14
	s_mov_b64 s[8:9], exec
	v_lshrrev_b32_e32 v2, 20, v2
                                        ; implicit-def: $vgpr3
	s_andn2_saveexec_b64 s[12:13], s[12:13]
	s_cbranch_execnz .LBB71_2249
.LBB71_2183:
	s_or_b64 exec, exec, s[12:13]
	v_mov_b32_e32 v4, 0
	s_and_saveexec_b64 s[12:13], s[8:9]
.LBB71_2184:
	v_mov_b32_e32 v4, v2
.LBB71_2185:
	s_or_b64 exec, exec, s[12:13]
.LBB71_2186:
	s_or_b64 exec, exec, s[6:7]
	global_store_byte v[0:1], v4, off
.LBB71_2187:
	s_mov_b64 s[6:7], 0
.LBB71_2188:
	s_and_b64 vcc, exec, s[6:7]
	s_cbranch_vccz .LBB71_2228
; %bb.2189:
	s_cmp_gt_i32 s20, 22
	s_mov_b64 s[4:5], -1
	s_cbranch_scc0 .LBB71_2221
; %bb.2190:
	s_cmp_lt_i32 s20, 24
	s_cbranch_scc1 .LBB71_2210
; %bb.2191:
	s_cmp_gt_i32 s20, 24
	s_cbranch_scc0 .LBB71_2199
; %bb.2192:
	v_cndmask_b32_e64 v3, 0, 1.0, s[10:11]
	s_mov_b32 s4, 0x47800000
	v_cmp_gt_u32_e32 vcc, s4, v3
	v_mov_b32_e32 v4, 0x80
	s_and_saveexec_b64 s[4:5], vcc
	s_cbranch_execz .LBB71_2198
; %bb.2193:
	s_mov_b32 s6, 0x37ffffff
	v_cmp_lt_u32_e32 vcc, s6, v3
	s_mov_b64 s[6:7], 0
                                        ; implicit-def: $vgpr2
	s_and_saveexec_b64 s[8:9], vcc
	s_xor_b64 s[8:9], exec, s[8:9]
	s_cbranch_execz .LBB71_2251
; %bb.2194:
	v_bfe_u32 v2, v3, 21, 1
	s_mov_b32 s12, 0x88fffff
	v_add3_u32 v2, v3, v2, s12
	s_mov_b64 s[6:7], exec
	v_lshrrev_b32_e32 v2, 21, v2
                                        ; implicit-def: $vgpr3
	s_andn2_saveexec_b64 s[8:9], s[8:9]
	s_cbranch_execnz .LBB71_2252
.LBB71_2195:
	s_or_b64 exec, exec, s[8:9]
	v_mov_b32_e32 v4, 0
	s_and_saveexec_b64 s[8:9], s[6:7]
.LBB71_2196:
	v_mov_b32_e32 v4, v2
.LBB71_2197:
	s_or_b64 exec, exec, s[8:9]
.LBB71_2198:
	s_or_b64 exec, exec, s[4:5]
	s_mov_b64 s[4:5], 0
	global_store_byte v[0:1], v4, off
.LBB71_2199:
	s_and_b64 vcc, exec, s[4:5]
	s_cbranch_vccz .LBB71_2209
; %bb.2200:
	v_cndmask_b32_e64 v2, 0, 1.0, s[10:11]
	s_mov_b32 s4, 0x43f00000
	v_cmp_gt_u32_e32 vcc, s4, v2
                                        ; implicit-def: $vgpr3
	s_and_saveexec_b64 s[4:5], vcc
	s_xor_b64 s[4:5], exec, s[4:5]
	s_cbranch_execz .LBB71_2206
; %bb.2201:
	s_mov_b32 s6, 0x3c7fffff
	v_cmp_lt_u32_e32 vcc, s6, v2
                                        ; implicit-def: $vgpr3
	s_and_saveexec_b64 s[6:7], vcc
	s_xor_b64 s[6:7], exec, s[6:7]
; %bb.2202:
	v_bfe_u32 v3, v2, 20, 1
	s_mov_b32 s8, 0x407ffff
	v_add3_u32 v2, v2, v3, s8
	v_lshrrev_b32_e32 v3, 20, v2
	v_and_b32_e32 v2, 0xff00000, v2
	s_mov_b32 s8, 0x7f00000
	v_mov_b32_e32 v4, 0x7e
	v_cmp_ne_u32_e32 vcc, s8, v2
	v_cndmask_b32_e32 v3, v4, v3, vcc
                                        ; implicit-def: $vgpr2
; %bb.2203:
	s_andn2_saveexec_b64 s[6:7], s[6:7]
; %bb.2204:
	v_add_f32_e32 v3, 0x46800000, v2
; %bb.2205:
	s_or_b64 exec, exec, s[6:7]
                                        ; implicit-def: $vgpr2
.LBB71_2206:
	s_andn2_saveexec_b64 s[4:5], s[4:5]
; %bb.2207:
	s_mov_b32 s6, 0x7f800000
	v_mov_b32_e32 v3, 0x7e
	v_mov_b32_e32 v4, 0x7f
	v_cmp_lt_u32_e32 vcc, s6, v2
	v_cndmask_b32_e32 v3, v3, v4, vcc
; %bb.2208:
	s_or_b64 exec, exec, s[4:5]
	global_store_byte v[0:1], v3, off
.LBB71_2209:
	s_mov_b64 s[4:5], 0
.LBB71_2210:
	s_andn2_b64 vcc, exec, s[4:5]
	s_cbranch_vccnz .LBB71_2220
; %bb.2211:
	v_cndmask_b32_e64 v2, 0, 1.0, s[10:11]
	s_mov_b32 s4, 0x47800000
	v_cmp_gt_u32_e32 vcc, s4, v2
                                        ; implicit-def: $vgpr3
	s_and_saveexec_b64 s[4:5], vcc
	s_xor_b64 s[4:5], exec, s[4:5]
	s_cbranch_execz .LBB71_2217
; %bb.2212:
	s_mov_b32 s6, 0x387fffff
	v_cmp_lt_u32_e32 vcc, s6, v2
                                        ; implicit-def: $vgpr3
	s_and_saveexec_b64 s[6:7], vcc
	s_xor_b64 s[6:7], exec, s[6:7]
; %bb.2213:
	v_bfe_u32 v3, v2, 21, 1
	s_mov_b32 s8, 0x80fffff
	v_add3_u32 v2, v2, v3, s8
	v_lshrrev_b32_e32 v3, 21, v2
                                        ; implicit-def: $vgpr2
; %bb.2214:
	s_andn2_saveexec_b64 s[6:7], s[6:7]
; %bb.2215:
	v_add_f32_e32 v3, 0x43000000, v2
; %bb.2216:
	s_or_b64 exec, exec, s[6:7]
                                        ; implicit-def: $vgpr2
.LBB71_2217:
	s_andn2_saveexec_b64 s[4:5], s[4:5]
; %bb.2218:
	s_mov_b32 s6, 0x7f800000
	v_mov_b32_e32 v3, 0x7c
	v_mov_b32_e32 v4, 0x7f
	v_cmp_lt_u32_e32 vcc, s6, v2
	v_cndmask_b32_e32 v3, v3, v4, vcc
; %bb.2219:
	s_or_b64 exec, exec, s[4:5]
	global_store_byte v[0:1], v3, off
.LBB71_2220:
	s_mov_b64 s[4:5], 0
.LBB71_2221:
	s_andn2_b64 vcc, exec, s[4:5]
	s_mov_b64 s[4:5], 0
	s_cbranch_vccnz .LBB71_2228
; %bb.2222:
	s_cmp_gt_i32 s20, 14
	s_mov_b64 s[6:7], -1
	s_cbranch_scc0 .LBB71_2226
; %bb.2223:
	s_cmp_eq_u32 s20, 15
	s_mov_b64 s[0:1], -1
	s_cbranch_scc0 .LBB71_2225
; %bb.2224:
	v_cndmask_b32_e64 v2, 0, 1.0, s[10:11]
	v_bfe_u32 v3, v2, 16, 1
	s_movk_i32 s0, 0x7fff
	v_add3_u32 v2, v2, v3, s0
	global_store_short_d16_hi v[0:1], v2, off
	s_mov_b64 s[0:1], 0
.LBB71_2225:
	s_mov_b64 s[6:7], 0
.LBB71_2226:
	s_and_b64 vcc, exec, s[6:7]
	s_cbranch_vccz .LBB71_2228
; %bb.2227:
	s_cmp_lg_u32 s20, 11
	s_mov_b64 s[4:5], -1
	s_cselect_b64 s[0:1], -1, 0
.LBB71_2228:
	s_and_b64 vcc, exec, s[0:1]
	s_cbranch_vccnz .LBB71_2250
.LBB71_2229:
	s_mov_b64 s[0:1], 0
	s_branch .LBB71_1740
.LBB71_2230:
	s_mov_b64 s[0:1], 0
	s_branch .LBB71_1739
.LBB71_2231:
	s_mov_b64 s[4:5], 0
	s_mov_b64 s[0:1], -1
	s_branch .LBB71_1740
.LBB71_2232:
	s_trap 2
	s_or_b64 s[2:3], s[2:3], exec
	s_cbranch_execz .LBB71_1682
	s_branch .LBB71_1683
.LBB71_2233:
	s_andn2_saveexec_b64 s[20:21], s[20:21]
	s_cbranch_execz .LBB71_1823
.LBB71_2234:
	v_add_f32_e32 v1, 0x46000000, v3
	v_and_b32_e32 v1, 0xff, v1
	v_cmp_ne_u32_e32 vcc, 0, v1
	s_andn2_b64 s[18:19], s[18:19], exec
	s_and_b64 s[24:25], vcc, exec
	s_or_b64 s[18:19], s[18:19], s[24:25]
	s_or_b64 exec, exec, s[20:21]
	v_mov_b32_e32 v7, 0
	s_and_saveexec_b64 s[20:21], s[18:19]
	s_cbranch_execnz .LBB71_1824
	s_branch .LBB71_1825
.LBB71_2235:
	s_trap 2
	s_or_b64 s[2:3], s[2:3], exec
	s_cbranch_execz .LBB71_1871
	s_branch .LBB71_1872
.LBB71_2236:
	s_andn2_saveexec_b64 s[18:19], s[18:19]
	s_cbranch_execz .LBB71_1836
.LBB71_2237:
	v_add_f32_e32 v1, 0x42800000, v3
	v_and_b32_e32 v1, 0xff, v1
	v_cmp_ne_u32_e32 vcc, 0, v1
	s_andn2_b64 s[16:17], s[16:17], exec
	s_and_b64 s[20:21], vcc, exec
	s_or_b64 s[16:17], s[16:17], s[20:21]
	s_or_b64 exec, exec, s[18:19]
	v_mov_b32_e32 v7, 0
	s_and_saveexec_b64 s[18:19], s[16:17]
	s_cbranch_execnz .LBB71_1837
	s_branch .LBB71_1838
.LBB71_2238:
	s_andn2_saveexec_b64 s[18:19], s[18:19]
	s_cbranch_execz .LBB71_1944
.LBB71_2239:
	v_add_f32_e32 v1, 0x46000000, v5
	v_and_b32_e32 v1, 0xff, v1
	v_cmp_ne_u32_e32 vcc, 0, v1
	s_andn2_b64 s[16:17], s[16:17], exec
	s_and_b64 s[24:25], vcc, exec
	s_or_b64 s[16:17], s[16:17], s[24:25]
	s_or_b64 exec, exec, s[18:19]
	v_mov_b32_e32 v6, 0
	s_and_saveexec_b64 s[18:19], s[16:17]
	s_cbranch_execnz .LBB71_1945
	s_branch .LBB71_1946
.LBB71_2240:
	s_trap 2
	s_or_b64 s[2:3], s[2:3], exec
	s_cbranch_execz .LBB71_1992
	s_branch .LBB71_1993
.LBB71_2241:
	s_andn2_saveexec_b64 s[16:17], s[16:17]
	s_cbranch_execz .LBB71_1957
.LBB71_2242:
	v_add_f32_e32 v1, 0x42800000, v5
	v_and_b32_e32 v1, 0xff, v1
	v_cmp_ne_u32_e32 vcc, 0, v1
	s_andn2_b64 s[14:15], s[14:15], exec
	s_and_b64 s[18:19], vcc, exec
	s_or_b64 s[14:15], s[14:15], s[18:19]
	s_or_b64 exec, exec, s[16:17]
	v_mov_b32_e32 v6, 0
	s_and_saveexec_b64 s[16:17], s[14:15]
	s_cbranch_execnz .LBB71_1958
	s_branch .LBB71_1959
.LBB71_2243:
	s_andn2_saveexec_b64 s[16:17], s[16:17]
	s_cbranch_execz .LBB71_2063
.LBB71_2244:
	v_add_f32_e32 v3, 0x46000000, v4
	v_and_b32_e32 v3, 0xff, v3
	v_cmp_ne_u32_e32 vcc, 0, v3
	s_andn2_b64 s[14:15], s[14:15], exec
	s_and_b64 s[18:19], vcc, exec
	s_or_b64 s[14:15], s[14:15], s[18:19]
	s_or_b64 exec, exec, s[16:17]
	v_mov_b32_e32 v5, 0
	s_and_saveexec_b64 s[16:17], s[14:15]
	s_cbranch_execnz .LBB71_2064
	s_branch .LBB71_2065
.LBB71_2245:
	s_trap 2
	s_or_b64 s[2:3], s[2:3], exec
	s_cbranch_execz .LBB71_2111
	s_branch .LBB71_2112
.LBB71_2246:
	s_andn2_saveexec_b64 s[14:15], s[14:15]
	s_cbranch_execz .LBB71_2076
.LBB71_2247:
	v_add_f32_e32 v3, 0x42800000, v4
	v_and_b32_e32 v3, 0xff, v3
	v_cmp_ne_u32_e32 vcc, 0, v3
	s_andn2_b64 s[6:7], s[6:7], exec
	s_and_b64 s[16:17], vcc, exec
	s_or_b64 s[6:7], s[6:7], s[16:17]
	s_or_b64 exec, exec, s[14:15]
	v_mov_b32_e32 v5, 0
	s_and_saveexec_b64 s[14:15], s[6:7]
	s_cbranch_execnz .LBB71_2077
	s_branch .LBB71_2078
.LBB71_2248:
	s_andn2_saveexec_b64 s[12:13], s[12:13]
	s_cbranch_execz .LBB71_2183
.LBB71_2249:
	v_add_f32_e32 v2, 0x46000000, v3
	v_and_b32_e32 v2, 0xff, v2
	v_cmp_ne_u32_e32 vcc, 0, v2
	s_andn2_b64 s[8:9], s[8:9], exec
	s_and_b64 s[14:15], vcc, exec
	s_or_b64 s[8:9], s[8:9], s[14:15]
	s_or_b64 exec, exec, s[12:13]
	v_mov_b32_e32 v4, 0
	s_and_saveexec_b64 s[12:13], s[8:9]
	s_cbranch_execnz .LBB71_2184
	s_branch .LBB71_2185
.LBB71_2250:
	s_mov_b64 s[4:5], 0
	s_or_b64 s[2:3], s[2:3], exec
	s_trap 2
	s_branch .LBB71_2229
.LBB71_2251:
	s_andn2_saveexec_b64 s[8:9], s[8:9]
	s_cbranch_execz .LBB71_2195
.LBB71_2252:
	v_add_f32_e32 v2, 0x42800000, v3
	v_and_b32_e32 v2, 0xff, v2
	v_cmp_ne_u32_e32 vcc, 0, v2
	s_andn2_b64 s[6:7], s[6:7], exec
	s_and_b64 s[12:13], vcc, exec
	s_or_b64 s[6:7], s[6:7], s[12:13]
	s_or_b64 exec, exec, s[8:9]
	v_mov_b32_e32 v4, 0
	s_and_saveexec_b64 s[8:9], s[6:7]
	s_cbranch_execnz .LBB71_2196
	s_branch .LBB71_2197
	.section	.rodata,"a",@progbits
	.p2align	6, 0x0
	.amdhsa_kernel _ZN2at6native32elementwise_kernel_manual_unrollILi128ELi4EZNS0_15gpu_kernel_implIZNS0_21compare_scalar_kernelIsEEvRNS_18TensorIteratorBaseENS0_12_GLOBAL__N_16OpTypeET_EUlsE_EEvS5_RKS8_EUlibE0_EEviT1_
		.amdhsa_group_segment_fixed_size 0
		.amdhsa_private_segment_fixed_size 0
		.amdhsa_kernarg_size 368
		.amdhsa_user_sgpr_count 6
		.amdhsa_user_sgpr_private_segment_buffer 1
		.amdhsa_user_sgpr_dispatch_ptr 0
		.amdhsa_user_sgpr_queue_ptr 0
		.amdhsa_user_sgpr_kernarg_segment_ptr 1
		.amdhsa_user_sgpr_dispatch_id 0
		.amdhsa_user_sgpr_flat_scratch_init 0
		.amdhsa_user_sgpr_private_segment_size 0
		.amdhsa_uses_dynamic_stack 0
		.amdhsa_system_sgpr_private_segment_wavefront_offset 0
		.amdhsa_system_sgpr_workgroup_id_x 1
		.amdhsa_system_sgpr_workgroup_id_y 0
		.amdhsa_system_sgpr_workgroup_id_z 0
		.amdhsa_system_sgpr_workgroup_info 0
		.amdhsa_system_vgpr_workitem_id 0
		.amdhsa_next_free_vgpr 18
		.amdhsa_next_free_sgpr 80
		.amdhsa_reserve_vcc 1
		.amdhsa_reserve_flat_scratch 0
		.amdhsa_float_round_mode_32 0
		.amdhsa_float_round_mode_16_64 0
		.amdhsa_float_denorm_mode_32 3
		.amdhsa_float_denorm_mode_16_64 3
		.amdhsa_dx10_clamp 1
		.amdhsa_ieee_mode 1
		.amdhsa_fp16_overflow 0
		.amdhsa_exception_fp_ieee_invalid_op 0
		.amdhsa_exception_fp_denorm_src 0
		.amdhsa_exception_fp_ieee_div_zero 0
		.amdhsa_exception_fp_ieee_overflow 0
		.amdhsa_exception_fp_ieee_underflow 0
		.amdhsa_exception_fp_ieee_inexact 0
		.amdhsa_exception_int_div_zero 0
	.end_amdhsa_kernel
	.section	.text._ZN2at6native32elementwise_kernel_manual_unrollILi128ELi4EZNS0_15gpu_kernel_implIZNS0_21compare_scalar_kernelIsEEvRNS_18TensorIteratorBaseENS0_12_GLOBAL__N_16OpTypeET_EUlsE_EEvS5_RKS8_EUlibE0_EEviT1_,"axG",@progbits,_ZN2at6native32elementwise_kernel_manual_unrollILi128ELi4EZNS0_15gpu_kernel_implIZNS0_21compare_scalar_kernelIsEEvRNS_18TensorIteratorBaseENS0_12_GLOBAL__N_16OpTypeET_EUlsE_EEvS5_RKS8_EUlibE0_EEviT1_,comdat
.Lfunc_end71:
	.size	_ZN2at6native32elementwise_kernel_manual_unrollILi128ELi4EZNS0_15gpu_kernel_implIZNS0_21compare_scalar_kernelIsEEvRNS_18TensorIteratorBaseENS0_12_GLOBAL__N_16OpTypeET_EUlsE_EEvS5_RKS8_EUlibE0_EEviT1_, .Lfunc_end71-_ZN2at6native32elementwise_kernel_manual_unrollILi128ELi4EZNS0_15gpu_kernel_implIZNS0_21compare_scalar_kernelIsEEvRNS_18TensorIteratorBaseENS0_12_GLOBAL__N_16OpTypeET_EUlsE_EEvS5_RKS8_EUlibE0_EEviT1_
                                        ; -- End function
	.set _ZN2at6native32elementwise_kernel_manual_unrollILi128ELi4EZNS0_15gpu_kernel_implIZNS0_21compare_scalar_kernelIsEEvRNS_18TensorIteratorBaseENS0_12_GLOBAL__N_16OpTypeET_EUlsE_EEvS5_RKS8_EUlibE0_EEviT1_.num_vgpr, 18
	.set _ZN2at6native32elementwise_kernel_manual_unrollILi128ELi4EZNS0_15gpu_kernel_implIZNS0_21compare_scalar_kernelIsEEvRNS_18TensorIteratorBaseENS0_12_GLOBAL__N_16OpTypeET_EUlsE_EEvS5_RKS8_EUlibE0_EEviT1_.num_agpr, 0
	.set _ZN2at6native32elementwise_kernel_manual_unrollILi128ELi4EZNS0_15gpu_kernel_implIZNS0_21compare_scalar_kernelIsEEvRNS_18TensorIteratorBaseENS0_12_GLOBAL__N_16OpTypeET_EUlsE_EEvS5_RKS8_EUlibE0_EEviT1_.numbered_sgpr, 80
	.set _ZN2at6native32elementwise_kernel_manual_unrollILi128ELi4EZNS0_15gpu_kernel_implIZNS0_21compare_scalar_kernelIsEEvRNS_18TensorIteratorBaseENS0_12_GLOBAL__N_16OpTypeET_EUlsE_EEvS5_RKS8_EUlibE0_EEviT1_.num_named_barrier, 0
	.set _ZN2at6native32elementwise_kernel_manual_unrollILi128ELi4EZNS0_15gpu_kernel_implIZNS0_21compare_scalar_kernelIsEEvRNS_18TensorIteratorBaseENS0_12_GLOBAL__N_16OpTypeET_EUlsE_EEvS5_RKS8_EUlibE0_EEviT1_.private_seg_size, 0
	.set _ZN2at6native32elementwise_kernel_manual_unrollILi128ELi4EZNS0_15gpu_kernel_implIZNS0_21compare_scalar_kernelIsEEvRNS_18TensorIteratorBaseENS0_12_GLOBAL__N_16OpTypeET_EUlsE_EEvS5_RKS8_EUlibE0_EEviT1_.uses_vcc, 1
	.set _ZN2at6native32elementwise_kernel_manual_unrollILi128ELi4EZNS0_15gpu_kernel_implIZNS0_21compare_scalar_kernelIsEEvRNS_18TensorIteratorBaseENS0_12_GLOBAL__N_16OpTypeET_EUlsE_EEvS5_RKS8_EUlibE0_EEviT1_.uses_flat_scratch, 0
	.set _ZN2at6native32elementwise_kernel_manual_unrollILi128ELi4EZNS0_15gpu_kernel_implIZNS0_21compare_scalar_kernelIsEEvRNS_18TensorIteratorBaseENS0_12_GLOBAL__N_16OpTypeET_EUlsE_EEvS5_RKS8_EUlibE0_EEviT1_.has_dyn_sized_stack, 0
	.set _ZN2at6native32elementwise_kernel_manual_unrollILi128ELi4EZNS0_15gpu_kernel_implIZNS0_21compare_scalar_kernelIsEEvRNS_18TensorIteratorBaseENS0_12_GLOBAL__N_16OpTypeET_EUlsE_EEvS5_RKS8_EUlibE0_EEviT1_.has_recursion, 0
	.set _ZN2at6native32elementwise_kernel_manual_unrollILi128ELi4EZNS0_15gpu_kernel_implIZNS0_21compare_scalar_kernelIsEEvRNS_18TensorIteratorBaseENS0_12_GLOBAL__N_16OpTypeET_EUlsE_EEvS5_RKS8_EUlibE0_EEviT1_.has_indirect_call, 0
	.section	.AMDGPU.csdata,"",@progbits
; Kernel info:
; codeLenInByte = 36356
; TotalNumSgprs: 84
; NumVgprs: 18
; ScratchSize: 0
; MemoryBound: 1
; FloatMode: 240
; IeeeMode: 1
; LDSByteSize: 0 bytes/workgroup (compile time only)
; SGPRBlocks: 10
; VGPRBlocks: 4
; NumSGPRsForWavesPerEU: 84
; NumVGPRsForWavesPerEU: 18
; Occupancy: 9
; WaveLimiterHint : 1
; COMPUTE_PGM_RSRC2:SCRATCH_EN: 0
; COMPUTE_PGM_RSRC2:USER_SGPR: 6
; COMPUTE_PGM_RSRC2:TRAP_HANDLER: 0
; COMPUTE_PGM_RSRC2:TGID_X_EN: 1
; COMPUTE_PGM_RSRC2:TGID_Y_EN: 0
; COMPUTE_PGM_RSRC2:TGID_Z_EN: 0
; COMPUTE_PGM_RSRC2:TIDIG_COMP_CNT: 0
	.section	.text._ZN2at6native29vectorized_elementwise_kernelILi16ENS0_12_GLOBAL__N_114CompareFunctorIsEESt5arrayIPcLm3EEEEviT0_T1_,"axG",@progbits,_ZN2at6native29vectorized_elementwise_kernelILi16ENS0_12_GLOBAL__N_114CompareFunctorIsEESt5arrayIPcLm3EEEEviT0_T1_,comdat
	.globl	_ZN2at6native29vectorized_elementwise_kernelILi16ENS0_12_GLOBAL__N_114CompareFunctorIsEESt5arrayIPcLm3EEEEviT0_T1_ ; -- Begin function _ZN2at6native29vectorized_elementwise_kernelILi16ENS0_12_GLOBAL__N_114CompareFunctorIsEESt5arrayIPcLm3EEEEviT0_T1_
	.p2align	8
	.type	_ZN2at6native29vectorized_elementwise_kernelILi16ENS0_12_GLOBAL__N_114CompareFunctorIsEESt5arrayIPcLm3EEEEviT0_T1_,@function
_ZN2at6native29vectorized_elementwise_kernelILi16ENS0_12_GLOBAL__N_114CompareFunctorIsEESt5arrayIPcLm3EEEEviT0_T1_: ; @_ZN2at6native29vectorized_elementwise_kernelILi16ENS0_12_GLOBAL__N_114CompareFunctorIsEESt5arrayIPcLm3EEEEviT0_T1_
; %bb.0:
	s_load_dwordx2 s[12:13], s[4:5], 0x0
	s_load_dwordx4 s[8:11], s[4:5], 0x8
	s_load_dwordx2 s[14:15], s[4:5], 0x18
	s_lshl_b32 s2, s6, 12
	s_mov_b64 s[0:1], -1
	s_waitcnt lgkmcnt(0)
	s_sub_i32 s12, s12, s2
	s_cmpk_gt_i32 s12, 0xfff
	s_cbranch_scc0 .LBB72_211
; %bb.1:
	s_ashr_i32 s3, s2, 31
	s_lshl_b64 s[0:1], s[2:3], 1
	s_add_u32 s4, s10, s0
	s_addc_u32 s5, s11, s1
	s_add_u32 s0, s14, s0
	v_lshlrev_b32_e32 v17, 5, v0
	s_addc_u32 s1, s15, s1
	global_load_dwordx4 v[9:12], v17, s[4:5]
	global_load_dwordx4 v[1:4], v17, s[4:5] offset:16
	global_load_dwordx4 v[13:16], v17, s[0:1]
	global_load_dwordx4 v[5:8], v17, s[0:1] offset:16
	s_cmp_lt_i32 s13, 1
	s_mov_b64 s[4:5], 0
	s_cbranch_scc1 .LBB72_5
; %bb.2:
	s_cmp_gt_i32 s13, 1
	s_cbranch_scc0 .LBB72_6
; %bb.3:
	s_cmp_eq_u32 s13, 2
	s_cbranch_scc0 .LBB72_7
; %bb.4:
	s_waitcnt vmcnt(1)
	v_cmp_le_i16_e64 s[0:1], v9, v13
	s_mov_b64 s[6:7], 0
	s_branch .LBB72_8
.LBB72_5:
                                        ; implicit-def: $sgpr0_sgpr1
	s_mov_b64 s[6:7], 0
	s_cbranch_execnz .LBB72_11
	s_branch .LBB72_12
.LBB72_6:
	s_mov_b64 s[6:7], 0
                                        ; implicit-def: $sgpr0_sgpr1
	s_cbranch_execnz .LBB72_9
	s_branch .LBB72_10
.LBB72_7:
	s_mov_b64 s[6:7], -1
                                        ; implicit-def: $sgpr0_sgpr1
.LBB72_8:
	s_branch .LBB72_10
.LBB72_9:
	s_waitcnt vmcnt(1)
	v_cmp_gt_i16_e32 vcc, v9, v13
	s_andn2_b64 s[0:1], s[0:1], exec
	s_and_b64 s[16:17], vcc, exec
	s_or_b64 s[0:1], s[0:1], s[16:17]
.LBB72_10:
	s_branch .LBB72_12
.LBB72_11:
	s_cmp_lg_u32 s13, 0
	s_mov_b64 s[4:5], -1
	s_cselect_b64 s[6:7], -1, 0
.LBB72_12:
	s_andn2_b64 vcc, exec, s[6:7]
	s_cbranch_vccz .LBB72_18
; %bb.13:
	s_andn2_b64 vcc, exec, s[4:5]
	s_cbranch_vccz .LBB72_19
.LBB72_14:
	s_cmp_lt_i32 s13, 1
	s_mov_b64 s[6:7], 0
	s_cbranch_scc1 .LBB72_20
.LBB72_15:
	s_cmp_gt_i32 s13, 1
	s_cbranch_scc0 .LBB72_21
; %bb.16:
	s_cmp_eq_u32 s13, 2
	s_cbranch_scc0 .LBB72_251
; %bb.17:
	s_waitcnt vmcnt(1)
	v_cmp_le_i16_sdwa s[4:5], v9, v13 src0_sel:WORD_1 src1_sel:WORD_1
	s_mov_b64 s[16:17], 0
	s_branch .LBB72_23
.LBB72_18:
	s_waitcnt vmcnt(1)
	v_cmp_lt_i16_e32 vcc, v9, v13
	s_andn2_b64 s[0:1], s[0:1], exec
	s_and_b64 s[6:7], vcc, exec
	s_or_b64 s[0:1], s[0:1], s[6:7]
	s_cbranch_execnz .LBB72_14
.LBB72_19:
	s_waitcnt vmcnt(1)
	v_cmp_ge_i16_e32 vcc, v9, v13
	s_andn2_b64 s[0:1], s[0:1], exec
	s_and_b64 s[4:5], vcc, exec
	s_or_b64 s[0:1], s[0:1], s[4:5]
	s_cmp_lt_i32 s13, 1
	s_mov_b64 s[6:7], 0
	s_cbranch_scc0 .LBB72_15
.LBB72_20:
                                        ; implicit-def: $sgpr4_sgpr5
	s_mov_b64 s[16:17], 0
	s_cbranch_execnz .LBB72_24
	s_branch .LBB72_25
.LBB72_21:
	s_mov_b64 s[16:17], 0
                                        ; implicit-def: $sgpr4_sgpr5
	s_cbranch_execz .LBB72_23
; %bb.22:
	s_waitcnt vmcnt(1)
	v_cmp_gt_i16_sdwa s[18:19], v9, v13 src0_sel:WORD_1 src1_sel:WORD_1
	s_andn2_b64 s[4:5], s[4:5], exec
	s_and_b64 s[18:19], s[18:19], exec
	s_or_b64 s[4:5], s[4:5], s[18:19]
.LBB72_23:
	s_branch .LBB72_25
.LBB72_24:
	s_cmp_lg_u32 s13, 0
	s_mov_b64 s[6:7], -1
	s_cselect_b64 s[16:17], -1, 0
.LBB72_25:
	s_andn2_b64 vcc, exec, s[16:17]
	s_cbranch_vccz .LBB72_31
; %bb.26:
	s_andn2_b64 vcc, exec, s[6:7]
	s_cbranch_vccz .LBB72_32
.LBB72_27:
	s_cmp_lt_i32 s13, 1
	s_mov_b64 s[16:17], 0
	s_cbranch_scc1 .LBB72_33
.LBB72_28:
	s_cmp_gt_i32 s13, 1
	s_cbranch_scc0 .LBB72_34
; %bb.29:
	s_cmp_eq_u32 s13, 2
	s_cbranch_scc0 .LBB72_252
; %bb.30:
	s_waitcnt vmcnt(1)
	v_cmp_le_i16_e64 s[6:7], v10, v14
	s_mov_b64 s[18:19], 0
	s_branch .LBB72_36
.LBB72_31:
	s_waitcnt vmcnt(1)
	v_cmp_lt_i16_sdwa s[16:17], v9, v13 src0_sel:WORD_1 src1_sel:WORD_1
	s_andn2_b64 s[4:5], s[4:5], exec
	s_and_b64 s[16:17], s[16:17], exec
	s_or_b64 s[4:5], s[4:5], s[16:17]
	s_cbranch_execnz .LBB72_27
.LBB72_32:
	s_waitcnt vmcnt(1)
	v_cmp_ge_i16_sdwa s[6:7], v9, v13 src0_sel:WORD_1 src1_sel:WORD_1
	s_andn2_b64 s[4:5], s[4:5], exec
	s_and_b64 s[6:7], s[6:7], exec
	s_or_b64 s[4:5], s[4:5], s[6:7]
	s_cmp_lt_i32 s13, 1
	s_mov_b64 s[16:17], 0
	s_cbranch_scc0 .LBB72_28
.LBB72_33:
                                        ; implicit-def: $sgpr6_sgpr7
	s_mov_b64 s[18:19], 0
	s_cbranch_execnz .LBB72_37
	s_branch .LBB72_38
.LBB72_34:
	s_mov_b64 s[18:19], 0
                                        ; implicit-def: $sgpr6_sgpr7
	s_cbranch_execz .LBB72_36
; %bb.35:
	s_waitcnt vmcnt(1)
	v_cmp_gt_i16_e32 vcc, v10, v14
	s_andn2_b64 s[6:7], s[6:7], exec
	s_and_b64 s[20:21], vcc, exec
	s_or_b64 s[6:7], s[6:7], s[20:21]
.LBB72_36:
	s_branch .LBB72_38
.LBB72_37:
	s_cmp_lg_u32 s13, 0
	s_mov_b64 s[16:17], -1
	s_cselect_b64 s[18:19], -1, 0
.LBB72_38:
	s_andn2_b64 vcc, exec, s[18:19]
	s_cbranch_vccz .LBB72_44
; %bb.39:
	s_andn2_b64 vcc, exec, s[16:17]
	s_cbranch_vccz .LBB72_45
.LBB72_40:
	s_cmp_lt_i32 s13, 1
	s_mov_b64 s[18:19], 0
	s_cbranch_scc1 .LBB72_46
.LBB72_41:
	s_cmp_gt_i32 s13, 1
	s_cbranch_scc0 .LBB72_47
; %bb.42:
	s_cmp_eq_u32 s13, 2
	s_cbranch_scc0 .LBB72_253
; %bb.43:
	s_waitcnt vmcnt(1)
	v_cmp_le_i16_sdwa s[16:17], v10, v14 src0_sel:WORD_1 src1_sel:WORD_1
	s_mov_b64 s[20:21], 0
	s_branch .LBB72_49
.LBB72_44:
	s_waitcnt vmcnt(1)
	v_cmp_lt_i16_e32 vcc, v10, v14
	s_andn2_b64 s[6:7], s[6:7], exec
	s_and_b64 s[18:19], vcc, exec
	s_or_b64 s[6:7], s[6:7], s[18:19]
	s_cbranch_execnz .LBB72_40
.LBB72_45:
	s_waitcnt vmcnt(1)
	v_cmp_ge_i16_e32 vcc, v10, v14
	s_andn2_b64 s[6:7], s[6:7], exec
	s_and_b64 s[16:17], vcc, exec
	s_or_b64 s[6:7], s[6:7], s[16:17]
	s_cmp_lt_i32 s13, 1
	s_mov_b64 s[18:19], 0
	s_cbranch_scc0 .LBB72_41
.LBB72_46:
                                        ; implicit-def: $sgpr16_sgpr17
	s_mov_b64 s[20:21], 0
	s_cbranch_execnz .LBB72_50
	s_branch .LBB72_51
.LBB72_47:
	s_mov_b64 s[20:21], 0
                                        ; implicit-def: $sgpr16_sgpr17
	s_cbranch_execz .LBB72_49
; %bb.48:
	s_waitcnt vmcnt(1)
	v_cmp_gt_i16_sdwa s[22:23], v10, v14 src0_sel:WORD_1 src1_sel:WORD_1
	s_andn2_b64 s[16:17], s[16:17], exec
	s_and_b64 s[22:23], s[22:23], exec
	s_or_b64 s[16:17], s[16:17], s[22:23]
.LBB72_49:
	s_branch .LBB72_51
.LBB72_50:
	s_cmp_lg_u32 s13, 0
	s_mov_b64 s[18:19], -1
	s_cselect_b64 s[20:21], -1, 0
.LBB72_51:
	s_andn2_b64 vcc, exec, s[20:21]
	s_cbranch_vccz .LBB72_57
; %bb.52:
	s_andn2_b64 vcc, exec, s[18:19]
	s_cbranch_vccz .LBB72_58
.LBB72_53:
	s_cmp_lt_i32 s13, 1
	s_mov_b64 s[20:21], 0
	s_cbranch_scc1 .LBB72_59
.LBB72_54:
	s_cmp_gt_i32 s13, 1
	s_cbranch_scc0 .LBB72_60
; %bb.55:
	s_cmp_eq_u32 s13, 2
	s_cbranch_scc0 .LBB72_254
; %bb.56:
	s_waitcnt vmcnt(1)
	v_cmp_le_i16_e64 s[18:19], v11, v15
	s_mov_b64 s[22:23], 0
	s_branch .LBB72_62
.LBB72_57:
	s_waitcnt vmcnt(1)
	v_cmp_lt_i16_sdwa s[20:21], v10, v14 src0_sel:WORD_1 src1_sel:WORD_1
	s_andn2_b64 s[16:17], s[16:17], exec
	s_and_b64 s[20:21], s[20:21], exec
	s_or_b64 s[16:17], s[16:17], s[20:21]
	s_cbranch_execnz .LBB72_53
.LBB72_58:
	s_waitcnt vmcnt(1)
	v_cmp_ge_i16_sdwa s[18:19], v10, v14 src0_sel:WORD_1 src1_sel:WORD_1
	s_andn2_b64 s[16:17], s[16:17], exec
	s_and_b64 s[18:19], s[18:19], exec
	s_or_b64 s[16:17], s[16:17], s[18:19]
	s_cmp_lt_i32 s13, 1
	s_mov_b64 s[20:21], 0
	s_cbranch_scc0 .LBB72_54
.LBB72_59:
                                        ; implicit-def: $sgpr18_sgpr19
	s_mov_b64 s[22:23], 0
	s_cbranch_execnz .LBB72_63
	s_branch .LBB72_64
.LBB72_60:
	s_mov_b64 s[22:23], 0
                                        ; implicit-def: $sgpr18_sgpr19
	s_cbranch_execz .LBB72_62
; %bb.61:
	s_waitcnt vmcnt(1)
	v_cmp_gt_i16_e32 vcc, v11, v15
	s_andn2_b64 s[18:19], s[18:19], exec
	s_and_b64 s[24:25], vcc, exec
	s_or_b64 s[18:19], s[18:19], s[24:25]
.LBB72_62:
	s_branch .LBB72_64
.LBB72_63:
	s_cmp_lg_u32 s13, 0
	s_mov_b64 s[20:21], -1
	s_cselect_b64 s[22:23], -1, 0
.LBB72_64:
	s_andn2_b64 vcc, exec, s[22:23]
	s_cbranch_vccz .LBB72_70
; %bb.65:
	s_andn2_b64 vcc, exec, s[20:21]
	s_cbranch_vccz .LBB72_71
.LBB72_66:
	s_cmp_lt_i32 s13, 1
	s_mov_b64 s[22:23], 0
	s_cbranch_scc1 .LBB72_72
.LBB72_67:
	s_cmp_gt_i32 s13, 1
	s_cbranch_scc0 .LBB72_73
; %bb.68:
	s_cmp_eq_u32 s13, 2
	s_cbranch_scc0 .LBB72_255
; %bb.69:
	s_waitcnt vmcnt(1)
	v_cmp_le_i16_sdwa s[20:21], v11, v15 src0_sel:WORD_1 src1_sel:WORD_1
	s_mov_b64 s[24:25], 0
	s_branch .LBB72_75
.LBB72_70:
	s_waitcnt vmcnt(1)
	v_cmp_lt_i16_e32 vcc, v11, v15
	s_andn2_b64 s[18:19], s[18:19], exec
	s_and_b64 s[22:23], vcc, exec
	s_or_b64 s[18:19], s[18:19], s[22:23]
	s_cbranch_execnz .LBB72_66
.LBB72_71:
	s_waitcnt vmcnt(1)
	v_cmp_ge_i16_e32 vcc, v11, v15
	s_andn2_b64 s[18:19], s[18:19], exec
	s_and_b64 s[20:21], vcc, exec
	s_or_b64 s[18:19], s[18:19], s[20:21]
	s_cmp_lt_i32 s13, 1
	s_mov_b64 s[22:23], 0
	s_cbranch_scc0 .LBB72_67
.LBB72_72:
                                        ; implicit-def: $sgpr20_sgpr21
	s_mov_b64 s[24:25], 0
	s_cbranch_execnz .LBB72_76
	s_branch .LBB72_77
.LBB72_73:
	s_mov_b64 s[24:25], 0
                                        ; implicit-def: $sgpr20_sgpr21
	s_cbranch_execz .LBB72_75
; %bb.74:
	s_waitcnt vmcnt(1)
	v_cmp_gt_i16_sdwa s[26:27], v11, v15 src0_sel:WORD_1 src1_sel:WORD_1
	s_andn2_b64 s[20:21], s[20:21], exec
	s_and_b64 s[26:27], s[26:27], exec
	s_or_b64 s[20:21], s[20:21], s[26:27]
.LBB72_75:
	s_branch .LBB72_77
.LBB72_76:
	s_cmp_lg_u32 s13, 0
	s_mov_b64 s[22:23], -1
	s_cselect_b64 s[24:25], -1, 0
.LBB72_77:
	s_andn2_b64 vcc, exec, s[24:25]
	s_cbranch_vccz .LBB72_83
; %bb.78:
	s_andn2_b64 vcc, exec, s[22:23]
	s_cbranch_vccz .LBB72_84
.LBB72_79:
	s_cmp_lt_i32 s13, 1
	s_mov_b64 s[24:25], 0
	s_cbranch_scc1 .LBB72_85
.LBB72_80:
	s_cmp_gt_i32 s13, 1
	s_cbranch_scc0 .LBB72_86
; %bb.81:
	s_cmp_eq_u32 s13, 2
	s_cbranch_scc0 .LBB72_256
; %bb.82:
	s_waitcnt vmcnt(1)
	v_cmp_le_i16_e64 s[22:23], v12, v16
	s_mov_b64 s[26:27], 0
	s_branch .LBB72_88
.LBB72_83:
	s_waitcnt vmcnt(1)
	v_cmp_lt_i16_sdwa s[24:25], v11, v15 src0_sel:WORD_1 src1_sel:WORD_1
	s_andn2_b64 s[20:21], s[20:21], exec
	s_and_b64 s[24:25], s[24:25], exec
	s_or_b64 s[20:21], s[20:21], s[24:25]
	s_cbranch_execnz .LBB72_79
.LBB72_84:
	s_waitcnt vmcnt(1)
	v_cmp_ge_i16_sdwa s[22:23], v11, v15 src0_sel:WORD_1 src1_sel:WORD_1
	s_andn2_b64 s[20:21], s[20:21], exec
	s_and_b64 s[22:23], s[22:23], exec
	s_or_b64 s[20:21], s[20:21], s[22:23]
	s_cmp_lt_i32 s13, 1
	s_mov_b64 s[24:25], 0
	s_cbranch_scc0 .LBB72_80
.LBB72_85:
                                        ; implicit-def: $sgpr22_sgpr23
	s_mov_b64 s[26:27], 0
	s_cbranch_execnz .LBB72_89
	s_branch .LBB72_90
.LBB72_86:
	s_mov_b64 s[26:27], 0
                                        ; implicit-def: $sgpr22_sgpr23
	s_cbranch_execz .LBB72_88
; %bb.87:
	s_waitcnt vmcnt(1)
	v_cmp_gt_i16_e32 vcc, v12, v16
	s_andn2_b64 s[22:23], s[22:23], exec
	s_and_b64 s[28:29], vcc, exec
	s_or_b64 s[22:23], s[22:23], s[28:29]
.LBB72_88:
	s_branch .LBB72_90
.LBB72_89:
	s_cmp_lg_u32 s13, 0
	s_mov_b64 s[24:25], -1
	s_cselect_b64 s[26:27], -1, 0
.LBB72_90:
	s_andn2_b64 vcc, exec, s[26:27]
	s_cbranch_vccz .LBB72_96
; %bb.91:
	s_andn2_b64 vcc, exec, s[24:25]
	s_cbranch_vccz .LBB72_97
.LBB72_92:
	s_cmp_lt_i32 s13, 1
	s_mov_b64 s[26:27], 0
	s_cbranch_scc1 .LBB72_98
.LBB72_93:
	s_cmp_gt_i32 s13, 1
	s_cbranch_scc0 .LBB72_99
; %bb.94:
	s_cmp_eq_u32 s13, 2
	s_cbranch_scc0 .LBB72_257
; %bb.95:
	s_waitcnt vmcnt(1)
	v_cmp_le_i16_sdwa s[24:25], v12, v16 src0_sel:WORD_1 src1_sel:WORD_1
	s_mov_b64 s[28:29], 0
	s_branch .LBB72_101
.LBB72_96:
	s_waitcnt vmcnt(1)
	v_cmp_lt_i16_e32 vcc, v12, v16
	s_andn2_b64 s[22:23], s[22:23], exec
	s_and_b64 s[26:27], vcc, exec
	s_or_b64 s[22:23], s[22:23], s[26:27]
	s_cbranch_execnz .LBB72_92
.LBB72_97:
	s_waitcnt vmcnt(1)
	v_cmp_ge_i16_e32 vcc, v12, v16
	s_andn2_b64 s[22:23], s[22:23], exec
	s_and_b64 s[24:25], vcc, exec
	s_or_b64 s[22:23], s[22:23], s[24:25]
	s_cmp_lt_i32 s13, 1
	s_mov_b64 s[26:27], 0
	s_cbranch_scc0 .LBB72_93
.LBB72_98:
                                        ; implicit-def: $sgpr24_sgpr25
	s_mov_b64 s[28:29], 0
	s_cbranch_execnz .LBB72_102
	s_branch .LBB72_103
.LBB72_99:
	s_mov_b64 s[28:29], 0
                                        ; implicit-def: $sgpr24_sgpr25
	s_cbranch_execz .LBB72_101
; %bb.100:
	s_waitcnt vmcnt(1)
	v_cmp_gt_i16_sdwa s[30:31], v12, v16 src0_sel:WORD_1 src1_sel:WORD_1
	s_andn2_b64 s[24:25], s[24:25], exec
	s_and_b64 s[30:31], s[30:31], exec
	s_or_b64 s[24:25], s[24:25], s[30:31]
.LBB72_101:
	s_branch .LBB72_103
.LBB72_102:
	s_cmp_lg_u32 s13, 0
	s_mov_b64 s[26:27], -1
	s_cselect_b64 s[28:29], -1, 0
.LBB72_103:
	s_andn2_b64 vcc, exec, s[28:29]
	s_cbranch_vccz .LBB72_109
; %bb.104:
	s_andn2_b64 vcc, exec, s[26:27]
	s_cbranch_vccz .LBB72_110
.LBB72_105:
	s_cmp_lt_i32 s13, 1
	s_mov_b64 s[28:29], 0
	s_cbranch_scc1 .LBB72_111
.LBB72_106:
	s_cmp_gt_i32 s13, 1
	s_cbranch_scc0 .LBB72_112
; %bb.107:
	s_cmp_eq_u32 s13, 2
	s_cbranch_scc0 .LBB72_258
; %bb.108:
	s_waitcnt vmcnt(0)
	v_cmp_le_i16_e64 s[26:27], v1, v5
	s_mov_b64 s[30:31], 0
	s_branch .LBB72_114
.LBB72_109:
	s_waitcnt vmcnt(1)
	v_cmp_lt_i16_sdwa s[28:29], v12, v16 src0_sel:WORD_1 src1_sel:WORD_1
	s_andn2_b64 s[24:25], s[24:25], exec
	s_and_b64 s[28:29], s[28:29], exec
	s_or_b64 s[24:25], s[24:25], s[28:29]
	s_cbranch_execnz .LBB72_105
.LBB72_110:
	s_waitcnt vmcnt(1)
	v_cmp_ge_i16_sdwa s[26:27], v12, v16 src0_sel:WORD_1 src1_sel:WORD_1
	s_andn2_b64 s[24:25], s[24:25], exec
	s_and_b64 s[26:27], s[26:27], exec
	s_or_b64 s[24:25], s[24:25], s[26:27]
	s_cmp_lt_i32 s13, 1
	s_mov_b64 s[28:29], 0
	s_cbranch_scc0 .LBB72_106
.LBB72_111:
                                        ; implicit-def: $sgpr26_sgpr27
	s_mov_b64 s[30:31], 0
	s_cbranch_execnz .LBB72_115
	s_branch .LBB72_116
.LBB72_112:
	s_mov_b64 s[30:31], 0
                                        ; implicit-def: $sgpr26_sgpr27
	s_cbranch_execz .LBB72_114
; %bb.113:
	s_waitcnt vmcnt(0)
	v_cmp_gt_i16_e32 vcc, v1, v5
	s_andn2_b64 s[26:27], s[26:27], exec
	s_and_b64 s[34:35], vcc, exec
	s_or_b64 s[26:27], s[26:27], s[34:35]
.LBB72_114:
	s_branch .LBB72_116
.LBB72_115:
	s_cmp_lg_u32 s13, 0
	s_mov_b64 s[28:29], -1
	s_cselect_b64 s[30:31], -1, 0
.LBB72_116:
	s_andn2_b64 vcc, exec, s[30:31]
	s_cbranch_vccz .LBB72_122
; %bb.117:
	s_andn2_b64 vcc, exec, s[28:29]
	s_cbranch_vccz .LBB72_123
.LBB72_118:
	s_cmp_lt_i32 s13, 1
	s_mov_b64 s[30:31], 0
	s_cbranch_scc1 .LBB72_124
.LBB72_119:
	s_cmp_gt_i32 s13, 1
	s_cbranch_scc0 .LBB72_125
; %bb.120:
	s_cmp_eq_u32 s13, 2
	s_cbranch_scc0 .LBB72_259
; %bb.121:
	s_waitcnt vmcnt(0)
	v_cmp_le_i16_sdwa s[28:29], v1, v5 src0_sel:WORD_1 src1_sel:WORD_1
	s_mov_b64 s[34:35], 0
	s_branch .LBB72_127
.LBB72_122:
	s_waitcnt vmcnt(0)
	v_cmp_lt_i16_e32 vcc, v1, v5
	s_andn2_b64 s[26:27], s[26:27], exec
	s_and_b64 s[30:31], vcc, exec
	s_or_b64 s[26:27], s[26:27], s[30:31]
	s_cbranch_execnz .LBB72_118
.LBB72_123:
	s_waitcnt vmcnt(0)
	v_cmp_ge_i16_e32 vcc, v1, v5
	s_andn2_b64 s[26:27], s[26:27], exec
	s_and_b64 s[28:29], vcc, exec
	s_or_b64 s[26:27], s[26:27], s[28:29]
	s_cmp_lt_i32 s13, 1
	s_mov_b64 s[30:31], 0
	s_cbranch_scc0 .LBB72_119
.LBB72_124:
                                        ; implicit-def: $sgpr28_sgpr29
	s_mov_b64 s[34:35], 0
	s_cbranch_execnz .LBB72_128
	s_branch .LBB72_129
.LBB72_125:
	s_mov_b64 s[34:35], 0
                                        ; implicit-def: $sgpr28_sgpr29
	s_cbranch_execz .LBB72_127
; %bb.126:
	s_waitcnt vmcnt(0)
	v_cmp_gt_i16_sdwa s[36:37], v1, v5 src0_sel:WORD_1 src1_sel:WORD_1
	s_andn2_b64 s[28:29], s[28:29], exec
	s_and_b64 s[36:37], s[36:37], exec
	s_or_b64 s[28:29], s[28:29], s[36:37]
.LBB72_127:
	s_branch .LBB72_129
.LBB72_128:
	s_cmp_lg_u32 s13, 0
	s_mov_b64 s[30:31], -1
	s_cselect_b64 s[34:35], -1, 0
.LBB72_129:
	s_andn2_b64 vcc, exec, s[34:35]
	s_cbranch_vccz .LBB72_135
; %bb.130:
	s_andn2_b64 vcc, exec, s[30:31]
	s_cbranch_vccz .LBB72_136
.LBB72_131:
	s_cmp_lt_i32 s13, 1
	s_mov_b64 s[34:35], 0
	s_cbranch_scc1 .LBB72_137
.LBB72_132:
	s_cmp_gt_i32 s13, 1
	s_cbranch_scc0 .LBB72_138
; %bb.133:
	s_cmp_eq_u32 s13, 2
	s_cbranch_scc0 .LBB72_260
; %bb.134:
	s_waitcnt vmcnt(0)
	v_cmp_le_i16_e64 s[30:31], v2, v6
	s_mov_b64 s[36:37], 0
	s_branch .LBB72_140
.LBB72_135:
	s_waitcnt vmcnt(0)
	v_cmp_lt_i16_sdwa s[34:35], v1, v5 src0_sel:WORD_1 src1_sel:WORD_1
	s_andn2_b64 s[28:29], s[28:29], exec
	s_and_b64 s[34:35], s[34:35], exec
	s_or_b64 s[28:29], s[28:29], s[34:35]
	s_cbranch_execnz .LBB72_131
.LBB72_136:
	s_waitcnt vmcnt(0)
	v_cmp_ge_i16_sdwa s[30:31], v1, v5 src0_sel:WORD_1 src1_sel:WORD_1
	s_andn2_b64 s[28:29], s[28:29], exec
	s_and_b64 s[30:31], s[30:31], exec
	s_or_b64 s[28:29], s[28:29], s[30:31]
	s_cmp_lt_i32 s13, 1
	s_mov_b64 s[34:35], 0
	s_cbranch_scc0 .LBB72_132
.LBB72_137:
                                        ; implicit-def: $sgpr30_sgpr31
	s_mov_b64 s[36:37], 0
	s_cbranch_execnz .LBB72_141
	s_branch .LBB72_142
.LBB72_138:
	s_mov_b64 s[36:37], 0
                                        ; implicit-def: $sgpr30_sgpr31
	s_cbranch_execz .LBB72_140
; %bb.139:
	s_waitcnt vmcnt(0)
	v_cmp_gt_i16_e32 vcc, v2, v6
	s_andn2_b64 s[30:31], s[30:31], exec
	s_and_b64 s[38:39], vcc, exec
	s_or_b64 s[30:31], s[30:31], s[38:39]
.LBB72_140:
	s_branch .LBB72_142
.LBB72_141:
	s_cmp_lg_u32 s13, 0
	s_mov_b64 s[34:35], -1
	s_cselect_b64 s[36:37], -1, 0
.LBB72_142:
	s_andn2_b64 vcc, exec, s[36:37]
	s_cbranch_vccz .LBB72_148
; %bb.143:
	s_andn2_b64 vcc, exec, s[34:35]
	s_cbranch_vccz .LBB72_149
.LBB72_144:
	s_cmp_lt_i32 s13, 1
	s_mov_b64 s[36:37], 0
	s_cbranch_scc1 .LBB72_150
.LBB72_145:
	s_cmp_gt_i32 s13, 1
	s_cbranch_scc0 .LBB72_151
; %bb.146:
	s_cmp_eq_u32 s13, 2
	s_cbranch_scc0 .LBB72_261
; %bb.147:
	s_waitcnt vmcnt(0)
	v_cmp_le_i16_sdwa s[34:35], v2, v6 src0_sel:WORD_1 src1_sel:WORD_1
	s_mov_b64 s[38:39], 0
	s_branch .LBB72_153
.LBB72_148:
	s_waitcnt vmcnt(0)
	v_cmp_lt_i16_e32 vcc, v2, v6
	s_andn2_b64 s[30:31], s[30:31], exec
	s_and_b64 s[36:37], vcc, exec
	s_or_b64 s[30:31], s[30:31], s[36:37]
	s_cbranch_execnz .LBB72_144
.LBB72_149:
	s_waitcnt vmcnt(0)
	v_cmp_ge_i16_e32 vcc, v2, v6
	s_andn2_b64 s[30:31], s[30:31], exec
	s_and_b64 s[34:35], vcc, exec
	s_or_b64 s[30:31], s[30:31], s[34:35]
	s_cmp_lt_i32 s13, 1
	s_mov_b64 s[36:37], 0
	s_cbranch_scc0 .LBB72_145
.LBB72_150:
                                        ; implicit-def: $sgpr34_sgpr35
	s_mov_b64 s[38:39], 0
	s_cbranch_execnz .LBB72_154
	s_branch .LBB72_155
.LBB72_151:
	s_mov_b64 s[38:39], 0
                                        ; implicit-def: $sgpr34_sgpr35
	s_cbranch_execz .LBB72_153
; %bb.152:
	s_waitcnt vmcnt(0)
	v_cmp_gt_i16_sdwa s[40:41], v2, v6 src0_sel:WORD_1 src1_sel:WORD_1
	s_andn2_b64 s[34:35], s[34:35], exec
	s_and_b64 s[40:41], s[40:41], exec
	s_or_b64 s[34:35], s[34:35], s[40:41]
.LBB72_153:
	s_branch .LBB72_155
.LBB72_154:
	s_cmp_lg_u32 s13, 0
	s_mov_b64 s[36:37], -1
	s_cselect_b64 s[38:39], -1, 0
.LBB72_155:
	s_andn2_b64 vcc, exec, s[38:39]
	s_cbranch_vccz .LBB72_161
; %bb.156:
	s_andn2_b64 vcc, exec, s[36:37]
	s_cbranch_vccz .LBB72_162
.LBB72_157:
	s_cmp_lt_i32 s13, 1
	s_mov_b64 s[38:39], 0
	s_cbranch_scc1 .LBB72_163
.LBB72_158:
	s_cmp_gt_i32 s13, 1
	s_cbranch_scc0 .LBB72_164
; %bb.159:
	s_cmp_eq_u32 s13, 2
	s_cbranch_scc0 .LBB72_262
; %bb.160:
	s_waitcnt vmcnt(0)
	v_cmp_le_i16_e64 s[36:37], v3, v7
	s_mov_b64 s[40:41], 0
	s_branch .LBB72_166
.LBB72_161:
	s_waitcnt vmcnt(0)
	v_cmp_lt_i16_sdwa s[38:39], v2, v6 src0_sel:WORD_1 src1_sel:WORD_1
	s_andn2_b64 s[34:35], s[34:35], exec
	s_and_b64 s[38:39], s[38:39], exec
	s_or_b64 s[34:35], s[34:35], s[38:39]
	s_cbranch_execnz .LBB72_157
.LBB72_162:
	s_waitcnt vmcnt(0)
	v_cmp_ge_i16_sdwa s[36:37], v2, v6 src0_sel:WORD_1 src1_sel:WORD_1
	s_andn2_b64 s[34:35], s[34:35], exec
	s_and_b64 s[36:37], s[36:37], exec
	s_or_b64 s[34:35], s[34:35], s[36:37]
	s_cmp_lt_i32 s13, 1
	s_mov_b64 s[38:39], 0
	s_cbranch_scc0 .LBB72_158
.LBB72_163:
                                        ; implicit-def: $sgpr36_sgpr37
	s_mov_b64 s[40:41], 0
	s_cbranch_execnz .LBB72_167
	s_branch .LBB72_168
.LBB72_164:
	s_mov_b64 s[40:41], 0
                                        ; implicit-def: $sgpr36_sgpr37
	s_cbranch_execz .LBB72_166
; %bb.165:
	s_waitcnt vmcnt(0)
	v_cmp_gt_i16_e32 vcc, v3, v7
	s_andn2_b64 s[36:37], s[36:37], exec
	s_and_b64 s[42:43], vcc, exec
	s_or_b64 s[36:37], s[36:37], s[42:43]
.LBB72_166:
	s_branch .LBB72_168
.LBB72_167:
	s_cmp_lg_u32 s13, 0
	s_mov_b64 s[38:39], -1
	s_cselect_b64 s[40:41], -1, 0
.LBB72_168:
	s_andn2_b64 vcc, exec, s[40:41]
	s_cbranch_vccz .LBB72_174
; %bb.169:
	s_andn2_b64 vcc, exec, s[38:39]
	s_cbranch_vccz .LBB72_175
.LBB72_170:
	s_cmp_lt_i32 s13, 1
	s_mov_b64 s[40:41], 0
	s_cbranch_scc1 .LBB72_176
.LBB72_171:
	s_cmp_gt_i32 s13, 1
	s_cbranch_scc0 .LBB72_177
; %bb.172:
	s_cmp_eq_u32 s13, 2
	s_cbranch_scc0 .LBB72_263
; %bb.173:
	s_waitcnt vmcnt(0)
	v_cmp_le_i16_sdwa s[38:39], v3, v7 src0_sel:WORD_1 src1_sel:WORD_1
	s_mov_b64 s[42:43], 0
	s_branch .LBB72_179
.LBB72_174:
	s_waitcnt vmcnt(0)
	v_cmp_lt_i16_e32 vcc, v3, v7
	s_andn2_b64 s[36:37], s[36:37], exec
	s_and_b64 s[40:41], vcc, exec
	s_or_b64 s[36:37], s[36:37], s[40:41]
	s_cbranch_execnz .LBB72_170
.LBB72_175:
	s_waitcnt vmcnt(0)
	v_cmp_ge_i16_e32 vcc, v3, v7
	s_andn2_b64 s[36:37], s[36:37], exec
	s_and_b64 s[38:39], vcc, exec
	s_or_b64 s[36:37], s[36:37], s[38:39]
	s_cmp_lt_i32 s13, 1
	s_mov_b64 s[40:41], 0
	s_cbranch_scc0 .LBB72_171
.LBB72_176:
                                        ; implicit-def: $sgpr38_sgpr39
	s_mov_b64 s[42:43], 0
	s_cbranch_execnz .LBB72_180
	s_branch .LBB72_181
.LBB72_177:
	s_mov_b64 s[42:43], 0
                                        ; implicit-def: $sgpr38_sgpr39
	s_cbranch_execz .LBB72_179
; %bb.178:
	s_waitcnt vmcnt(0)
	v_cmp_gt_i16_sdwa s[44:45], v3, v7 src0_sel:WORD_1 src1_sel:WORD_1
	s_andn2_b64 s[38:39], s[38:39], exec
	s_and_b64 s[44:45], s[44:45], exec
	s_or_b64 s[38:39], s[38:39], s[44:45]
.LBB72_179:
	s_branch .LBB72_181
.LBB72_180:
	s_cmp_lg_u32 s13, 0
	s_mov_b64 s[40:41], -1
	s_cselect_b64 s[42:43], -1, 0
.LBB72_181:
	s_andn2_b64 vcc, exec, s[42:43]
	s_cbranch_vccz .LBB72_187
; %bb.182:
	s_andn2_b64 vcc, exec, s[40:41]
	s_cbranch_vccz .LBB72_188
.LBB72_183:
	s_cmp_lt_i32 s13, 1
	s_mov_b64 s[42:43], 0
	s_cbranch_scc1 .LBB72_189
.LBB72_184:
	s_cmp_gt_i32 s13, 1
	s_cbranch_scc0 .LBB72_190
; %bb.185:
	s_cmp_eq_u32 s13, 2
	s_cbranch_scc0 .LBB72_264
; %bb.186:
	s_waitcnt vmcnt(0)
	v_cmp_le_i16_e64 s[40:41], v4, v8
	s_mov_b64 s[44:45], 0
	s_branch .LBB72_192
.LBB72_187:
	s_waitcnt vmcnt(0)
	v_cmp_lt_i16_sdwa s[42:43], v3, v7 src0_sel:WORD_1 src1_sel:WORD_1
	s_andn2_b64 s[38:39], s[38:39], exec
	s_and_b64 s[42:43], s[42:43], exec
	s_or_b64 s[38:39], s[38:39], s[42:43]
	s_cbranch_execnz .LBB72_183
.LBB72_188:
	s_waitcnt vmcnt(0)
	v_cmp_ge_i16_sdwa s[40:41], v3, v7 src0_sel:WORD_1 src1_sel:WORD_1
	s_andn2_b64 s[38:39], s[38:39], exec
	s_and_b64 s[40:41], s[40:41], exec
	s_or_b64 s[38:39], s[38:39], s[40:41]
	s_cmp_lt_i32 s13, 1
	s_mov_b64 s[42:43], 0
	s_cbranch_scc0 .LBB72_184
.LBB72_189:
                                        ; implicit-def: $sgpr40_sgpr41
	s_mov_b64 s[44:45], 0
	s_cbranch_execnz .LBB72_193
	s_branch .LBB72_194
.LBB72_190:
	s_mov_b64 s[44:45], 0
                                        ; implicit-def: $sgpr40_sgpr41
	s_cbranch_execz .LBB72_192
; %bb.191:
	s_waitcnt vmcnt(0)
	v_cmp_gt_i16_e32 vcc, v4, v8
	s_andn2_b64 s[40:41], s[40:41], exec
	s_and_b64 s[46:47], vcc, exec
	s_or_b64 s[40:41], s[40:41], s[46:47]
.LBB72_192:
	s_branch .LBB72_194
.LBB72_193:
	s_cmp_lg_u32 s13, 0
	s_mov_b64 s[42:43], -1
	s_cselect_b64 s[44:45], -1, 0
.LBB72_194:
	s_andn2_b64 vcc, exec, s[44:45]
	s_cbranch_vccz .LBB72_200
; %bb.195:
	s_andn2_b64 vcc, exec, s[42:43]
	s_cbranch_vccz .LBB72_201
.LBB72_196:
	s_cmp_lt_i32 s13, 1
	s_mov_b64 s[44:45], 0
	s_cbranch_scc1 .LBB72_202
.LBB72_197:
	s_cmp_gt_i32 s13, 1
	s_cbranch_scc0 .LBB72_203
; %bb.198:
	s_cmp_eq_u32 s13, 2
	s_cbranch_scc0 .LBB72_265
; %bb.199:
	s_waitcnt vmcnt(0)
	v_cmp_le_i16_sdwa s[42:43], v4, v8 src0_sel:WORD_1 src1_sel:WORD_1
	s_mov_b64 s[46:47], 0
	s_branch .LBB72_205
.LBB72_200:
	s_waitcnt vmcnt(0)
	v_cmp_lt_i16_e32 vcc, v4, v8
	s_andn2_b64 s[40:41], s[40:41], exec
	s_and_b64 s[44:45], vcc, exec
	s_or_b64 s[40:41], s[40:41], s[44:45]
	s_cbranch_execnz .LBB72_196
.LBB72_201:
	s_waitcnt vmcnt(0)
	v_cmp_ge_i16_e32 vcc, v4, v8
	s_andn2_b64 s[40:41], s[40:41], exec
	s_and_b64 s[42:43], vcc, exec
	s_or_b64 s[40:41], s[40:41], s[42:43]
	s_cmp_lt_i32 s13, 1
	s_mov_b64 s[44:45], 0
	s_cbranch_scc0 .LBB72_197
.LBB72_202:
                                        ; implicit-def: $sgpr42_sgpr43
	s_mov_b64 s[46:47], 0
	s_cbranch_execnz .LBB72_206
	s_branch .LBB72_207
.LBB72_203:
	s_mov_b64 s[46:47], 0
                                        ; implicit-def: $sgpr42_sgpr43
	s_cbranch_execz .LBB72_205
; %bb.204:
	s_waitcnt vmcnt(0)
	v_cmp_gt_i16_sdwa s[48:49], v4, v8 src0_sel:WORD_1 src1_sel:WORD_1
	s_andn2_b64 s[42:43], s[42:43], exec
	s_and_b64 s[48:49], s[48:49], exec
	s_or_b64 s[42:43], s[42:43], s[48:49]
.LBB72_205:
	s_branch .LBB72_207
.LBB72_206:
	s_cmp_lg_u32 s13, 0
	s_mov_b64 s[44:45], -1
	s_cselect_b64 s[46:47], -1, 0
.LBB72_207:
	s_andn2_b64 vcc, exec, s[46:47]
	s_cbranch_vccz .LBB72_249
; %bb.208:
	s_andn2_b64 vcc, exec, s[44:45]
	s_cbranch_vccnz .LBB72_210
.LBB72_209:
	s_waitcnt vmcnt(0)
	v_cmp_ge_i16_sdwa s[44:45], v4, v8 src0_sel:WORD_1 src1_sel:WORD_1
	s_andn2_b64 s[42:43], s[42:43], exec
	s_and_b64 s[44:45], s[44:45], exec
	s_or_b64 s[42:43], s[42:43], s[44:45]
.LBB72_210:
	s_waitcnt vmcnt(2)
	v_cndmask_b32_e64 v1, 0, 1, s[4:5]
	v_lshlrev_b16_e32 v1, 8, v1
	v_cndmask_b32_e64 v2, 0, 1, s[0:1]
	v_or_b32_e32 v1, v2, v1
	v_cndmask_b32_e64 v2, 0, 1, s[16:17]
	v_lshlrev_b16_e32 v2, 8, v2
	v_cndmask_b32_e64 v3, 0, 1, s[6:7]
	v_or_b32_sdwa v2, v3, v2 dst_sel:WORD_1 dst_unused:UNUSED_PAD src0_sel:DWORD src1_sel:DWORD
	v_or_b32_sdwa v1, v1, v2 dst_sel:DWORD dst_unused:UNUSED_PAD src0_sel:WORD_0 src1_sel:DWORD
	v_cndmask_b32_e64 v2, 0, 1, s[20:21]
	v_lshlrev_b16_e32 v2, 8, v2
	v_cndmask_b32_e64 v3, 0, 1, s[18:19]
	v_or_b32_e32 v2, v3, v2
	v_cndmask_b32_e64 v3, 0, 1, s[24:25]
	v_lshlrev_b16_e32 v3, 8, v3
	v_cndmask_b32_e64 v4, 0, 1, s[22:23]
	v_or_b32_sdwa v3, v4, v3 dst_sel:WORD_1 dst_unused:UNUSED_PAD src0_sel:DWORD src1_sel:DWORD
	v_or_b32_sdwa v2, v2, v3 dst_sel:DWORD dst_unused:UNUSED_PAD src0_sel:WORD_0 src1_sel:DWORD
	v_cndmask_b32_e64 v3, 0, 1, s[28:29]
	v_lshlrev_b16_e32 v3, 8, v3
	v_cndmask_b32_e64 v4, 0, 1, s[26:27]
	v_or_b32_e32 v3, v4, v3
	v_cndmask_b32_e64 v4, 0, 1, s[34:35]
	v_lshlrev_b16_e32 v4, 8, v4
	s_waitcnt vmcnt(0)
	v_cndmask_b32_e64 v6, 0, 1, s[30:31]
	v_or_b32_sdwa v4, v6, v4 dst_sel:WORD_1 dst_unused:UNUSED_PAD src0_sel:DWORD src1_sel:DWORD
	v_or_b32_sdwa v3, v3, v4 dst_sel:DWORD dst_unused:UNUSED_PAD src0_sel:WORD_0 src1_sel:DWORD
	v_cndmask_b32_e64 v4, 0, 1, s[38:39]
	v_lshlrev_b16_e32 v4, 8, v4
	v_cndmask_b32_e64 v6, 0, 1, s[36:37]
	v_or_b32_e32 v4, v6, v4
	v_cndmask_b32_e64 v6, 0, 1, s[42:43]
	v_lshlrev_b16_e32 v6, 8, v6
	v_cndmask_b32_e64 v7, 0, 1, s[40:41]
	s_add_u32 s44, s8, s2
	v_or_b32_sdwa v6, v7, v6 dst_sel:WORD_1 dst_unused:UNUSED_PAD src0_sel:DWORD src1_sel:DWORD
	s_addc_u32 s45, s9, s3
	v_lshlrev_b32_e32 v5, 4, v0
	v_or_b32_sdwa v4, v4, v6 dst_sel:DWORD dst_unused:UNUSED_PAD src0_sel:WORD_0 src1_sel:DWORD
	global_store_dwordx4 v5, v[1:4], s[44:45]
	s_mov_b64 s[0:1], 0
.LBB72_211:
	s_and_b64 vcc, exec, s[0:1]
	s_cbranch_vccz .LBB72_519
; %bb.212:
	v_cmp_gt_i32_e64 s[0:1], s12, v0
	v_mov_b32_e32 v14, 0
	v_or_b32_e32 v1, s2, v0
	v_mov_b32_e32 v7, 0
	v_mov_b32_e32 v10, 0
	;; [unrolled: 1-line block ×3, first 2 shown]
	s_and_saveexec_b64 s[4:5], s[0:1]
	s_cbranch_execz .LBB72_214
; %bb.213:
	v_mov_b32_e32 v2, 0
	v_lshlrev_b64 v[2:3], 1, v[1:2]
	v_mov_b32_e32 v5, s15
	v_add_co_u32_e32 v4, vcc, s14, v2
	v_addc_co_u32_e32 v5, vcc, v5, v3, vcc
	v_mov_b32_e32 v6, s11
	v_add_co_u32_e32 v2, vcc, s10, v2
	v_addc_co_u32_e32 v3, vcc, v6, v3, vcc
	global_load_ushort v7, v[2:3], off
	global_load_ushort v10, v[4:5], off
	v_or_b32_e32 v6, 0x100, v0
.LBB72_214:
	s_or_b64 exec, exec, s[4:5]
	v_cmp_gt_i32_e32 vcc, s12, v6
	v_mov_b32_e32 v34, 0
	s_and_saveexec_b64 s[4:5], vcc
	s_cbranch_execz .LBB72_216
; %bb.215:
	v_add_u32_e32 v2, s2, v6
	v_mov_b32_e32 v3, 0
	v_lshlrev_b64 v[2:3], 1, v[2:3]
	v_mov_b32_e32 v5, s15
	v_add_co_u32_e32 v4, vcc, s14, v2
	v_addc_co_u32_e32 v5, vcc, v5, v3, vcc
	v_mov_b32_e32 v8, s11
	v_add_co_u32_e32 v2, vcc, s10, v2
	v_addc_co_u32_e32 v3, vcc, v8, v3, vcc
	global_load_ushort v14, v[2:3], off
	global_load_ushort v34, v[4:5], off
	v_add_u32_e32 v6, 0x100, v6
.LBB72_216:
	s_or_b64 exec, exec, s[4:5]
	v_cmp_gt_i32_e32 vcc, s12, v6
	v_mov_b32_e32 v21, 0
	v_mov_b32_e32 v16, 0
	v_mov_b32_e32 v33, 0
	s_and_saveexec_b64 s[4:5], vcc
	s_cbranch_execz .LBB72_218
; %bb.217:
	v_add_u32_e32 v2, s2, v6
	v_mov_b32_e32 v3, 0
	v_lshlrev_b64 v[2:3], 1, v[2:3]
	v_mov_b32_e32 v5, s15
	v_add_co_u32_e32 v4, vcc, s14, v2
	v_addc_co_u32_e32 v5, vcc, v5, v3, vcc
	v_mov_b32_e32 v8, s11
	v_add_co_u32_e32 v2, vcc, s10, v2
	v_addc_co_u32_e32 v3, vcc, v8, v3, vcc
	global_load_ushort v16, v[2:3], off
	global_load_ushort v33, v[4:5], off
	v_add_u32_e32 v6, 0x100, v6
.LBB72_218:
	s_or_b64 exec, exec, s[4:5]
	v_cmp_gt_i32_e32 vcc, s12, v6
	v_mov_b32_e32 v32, 0
	s_and_saveexec_b64 s[4:5], vcc
	s_cbranch_execz .LBB72_220
; %bb.219:
	v_add_u32_e32 v2, s2, v6
	v_mov_b32_e32 v3, 0
	v_lshlrev_b64 v[2:3], 1, v[2:3]
	v_mov_b32_e32 v5, s15
	v_add_co_u32_e32 v4, vcc, s14, v2
	v_addc_co_u32_e32 v5, vcc, v5, v3, vcc
	v_mov_b32_e32 v8, s11
	v_add_co_u32_e32 v2, vcc, s10, v2
	v_addc_co_u32_e32 v3, vcc, v8, v3, vcc
	global_load_ushort v21, v[2:3], off
	global_load_ushort v32, v[4:5], off
	v_add_u32_e32 v6, 0x100, v6
.LBB72_220:
	s_or_b64 exec, exec, s[4:5]
	v_cmp_gt_i32_e32 vcc, s12, v6
	v_mov_b32_e32 v27, 0
	v_mov_b32_e32 v24, 0
	v_mov_b32_e32 v31, 0
	s_and_saveexec_b64 s[4:5], vcc
	s_cbranch_execz .LBB72_222
; %bb.221:
	v_add_u32_e32 v2, s2, v6
	v_mov_b32_e32 v3, 0
	v_lshlrev_b64 v[2:3], 1, v[2:3]
	v_mov_b32_e32 v5, s15
	v_add_co_u32_e32 v4, vcc, s14, v2
	v_addc_co_u32_e32 v5, vcc, v5, v3, vcc
	v_mov_b32_e32 v8, s11
	v_add_co_u32_e32 v2, vcc, s10, v2
	v_addc_co_u32_e32 v3, vcc, v8, v3, vcc
	global_load_ushort v24, v[2:3], off
	global_load_ushort v31, v[4:5], off
	v_add_u32_e32 v6, 0x100, v6
.LBB72_222:
	s_or_b64 exec, exec, s[4:5]
	v_cmp_gt_i32_e32 vcc, s12, v6
	v_mov_b32_e32 v30, 0
	s_and_saveexec_b64 s[4:5], vcc
	s_cbranch_execz .LBB72_224
; %bb.223:
	v_add_u32_e32 v2, s2, v6
	v_mov_b32_e32 v3, 0
	v_lshlrev_b64 v[2:3], 1, v[2:3]
	v_mov_b32_e32 v5, s15
	v_add_co_u32_e32 v4, vcc, s14, v2
	v_addc_co_u32_e32 v5, vcc, v5, v3, vcc
	v_mov_b32_e32 v8, s11
	v_add_co_u32_e32 v2, vcc, s10, v2
	v_addc_co_u32_e32 v3, vcc, v8, v3, vcc
	global_load_ushort v27, v[2:3], off
	global_load_ushort v30, v[4:5], off
	v_add_u32_e32 v6, 0x100, v6
.LBB72_224:
	s_or_b64 exec, exec, s[4:5]
	v_cmp_gt_i32_e32 vcc, s12, v6
	v_mov_b32_e32 v25, 0
	v_mov_b32_e32 v28, 0
	v_mov_b32_e32 v29, 0
	s_and_saveexec_b64 s[4:5], vcc
	s_cbranch_execz .LBB72_226
; %bb.225:
	v_add_u32_e32 v2, s2, v6
	v_mov_b32_e32 v3, 0
	v_lshlrev_b64 v[2:3], 1, v[2:3]
	v_mov_b32_e32 v5, s15
	v_add_co_u32_e32 v4, vcc, s14, v2
	v_addc_co_u32_e32 v5, vcc, v5, v3, vcc
	v_mov_b32_e32 v8, s11
	v_add_co_u32_e32 v2, vcc, s10, v2
	v_addc_co_u32_e32 v3, vcc, v8, v3, vcc
	global_load_ushort v28, v[2:3], off
	global_load_ushort v29, v[4:5], off
	v_add_u32_e32 v6, 0x100, v6
.LBB72_226:
	s_or_b64 exec, exec, s[4:5]
	v_cmp_gt_i32_e32 vcc, s12, v6
	v_mov_b32_e32 v26, 0
	s_and_saveexec_b64 s[4:5], vcc
	s_cbranch_execz .LBB72_228
; %bb.227:
	v_add_u32_e32 v2, s2, v6
	v_mov_b32_e32 v3, 0
	v_lshlrev_b64 v[2:3], 1, v[2:3]
	v_mov_b32_e32 v5, s15
	v_add_co_u32_e32 v4, vcc, s14, v2
	v_addc_co_u32_e32 v5, vcc, v5, v3, vcc
	v_mov_b32_e32 v8, s11
	v_add_co_u32_e32 v2, vcc, s10, v2
	v_addc_co_u32_e32 v3, vcc, v8, v3, vcc
	global_load_ushort v25, v[2:3], off
	global_load_ushort v26, v[4:5], off
	v_add_u32_e32 v6, 0x100, v6
.LBB72_228:
	s_or_b64 exec, exec, s[4:5]
	v_cmp_gt_i32_e32 vcc, s12, v6
	v_mov_b32_e32 v19, 0
	v_mov_b32_e32 v22, 0
	v_mov_b32_e32 v23, 0
	s_and_saveexec_b64 s[4:5], vcc
	s_cbranch_execz .LBB72_230
; %bb.229:
	v_add_u32_e32 v2, s2, v6
	v_mov_b32_e32 v3, 0
	v_lshlrev_b64 v[2:3], 1, v[2:3]
	v_mov_b32_e32 v5, s15
	v_add_co_u32_e32 v4, vcc, s14, v2
	v_addc_co_u32_e32 v5, vcc, v5, v3, vcc
	v_mov_b32_e32 v8, s11
	v_add_co_u32_e32 v2, vcc, s10, v2
	v_addc_co_u32_e32 v3, vcc, v8, v3, vcc
	global_load_ushort v22, v[2:3], off
	global_load_ushort v23, v[4:5], off
	v_add_u32_e32 v6, 0x100, v6
.LBB72_230:
	s_or_b64 exec, exec, s[4:5]
	v_cmp_gt_i32_e32 vcc, s12, v6
	v_mov_b32_e32 v20, 0
	s_and_saveexec_b64 s[4:5], vcc
	s_cbranch_execz .LBB72_232
; %bb.231:
	v_add_u32_e32 v2, s2, v6
	v_mov_b32_e32 v3, 0
	v_lshlrev_b64 v[2:3], 1, v[2:3]
	v_mov_b32_e32 v5, s15
	v_add_co_u32_e32 v4, vcc, s14, v2
	v_addc_co_u32_e32 v5, vcc, v5, v3, vcc
	v_mov_b32_e32 v8, s11
	v_add_co_u32_e32 v2, vcc, s10, v2
	v_addc_co_u32_e32 v3, vcc, v8, v3, vcc
	global_load_ushort v19, v[2:3], off
	global_load_ushort v20, v[4:5], off
	v_add_u32_e32 v6, 0x100, v6
.LBB72_232:
	s_or_b64 exec, exec, s[4:5]
	v_cmp_gt_i32_e32 vcc, s12, v6
	v_mov_b32_e32 v13, 0
	v_mov_b32_e32 v17, 0
	v_mov_b32_e32 v18, 0
	s_and_saveexec_b64 s[4:5], vcc
	s_cbranch_execz .LBB72_234
; %bb.233:
	v_add_u32_e32 v2, s2, v6
	v_mov_b32_e32 v3, 0
	v_lshlrev_b64 v[2:3], 1, v[2:3]
	v_mov_b32_e32 v5, s15
	v_add_co_u32_e32 v4, vcc, s14, v2
	v_addc_co_u32_e32 v5, vcc, v5, v3, vcc
	v_mov_b32_e32 v8, s11
	v_add_co_u32_e32 v2, vcc, s10, v2
	v_addc_co_u32_e32 v3, vcc, v8, v3, vcc
	global_load_ushort v17, v[2:3], off
	global_load_ushort v18, v[4:5], off
	v_add_u32_e32 v6, 0x100, v6
.LBB72_234:
	s_or_b64 exec, exec, s[4:5]
	v_cmp_gt_i32_e32 vcc, s12, v6
	v_mov_b32_e32 v15, 0
	s_and_saveexec_b64 s[4:5], vcc
	s_cbranch_execz .LBB72_236
; %bb.235:
	v_add_u32_e32 v2, s2, v6
	v_mov_b32_e32 v3, 0
	v_lshlrev_b64 v[2:3], 1, v[2:3]
	v_mov_b32_e32 v5, s15
	v_add_co_u32_e32 v4, vcc, s14, v2
	v_addc_co_u32_e32 v5, vcc, v5, v3, vcc
	v_mov_b32_e32 v8, s11
	v_add_co_u32_e32 v2, vcc, s10, v2
	v_addc_co_u32_e32 v3, vcc, v8, v3, vcc
	global_load_ushort v13, v[2:3], off
	global_load_ushort v15, v[4:5], off
	v_add_u32_e32 v6, 0x100, v6
.LBB72_236:
	s_or_b64 exec, exec, s[4:5]
	v_cmp_gt_i32_e32 vcc, s12, v6
	v_mov_b32_e32 v8, 0
	v_mov_b32_e32 v11, 0
	v_mov_b32_e32 v12, 0
	s_and_saveexec_b64 s[4:5], vcc
	s_cbranch_execz .LBB72_238
; %bb.237:
	v_add_u32_e32 v2, s2, v6
	v_mov_b32_e32 v3, 0
	v_lshlrev_b64 v[2:3], 1, v[2:3]
	v_mov_b32_e32 v5, s15
	v_add_co_u32_e32 v4, vcc, s14, v2
	v_addc_co_u32_e32 v5, vcc, v5, v3, vcc
	v_mov_b32_e32 v9, s11
	v_add_co_u32_e32 v2, vcc, s10, v2
	v_addc_co_u32_e32 v3, vcc, v9, v3, vcc
	global_load_ushort v11, v[2:3], off
	global_load_ushort v12, v[4:5], off
	v_add_u32_e32 v6, 0x100, v6
.LBB72_238:
	s_or_b64 exec, exec, s[4:5]
	v_cmp_gt_i32_e32 vcc, s12, v6
	v_mov_b32_e32 v9, 0
	s_and_saveexec_b64 s[4:5], vcc
	s_cbranch_execz .LBB72_240
; %bb.239:
	v_add_u32_e32 v2, s2, v6
	v_mov_b32_e32 v3, 0
	v_lshlrev_b64 v[2:3], 1, v[2:3]
	v_mov_b32_e32 v5, s15
	v_add_co_u32_e32 v4, vcc, s14, v2
	v_addc_co_u32_e32 v5, vcc, v5, v3, vcc
	v_mov_b32_e32 v8, s11
	v_add_co_u32_e32 v2, vcc, s10, v2
	v_addc_co_u32_e32 v3, vcc, v8, v3, vcc
	global_load_ushort v8, v[2:3], off
	global_load_ushort v9, v[4:5], off
	v_add_u32_e32 v6, 0x100, v6
.LBB72_240:
	s_or_b64 exec, exec, s[4:5]
	v_cmp_gt_i32_e32 vcc, s12, v6
	v_mov_b32_e32 v2, 0
	v_mov_b32_e32 v4, 0
	v_mov_b32_e32 v5, 0
	s_and_saveexec_b64 s[4:5], vcc
	s_cbranch_execz .LBB72_242
; %bb.241:
	v_add_u32_e32 v3, s2, v6
	v_mov_b32_e32 v4, 0
	v_lshlrev_b64 v[3:4], 1, v[3:4]
	v_mov_b32_e32 v5, s15
	v_add_co_u32_e32 v35, vcc, s14, v3
	v_addc_co_u32_e32 v36, vcc, v5, v4, vcc
	v_mov_b32_e32 v5, s11
	v_add_co_u32_e32 v37, vcc, s10, v3
	v_addc_co_u32_e32 v38, vcc, v5, v4, vcc
	global_load_ushort v4, v[37:38], off
	global_load_ushort v5, v[35:36], off
	v_add_u32_e32 v6, 0x100, v6
.LBB72_242:
	s_or_b64 exec, exec, s[4:5]
	v_cmp_gt_i32_e32 vcc, s12, v6
	v_mov_b32_e32 v3, 0
	s_and_saveexec_b64 s[4:5], vcc
	s_cbranch_execz .LBB72_244
; %bb.243:
	v_add_u32_e32 v2, s2, v6
	v_mov_b32_e32 v3, 0
	v_lshlrev_b64 v[2:3], 1, v[2:3]
	v_mov_b32_e32 v6, s15
	v_add_co_u32_e32 v35, vcc, s14, v2
	v_addc_co_u32_e32 v36, vcc, v6, v3, vcc
	v_mov_b32_e32 v6, s11
	v_add_co_u32_e32 v37, vcc, s10, v2
	v_addc_co_u32_e32 v38, vcc, v6, v3, vcc
	global_load_ushort v2, v[37:38], off
	global_load_ushort v3, v[35:36], off
.LBB72_244:
	s_or_b64 exec, exec, s[4:5]
                                        ; implicit-def: $vgpr6
	s_and_saveexec_b64 s[4:5], s[0:1]
	s_cbranch_execz .LBB72_276
; %bb.245:
	s_cmp_lt_i32 s13, 1
	s_mov_b64 s[6:7], 0
	s_cbranch_scc1 .LBB72_250
; %bb.246:
	s_cmp_gt_i32 s13, 1
	s_cbranch_scc0 .LBB72_266
; %bb.247:
	s_cmp_eq_u32 s13, 2
	s_cbranch_scc0 .LBB72_267
; %bb.248:
	s_waitcnt vmcnt(0)
	v_cmp_le_i16_e64 s[10:11], v7, v10
	s_mov_b64 s[14:15], 0
	s_branch .LBB72_268
.LBB72_249:
	s_waitcnt vmcnt(0)
	v_cmp_lt_i16_sdwa s[46:47], v4, v8 src0_sel:WORD_1 src1_sel:WORD_1
	s_andn2_b64 s[42:43], s[42:43], exec
	s_and_b64 s[46:47], s[46:47], exec
	s_or_b64 s[42:43], s[42:43], s[46:47]
	s_cbranch_execz .LBB72_209
	s_branch .LBB72_210
.LBB72_250:
                                        ; implicit-def: $sgpr10_sgpr11
	s_mov_b64 s[14:15], 0
	s_cbranch_execnz .LBB72_271
	s_branch .LBB72_272
.LBB72_251:
	s_mov_b64 s[16:17], -1
                                        ; implicit-def: $sgpr4_sgpr5
	s_branch .LBB72_23
.LBB72_252:
	s_mov_b64 s[18:19], -1
                                        ; implicit-def: $sgpr6_sgpr7
	s_branch .LBB72_36
.LBB72_253:
	s_mov_b64 s[20:21], -1
                                        ; implicit-def: $sgpr16_sgpr17
	s_branch .LBB72_49
.LBB72_254:
	s_mov_b64 s[22:23], -1
                                        ; implicit-def: $sgpr18_sgpr19
	s_branch .LBB72_62
.LBB72_255:
	s_mov_b64 s[24:25], -1
                                        ; implicit-def: $sgpr20_sgpr21
	s_branch .LBB72_75
.LBB72_256:
	s_mov_b64 s[26:27], -1
                                        ; implicit-def: $sgpr22_sgpr23
	s_branch .LBB72_88
.LBB72_257:
	s_mov_b64 s[28:29], -1
                                        ; implicit-def: $sgpr24_sgpr25
	s_branch .LBB72_101
.LBB72_258:
	s_mov_b64 s[30:31], -1
                                        ; implicit-def: $sgpr26_sgpr27
	s_branch .LBB72_114
.LBB72_259:
	s_mov_b64 s[34:35], -1
                                        ; implicit-def: $sgpr28_sgpr29
	s_branch .LBB72_127
.LBB72_260:
	s_mov_b64 s[36:37], -1
                                        ; implicit-def: $sgpr30_sgpr31
	s_branch .LBB72_140
.LBB72_261:
	s_mov_b64 s[38:39], -1
                                        ; implicit-def: $sgpr34_sgpr35
	s_branch .LBB72_153
.LBB72_262:
	s_mov_b64 s[40:41], -1
                                        ; implicit-def: $sgpr36_sgpr37
	s_branch .LBB72_166
.LBB72_263:
	s_mov_b64 s[42:43], -1
                                        ; implicit-def: $sgpr38_sgpr39
	s_branch .LBB72_179
.LBB72_264:
	s_mov_b64 s[44:45], -1
                                        ; implicit-def: $sgpr40_sgpr41
	s_branch .LBB72_192
.LBB72_265:
	s_mov_b64 s[46:47], -1
                                        ; implicit-def: $sgpr42_sgpr43
	s_branch .LBB72_205
.LBB72_266:
	s_mov_b64 s[14:15], 0
                                        ; implicit-def: $sgpr10_sgpr11
	s_cbranch_execnz .LBB72_269
	s_branch .LBB72_270
.LBB72_267:
	s_mov_b64 s[14:15], -1
                                        ; implicit-def: $sgpr10_sgpr11
.LBB72_268:
	s_branch .LBB72_270
.LBB72_269:
	s_waitcnt vmcnt(0)
	v_cmp_gt_i16_e32 vcc, v7, v10
	s_andn2_b64 s[10:11], s[10:11], exec
	s_and_b64 s[16:17], vcc, exec
	s_or_b64 s[10:11], s[10:11], s[16:17]
.LBB72_270:
	s_branch .LBB72_272
.LBB72_271:
	s_cmp_lg_u32 s13, 0
	s_mov_b64 s[6:7], -1
	s_cselect_b64 s[14:15], -1, 0
.LBB72_272:
	s_andn2_b64 vcc, exec, s[14:15]
	s_cbranch_vccz .LBB72_281
; %bb.273:
	s_andn2_b64 vcc, exec, s[6:7]
	s_cbranch_vccnz .LBB72_275
.LBB72_274:
	s_waitcnt vmcnt(0)
	v_cmp_ge_i16_e32 vcc, v7, v10
	s_andn2_b64 s[6:7], s[10:11], exec
	s_and_b64 s[10:11], vcc, exec
	s_or_b64 s[10:11], s[6:7], s[10:11]
.LBB72_275:
	v_cndmask_b32_e64 v6, 0, 1, s[10:11]
.LBB72_276:
	s_or_b64 exec, exec, s[4:5]
	s_waitcnt vmcnt(1)
	v_or_b32_e32 v7, 0x100, v0
	v_cmp_gt_i32_e32 vcc, s12, v7
                                        ; implicit-def: $vgpr10
	s_and_saveexec_b64 s[4:5], vcc
	s_cbranch_execz .LBB72_291
; %bb.277:
	s_cmp_lt_i32 s13, 1
	s_mov_b64 s[6:7], 0
	s_cbranch_scc1 .LBB72_282
; %bb.278:
	s_cmp_gt_i32 s13, 1
	s_cbranch_scc0 .LBB72_283
; %bb.279:
	s_cmp_eq_u32 s13, 2
	s_cbranch_scc0 .LBB72_535
; %bb.280:
	s_waitcnt vmcnt(0)
	v_cmp_le_i16_e64 s[10:11], v14, v34
	s_mov_b64 s[14:15], 0
	s_branch .LBB72_285
.LBB72_281:
	s_waitcnt vmcnt(0)
	v_cmp_lt_i16_e32 vcc, v7, v10
	s_andn2_b64 s[10:11], s[10:11], exec
	s_and_b64 s[14:15], vcc, exec
	s_or_b64 s[10:11], s[10:11], s[14:15]
	s_cbranch_execz .LBB72_274
	s_branch .LBB72_275
.LBB72_282:
                                        ; implicit-def: $sgpr10_sgpr11
	s_mov_b64 s[14:15], 0
	s_cbranch_execnz .LBB72_286
	s_branch .LBB72_287
.LBB72_283:
	s_mov_b64 s[14:15], 0
                                        ; implicit-def: $sgpr10_sgpr11
	s_cbranch_execz .LBB72_285
; %bb.284:
	s_waitcnt vmcnt(0)
	v_cmp_gt_i16_e32 vcc, v14, v34
	s_andn2_b64 s[10:11], s[10:11], exec
	s_and_b64 s[16:17], vcc, exec
	s_or_b64 s[10:11], s[10:11], s[16:17]
.LBB72_285:
	s_branch .LBB72_287
.LBB72_286:
	s_cmp_lg_u32 s13, 0
	s_mov_b64 s[6:7], -1
	s_cselect_b64 s[14:15], -1, 0
.LBB72_287:
	s_andn2_b64 vcc, exec, s[14:15]
	s_cbranch_vccz .LBB72_296
; %bb.288:
	s_andn2_b64 vcc, exec, s[6:7]
	s_cbranch_vccnz .LBB72_290
.LBB72_289:
	s_waitcnt vmcnt(0)
	v_cmp_ge_i16_e32 vcc, v14, v34
	s_andn2_b64 s[6:7], s[10:11], exec
	s_and_b64 s[10:11], vcc, exec
	s_or_b64 s[10:11], s[6:7], s[10:11]
.LBB72_290:
	s_waitcnt vmcnt(0)
	v_cndmask_b32_e64 v10, 0, 1, s[10:11]
.LBB72_291:
	s_or_b64 exec, exec, s[4:5]
	v_or_b32_e32 v14, 0x200, v0
	v_cmp_gt_i32_e32 vcc, s12, v14
                                        ; implicit-def: $vgpr14
	s_and_saveexec_b64 s[4:5], vcc
	s_cbranch_execz .LBB72_306
; %bb.292:
	s_cmp_lt_i32 s13, 1
	s_mov_b64 s[6:7], 0
	s_cbranch_scc1 .LBB72_297
; %bb.293:
	s_cmp_gt_i32 s13, 1
	s_cbranch_scc0 .LBB72_298
; %bb.294:
	s_cmp_eq_u32 s13, 2
	s_cbranch_scc0 .LBB72_536
; %bb.295:
	s_waitcnt vmcnt(0)
	v_cmp_le_i16_e64 s[10:11], v16, v33
	s_mov_b64 s[14:15], 0
	s_branch .LBB72_300
.LBB72_296:
	s_waitcnt vmcnt(0)
	v_cmp_lt_i16_e32 vcc, v14, v34
	s_andn2_b64 s[10:11], s[10:11], exec
	s_and_b64 s[14:15], vcc, exec
	s_or_b64 s[10:11], s[10:11], s[14:15]
	s_cbranch_execz .LBB72_289
	s_branch .LBB72_290
.LBB72_297:
                                        ; implicit-def: $sgpr10_sgpr11
	s_mov_b64 s[14:15], 0
	s_cbranch_execnz .LBB72_301
	s_branch .LBB72_302
.LBB72_298:
	s_mov_b64 s[14:15], 0
                                        ; implicit-def: $sgpr10_sgpr11
	s_cbranch_execz .LBB72_300
; %bb.299:
	s_waitcnt vmcnt(0)
	v_cmp_gt_i16_e32 vcc, v16, v33
	s_andn2_b64 s[10:11], s[10:11], exec
	s_and_b64 s[16:17], vcc, exec
	s_or_b64 s[10:11], s[10:11], s[16:17]
.LBB72_300:
	s_branch .LBB72_302
.LBB72_301:
	s_cmp_lg_u32 s13, 0
	s_mov_b64 s[6:7], -1
	s_cselect_b64 s[14:15], -1, 0
.LBB72_302:
	s_andn2_b64 vcc, exec, s[14:15]
	s_cbranch_vccz .LBB72_311
; %bb.303:
	s_andn2_b64 vcc, exec, s[6:7]
	s_cbranch_vccnz .LBB72_305
.LBB72_304:
	s_waitcnt vmcnt(0)
	v_cmp_ge_i16_e32 vcc, v16, v33
	s_andn2_b64 s[6:7], s[10:11], exec
	s_and_b64 s[10:11], vcc, exec
	s_or_b64 s[10:11], s[6:7], s[10:11]
.LBB72_305:
	v_cndmask_b32_e64 v14, 0, 1, s[10:11]
.LBB72_306:
	s_or_b64 exec, exec, s[4:5]
	v_or_b32_e32 v16, 0x300, v0
	v_cmp_gt_i32_e32 vcc, s12, v16
                                        ; implicit-def: $vgpr16
	s_and_saveexec_b64 s[4:5], vcc
	s_cbranch_execz .LBB72_321
; %bb.307:
	s_cmp_lt_i32 s13, 1
	s_mov_b64 s[6:7], 0
	s_cbranch_scc1 .LBB72_312
; %bb.308:
	s_cmp_gt_i32 s13, 1
	s_cbranch_scc0 .LBB72_313
; %bb.309:
	s_cmp_eq_u32 s13, 2
	s_cbranch_scc0 .LBB72_537
; %bb.310:
	s_waitcnt vmcnt(0)
	v_cmp_le_i16_e64 s[10:11], v21, v32
	s_mov_b64 s[14:15], 0
	s_branch .LBB72_315
.LBB72_311:
	s_waitcnt vmcnt(0)
	v_cmp_lt_i16_e32 vcc, v16, v33
	s_andn2_b64 s[10:11], s[10:11], exec
	s_and_b64 s[14:15], vcc, exec
	s_or_b64 s[10:11], s[10:11], s[14:15]
	s_cbranch_execz .LBB72_304
	s_branch .LBB72_305
.LBB72_312:
                                        ; implicit-def: $sgpr10_sgpr11
	s_mov_b64 s[14:15], 0
	s_cbranch_execnz .LBB72_316
	s_branch .LBB72_317
.LBB72_313:
	s_mov_b64 s[14:15], 0
                                        ; implicit-def: $sgpr10_sgpr11
	s_cbranch_execz .LBB72_315
; %bb.314:
	s_waitcnt vmcnt(0)
	v_cmp_gt_i16_e32 vcc, v21, v32
	s_andn2_b64 s[10:11], s[10:11], exec
	s_and_b64 s[16:17], vcc, exec
	s_or_b64 s[10:11], s[10:11], s[16:17]
.LBB72_315:
	s_branch .LBB72_317
.LBB72_316:
	s_cmp_lg_u32 s13, 0
	s_mov_b64 s[6:7], -1
	s_cselect_b64 s[14:15], -1, 0
.LBB72_317:
	s_andn2_b64 vcc, exec, s[14:15]
	s_cbranch_vccz .LBB72_326
; %bb.318:
	s_andn2_b64 vcc, exec, s[6:7]
	s_cbranch_vccnz .LBB72_320
.LBB72_319:
	s_waitcnt vmcnt(0)
	v_cmp_ge_i16_e32 vcc, v21, v32
	s_andn2_b64 s[6:7], s[10:11], exec
	s_and_b64 s[10:11], vcc, exec
	s_or_b64 s[10:11], s[6:7], s[10:11]
.LBB72_320:
	v_cndmask_b32_e64 v16, 0, 1, s[10:11]
.LBB72_321:
	s_or_b64 exec, exec, s[4:5]
	v_or_b32_e32 v21, 0x400, v0
	v_cmp_gt_i32_e32 vcc, s12, v21
                                        ; implicit-def: $vgpr21
	s_and_saveexec_b64 s[4:5], vcc
	s_cbranch_execz .LBB72_336
; %bb.322:
	s_cmp_lt_i32 s13, 1
	s_mov_b64 s[6:7], 0
	s_cbranch_scc1 .LBB72_327
; %bb.323:
	s_cmp_gt_i32 s13, 1
	s_cbranch_scc0 .LBB72_328
; %bb.324:
	s_cmp_eq_u32 s13, 2
	s_cbranch_scc0 .LBB72_538
; %bb.325:
	s_waitcnt vmcnt(0)
	v_cmp_le_i16_e64 s[10:11], v24, v31
	s_mov_b64 s[14:15], 0
	s_branch .LBB72_330
.LBB72_326:
	s_waitcnt vmcnt(0)
	v_cmp_lt_i16_e32 vcc, v21, v32
	s_andn2_b64 s[10:11], s[10:11], exec
	s_and_b64 s[14:15], vcc, exec
	s_or_b64 s[10:11], s[10:11], s[14:15]
	s_cbranch_execz .LBB72_319
	s_branch .LBB72_320
.LBB72_327:
                                        ; implicit-def: $sgpr10_sgpr11
	s_mov_b64 s[14:15], 0
	s_cbranch_execnz .LBB72_331
	s_branch .LBB72_332
.LBB72_328:
	s_mov_b64 s[14:15], 0
                                        ; implicit-def: $sgpr10_sgpr11
	s_cbranch_execz .LBB72_330
; %bb.329:
	s_waitcnt vmcnt(0)
	v_cmp_gt_i16_e32 vcc, v24, v31
	s_andn2_b64 s[10:11], s[10:11], exec
	s_and_b64 s[16:17], vcc, exec
	s_or_b64 s[10:11], s[10:11], s[16:17]
.LBB72_330:
	s_branch .LBB72_332
.LBB72_331:
	s_cmp_lg_u32 s13, 0
	s_mov_b64 s[6:7], -1
	s_cselect_b64 s[14:15], -1, 0
.LBB72_332:
	s_andn2_b64 vcc, exec, s[14:15]
	s_cbranch_vccz .LBB72_341
; %bb.333:
	s_andn2_b64 vcc, exec, s[6:7]
	s_cbranch_vccnz .LBB72_335
.LBB72_334:
	s_waitcnt vmcnt(0)
	v_cmp_ge_i16_e32 vcc, v24, v31
	s_andn2_b64 s[6:7], s[10:11], exec
	s_and_b64 s[10:11], vcc, exec
	s_or_b64 s[10:11], s[6:7], s[10:11]
.LBB72_335:
	v_cndmask_b32_e64 v21, 0, 1, s[10:11]
.LBB72_336:
	s_or_b64 exec, exec, s[4:5]
	v_or_b32_e32 v24, 0x500, v0
	v_cmp_gt_i32_e32 vcc, s12, v24
                                        ; implicit-def: $vgpr24
	s_and_saveexec_b64 s[4:5], vcc
	s_cbranch_execz .LBB72_351
; %bb.337:
	s_cmp_lt_i32 s13, 1
	s_mov_b64 s[6:7], 0
	s_cbranch_scc1 .LBB72_342
; %bb.338:
	s_cmp_gt_i32 s13, 1
	s_cbranch_scc0 .LBB72_343
; %bb.339:
	s_cmp_eq_u32 s13, 2
	s_cbranch_scc0 .LBB72_539
; %bb.340:
	s_waitcnt vmcnt(0)
	v_cmp_le_i16_e64 s[10:11], v27, v30
	s_mov_b64 s[14:15], 0
	s_branch .LBB72_345
.LBB72_341:
	s_waitcnt vmcnt(0)
	v_cmp_lt_i16_e32 vcc, v24, v31
	s_andn2_b64 s[10:11], s[10:11], exec
	s_and_b64 s[14:15], vcc, exec
	s_or_b64 s[10:11], s[10:11], s[14:15]
	s_cbranch_execz .LBB72_334
	s_branch .LBB72_335
.LBB72_342:
                                        ; implicit-def: $sgpr10_sgpr11
	s_mov_b64 s[14:15], 0
	s_cbranch_execnz .LBB72_346
	s_branch .LBB72_347
.LBB72_343:
	s_mov_b64 s[14:15], 0
                                        ; implicit-def: $sgpr10_sgpr11
	s_cbranch_execz .LBB72_345
; %bb.344:
	s_waitcnt vmcnt(0)
	v_cmp_gt_i16_e32 vcc, v27, v30
	s_andn2_b64 s[10:11], s[10:11], exec
	s_and_b64 s[16:17], vcc, exec
	s_or_b64 s[10:11], s[10:11], s[16:17]
.LBB72_345:
	s_branch .LBB72_347
.LBB72_346:
	s_cmp_lg_u32 s13, 0
	s_mov_b64 s[6:7], -1
	s_cselect_b64 s[14:15], -1, 0
.LBB72_347:
	s_andn2_b64 vcc, exec, s[14:15]
	s_cbranch_vccz .LBB72_356
; %bb.348:
	s_andn2_b64 vcc, exec, s[6:7]
	s_cbranch_vccnz .LBB72_350
.LBB72_349:
	s_waitcnt vmcnt(0)
	v_cmp_ge_i16_e32 vcc, v27, v30
	s_andn2_b64 s[6:7], s[10:11], exec
	s_and_b64 s[10:11], vcc, exec
	s_or_b64 s[10:11], s[6:7], s[10:11]
.LBB72_350:
	v_cndmask_b32_e64 v24, 0, 1, s[10:11]
.LBB72_351:
	s_or_b64 exec, exec, s[4:5]
	v_or_b32_e32 v27, 0x600, v0
	v_cmp_gt_i32_e32 vcc, s12, v27
                                        ; implicit-def: $vgpr27
	s_and_saveexec_b64 s[4:5], vcc
	s_cbranch_execz .LBB72_366
; %bb.352:
	s_cmp_lt_i32 s13, 1
	s_mov_b64 s[6:7], 0
	s_cbranch_scc1 .LBB72_357
; %bb.353:
	s_cmp_gt_i32 s13, 1
	s_cbranch_scc0 .LBB72_358
; %bb.354:
	s_cmp_eq_u32 s13, 2
	s_cbranch_scc0 .LBB72_540
; %bb.355:
	s_waitcnt vmcnt(0)
	v_cmp_le_i16_e64 s[10:11], v28, v29
	s_mov_b64 s[14:15], 0
	s_branch .LBB72_360
.LBB72_356:
	s_waitcnt vmcnt(0)
	v_cmp_lt_i16_e32 vcc, v27, v30
	s_andn2_b64 s[10:11], s[10:11], exec
	s_and_b64 s[14:15], vcc, exec
	s_or_b64 s[10:11], s[10:11], s[14:15]
	s_cbranch_execz .LBB72_349
	s_branch .LBB72_350
.LBB72_357:
                                        ; implicit-def: $sgpr10_sgpr11
	s_mov_b64 s[14:15], 0
	s_cbranch_execnz .LBB72_361
	s_branch .LBB72_362
.LBB72_358:
	s_mov_b64 s[14:15], 0
                                        ; implicit-def: $sgpr10_sgpr11
	s_cbranch_execz .LBB72_360
; %bb.359:
	s_waitcnt vmcnt(0)
	v_cmp_gt_i16_e32 vcc, v28, v29
	s_andn2_b64 s[10:11], s[10:11], exec
	s_and_b64 s[16:17], vcc, exec
	s_or_b64 s[10:11], s[10:11], s[16:17]
.LBB72_360:
	s_branch .LBB72_362
.LBB72_361:
	s_cmp_lg_u32 s13, 0
	s_mov_b64 s[6:7], -1
	s_cselect_b64 s[14:15], -1, 0
.LBB72_362:
	s_andn2_b64 vcc, exec, s[14:15]
	s_cbranch_vccz .LBB72_371
; %bb.363:
	s_andn2_b64 vcc, exec, s[6:7]
	s_cbranch_vccnz .LBB72_365
.LBB72_364:
	s_waitcnt vmcnt(0)
	v_cmp_ge_i16_e32 vcc, v28, v29
	s_andn2_b64 s[6:7], s[10:11], exec
	s_and_b64 s[10:11], vcc, exec
	s_or_b64 s[10:11], s[6:7], s[10:11]
.LBB72_365:
	v_cndmask_b32_e64 v27, 0, 1, s[10:11]
.LBB72_366:
	s_or_b64 exec, exec, s[4:5]
	v_or_b32_e32 v28, 0x700, v0
	v_cmp_gt_i32_e32 vcc, s12, v28
                                        ; implicit-def: $vgpr28
	s_and_saveexec_b64 s[4:5], vcc
	s_cbranch_execz .LBB72_381
; %bb.367:
	s_cmp_lt_i32 s13, 1
	s_mov_b64 s[6:7], 0
	s_cbranch_scc1 .LBB72_372
; %bb.368:
	s_cmp_gt_i32 s13, 1
	s_cbranch_scc0 .LBB72_373
; %bb.369:
	s_cmp_eq_u32 s13, 2
	s_cbranch_scc0 .LBB72_541
; %bb.370:
	s_waitcnt vmcnt(0)
	v_cmp_le_i16_e64 s[10:11], v25, v26
	s_mov_b64 s[14:15], 0
	s_branch .LBB72_375
.LBB72_371:
	s_waitcnt vmcnt(0)
	v_cmp_lt_i16_e32 vcc, v28, v29
	s_andn2_b64 s[10:11], s[10:11], exec
	s_and_b64 s[14:15], vcc, exec
	s_or_b64 s[10:11], s[10:11], s[14:15]
	s_cbranch_execz .LBB72_364
	s_branch .LBB72_365
.LBB72_372:
                                        ; implicit-def: $sgpr10_sgpr11
	s_mov_b64 s[14:15], 0
	s_cbranch_execnz .LBB72_376
	s_branch .LBB72_377
.LBB72_373:
	s_mov_b64 s[14:15], 0
                                        ; implicit-def: $sgpr10_sgpr11
	s_cbranch_execz .LBB72_375
; %bb.374:
	s_waitcnt vmcnt(0)
	v_cmp_gt_i16_e32 vcc, v25, v26
	s_andn2_b64 s[10:11], s[10:11], exec
	s_and_b64 s[16:17], vcc, exec
	s_or_b64 s[10:11], s[10:11], s[16:17]
.LBB72_375:
	s_branch .LBB72_377
.LBB72_376:
	s_cmp_lg_u32 s13, 0
	s_mov_b64 s[6:7], -1
	s_cselect_b64 s[14:15], -1, 0
.LBB72_377:
	s_andn2_b64 vcc, exec, s[14:15]
	s_cbranch_vccz .LBB72_386
; %bb.378:
	s_andn2_b64 vcc, exec, s[6:7]
	s_cbranch_vccnz .LBB72_380
.LBB72_379:
	s_waitcnt vmcnt(0)
	v_cmp_ge_i16_e32 vcc, v25, v26
	s_andn2_b64 s[6:7], s[10:11], exec
	s_and_b64 s[10:11], vcc, exec
	s_or_b64 s[10:11], s[6:7], s[10:11]
.LBB72_380:
	v_cndmask_b32_e64 v28, 0, 1, s[10:11]
.LBB72_381:
	s_or_b64 exec, exec, s[4:5]
	v_or_b32_e32 v25, 0x800, v0
	v_cmp_gt_i32_e32 vcc, s12, v25
                                        ; implicit-def: $vgpr25
	s_and_saveexec_b64 s[4:5], vcc
	s_cbranch_execz .LBB72_396
; %bb.382:
	s_cmp_lt_i32 s13, 1
	s_mov_b64 s[6:7], 0
	s_cbranch_scc1 .LBB72_387
; %bb.383:
	s_cmp_gt_i32 s13, 1
	s_cbranch_scc0 .LBB72_388
; %bb.384:
	s_cmp_eq_u32 s13, 2
	s_cbranch_scc0 .LBB72_542
; %bb.385:
	s_waitcnt vmcnt(0)
	v_cmp_le_i16_e64 s[10:11], v22, v23
	s_mov_b64 s[14:15], 0
	s_branch .LBB72_390
.LBB72_386:
	s_waitcnt vmcnt(0)
	v_cmp_lt_i16_e32 vcc, v25, v26
	s_andn2_b64 s[10:11], s[10:11], exec
	s_and_b64 s[14:15], vcc, exec
	s_or_b64 s[10:11], s[10:11], s[14:15]
	s_cbranch_execz .LBB72_379
	s_branch .LBB72_380
.LBB72_387:
                                        ; implicit-def: $sgpr10_sgpr11
	s_mov_b64 s[14:15], 0
	s_cbranch_execnz .LBB72_391
	s_branch .LBB72_392
.LBB72_388:
	s_mov_b64 s[14:15], 0
                                        ; implicit-def: $sgpr10_sgpr11
	s_cbranch_execz .LBB72_390
; %bb.389:
	s_waitcnt vmcnt(0)
	v_cmp_gt_i16_e32 vcc, v22, v23
	s_andn2_b64 s[10:11], s[10:11], exec
	s_and_b64 s[16:17], vcc, exec
	s_or_b64 s[10:11], s[10:11], s[16:17]
.LBB72_390:
	s_branch .LBB72_392
.LBB72_391:
	s_cmp_lg_u32 s13, 0
	s_mov_b64 s[6:7], -1
	s_cselect_b64 s[14:15], -1, 0
.LBB72_392:
	s_andn2_b64 vcc, exec, s[14:15]
	s_cbranch_vccz .LBB72_401
; %bb.393:
	s_andn2_b64 vcc, exec, s[6:7]
	s_cbranch_vccnz .LBB72_395
.LBB72_394:
	s_waitcnt vmcnt(0)
	v_cmp_ge_i16_e32 vcc, v22, v23
	s_andn2_b64 s[6:7], s[10:11], exec
	s_and_b64 s[10:11], vcc, exec
	s_or_b64 s[10:11], s[6:7], s[10:11]
.LBB72_395:
	v_cndmask_b32_e64 v25, 0, 1, s[10:11]
.LBB72_396:
	s_or_b64 exec, exec, s[4:5]
	v_or_b32_e32 v22, 0x900, v0
	v_cmp_gt_i32_e32 vcc, s12, v22
                                        ; implicit-def: $vgpr22
	s_and_saveexec_b64 s[4:5], vcc
	s_cbranch_execz .LBB72_411
; %bb.397:
	s_cmp_lt_i32 s13, 1
	s_mov_b64 s[6:7], 0
	s_cbranch_scc1 .LBB72_402
; %bb.398:
	s_cmp_gt_i32 s13, 1
	s_cbranch_scc0 .LBB72_403
; %bb.399:
	s_cmp_eq_u32 s13, 2
	s_cbranch_scc0 .LBB72_543
; %bb.400:
	s_waitcnt vmcnt(0)
	v_cmp_le_i16_e64 s[10:11], v19, v20
	s_mov_b64 s[14:15], 0
	s_branch .LBB72_405
.LBB72_401:
	s_waitcnt vmcnt(0)
	v_cmp_lt_i16_e32 vcc, v22, v23
	s_andn2_b64 s[10:11], s[10:11], exec
	s_and_b64 s[14:15], vcc, exec
	s_or_b64 s[10:11], s[10:11], s[14:15]
	s_cbranch_execz .LBB72_394
	s_branch .LBB72_395
.LBB72_402:
                                        ; implicit-def: $sgpr10_sgpr11
	s_mov_b64 s[14:15], 0
	s_cbranch_execnz .LBB72_406
	s_branch .LBB72_407
.LBB72_403:
	s_mov_b64 s[14:15], 0
                                        ; implicit-def: $sgpr10_sgpr11
	s_cbranch_execz .LBB72_405
; %bb.404:
	s_waitcnt vmcnt(0)
	v_cmp_gt_i16_e32 vcc, v19, v20
	s_andn2_b64 s[10:11], s[10:11], exec
	s_and_b64 s[16:17], vcc, exec
	s_or_b64 s[10:11], s[10:11], s[16:17]
.LBB72_405:
	s_branch .LBB72_407
.LBB72_406:
	s_cmp_lg_u32 s13, 0
	s_mov_b64 s[6:7], -1
	s_cselect_b64 s[14:15], -1, 0
.LBB72_407:
	s_andn2_b64 vcc, exec, s[14:15]
	s_cbranch_vccz .LBB72_416
; %bb.408:
	s_andn2_b64 vcc, exec, s[6:7]
	s_cbranch_vccnz .LBB72_410
.LBB72_409:
	s_waitcnt vmcnt(0)
	v_cmp_ge_i16_e32 vcc, v19, v20
	s_andn2_b64 s[6:7], s[10:11], exec
	s_and_b64 s[10:11], vcc, exec
	s_or_b64 s[10:11], s[6:7], s[10:11]
.LBB72_410:
	v_cndmask_b32_e64 v22, 0, 1, s[10:11]
.LBB72_411:
	s_or_b64 exec, exec, s[4:5]
	v_or_b32_e32 v19, 0xa00, v0
	v_cmp_gt_i32_e32 vcc, s12, v19
                                        ; implicit-def: $vgpr19
	s_and_saveexec_b64 s[4:5], vcc
	s_cbranch_execz .LBB72_426
; %bb.412:
	s_cmp_lt_i32 s13, 1
	s_mov_b64 s[6:7], 0
	s_cbranch_scc1 .LBB72_417
; %bb.413:
	s_cmp_gt_i32 s13, 1
	s_cbranch_scc0 .LBB72_418
; %bb.414:
	s_cmp_eq_u32 s13, 2
	s_cbranch_scc0 .LBB72_544
; %bb.415:
	s_waitcnt vmcnt(0)
	v_cmp_le_i16_e64 s[10:11], v17, v18
	s_mov_b64 s[14:15], 0
	s_branch .LBB72_420
.LBB72_416:
	s_waitcnt vmcnt(0)
	v_cmp_lt_i16_e32 vcc, v19, v20
	s_andn2_b64 s[10:11], s[10:11], exec
	s_and_b64 s[14:15], vcc, exec
	s_or_b64 s[10:11], s[10:11], s[14:15]
	s_cbranch_execz .LBB72_409
	s_branch .LBB72_410
.LBB72_417:
                                        ; implicit-def: $sgpr10_sgpr11
	s_mov_b64 s[14:15], 0
	s_cbranch_execnz .LBB72_421
	s_branch .LBB72_422
.LBB72_418:
	s_mov_b64 s[14:15], 0
                                        ; implicit-def: $sgpr10_sgpr11
	s_cbranch_execz .LBB72_420
; %bb.419:
	s_waitcnt vmcnt(0)
	v_cmp_gt_i16_e32 vcc, v17, v18
	s_andn2_b64 s[10:11], s[10:11], exec
	s_and_b64 s[16:17], vcc, exec
	s_or_b64 s[10:11], s[10:11], s[16:17]
.LBB72_420:
	s_branch .LBB72_422
.LBB72_421:
	s_cmp_lg_u32 s13, 0
	s_mov_b64 s[6:7], -1
	s_cselect_b64 s[14:15], -1, 0
.LBB72_422:
	s_andn2_b64 vcc, exec, s[14:15]
	s_cbranch_vccz .LBB72_431
; %bb.423:
	s_andn2_b64 vcc, exec, s[6:7]
	s_cbranch_vccnz .LBB72_425
.LBB72_424:
	s_waitcnt vmcnt(0)
	v_cmp_ge_i16_e32 vcc, v17, v18
	s_andn2_b64 s[6:7], s[10:11], exec
	s_and_b64 s[10:11], vcc, exec
	s_or_b64 s[10:11], s[6:7], s[10:11]
.LBB72_425:
	v_cndmask_b32_e64 v19, 0, 1, s[10:11]
.LBB72_426:
	s_or_b64 exec, exec, s[4:5]
	v_or_b32_e32 v17, 0xb00, v0
	v_cmp_gt_i32_e32 vcc, s12, v17
                                        ; implicit-def: $vgpr17
	s_and_saveexec_b64 s[4:5], vcc
	s_cbranch_execz .LBB72_441
; %bb.427:
	s_cmp_lt_i32 s13, 1
	s_mov_b64 s[6:7], 0
	s_cbranch_scc1 .LBB72_432
; %bb.428:
	s_cmp_gt_i32 s13, 1
	s_cbranch_scc0 .LBB72_433
; %bb.429:
	s_cmp_eq_u32 s13, 2
	s_cbranch_scc0 .LBB72_545
; %bb.430:
	s_waitcnt vmcnt(0)
	v_cmp_le_i16_e64 s[10:11], v13, v15
	s_mov_b64 s[14:15], 0
	s_branch .LBB72_435
.LBB72_431:
	s_waitcnt vmcnt(0)
	v_cmp_lt_i16_e32 vcc, v17, v18
	s_andn2_b64 s[10:11], s[10:11], exec
	s_and_b64 s[14:15], vcc, exec
	s_or_b64 s[10:11], s[10:11], s[14:15]
	s_cbranch_execz .LBB72_424
	s_branch .LBB72_425
.LBB72_432:
                                        ; implicit-def: $sgpr10_sgpr11
	s_mov_b64 s[14:15], 0
	s_cbranch_execnz .LBB72_436
	s_branch .LBB72_437
.LBB72_433:
	s_mov_b64 s[14:15], 0
                                        ; implicit-def: $sgpr10_sgpr11
	s_cbranch_execz .LBB72_435
; %bb.434:
	s_waitcnt vmcnt(0)
	v_cmp_gt_i16_e32 vcc, v13, v15
	s_andn2_b64 s[10:11], s[10:11], exec
	s_and_b64 s[16:17], vcc, exec
	s_or_b64 s[10:11], s[10:11], s[16:17]
.LBB72_435:
	s_branch .LBB72_437
.LBB72_436:
	s_cmp_lg_u32 s13, 0
	s_mov_b64 s[6:7], -1
	s_cselect_b64 s[14:15], -1, 0
.LBB72_437:
	s_andn2_b64 vcc, exec, s[14:15]
	s_cbranch_vccz .LBB72_446
; %bb.438:
	s_andn2_b64 vcc, exec, s[6:7]
	s_cbranch_vccnz .LBB72_440
.LBB72_439:
	s_waitcnt vmcnt(0)
	v_cmp_ge_i16_e32 vcc, v13, v15
	s_andn2_b64 s[6:7], s[10:11], exec
	s_and_b64 s[10:11], vcc, exec
	s_or_b64 s[10:11], s[6:7], s[10:11]
.LBB72_440:
	v_cndmask_b32_e64 v17, 0, 1, s[10:11]
.LBB72_441:
	s_or_b64 exec, exec, s[4:5]
	v_or_b32_e32 v13, 0xc00, v0
	v_cmp_gt_i32_e32 vcc, s12, v13
                                        ; implicit-def: $vgpr13
	s_and_saveexec_b64 s[4:5], vcc
	s_cbranch_execz .LBB72_456
; %bb.442:
	s_cmp_lt_i32 s13, 1
	s_mov_b64 s[6:7], 0
	s_cbranch_scc1 .LBB72_447
; %bb.443:
	s_cmp_gt_i32 s13, 1
	s_cbranch_scc0 .LBB72_448
; %bb.444:
	s_cmp_eq_u32 s13, 2
	s_cbranch_scc0 .LBB72_546
; %bb.445:
	s_waitcnt vmcnt(0)
	v_cmp_le_i16_e64 s[10:11], v11, v12
	s_mov_b64 s[14:15], 0
	s_branch .LBB72_450
.LBB72_446:
	s_waitcnt vmcnt(0)
	v_cmp_lt_i16_e32 vcc, v13, v15
	s_andn2_b64 s[10:11], s[10:11], exec
	s_and_b64 s[14:15], vcc, exec
	s_or_b64 s[10:11], s[10:11], s[14:15]
	s_cbranch_execz .LBB72_439
	s_branch .LBB72_440
.LBB72_447:
                                        ; implicit-def: $sgpr10_sgpr11
	s_mov_b64 s[14:15], 0
	s_cbranch_execnz .LBB72_451
	s_branch .LBB72_452
.LBB72_448:
	s_mov_b64 s[14:15], 0
                                        ; implicit-def: $sgpr10_sgpr11
	s_cbranch_execz .LBB72_450
; %bb.449:
	s_waitcnt vmcnt(0)
	v_cmp_gt_i16_e32 vcc, v11, v12
	s_andn2_b64 s[10:11], s[10:11], exec
	s_and_b64 s[16:17], vcc, exec
	s_or_b64 s[10:11], s[10:11], s[16:17]
.LBB72_450:
	s_branch .LBB72_452
.LBB72_451:
	s_cmp_lg_u32 s13, 0
	s_mov_b64 s[6:7], -1
	s_cselect_b64 s[14:15], -1, 0
.LBB72_452:
	s_andn2_b64 vcc, exec, s[14:15]
	s_cbranch_vccz .LBB72_461
; %bb.453:
	s_andn2_b64 vcc, exec, s[6:7]
	s_cbranch_vccnz .LBB72_455
.LBB72_454:
	s_waitcnt vmcnt(0)
	v_cmp_ge_i16_e32 vcc, v11, v12
	s_andn2_b64 s[6:7], s[10:11], exec
	s_and_b64 s[10:11], vcc, exec
	s_or_b64 s[10:11], s[6:7], s[10:11]
.LBB72_455:
	v_cndmask_b32_e64 v13, 0, 1, s[10:11]
.LBB72_456:
	s_or_b64 exec, exec, s[4:5]
	v_or_b32_e32 v11, 0xd00, v0
	v_cmp_gt_i32_e32 vcc, s12, v11
                                        ; implicit-def: $vgpr11
	s_and_saveexec_b64 s[4:5], vcc
	s_cbranch_execz .LBB72_471
; %bb.457:
	s_cmp_lt_i32 s13, 1
	s_mov_b64 s[6:7], 0
	s_cbranch_scc1 .LBB72_462
; %bb.458:
	s_cmp_gt_i32 s13, 1
	s_cbranch_scc0 .LBB72_463
; %bb.459:
	s_cmp_eq_u32 s13, 2
	s_cbranch_scc0 .LBB72_547
; %bb.460:
	s_waitcnt vmcnt(0)
	v_cmp_le_i16_e64 s[10:11], v8, v9
	s_mov_b64 s[14:15], 0
	s_branch .LBB72_465
.LBB72_461:
	s_waitcnt vmcnt(0)
	v_cmp_lt_i16_e32 vcc, v11, v12
	s_andn2_b64 s[10:11], s[10:11], exec
	s_and_b64 s[14:15], vcc, exec
	s_or_b64 s[10:11], s[10:11], s[14:15]
	s_cbranch_execz .LBB72_454
	s_branch .LBB72_455
.LBB72_462:
                                        ; implicit-def: $sgpr10_sgpr11
	s_mov_b64 s[14:15], 0
	s_cbranch_execnz .LBB72_466
	s_branch .LBB72_467
.LBB72_463:
	s_mov_b64 s[14:15], 0
                                        ; implicit-def: $sgpr10_sgpr11
	s_cbranch_execz .LBB72_465
; %bb.464:
	s_waitcnt vmcnt(0)
	v_cmp_gt_i16_e32 vcc, v8, v9
	s_andn2_b64 s[10:11], s[10:11], exec
	s_and_b64 s[16:17], vcc, exec
	s_or_b64 s[10:11], s[10:11], s[16:17]
.LBB72_465:
	s_branch .LBB72_467
.LBB72_466:
	s_cmp_lg_u32 s13, 0
	s_mov_b64 s[6:7], -1
	s_cselect_b64 s[14:15], -1, 0
.LBB72_467:
	s_andn2_b64 vcc, exec, s[14:15]
	s_cbranch_vccz .LBB72_476
; %bb.468:
	s_andn2_b64 vcc, exec, s[6:7]
	s_cbranch_vccnz .LBB72_470
.LBB72_469:
	s_waitcnt vmcnt(0)
	v_cmp_ge_i16_e32 vcc, v8, v9
	s_andn2_b64 s[6:7], s[10:11], exec
	s_and_b64 s[10:11], vcc, exec
	s_or_b64 s[10:11], s[6:7], s[10:11]
.LBB72_470:
	v_cndmask_b32_e64 v11, 0, 1, s[10:11]
.LBB72_471:
	s_or_b64 exec, exec, s[4:5]
	v_or_b32_e32 v8, 0xe00, v0
	v_cmp_gt_i32_e32 vcc, s12, v8
                                        ; implicit-def: $vgpr8
	s_and_saveexec_b64 s[4:5], vcc
	s_cbranch_execz .LBB72_486
; %bb.472:
	s_cmp_lt_i32 s13, 1
	s_mov_b64 s[6:7], 0
	s_cbranch_scc1 .LBB72_477
; %bb.473:
	s_cmp_gt_i32 s13, 1
	s_cbranch_scc0 .LBB72_478
; %bb.474:
	s_cmp_eq_u32 s13, 2
	s_cbranch_scc0 .LBB72_548
; %bb.475:
	s_waitcnt vmcnt(0)
	v_cmp_le_i16_e64 s[10:11], v4, v5
	s_mov_b64 s[14:15], 0
	s_branch .LBB72_480
.LBB72_476:
	s_waitcnt vmcnt(0)
	v_cmp_lt_i16_e32 vcc, v8, v9
	s_andn2_b64 s[10:11], s[10:11], exec
	s_and_b64 s[14:15], vcc, exec
	s_or_b64 s[10:11], s[10:11], s[14:15]
	s_cbranch_execz .LBB72_469
	s_branch .LBB72_470
.LBB72_477:
                                        ; implicit-def: $sgpr10_sgpr11
	s_mov_b64 s[14:15], 0
	s_cbranch_execnz .LBB72_481
	s_branch .LBB72_482
.LBB72_478:
	s_mov_b64 s[14:15], 0
                                        ; implicit-def: $sgpr10_sgpr11
	s_cbranch_execz .LBB72_480
; %bb.479:
	s_waitcnt vmcnt(0)
	v_cmp_gt_i16_e32 vcc, v4, v5
	s_andn2_b64 s[10:11], s[10:11], exec
	s_and_b64 s[16:17], vcc, exec
	s_or_b64 s[10:11], s[10:11], s[16:17]
.LBB72_480:
	s_branch .LBB72_482
.LBB72_481:
	s_cmp_lg_u32 s13, 0
	s_mov_b64 s[6:7], -1
	s_cselect_b64 s[14:15], -1, 0
.LBB72_482:
	s_andn2_b64 vcc, exec, s[14:15]
	s_cbranch_vccz .LBB72_491
; %bb.483:
	s_andn2_b64 vcc, exec, s[6:7]
	s_cbranch_vccnz .LBB72_485
.LBB72_484:
	s_waitcnt vmcnt(0)
	v_cmp_ge_i16_e32 vcc, v4, v5
	s_andn2_b64 s[6:7], s[10:11], exec
	s_and_b64 s[10:11], vcc, exec
	s_or_b64 s[10:11], s[6:7], s[10:11]
.LBB72_485:
	v_cndmask_b32_e64 v8, 0, 1, s[10:11]
.LBB72_486:
	s_or_b64 exec, exec, s[4:5]
	v_or_b32_e32 v4, 0xf00, v0
	v_cmp_gt_i32_e32 vcc, s12, v4
                                        ; implicit-def: $vgpr4
	s_and_saveexec_b64 s[4:5], vcc
	s_cbranch_execz .LBB72_501
; %bb.487:
	s_cmp_lt_i32 s13, 1
	s_mov_b64 s[6:7], 0
	s_cbranch_scc1 .LBB72_492
; %bb.488:
	s_cmp_gt_i32 s13, 1
	s_cbranch_scc0 .LBB72_493
; %bb.489:
	s_cmp_eq_u32 s13, 2
	s_cbranch_scc0 .LBB72_549
; %bb.490:
	s_waitcnt vmcnt(0)
	v_cmp_le_i16_e64 s[10:11], v2, v3
	s_mov_b64 s[14:15], 0
	s_branch .LBB72_495
.LBB72_491:
	s_waitcnt vmcnt(0)
	v_cmp_lt_i16_e32 vcc, v4, v5
	s_andn2_b64 s[10:11], s[10:11], exec
	s_and_b64 s[14:15], vcc, exec
	s_or_b64 s[10:11], s[10:11], s[14:15]
	s_cbranch_execz .LBB72_484
	s_branch .LBB72_485
.LBB72_492:
                                        ; implicit-def: $sgpr10_sgpr11
	s_mov_b64 s[14:15], 0
	s_cbranch_execnz .LBB72_496
	s_branch .LBB72_497
.LBB72_493:
	s_mov_b64 s[14:15], 0
                                        ; implicit-def: $sgpr10_sgpr11
	s_cbranch_execz .LBB72_495
; %bb.494:
	s_waitcnt vmcnt(0)
	v_cmp_gt_i16_e32 vcc, v2, v3
	s_andn2_b64 s[10:11], s[10:11], exec
	s_and_b64 s[16:17], vcc, exec
	s_or_b64 s[10:11], s[10:11], s[16:17]
.LBB72_495:
	s_branch .LBB72_497
.LBB72_496:
	s_cmp_lg_u32 s13, 0
	s_mov_b64 s[6:7], -1
	s_cselect_b64 s[14:15], -1, 0
.LBB72_497:
	s_andn2_b64 vcc, exec, s[14:15]
	s_cbranch_vccz .LBB72_534
; %bb.498:
	s_andn2_b64 vcc, exec, s[6:7]
	s_cbranch_vccnz .LBB72_500
.LBB72_499:
	s_waitcnt vmcnt(0)
	v_cmp_ge_i16_e32 vcc, v2, v3
	s_andn2_b64 s[6:7], s[10:11], exec
	s_and_b64 s[10:11], vcc, exec
	s_or_b64 s[10:11], s[6:7], s[10:11]
.LBB72_500:
	v_cndmask_b32_e64 v4, 0, 1, s[10:11]
.LBB72_501:
	s_or_b64 exec, exec, s[4:5]
	s_and_saveexec_b64 s[4:5], s[0:1]
	s_xor_b64 s[0:1], exec, s[4:5]
	s_cbranch_execz .LBB72_503
; %bb.502:
	v_mov_b32_e32 v0, v7
	global_store_byte v1, v6, s[8:9]
.LBB72_503:
	s_or_b64 exec, exec, s[0:1]
	v_cmp_gt_i32_e32 vcc, s12, v0
	s_and_saveexec_b64 s[0:1], vcc
	s_cbranch_execnz .LBB72_520
; %bb.504:
	s_or_b64 exec, exec, s[0:1]
	v_cmp_gt_i32_e32 vcc, s12, v0
	s_and_saveexec_b64 s[0:1], vcc
	s_cbranch_execnz .LBB72_521
.LBB72_505:
	s_or_b64 exec, exec, s[0:1]
	v_cmp_gt_i32_e32 vcc, s12, v0
	s_and_saveexec_b64 s[0:1], vcc
	s_cbranch_execnz .LBB72_522
.LBB72_506:
	s_or_b64 exec, exec, s[0:1]
	v_cmp_gt_i32_e32 vcc, s12, v0
	s_and_saveexec_b64 s[0:1], vcc
	s_cbranch_execnz .LBB72_523
.LBB72_507:
	s_or_b64 exec, exec, s[0:1]
	v_cmp_gt_i32_e32 vcc, s12, v0
	s_and_saveexec_b64 s[0:1], vcc
	s_cbranch_execnz .LBB72_524
.LBB72_508:
	s_or_b64 exec, exec, s[0:1]
	v_cmp_gt_i32_e32 vcc, s12, v0
	s_and_saveexec_b64 s[0:1], vcc
	s_cbranch_execnz .LBB72_525
.LBB72_509:
	s_or_b64 exec, exec, s[0:1]
	v_cmp_gt_i32_e32 vcc, s12, v0
	s_and_saveexec_b64 s[0:1], vcc
	s_cbranch_execnz .LBB72_526
.LBB72_510:
	s_or_b64 exec, exec, s[0:1]
	v_cmp_gt_i32_e32 vcc, s12, v0
	s_and_saveexec_b64 s[0:1], vcc
	s_cbranch_execnz .LBB72_527
.LBB72_511:
	s_or_b64 exec, exec, s[0:1]
	v_cmp_gt_i32_e32 vcc, s12, v0
	s_and_saveexec_b64 s[0:1], vcc
	s_cbranch_execnz .LBB72_528
.LBB72_512:
	s_or_b64 exec, exec, s[0:1]
	v_cmp_gt_i32_e32 vcc, s12, v0
	s_and_saveexec_b64 s[0:1], vcc
	s_cbranch_execnz .LBB72_529
.LBB72_513:
	s_or_b64 exec, exec, s[0:1]
	v_cmp_gt_i32_e32 vcc, s12, v0
	s_and_saveexec_b64 s[0:1], vcc
	s_cbranch_execnz .LBB72_530
.LBB72_514:
	s_or_b64 exec, exec, s[0:1]
	v_cmp_gt_i32_e32 vcc, s12, v0
	s_and_saveexec_b64 s[0:1], vcc
	s_cbranch_execnz .LBB72_531
.LBB72_515:
	s_or_b64 exec, exec, s[0:1]
	v_cmp_gt_i32_e32 vcc, s12, v0
	s_and_saveexec_b64 s[0:1], vcc
	s_cbranch_execnz .LBB72_532
.LBB72_516:
	s_or_b64 exec, exec, s[0:1]
	v_cmp_gt_i32_e32 vcc, s12, v0
	s_and_saveexec_b64 s[0:1], vcc
	s_cbranch_execnz .LBB72_533
.LBB72_517:
	s_or_b64 exec, exec, s[0:1]
	v_cmp_gt_i32_e32 vcc, s12, v0
	s_and_saveexec_b64 s[0:1], vcc
	s_cbranch_execz .LBB72_519
.LBB72_518:
	v_add_u32_e32 v0, s2, v0
	global_store_byte v0, v4, s[8:9]
.LBB72_519:
	s_endpgm
.LBB72_520:
	v_add_u32_e32 v1, s2, v0
	v_add_u32_e32 v0, 0x100, v0
	s_waitcnt vmcnt(0)
	global_store_byte v1, v10, s[8:9]
	s_or_b64 exec, exec, s[0:1]
	v_cmp_gt_i32_e32 vcc, s12, v0
	s_and_saveexec_b64 s[0:1], vcc
	s_cbranch_execz .LBB72_505
.LBB72_521:
	v_add_u32_e32 v1, s2, v0
	v_add_u32_e32 v0, 0x100, v0
	global_store_byte v1, v14, s[8:9]
	s_or_b64 exec, exec, s[0:1]
	v_cmp_gt_i32_e32 vcc, s12, v0
	s_and_saveexec_b64 s[0:1], vcc
	s_cbranch_execz .LBB72_506
.LBB72_522:
	v_add_u32_e32 v1, s2, v0
	v_add_u32_e32 v0, 0x100, v0
	global_store_byte v1, v16, s[8:9]
	s_or_b64 exec, exec, s[0:1]
	v_cmp_gt_i32_e32 vcc, s12, v0
	s_and_saveexec_b64 s[0:1], vcc
	s_cbranch_execz .LBB72_507
.LBB72_523:
	v_add_u32_e32 v1, s2, v0
	v_add_u32_e32 v0, 0x100, v0
	global_store_byte v1, v21, s[8:9]
	s_or_b64 exec, exec, s[0:1]
	v_cmp_gt_i32_e32 vcc, s12, v0
	s_and_saveexec_b64 s[0:1], vcc
	s_cbranch_execz .LBB72_508
.LBB72_524:
	v_add_u32_e32 v1, s2, v0
	v_add_u32_e32 v0, 0x100, v0
	global_store_byte v1, v24, s[8:9]
	s_or_b64 exec, exec, s[0:1]
	v_cmp_gt_i32_e32 vcc, s12, v0
	s_and_saveexec_b64 s[0:1], vcc
	s_cbranch_execz .LBB72_509
.LBB72_525:
	v_add_u32_e32 v1, s2, v0
	v_add_u32_e32 v0, 0x100, v0
	global_store_byte v1, v27, s[8:9]
	s_or_b64 exec, exec, s[0:1]
	v_cmp_gt_i32_e32 vcc, s12, v0
	s_and_saveexec_b64 s[0:1], vcc
	s_cbranch_execz .LBB72_510
.LBB72_526:
	v_add_u32_e32 v1, s2, v0
	v_add_u32_e32 v0, 0x100, v0
	global_store_byte v1, v28, s[8:9]
	s_or_b64 exec, exec, s[0:1]
	v_cmp_gt_i32_e32 vcc, s12, v0
	s_and_saveexec_b64 s[0:1], vcc
	s_cbranch_execz .LBB72_511
.LBB72_527:
	v_add_u32_e32 v1, s2, v0
	v_add_u32_e32 v0, 0x100, v0
	global_store_byte v1, v25, s[8:9]
	s_or_b64 exec, exec, s[0:1]
	v_cmp_gt_i32_e32 vcc, s12, v0
	s_and_saveexec_b64 s[0:1], vcc
	s_cbranch_execz .LBB72_512
.LBB72_528:
	v_add_u32_e32 v1, s2, v0
	v_add_u32_e32 v0, 0x100, v0
	global_store_byte v1, v22, s[8:9]
	s_or_b64 exec, exec, s[0:1]
	v_cmp_gt_i32_e32 vcc, s12, v0
	s_and_saveexec_b64 s[0:1], vcc
	s_cbranch_execz .LBB72_513
.LBB72_529:
	v_add_u32_e32 v1, s2, v0
	v_add_u32_e32 v0, 0x100, v0
	global_store_byte v1, v19, s[8:9]
	s_or_b64 exec, exec, s[0:1]
	v_cmp_gt_i32_e32 vcc, s12, v0
	s_and_saveexec_b64 s[0:1], vcc
	s_cbranch_execz .LBB72_514
.LBB72_530:
	v_add_u32_e32 v1, s2, v0
	v_add_u32_e32 v0, 0x100, v0
	global_store_byte v1, v17, s[8:9]
	s_or_b64 exec, exec, s[0:1]
	v_cmp_gt_i32_e32 vcc, s12, v0
	s_and_saveexec_b64 s[0:1], vcc
	s_cbranch_execz .LBB72_515
.LBB72_531:
	v_add_u32_e32 v1, s2, v0
	v_add_u32_e32 v0, 0x100, v0
	global_store_byte v1, v13, s[8:9]
	s_or_b64 exec, exec, s[0:1]
	v_cmp_gt_i32_e32 vcc, s12, v0
	s_and_saveexec_b64 s[0:1], vcc
	s_cbranch_execz .LBB72_516
.LBB72_532:
	v_add_u32_e32 v1, s2, v0
	v_add_u32_e32 v0, 0x100, v0
	global_store_byte v1, v11, s[8:9]
	s_or_b64 exec, exec, s[0:1]
	v_cmp_gt_i32_e32 vcc, s12, v0
	s_and_saveexec_b64 s[0:1], vcc
	s_cbranch_execz .LBB72_517
.LBB72_533:
	v_add_u32_e32 v1, s2, v0
	v_add_u32_e32 v0, 0x100, v0
	global_store_byte v1, v8, s[8:9]
	s_or_b64 exec, exec, s[0:1]
	v_cmp_gt_i32_e32 vcc, s12, v0
	s_and_saveexec_b64 s[0:1], vcc
	s_cbranch_execnz .LBB72_518
	s_branch .LBB72_519
.LBB72_534:
	s_waitcnt vmcnt(0)
	v_cmp_lt_i16_e32 vcc, v2, v3
	s_andn2_b64 s[10:11], s[10:11], exec
	s_and_b64 s[14:15], vcc, exec
	s_or_b64 s[10:11], s[10:11], s[14:15]
	s_cbranch_execz .LBB72_499
	s_branch .LBB72_500
.LBB72_535:
	s_mov_b64 s[14:15], -1
                                        ; implicit-def: $sgpr10_sgpr11
	s_branch .LBB72_285
.LBB72_536:
	s_mov_b64 s[14:15], -1
                                        ; implicit-def: $sgpr10_sgpr11
	s_branch .LBB72_300
.LBB72_537:
	s_mov_b64 s[14:15], -1
                                        ; implicit-def: $sgpr10_sgpr11
	s_branch .LBB72_315
.LBB72_538:
	s_mov_b64 s[14:15], -1
                                        ; implicit-def: $sgpr10_sgpr11
	s_branch .LBB72_330
.LBB72_539:
	s_mov_b64 s[14:15], -1
                                        ; implicit-def: $sgpr10_sgpr11
	s_branch .LBB72_345
.LBB72_540:
	s_mov_b64 s[14:15], -1
                                        ; implicit-def: $sgpr10_sgpr11
	s_branch .LBB72_360
.LBB72_541:
	s_mov_b64 s[14:15], -1
                                        ; implicit-def: $sgpr10_sgpr11
	s_branch .LBB72_375
.LBB72_542:
	s_mov_b64 s[14:15], -1
                                        ; implicit-def: $sgpr10_sgpr11
	s_branch .LBB72_390
.LBB72_543:
	s_mov_b64 s[14:15], -1
                                        ; implicit-def: $sgpr10_sgpr11
	s_branch .LBB72_405
.LBB72_544:
	s_mov_b64 s[14:15], -1
                                        ; implicit-def: $sgpr10_sgpr11
	s_branch .LBB72_420
.LBB72_545:
	s_mov_b64 s[14:15], -1
                                        ; implicit-def: $sgpr10_sgpr11
	s_branch .LBB72_435
.LBB72_546:
	s_mov_b64 s[14:15], -1
                                        ; implicit-def: $sgpr10_sgpr11
	s_branch .LBB72_450
.LBB72_547:
	s_mov_b64 s[14:15], -1
                                        ; implicit-def: $sgpr10_sgpr11
	s_branch .LBB72_465
.LBB72_548:
	s_mov_b64 s[14:15], -1
                                        ; implicit-def: $sgpr10_sgpr11
	s_branch .LBB72_480
.LBB72_549:
	s_mov_b64 s[14:15], -1
                                        ; implicit-def: $sgpr10_sgpr11
	s_branch .LBB72_495
	.section	.rodata,"a",@progbits
	.p2align	6, 0x0
	.amdhsa_kernel _ZN2at6native29vectorized_elementwise_kernelILi16ENS0_12_GLOBAL__N_114CompareFunctorIsEESt5arrayIPcLm3EEEEviT0_T1_
		.amdhsa_group_segment_fixed_size 0
		.amdhsa_private_segment_fixed_size 0
		.amdhsa_kernarg_size 32
		.amdhsa_user_sgpr_count 6
		.amdhsa_user_sgpr_private_segment_buffer 1
		.amdhsa_user_sgpr_dispatch_ptr 0
		.amdhsa_user_sgpr_queue_ptr 0
		.amdhsa_user_sgpr_kernarg_segment_ptr 1
		.amdhsa_user_sgpr_dispatch_id 0
		.amdhsa_user_sgpr_flat_scratch_init 0
		.amdhsa_user_sgpr_private_segment_size 0
		.amdhsa_uses_dynamic_stack 0
		.amdhsa_system_sgpr_private_segment_wavefront_offset 0
		.amdhsa_system_sgpr_workgroup_id_x 1
		.amdhsa_system_sgpr_workgroup_id_y 0
		.amdhsa_system_sgpr_workgroup_id_z 0
		.amdhsa_system_sgpr_workgroup_info 0
		.amdhsa_system_vgpr_workitem_id 0
		.amdhsa_next_free_vgpr 39
		.amdhsa_next_free_sgpr 50
		.amdhsa_reserve_vcc 1
		.amdhsa_reserve_flat_scratch 0
		.amdhsa_float_round_mode_32 0
		.amdhsa_float_round_mode_16_64 0
		.amdhsa_float_denorm_mode_32 3
		.amdhsa_float_denorm_mode_16_64 3
		.amdhsa_dx10_clamp 1
		.amdhsa_ieee_mode 1
		.amdhsa_fp16_overflow 0
		.amdhsa_exception_fp_ieee_invalid_op 0
		.amdhsa_exception_fp_denorm_src 0
		.amdhsa_exception_fp_ieee_div_zero 0
		.amdhsa_exception_fp_ieee_overflow 0
		.amdhsa_exception_fp_ieee_underflow 0
		.amdhsa_exception_fp_ieee_inexact 0
		.amdhsa_exception_int_div_zero 0
	.end_amdhsa_kernel
	.section	.text._ZN2at6native29vectorized_elementwise_kernelILi16ENS0_12_GLOBAL__N_114CompareFunctorIsEESt5arrayIPcLm3EEEEviT0_T1_,"axG",@progbits,_ZN2at6native29vectorized_elementwise_kernelILi16ENS0_12_GLOBAL__N_114CompareFunctorIsEESt5arrayIPcLm3EEEEviT0_T1_,comdat
.Lfunc_end72:
	.size	_ZN2at6native29vectorized_elementwise_kernelILi16ENS0_12_GLOBAL__N_114CompareFunctorIsEESt5arrayIPcLm3EEEEviT0_T1_, .Lfunc_end72-_ZN2at6native29vectorized_elementwise_kernelILi16ENS0_12_GLOBAL__N_114CompareFunctorIsEESt5arrayIPcLm3EEEEviT0_T1_
                                        ; -- End function
	.set _ZN2at6native29vectorized_elementwise_kernelILi16ENS0_12_GLOBAL__N_114CompareFunctorIsEESt5arrayIPcLm3EEEEviT0_T1_.num_vgpr, 39
	.set _ZN2at6native29vectorized_elementwise_kernelILi16ENS0_12_GLOBAL__N_114CompareFunctorIsEESt5arrayIPcLm3EEEEviT0_T1_.num_agpr, 0
	.set _ZN2at6native29vectorized_elementwise_kernelILi16ENS0_12_GLOBAL__N_114CompareFunctorIsEESt5arrayIPcLm3EEEEviT0_T1_.numbered_sgpr, 50
	.set _ZN2at6native29vectorized_elementwise_kernelILi16ENS0_12_GLOBAL__N_114CompareFunctorIsEESt5arrayIPcLm3EEEEviT0_T1_.num_named_barrier, 0
	.set _ZN2at6native29vectorized_elementwise_kernelILi16ENS0_12_GLOBAL__N_114CompareFunctorIsEESt5arrayIPcLm3EEEEviT0_T1_.private_seg_size, 0
	.set _ZN2at6native29vectorized_elementwise_kernelILi16ENS0_12_GLOBAL__N_114CompareFunctorIsEESt5arrayIPcLm3EEEEviT0_T1_.uses_vcc, 1
	.set _ZN2at6native29vectorized_elementwise_kernelILi16ENS0_12_GLOBAL__N_114CompareFunctorIsEESt5arrayIPcLm3EEEEviT0_T1_.uses_flat_scratch, 0
	.set _ZN2at6native29vectorized_elementwise_kernelILi16ENS0_12_GLOBAL__N_114CompareFunctorIsEESt5arrayIPcLm3EEEEviT0_T1_.has_dyn_sized_stack, 0
	.set _ZN2at6native29vectorized_elementwise_kernelILi16ENS0_12_GLOBAL__N_114CompareFunctorIsEESt5arrayIPcLm3EEEEviT0_T1_.has_recursion, 0
	.set _ZN2at6native29vectorized_elementwise_kernelILi16ENS0_12_GLOBAL__N_114CompareFunctorIsEESt5arrayIPcLm3EEEEviT0_T1_.has_indirect_call, 0
	.section	.AMDGPU.csdata,"",@progbits
; Kernel info:
; codeLenInByte = 8952
; TotalNumSgprs: 54
; NumVgprs: 39
; ScratchSize: 0
; MemoryBound: 0
; FloatMode: 240
; IeeeMode: 1
; LDSByteSize: 0 bytes/workgroup (compile time only)
; SGPRBlocks: 6
; VGPRBlocks: 9
; NumSGPRsForWavesPerEU: 54
; NumVGPRsForWavesPerEU: 39
; Occupancy: 6
; WaveLimiterHint : 0
; COMPUTE_PGM_RSRC2:SCRATCH_EN: 0
; COMPUTE_PGM_RSRC2:USER_SGPR: 6
; COMPUTE_PGM_RSRC2:TRAP_HANDLER: 0
; COMPUTE_PGM_RSRC2:TGID_X_EN: 1
; COMPUTE_PGM_RSRC2:TGID_Y_EN: 0
; COMPUTE_PGM_RSRC2:TGID_Z_EN: 0
; COMPUTE_PGM_RSRC2:TIDIG_COMP_CNT: 0
	.section	.text._ZN2at6native29vectorized_elementwise_kernelILi8ENS0_12_GLOBAL__N_114CompareFunctorIsEESt5arrayIPcLm3EEEEviT0_T1_,"axG",@progbits,_ZN2at6native29vectorized_elementwise_kernelILi8ENS0_12_GLOBAL__N_114CompareFunctorIsEESt5arrayIPcLm3EEEEviT0_T1_,comdat
	.globl	_ZN2at6native29vectorized_elementwise_kernelILi8ENS0_12_GLOBAL__N_114CompareFunctorIsEESt5arrayIPcLm3EEEEviT0_T1_ ; -- Begin function _ZN2at6native29vectorized_elementwise_kernelILi8ENS0_12_GLOBAL__N_114CompareFunctorIsEESt5arrayIPcLm3EEEEviT0_T1_
	.p2align	8
	.type	_ZN2at6native29vectorized_elementwise_kernelILi8ENS0_12_GLOBAL__N_114CompareFunctorIsEESt5arrayIPcLm3EEEEviT0_T1_,@function
_ZN2at6native29vectorized_elementwise_kernelILi8ENS0_12_GLOBAL__N_114CompareFunctorIsEESt5arrayIPcLm3EEEEviT0_T1_: ; @_ZN2at6native29vectorized_elementwise_kernelILi8ENS0_12_GLOBAL__N_114CompareFunctorIsEESt5arrayIPcLm3EEEEviT0_T1_
; %bb.0:
	s_load_dwordx2 s[12:13], s[4:5], 0x0
	s_load_dwordx4 s[8:11], s[4:5], 0x8
	s_load_dwordx2 s[14:15], s[4:5], 0x18
	s_lshl_b32 s2, s6, 12
	s_mov_b64 s[0:1], -1
	s_waitcnt lgkmcnt(0)
	s_sub_i32 s12, s12, s2
	s_cmpk_gt_i32 s12, 0xfff
	s_cbranch_scc0 .LBB73_211
; %bb.1:
	s_ashr_i32 s3, s2, 31
	s_lshl_b64 s[0:1], s[2:3], 1
	s_add_u32 s4, s10, s0
	s_addc_u32 s5, s11, s1
	v_lshlrev_b32_e32 v5, 4, v0
	v_mov_b32_e32 v1, s5
	v_add_co_u32_e32 v2, vcc, s4, v5
	v_addc_co_u32_e32 v3, vcc, 0, v1, vcc
	v_add_co_u32_e32 v1, vcc, 0x1000, v2
	s_add_u32 s0, s14, s0
	v_addc_co_u32_e32 v2, vcc, 0, v3, vcc
	s_addc_u32 s1, s15, s1
	v_mov_b32_e32 v6, s1
	v_add_co_u32_e32 v7, vcc, s0, v5
	v_addc_co_u32_e32 v6, vcc, 0, v6, vcc
	global_load_dwordx4 v[1:4], v[1:2], off
	s_nop 0
	global_load_dwordx4 v[9:12], v5, s[4:5]
	global_load_dwordx4 v[13:16], v5, s[0:1]
	v_add_co_u32_e32 v5, vcc, 0x1000, v7
	v_addc_co_u32_e32 v6, vcc, 0, v6, vcc
	global_load_dwordx4 v[5:8], v[5:6], off
	s_cmp_lt_i32 s13, 1
	s_mov_b64 s[4:5], 0
	s_cbranch_scc1 .LBB73_5
; %bb.2:
	s_cmp_gt_i32 s13, 1
	s_cbranch_scc0 .LBB73_6
; %bb.3:
	s_cmp_eq_u32 s13, 2
	s_cbranch_scc0 .LBB73_7
; %bb.4:
	s_waitcnt vmcnt(1)
	v_cmp_le_i16_e64 s[0:1], v9, v13
	s_mov_b64 s[6:7], 0
	s_branch .LBB73_8
.LBB73_5:
                                        ; implicit-def: $sgpr0_sgpr1
	s_mov_b64 s[6:7], 0
	s_cbranch_execnz .LBB73_11
	s_branch .LBB73_12
.LBB73_6:
	s_mov_b64 s[6:7], 0
                                        ; implicit-def: $sgpr0_sgpr1
	s_cbranch_execnz .LBB73_9
	s_branch .LBB73_10
.LBB73_7:
	s_mov_b64 s[6:7], -1
                                        ; implicit-def: $sgpr0_sgpr1
.LBB73_8:
	s_branch .LBB73_10
.LBB73_9:
	s_waitcnt vmcnt(1)
	v_cmp_gt_i16_e32 vcc, v9, v13
	s_andn2_b64 s[0:1], s[0:1], exec
	s_and_b64 s[16:17], vcc, exec
	s_or_b64 s[0:1], s[0:1], s[16:17]
.LBB73_10:
	s_branch .LBB73_12
.LBB73_11:
	s_cmp_lg_u32 s13, 0
	s_mov_b64 s[4:5], -1
	s_cselect_b64 s[6:7], -1, 0
.LBB73_12:
	s_andn2_b64 vcc, exec, s[6:7]
	s_cbranch_vccz .LBB73_18
; %bb.13:
	s_andn2_b64 vcc, exec, s[4:5]
	s_cbranch_vccz .LBB73_19
.LBB73_14:
	s_cmp_lt_i32 s13, 1
	s_mov_b64 s[6:7], 0
	s_cbranch_scc1 .LBB73_20
.LBB73_15:
	s_cmp_gt_i32 s13, 1
	s_cbranch_scc0 .LBB73_21
; %bb.16:
	s_cmp_eq_u32 s13, 2
	s_cbranch_scc0 .LBB73_251
; %bb.17:
	s_waitcnt vmcnt(1)
	v_cmp_le_i16_sdwa s[4:5], v9, v13 src0_sel:WORD_1 src1_sel:WORD_1
	s_mov_b64 s[16:17], 0
	s_branch .LBB73_23
.LBB73_18:
	s_waitcnt vmcnt(1)
	v_cmp_lt_i16_e32 vcc, v9, v13
	s_andn2_b64 s[0:1], s[0:1], exec
	s_and_b64 s[6:7], vcc, exec
	s_or_b64 s[0:1], s[0:1], s[6:7]
	s_cbranch_execnz .LBB73_14
.LBB73_19:
	s_waitcnt vmcnt(1)
	v_cmp_ge_i16_e32 vcc, v9, v13
	s_andn2_b64 s[0:1], s[0:1], exec
	s_and_b64 s[4:5], vcc, exec
	s_or_b64 s[0:1], s[0:1], s[4:5]
	s_cmp_lt_i32 s13, 1
	s_mov_b64 s[6:7], 0
	s_cbranch_scc0 .LBB73_15
.LBB73_20:
                                        ; implicit-def: $sgpr4_sgpr5
	s_mov_b64 s[16:17], 0
	s_cbranch_execnz .LBB73_24
	s_branch .LBB73_25
.LBB73_21:
	s_mov_b64 s[16:17], 0
                                        ; implicit-def: $sgpr4_sgpr5
	s_cbranch_execz .LBB73_23
; %bb.22:
	s_waitcnt vmcnt(1)
	v_cmp_gt_i16_sdwa s[18:19], v9, v13 src0_sel:WORD_1 src1_sel:WORD_1
	s_andn2_b64 s[4:5], s[4:5], exec
	s_and_b64 s[18:19], s[18:19], exec
	s_or_b64 s[4:5], s[4:5], s[18:19]
.LBB73_23:
	s_branch .LBB73_25
.LBB73_24:
	s_cmp_lg_u32 s13, 0
	s_mov_b64 s[6:7], -1
	s_cselect_b64 s[16:17], -1, 0
.LBB73_25:
	s_andn2_b64 vcc, exec, s[16:17]
	s_cbranch_vccz .LBB73_31
; %bb.26:
	s_andn2_b64 vcc, exec, s[6:7]
	s_cbranch_vccz .LBB73_32
.LBB73_27:
	s_cmp_lt_i32 s13, 1
	s_mov_b64 s[16:17], 0
	s_cbranch_scc1 .LBB73_33
.LBB73_28:
	s_cmp_gt_i32 s13, 1
	s_cbranch_scc0 .LBB73_34
; %bb.29:
	s_cmp_eq_u32 s13, 2
	s_cbranch_scc0 .LBB73_252
; %bb.30:
	s_waitcnt vmcnt(1)
	v_cmp_le_i16_e64 s[6:7], v10, v14
	s_mov_b64 s[18:19], 0
	s_branch .LBB73_36
.LBB73_31:
	s_waitcnt vmcnt(1)
	v_cmp_lt_i16_sdwa s[16:17], v9, v13 src0_sel:WORD_1 src1_sel:WORD_1
	s_andn2_b64 s[4:5], s[4:5], exec
	s_and_b64 s[16:17], s[16:17], exec
	s_or_b64 s[4:5], s[4:5], s[16:17]
	s_cbranch_execnz .LBB73_27
.LBB73_32:
	s_waitcnt vmcnt(1)
	v_cmp_ge_i16_sdwa s[6:7], v9, v13 src0_sel:WORD_1 src1_sel:WORD_1
	s_andn2_b64 s[4:5], s[4:5], exec
	s_and_b64 s[6:7], s[6:7], exec
	s_or_b64 s[4:5], s[4:5], s[6:7]
	s_cmp_lt_i32 s13, 1
	s_mov_b64 s[16:17], 0
	s_cbranch_scc0 .LBB73_28
.LBB73_33:
                                        ; implicit-def: $sgpr6_sgpr7
	s_mov_b64 s[18:19], 0
	s_cbranch_execnz .LBB73_37
	s_branch .LBB73_38
.LBB73_34:
	s_mov_b64 s[18:19], 0
                                        ; implicit-def: $sgpr6_sgpr7
	s_cbranch_execz .LBB73_36
; %bb.35:
	s_waitcnt vmcnt(1)
	v_cmp_gt_i16_e32 vcc, v10, v14
	s_andn2_b64 s[6:7], s[6:7], exec
	s_and_b64 s[20:21], vcc, exec
	s_or_b64 s[6:7], s[6:7], s[20:21]
.LBB73_36:
	s_branch .LBB73_38
.LBB73_37:
	s_cmp_lg_u32 s13, 0
	s_mov_b64 s[16:17], -1
	s_cselect_b64 s[18:19], -1, 0
.LBB73_38:
	s_andn2_b64 vcc, exec, s[18:19]
	s_cbranch_vccz .LBB73_44
; %bb.39:
	s_andn2_b64 vcc, exec, s[16:17]
	s_cbranch_vccz .LBB73_45
.LBB73_40:
	s_cmp_lt_i32 s13, 1
	s_mov_b64 s[18:19], 0
	s_cbranch_scc1 .LBB73_46
.LBB73_41:
	s_cmp_gt_i32 s13, 1
	s_cbranch_scc0 .LBB73_47
; %bb.42:
	s_cmp_eq_u32 s13, 2
	s_cbranch_scc0 .LBB73_253
; %bb.43:
	s_waitcnt vmcnt(1)
	v_cmp_le_i16_sdwa s[16:17], v10, v14 src0_sel:WORD_1 src1_sel:WORD_1
	s_mov_b64 s[20:21], 0
	s_branch .LBB73_49
.LBB73_44:
	s_waitcnt vmcnt(1)
	v_cmp_lt_i16_e32 vcc, v10, v14
	s_andn2_b64 s[6:7], s[6:7], exec
	s_and_b64 s[18:19], vcc, exec
	s_or_b64 s[6:7], s[6:7], s[18:19]
	s_cbranch_execnz .LBB73_40
.LBB73_45:
	s_waitcnt vmcnt(1)
	v_cmp_ge_i16_e32 vcc, v10, v14
	s_andn2_b64 s[6:7], s[6:7], exec
	s_and_b64 s[16:17], vcc, exec
	s_or_b64 s[6:7], s[6:7], s[16:17]
	s_cmp_lt_i32 s13, 1
	s_mov_b64 s[18:19], 0
	s_cbranch_scc0 .LBB73_41
.LBB73_46:
                                        ; implicit-def: $sgpr16_sgpr17
	s_mov_b64 s[20:21], 0
	s_cbranch_execnz .LBB73_50
	s_branch .LBB73_51
.LBB73_47:
	s_mov_b64 s[20:21], 0
                                        ; implicit-def: $sgpr16_sgpr17
	s_cbranch_execz .LBB73_49
; %bb.48:
	s_waitcnt vmcnt(1)
	v_cmp_gt_i16_sdwa s[22:23], v10, v14 src0_sel:WORD_1 src1_sel:WORD_1
	s_andn2_b64 s[16:17], s[16:17], exec
	s_and_b64 s[22:23], s[22:23], exec
	s_or_b64 s[16:17], s[16:17], s[22:23]
.LBB73_49:
	s_branch .LBB73_51
.LBB73_50:
	s_cmp_lg_u32 s13, 0
	s_mov_b64 s[18:19], -1
	s_cselect_b64 s[20:21], -1, 0
.LBB73_51:
	s_andn2_b64 vcc, exec, s[20:21]
	s_cbranch_vccz .LBB73_57
; %bb.52:
	s_andn2_b64 vcc, exec, s[18:19]
	s_cbranch_vccz .LBB73_58
.LBB73_53:
	s_cmp_lt_i32 s13, 1
	s_mov_b64 s[20:21], 0
	s_cbranch_scc1 .LBB73_59
.LBB73_54:
	s_cmp_gt_i32 s13, 1
	s_cbranch_scc0 .LBB73_60
; %bb.55:
	s_cmp_eq_u32 s13, 2
	s_cbranch_scc0 .LBB73_254
; %bb.56:
	s_waitcnt vmcnt(1)
	v_cmp_le_i16_e64 s[18:19], v11, v15
	s_mov_b64 s[22:23], 0
	s_branch .LBB73_62
.LBB73_57:
	s_waitcnt vmcnt(1)
	v_cmp_lt_i16_sdwa s[20:21], v10, v14 src0_sel:WORD_1 src1_sel:WORD_1
	s_andn2_b64 s[16:17], s[16:17], exec
	s_and_b64 s[20:21], s[20:21], exec
	s_or_b64 s[16:17], s[16:17], s[20:21]
	s_cbranch_execnz .LBB73_53
.LBB73_58:
	s_waitcnt vmcnt(1)
	v_cmp_ge_i16_sdwa s[18:19], v10, v14 src0_sel:WORD_1 src1_sel:WORD_1
	s_andn2_b64 s[16:17], s[16:17], exec
	s_and_b64 s[18:19], s[18:19], exec
	s_or_b64 s[16:17], s[16:17], s[18:19]
	s_cmp_lt_i32 s13, 1
	s_mov_b64 s[20:21], 0
	s_cbranch_scc0 .LBB73_54
.LBB73_59:
                                        ; implicit-def: $sgpr18_sgpr19
	s_mov_b64 s[22:23], 0
	s_cbranch_execnz .LBB73_63
	s_branch .LBB73_64
.LBB73_60:
	s_mov_b64 s[22:23], 0
                                        ; implicit-def: $sgpr18_sgpr19
	s_cbranch_execz .LBB73_62
; %bb.61:
	s_waitcnt vmcnt(1)
	v_cmp_gt_i16_e32 vcc, v11, v15
	s_andn2_b64 s[18:19], s[18:19], exec
	s_and_b64 s[24:25], vcc, exec
	s_or_b64 s[18:19], s[18:19], s[24:25]
.LBB73_62:
	s_branch .LBB73_64
.LBB73_63:
	s_cmp_lg_u32 s13, 0
	s_mov_b64 s[20:21], -1
	s_cselect_b64 s[22:23], -1, 0
.LBB73_64:
	s_andn2_b64 vcc, exec, s[22:23]
	s_cbranch_vccz .LBB73_70
; %bb.65:
	s_andn2_b64 vcc, exec, s[20:21]
	s_cbranch_vccz .LBB73_71
.LBB73_66:
	s_cmp_lt_i32 s13, 1
	s_mov_b64 s[22:23], 0
	s_cbranch_scc1 .LBB73_72
.LBB73_67:
	s_cmp_gt_i32 s13, 1
	s_cbranch_scc0 .LBB73_73
; %bb.68:
	s_cmp_eq_u32 s13, 2
	s_cbranch_scc0 .LBB73_255
; %bb.69:
	s_waitcnt vmcnt(1)
	v_cmp_le_i16_sdwa s[20:21], v11, v15 src0_sel:WORD_1 src1_sel:WORD_1
	s_mov_b64 s[24:25], 0
	s_branch .LBB73_75
.LBB73_70:
	s_waitcnt vmcnt(1)
	v_cmp_lt_i16_e32 vcc, v11, v15
	s_andn2_b64 s[18:19], s[18:19], exec
	s_and_b64 s[22:23], vcc, exec
	s_or_b64 s[18:19], s[18:19], s[22:23]
	s_cbranch_execnz .LBB73_66
.LBB73_71:
	s_waitcnt vmcnt(1)
	v_cmp_ge_i16_e32 vcc, v11, v15
	s_andn2_b64 s[18:19], s[18:19], exec
	s_and_b64 s[20:21], vcc, exec
	s_or_b64 s[18:19], s[18:19], s[20:21]
	s_cmp_lt_i32 s13, 1
	s_mov_b64 s[22:23], 0
	s_cbranch_scc0 .LBB73_67
.LBB73_72:
                                        ; implicit-def: $sgpr20_sgpr21
	s_mov_b64 s[24:25], 0
	s_cbranch_execnz .LBB73_76
	s_branch .LBB73_77
.LBB73_73:
	s_mov_b64 s[24:25], 0
                                        ; implicit-def: $sgpr20_sgpr21
	s_cbranch_execz .LBB73_75
; %bb.74:
	s_waitcnt vmcnt(1)
	v_cmp_gt_i16_sdwa s[26:27], v11, v15 src0_sel:WORD_1 src1_sel:WORD_1
	s_andn2_b64 s[20:21], s[20:21], exec
	s_and_b64 s[26:27], s[26:27], exec
	s_or_b64 s[20:21], s[20:21], s[26:27]
.LBB73_75:
	s_branch .LBB73_77
.LBB73_76:
	s_cmp_lg_u32 s13, 0
	s_mov_b64 s[22:23], -1
	s_cselect_b64 s[24:25], -1, 0
.LBB73_77:
	s_andn2_b64 vcc, exec, s[24:25]
	s_cbranch_vccz .LBB73_83
; %bb.78:
	s_andn2_b64 vcc, exec, s[22:23]
	s_cbranch_vccz .LBB73_84
.LBB73_79:
	s_cmp_lt_i32 s13, 1
	s_mov_b64 s[24:25], 0
	s_cbranch_scc1 .LBB73_85
.LBB73_80:
	s_cmp_gt_i32 s13, 1
	s_cbranch_scc0 .LBB73_86
; %bb.81:
	s_cmp_eq_u32 s13, 2
	s_cbranch_scc0 .LBB73_256
; %bb.82:
	s_waitcnt vmcnt(1)
	v_cmp_le_i16_e64 s[22:23], v12, v16
	s_mov_b64 s[26:27], 0
	s_branch .LBB73_88
.LBB73_83:
	s_waitcnt vmcnt(1)
	v_cmp_lt_i16_sdwa s[24:25], v11, v15 src0_sel:WORD_1 src1_sel:WORD_1
	s_andn2_b64 s[20:21], s[20:21], exec
	s_and_b64 s[24:25], s[24:25], exec
	s_or_b64 s[20:21], s[20:21], s[24:25]
	s_cbranch_execnz .LBB73_79
.LBB73_84:
	s_waitcnt vmcnt(1)
	v_cmp_ge_i16_sdwa s[22:23], v11, v15 src0_sel:WORD_1 src1_sel:WORD_1
	s_andn2_b64 s[20:21], s[20:21], exec
	s_and_b64 s[22:23], s[22:23], exec
	s_or_b64 s[20:21], s[20:21], s[22:23]
	s_cmp_lt_i32 s13, 1
	s_mov_b64 s[24:25], 0
	s_cbranch_scc0 .LBB73_80
.LBB73_85:
                                        ; implicit-def: $sgpr22_sgpr23
	s_mov_b64 s[26:27], 0
	s_cbranch_execnz .LBB73_89
	s_branch .LBB73_90
.LBB73_86:
	s_mov_b64 s[26:27], 0
                                        ; implicit-def: $sgpr22_sgpr23
	s_cbranch_execz .LBB73_88
; %bb.87:
	s_waitcnt vmcnt(1)
	v_cmp_gt_i16_e32 vcc, v12, v16
	s_andn2_b64 s[22:23], s[22:23], exec
	s_and_b64 s[28:29], vcc, exec
	s_or_b64 s[22:23], s[22:23], s[28:29]
.LBB73_88:
	s_branch .LBB73_90
.LBB73_89:
	s_cmp_lg_u32 s13, 0
	s_mov_b64 s[24:25], -1
	s_cselect_b64 s[26:27], -1, 0
.LBB73_90:
	s_andn2_b64 vcc, exec, s[26:27]
	s_cbranch_vccz .LBB73_96
; %bb.91:
	s_andn2_b64 vcc, exec, s[24:25]
	s_cbranch_vccz .LBB73_97
.LBB73_92:
	s_cmp_lt_i32 s13, 1
	s_mov_b64 s[26:27], 0
	s_cbranch_scc1 .LBB73_98
.LBB73_93:
	s_cmp_gt_i32 s13, 1
	s_cbranch_scc0 .LBB73_99
; %bb.94:
	s_cmp_eq_u32 s13, 2
	s_cbranch_scc0 .LBB73_257
; %bb.95:
	s_waitcnt vmcnt(1)
	v_cmp_le_i16_sdwa s[24:25], v12, v16 src0_sel:WORD_1 src1_sel:WORD_1
	s_mov_b64 s[28:29], 0
	s_branch .LBB73_101
.LBB73_96:
	s_waitcnt vmcnt(1)
	v_cmp_lt_i16_e32 vcc, v12, v16
	s_andn2_b64 s[22:23], s[22:23], exec
	s_and_b64 s[26:27], vcc, exec
	s_or_b64 s[22:23], s[22:23], s[26:27]
	s_cbranch_execnz .LBB73_92
.LBB73_97:
	s_waitcnt vmcnt(1)
	v_cmp_ge_i16_e32 vcc, v12, v16
	s_andn2_b64 s[22:23], s[22:23], exec
	s_and_b64 s[24:25], vcc, exec
	s_or_b64 s[22:23], s[22:23], s[24:25]
	s_cmp_lt_i32 s13, 1
	s_mov_b64 s[26:27], 0
	s_cbranch_scc0 .LBB73_93
.LBB73_98:
                                        ; implicit-def: $sgpr24_sgpr25
	s_mov_b64 s[28:29], 0
	s_cbranch_execnz .LBB73_102
	s_branch .LBB73_103
.LBB73_99:
	s_mov_b64 s[28:29], 0
                                        ; implicit-def: $sgpr24_sgpr25
	s_cbranch_execz .LBB73_101
; %bb.100:
	s_waitcnt vmcnt(1)
	v_cmp_gt_i16_sdwa s[30:31], v12, v16 src0_sel:WORD_1 src1_sel:WORD_1
	s_andn2_b64 s[24:25], s[24:25], exec
	s_and_b64 s[30:31], s[30:31], exec
	s_or_b64 s[24:25], s[24:25], s[30:31]
.LBB73_101:
	s_branch .LBB73_103
.LBB73_102:
	s_cmp_lg_u32 s13, 0
	s_mov_b64 s[26:27], -1
	s_cselect_b64 s[28:29], -1, 0
.LBB73_103:
	s_andn2_b64 vcc, exec, s[28:29]
	s_cbranch_vccz .LBB73_109
; %bb.104:
	s_andn2_b64 vcc, exec, s[26:27]
	s_cbranch_vccz .LBB73_110
.LBB73_105:
	s_cmp_lt_i32 s13, 1
	s_mov_b64 s[28:29], 0
	s_cbranch_scc1 .LBB73_111
.LBB73_106:
	s_cmp_gt_i32 s13, 1
	s_cbranch_scc0 .LBB73_112
; %bb.107:
	s_cmp_eq_u32 s13, 2
	s_cbranch_scc0 .LBB73_258
; %bb.108:
	s_waitcnt vmcnt(0)
	v_cmp_le_i16_e64 s[26:27], v1, v5
	s_mov_b64 s[30:31], 0
	s_branch .LBB73_114
.LBB73_109:
	s_waitcnt vmcnt(1)
	v_cmp_lt_i16_sdwa s[28:29], v12, v16 src0_sel:WORD_1 src1_sel:WORD_1
	s_andn2_b64 s[24:25], s[24:25], exec
	s_and_b64 s[28:29], s[28:29], exec
	s_or_b64 s[24:25], s[24:25], s[28:29]
	s_cbranch_execnz .LBB73_105
.LBB73_110:
	s_waitcnt vmcnt(1)
	v_cmp_ge_i16_sdwa s[26:27], v12, v16 src0_sel:WORD_1 src1_sel:WORD_1
	s_andn2_b64 s[24:25], s[24:25], exec
	s_and_b64 s[26:27], s[26:27], exec
	s_or_b64 s[24:25], s[24:25], s[26:27]
	s_cmp_lt_i32 s13, 1
	s_mov_b64 s[28:29], 0
	s_cbranch_scc0 .LBB73_106
.LBB73_111:
                                        ; implicit-def: $sgpr26_sgpr27
	s_mov_b64 s[30:31], 0
	s_cbranch_execnz .LBB73_115
	s_branch .LBB73_116
.LBB73_112:
	s_mov_b64 s[30:31], 0
                                        ; implicit-def: $sgpr26_sgpr27
	s_cbranch_execz .LBB73_114
; %bb.113:
	s_waitcnt vmcnt(0)
	v_cmp_gt_i16_e32 vcc, v1, v5
	s_andn2_b64 s[26:27], s[26:27], exec
	s_and_b64 s[34:35], vcc, exec
	s_or_b64 s[26:27], s[26:27], s[34:35]
.LBB73_114:
	s_branch .LBB73_116
.LBB73_115:
	s_cmp_lg_u32 s13, 0
	s_mov_b64 s[28:29], -1
	s_cselect_b64 s[30:31], -1, 0
.LBB73_116:
	s_andn2_b64 vcc, exec, s[30:31]
	s_cbranch_vccz .LBB73_122
; %bb.117:
	s_andn2_b64 vcc, exec, s[28:29]
	s_cbranch_vccz .LBB73_123
.LBB73_118:
	s_cmp_lt_i32 s13, 1
	s_mov_b64 s[30:31], 0
	s_cbranch_scc1 .LBB73_124
.LBB73_119:
	s_cmp_gt_i32 s13, 1
	s_cbranch_scc0 .LBB73_125
; %bb.120:
	s_cmp_eq_u32 s13, 2
	s_cbranch_scc0 .LBB73_259
; %bb.121:
	s_waitcnt vmcnt(0)
	v_cmp_le_i16_sdwa s[28:29], v1, v5 src0_sel:WORD_1 src1_sel:WORD_1
	s_mov_b64 s[34:35], 0
	s_branch .LBB73_127
.LBB73_122:
	s_waitcnt vmcnt(0)
	v_cmp_lt_i16_e32 vcc, v1, v5
	s_andn2_b64 s[26:27], s[26:27], exec
	s_and_b64 s[30:31], vcc, exec
	s_or_b64 s[26:27], s[26:27], s[30:31]
	s_cbranch_execnz .LBB73_118
.LBB73_123:
	s_waitcnt vmcnt(0)
	v_cmp_ge_i16_e32 vcc, v1, v5
	s_andn2_b64 s[26:27], s[26:27], exec
	s_and_b64 s[28:29], vcc, exec
	s_or_b64 s[26:27], s[26:27], s[28:29]
	s_cmp_lt_i32 s13, 1
	s_mov_b64 s[30:31], 0
	s_cbranch_scc0 .LBB73_119
.LBB73_124:
                                        ; implicit-def: $sgpr28_sgpr29
	s_mov_b64 s[34:35], 0
	s_cbranch_execnz .LBB73_128
	s_branch .LBB73_129
.LBB73_125:
	s_mov_b64 s[34:35], 0
                                        ; implicit-def: $sgpr28_sgpr29
	s_cbranch_execz .LBB73_127
; %bb.126:
	s_waitcnt vmcnt(0)
	v_cmp_gt_i16_sdwa s[36:37], v1, v5 src0_sel:WORD_1 src1_sel:WORD_1
	s_andn2_b64 s[28:29], s[28:29], exec
	s_and_b64 s[36:37], s[36:37], exec
	s_or_b64 s[28:29], s[28:29], s[36:37]
.LBB73_127:
	s_branch .LBB73_129
.LBB73_128:
	s_cmp_lg_u32 s13, 0
	s_mov_b64 s[30:31], -1
	s_cselect_b64 s[34:35], -1, 0
.LBB73_129:
	s_andn2_b64 vcc, exec, s[34:35]
	s_cbranch_vccz .LBB73_135
; %bb.130:
	s_andn2_b64 vcc, exec, s[30:31]
	s_cbranch_vccz .LBB73_136
.LBB73_131:
	s_cmp_lt_i32 s13, 1
	s_mov_b64 s[34:35], 0
	s_cbranch_scc1 .LBB73_137
.LBB73_132:
	s_cmp_gt_i32 s13, 1
	s_cbranch_scc0 .LBB73_138
; %bb.133:
	s_cmp_eq_u32 s13, 2
	s_cbranch_scc0 .LBB73_260
; %bb.134:
	s_waitcnt vmcnt(0)
	v_cmp_le_i16_e64 s[30:31], v2, v6
	s_mov_b64 s[36:37], 0
	s_branch .LBB73_140
.LBB73_135:
	s_waitcnt vmcnt(0)
	v_cmp_lt_i16_sdwa s[34:35], v1, v5 src0_sel:WORD_1 src1_sel:WORD_1
	s_andn2_b64 s[28:29], s[28:29], exec
	s_and_b64 s[34:35], s[34:35], exec
	s_or_b64 s[28:29], s[28:29], s[34:35]
	s_cbranch_execnz .LBB73_131
.LBB73_136:
	s_waitcnt vmcnt(0)
	v_cmp_ge_i16_sdwa s[30:31], v1, v5 src0_sel:WORD_1 src1_sel:WORD_1
	s_andn2_b64 s[28:29], s[28:29], exec
	s_and_b64 s[30:31], s[30:31], exec
	s_or_b64 s[28:29], s[28:29], s[30:31]
	s_cmp_lt_i32 s13, 1
	s_mov_b64 s[34:35], 0
	s_cbranch_scc0 .LBB73_132
.LBB73_137:
                                        ; implicit-def: $sgpr30_sgpr31
	s_mov_b64 s[36:37], 0
	s_cbranch_execnz .LBB73_141
	s_branch .LBB73_142
.LBB73_138:
	s_mov_b64 s[36:37], 0
                                        ; implicit-def: $sgpr30_sgpr31
	s_cbranch_execz .LBB73_140
; %bb.139:
	s_waitcnt vmcnt(0)
	v_cmp_gt_i16_e32 vcc, v2, v6
	s_andn2_b64 s[30:31], s[30:31], exec
	s_and_b64 s[38:39], vcc, exec
	s_or_b64 s[30:31], s[30:31], s[38:39]
.LBB73_140:
	s_branch .LBB73_142
.LBB73_141:
	s_cmp_lg_u32 s13, 0
	s_mov_b64 s[34:35], -1
	s_cselect_b64 s[36:37], -1, 0
.LBB73_142:
	s_andn2_b64 vcc, exec, s[36:37]
	s_cbranch_vccz .LBB73_148
; %bb.143:
	s_andn2_b64 vcc, exec, s[34:35]
	s_cbranch_vccz .LBB73_149
.LBB73_144:
	s_cmp_lt_i32 s13, 1
	s_mov_b64 s[36:37], 0
	s_cbranch_scc1 .LBB73_150
.LBB73_145:
	s_cmp_gt_i32 s13, 1
	s_cbranch_scc0 .LBB73_151
; %bb.146:
	s_cmp_eq_u32 s13, 2
	s_cbranch_scc0 .LBB73_261
; %bb.147:
	s_waitcnt vmcnt(0)
	v_cmp_le_i16_sdwa s[34:35], v2, v6 src0_sel:WORD_1 src1_sel:WORD_1
	s_mov_b64 s[38:39], 0
	s_branch .LBB73_153
.LBB73_148:
	s_waitcnt vmcnt(0)
	v_cmp_lt_i16_e32 vcc, v2, v6
	s_andn2_b64 s[30:31], s[30:31], exec
	s_and_b64 s[36:37], vcc, exec
	s_or_b64 s[30:31], s[30:31], s[36:37]
	s_cbranch_execnz .LBB73_144
.LBB73_149:
	s_waitcnt vmcnt(0)
	v_cmp_ge_i16_e32 vcc, v2, v6
	s_andn2_b64 s[30:31], s[30:31], exec
	s_and_b64 s[34:35], vcc, exec
	s_or_b64 s[30:31], s[30:31], s[34:35]
	s_cmp_lt_i32 s13, 1
	s_mov_b64 s[36:37], 0
	s_cbranch_scc0 .LBB73_145
.LBB73_150:
                                        ; implicit-def: $sgpr34_sgpr35
	s_mov_b64 s[38:39], 0
	s_cbranch_execnz .LBB73_154
	s_branch .LBB73_155
.LBB73_151:
	s_mov_b64 s[38:39], 0
                                        ; implicit-def: $sgpr34_sgpr35
	s_cbranch_execz .LBB73_153
; %bb.152:
	s_waitcnt vmcnt(0)
	v_cmp_gt_i16_sdwa s[40:41], v2, v6 src0_sel:WORD_1 src1_sel:WORD_1
	s_andn2_b64 s[34:35], s[34:35], exec
	s_and_b64 s[40:41], s[40:41], exec
	s_or_b64 s[34:35], s[34:35], s[40:41]
.LBB73_153:
	s_branch .LBB73_155
.LBB73_154:
	s_cmp_lg_u32 s13, 0
	s_mov_b64 s[36:37], -1
	s_cselect_b64 s[38:39], -1, 0
.LBB73_155:
	s_andn2_b64 vcc, exec, s[38:39]
	s_cbranch_vccz .LBB73_161
; %bb.156:
	s_andn2_b64 vcc, exec, s[36:37]
	s_cbranch_vccz .LBB73_162
.LBB73_157:
	s_cmp_lt_i32 s13, 1
	s_mov_b64 s[38:39], 0
	s_cbranch_scc1 .LBB73_163
.LBB73_158:
	s_cmp_gt_i32 s13, 1
	s_cbranch_scc0 .LBB73_164
; %bb.159:
	s_cmp_eq_u32 s13, 2
	s_cbranch_scc0 .LBB73_262
; %bb.160:
	s_waitcnt vmcnt(0)
	v_cmp_le_i16_e64 s[36:37], v3, v7
	s_mov_b64 s[40:41], 0
	s_branch .LBB73_166
.LBB73_161:
	s_waitcnt vmcnt(0)
	v_cmp_lt_i16_sdwa s[38:39], v2, v6 src0_sel:WORD_1 src1_sel:WORD_1
	s_andn2_b64 s[34:35], s[34:35], exec
	s_and_b64 s[38:39], s[38:39], exec
	s_or_b64 s[34:35], s[34:35], s[38:39]
	s_cbranch_execnz .LBB73_157
.LBB73_162:
	s_waitcnt vmcnt(0)
	v_cmp_ge_i16_sdwa s[36:37], v2, v6 src0_sel:WORD_1 src1_sel:WORD_1
	s_andn2_b64 s[34:35], s[34:35], exec
	s_and_b64 s[36:37], s[36:37], exec
	s_or_b64 s[34:35], s[34:35], s[36:37]
	s_cmp_lt_i32 s13, 1
	s_mov_b64 s[38:39], 0
	s_cbranch_scc0 .LBB73_158
.LBB73_163:
                                        ; implicit-def: $sgpr36_sgpr37
	s_mov_b64 s[40:41], 0
	s_cbranch_execnz .LBB73_167
	s_branch .LBB73_168
.LBB73_164:
	s_mov_b64 s[40:41], 0
                                        ; implicit-def: $sgpr36_sgpr37
	s_cbranch_execz .LBB73_166
; %bb.165:
	s_waitcnt vmcnt(0)
	v_cmp_gt_i16_e32 vcc, v3, v7
	s_andn2_b64 s[36:37], s[36:37], exec
	s_and_b64 s[42:43], vcc, exec
	s_or_b64 s[36:37], s[36:37], s[42:43]
.LBB73_166:
	s_branch .LBB73_168
.LBB73_167:
	s_cmp_lg_u32 s13, 0
	s_mov_b64 s[38:39], -1
	s_cselect_b64 s[40:41], -1, 0
.LBB73_168:
	s_andn2_b64 vcc, exec, s[40:41]
	s_cbranch_vccz .LBB73_174
; %bb.169:
	s_andn2_b64 vcc, exec, s[38:39]
	s_cbranch_vccz .LBB73_175
.LBB73_170:
	s_cmp_lt_i32 s13, 1
	s_mov_b64 s[40:41], 0
	s_cbranch_scc1 .LBB73_176
.LBB73_171:
	s_cmp_gt_i32 s13, 1
	s_cbranch_scc0 .LBB73_177
; %bb.172:
	s_cmp_eq_u32 s13, 2
	s_cbranch_scc0 .LBB73_263
; %bb.173:
	s_waitcnt vmcnt(0)
	v_cmp_le_i16_sdwa s[38:39], v3, v7 src0_sel:WORD_1 src1_sel:WORD_1
	s_mov_b64 s[42:43], 0
	s_branch .LBB73_179
.LBB73_174:
	s_waitcnt vmcnt(0)
	v_cmp_lt_i16_e32 vcc, v3, v7
	s_andn2_b64 s[36:37], s[36:37], exec
	s_and_b64 s[40:41], vcc, exec
	s_or_b64 s[36:37], s[36:37], s[40:41]
	s_cbranch_execnz .LBB73_170
.LBB73_175:
	s_waitcnt vmcnt(0)
	v_cmp_ge_i16_e32 vcc, v3, v7
	s_andn2_b64 s[36:37], s[36:37], exec
	s_and_b64 s[38:39], vcc, exec
	s_or_b64 s[36:37], s[36:37], s[38:39]
	s_cmp_lt_i32 s13, 1
	s_mov_b64 s[40:41], 0
	s_cbranch_scc0 .LBB73_171
.LBB73_176:
                                        ; implicit-def: $sgpr38_sgpr39
	s_mov_b64 s[42:43], 0
	s_cbranch_execnz .LBB73_180
	s_branch .LBB73_181
.LBB73_177:
	s_mov_b64 s[42:43], 0
                                        ; implicit-def: $sgpr38_sgpr39
	s_cbranch_execz .LBB73_179
; %bb.178:
	s_waitcnt vmcnt(0)
	v_cmp_gt_i16_sdwa s[44:45], v3, v7 src0_sel:WORD_1 src1_sel:WORD_1
	s_andn2_b64 s[38:39], s[38:39], exec
	s_and_b64 s[44:45], s[44:45], exec
	s_or_b64 s[38:39], s[38:39], s[44:45]
.LBB73_179:
	s_branch .LBB73_181
.LBB73_180:
	s_cmp_lg_u32 s13, 0
	s_mov_b64 s[40:41], -1
	s_cselect_b64 s[42:43], -1, 0
.LBB73_181:
	s_andn2_b64 vcc, exec, s[42:43]
	s_cbranch_vccz .LBB73_187
; %bb.182:
	s_andn2_b64 vcc, exec, s[40:41]
	s_cbranch_vccz .LBB73_188
.LBB73_183:
	s_cmp_lt_i32 s13, 1
	s_mov_b64 s[42:43], 0
	s_cbranch_scc1 .LBB73_189
.LBB73_184:
	s_cmp_gt_i32 s13, 1
	s_cbranch_scc0 .LBB73_190
; %bb.185:
	s_cmp_eq_u32 s13, 2
	s_cbranch_scc0 .LBB73_264
; %bb.186:
	s_waitcnt vmcnt(0)
	v_cmp_le_i16_e64 s[40:41], v4, v8
	s_mov_b64 s[44:45], 0
	s_branch .LBB73_192
.LBB73_187:
	s_waitcnt vmcnt(0)
	v_cmp_lt_i16_sdwa s[42:43], v3, v7 src0_sel:WORD_1 src1_sel:WORD_1
	s_andn2_b64 s[38:39], s[38:39], exec
	s_and_b64 s[42:43], s[42:43], exec
	s_or_b64 s[38:39], s[38:39], s[42:43]
	s_cbranch_execnz .LBB73_183
.LBB73_188:
	s_waitcnt vmcnt(0)
	v_cmp_ge_i16_sdwa s[40:41], v3, v7 src0_sel:WORD_1 src1_sel:WORD_1
	s_andn2_b64 s[38:39], s[38:39], exec
	s_and_b64 s[40:41], s[40:41], exec
	s_or_b64 s[38:39], s[38:39], s[40:41]
	s_cmp_lt_i32 s13, 1
	s_mov_b64 s[42:43], 0
	s_cbranch_scc0 .LBB73_184
.LBB73_189:
                                        ; implicit-def: $sgpr40_sgpr41
	s_mov_b64 s[44:45], 0
	s_cbranch_execnz .LBB73_193
	s_branch .LBB73_194
.LBB73_190:
	s_mov_b64 s[44:45], 0
                                        ; implicit-def: $sgpr40_sgpr41
	s_cbranch_execz .LBB73_192
; %bb.191:
	s_waitcnt vmcnt(0)
	v_cmp_gt_i16_e32 vcc, v4, v8
	s_andn2_b64 s[40:41], s[40:41], exec
	s_and_b64 s[46:47], vcc, exec
	s_or_b64 s[40:41], s[40:41], s[46:47]
.LBB73_192:
	s_branch .LBB73_194
.LBB73_193:
	s_cmp_lg_u32 s13, 0
	s_mov_b64 s[42:43], -1
	s_cselect_b64 s[44:45], -1, 0
.LBB73_194:
	s_andn2_b64 vcc, exec, s[44:45]
	s_cbranch_vccz .LBB73_200
; %bb.195:
	s_andn2_b64 vcc, exec, s[42:43]
	s_cbranch_vccz .LBB73_201
.LBB73_196:
	s_cmp_lt_i32 s13, 1
	s_mov_b64 s[44:45], 0
	s_cbranch_scc1 .LBB73_202
.LBB73_197:
	s_cmp_gt_i32 s13, 1
	s_cbranch_scc0 .LBB73_203
; %bb.198:
	s_cmp_eq_u32 s13, 2
	s_cbranch_scc0 .LBB73_265
; %bb.199:
	s_waitcnt vmcnt(0)
	v_cmp_le_i16_sdwa s[42:43], v4, v8 src0_sel:WORD_1 src1_sel:WORD_1
	s_mov_b64 s[46:47], 0
	s_branch .LBB73_205
.LBB73_200:
	s_waitcnt vmcnt(0)
	v_cmp_lt_i16_e32 vcc, v4, v8
	s_andn2_b64 s[40:41], s[40:41], exec
	s_and_b64 s[44:45], vcc, exec
	s_or_b64 s[40:41], s[40:41], s[44:45]
	s_cbranch_execnz .LBB73_196
.LBB73_201:
	s_waitcnt vmcnt(0)
	v_cmp_ge_i16_e32 vcc, v4, v8
	s_andn2_b64 s[40:41], s[40:41], exec
	s_and_b64 s[42:43], vcc, exec
	s_or_b64 s[40:41], s[40:41], s[42:43]
	s_cmp_lt_i32 s13, 1
	s_mov_b64 s[44:45], 0
	s_cbranch_scc0 .LBB73_197
.LBB73_202:
                                        ; implicit-def: $sgpr42_sgpr43
	s_mov_b64 s[46:47], 0
	s_cbranch_execnz .LBB73_206
	s_branch .LBB73_207
.LBB73_203:
	s_mov_b64 s[46:47], 0
                                        ; implicit-def: $sgpr42_sgpr43
	s_cbranch_execz .LBB73_205
; %bb.204:
	s_waitcnt vmcnt(0)
	v_cmp_gt_i16_sdwa s[48:49], v4, v8 src0_sel:WORD_1 src1_sel:WORD_1
	s_andn2_b64 s[42:43], s[42:43], exec
	s_and_b64 s[48:49], s[48:49], exec
	s_or_b64 s[42:43], s[42:43], s[48:49]
.LBB73_205:
	s_branch .LBB73_207
.LBB73_206:
	s_cmp_lg_u32 s13, 0
	s_mov_b64 s[44:45], -1
	s_cselect_b64 s[46:47], -1, 0
.LBB73_207:
	s_andn2_b64 vcc, exec, s[46:47]
	s_cbranch_vccz .LBB73_249
; %bb.208:
	s_andn2_b64 vcc, exec, s[44:45]
	s_cbranch_vccnz .LBB73_210
.LBB73_209:
	s_waitcnt vmcnt(0)
	v_cmp_ge_i16_sdwa s[44:45], v4, v8 src0_sel:WORD_1 src1_sel:WORD_1
	s_andn2_b64 s[42:43], s[42:43], exec
	s_and_b64 s[44:45], s[44:45], exec
	s_or_b64 s[42:43], s[42:43], s[44:45]
.LBB73_210:
	s_waitcnt vmcnt(3)
	v_mov_b32_e32 v1, 0x100
	v_cndmask_b32_e64 v2, 0, v1, s[28:29]
	v_cndmask_b32_e64 v3, 0, 1, s[26:27]
	v_or_b32_e32 v2, v2, v3
	v_mov_b32_e32 v3, 0x10000
	s_waitcnt vmcnt(0)
	v_mov_b32_e32 v5, 0x1000000
	v_cndmask_b32_e64 v4, 0, v3, s[30:31]
	v_cndmask_b32_e64 v6, 0, v5, s[34:35]
	v_or3_b32 v7, 0, 0, 0
	v_or3_b32 v2, v2, v4, v6
	v_cndmask_b32_e64 v4, 0, 1, s[36:37]
	v_cndmask_b32_e64 v6, 0, v1, s[38:39]
	v_or3_b32 v4, v7, v4, v6
	v_or3_b32 v6, v2, 0, 0
	v_cndmask_b32_e64 v2, 0, v1, s[4:5]
	v_cndmask_b32_e64 v9, 0, 1, s[0:1]
	v_or_b32_e32 v2, v2, v9
	v_cndmask_b32_e64 v9, 0, v3, s[6:7]
	v_cndmask_b32_e64 v10, 0, v5, s[16:17]
	v_or3_b32 v2, v2, v9, v10
	v_cndmask_b32_e64 v9, 0, 1, s[18:19]
	v_cndmask_b32_e64 v1, 0, v1, s[20:21]
	;; [unrolled: 1-line block ×3, first 2 shown]
	v_or3_b32 v1, v7, v9, v1
	v_or3_b32 v7, v2, 0, 0
	v_cndmask_b32_e64 v2, 0, v3, s[22:23]
	v_cndmask_b32_e64 v3, 0, v5, s[24:25]
	s_add_u32 s0, s8, s2
	v_or3_b32 v2, v1, v2, v3
	v_or3_b32 v1, v7, 0, 0
	v_cndmask_b32_e64 v3, 0, v5, s[42:43]
	s_addc_u32 s1, s9, s3
	v_lshlrev_b32_e32 v5, 3, v0
	v_or3_b32 v4, v4, v8, v3
	v_or3_b32 v3, v6, 0, 0
	global_store_dwordx2 v5, v[1:2], s[0:1]
	global_store_dwordx2 v5, v[3:4], s[0:1] offset:2048
	s_mov_b64 s[0:1], 0
.LBB73_211:
	s_and_b64 vcc, exec, s[0:1]
	s_cbranch_vccz .LBB73_519
; %bb.212:
	v_cmp_gt_i32_e64 s[0:1], s12, v0
	v_mov_b32_e32 v14, 0
	v_or_b32_e32 v1, s2, v0
	v_mov_b32_e32 v7, 0
	v_mov_b32_e32 v10, 0
	;; [unrolled: 1-line block ×3, first 2 shown]
	s_and_saveexec_b64 s[4:5], s[0:1]
	s_cbranch_execz .LBB73_214
; %bb.213:
	v_mov_b32_e32 v2, 0
	v_lshlrev_b64 v[2:3], 1, v[1:2]
	v_mov_b32_e32 v5, s15
	v_add_co_u32_e32 v4, vcc, s14, v2
	v_addc_co_u32_e32 v5, vcc, v5, v3, vcc
	v_mov_b32_e32 v6, s11
	v_add_co_u32_e32 v2, vcc, s10, v2
	v_addc_co_u32_e32 v3, vcc, v6, v3, vcc
	global_load_ushort v7, v[2:3], off
	global_load_ushort v10, v[4:5], off
	v_or_b32_e32 v6, 0x100, v0
.LBB73_214:
	s_or_b64 exec, exec, s[4:5]
	v_cmp_gt_i32_e32 vcc, s12, v6
	v_mov_b32_e32 v34, 0
	s_and_saveexec_b64 s[4:5], vcc
	s_cbranch_execz .LBB73_216
; %bb.215:
	v_add_u32_e32 v2, s2, v6
	v_mov_b32_e32 v3, 0
	v_lshlrev_b64 v[2:3], 1, v[2:3]
	v_mov_b32_e32 v5, s15
	v_add_co_u32_e32 v4, vcc, s14, v2
	v_addc_co_u32_e32 v5, vcc, v5, v3, vcc
	v_mov_b32_e32 v8, s11
	v_add_co_u32_e32 v2, vcc, s10, v2
	v_addc_co_u32_e32 v3, vcc, v8, v3, vcc
	global_load_ushort v14, v[2:3], off
	global_load_ushort v34, v[4:5], off
	v_add_u32_e32 v6, 0x100, v6
.LBB73_216:
	s_or_b64 exec, exec, s[4:5]
	v_cmp_gt_i32_e32 vcc, s12, v6
	v_mov_b32_e32 v21, 0
	v_mov_b32_e32 v16, 0
	v_mov_b32_e32 v33, 0
	s_and_saveexec_b64 s[4:5], vcc
	s_cbranch_execz .LBB73_218
; %bb.217:
	v_add_u32_e32 v2, s2, v6
	v_mov_b32_e32 v3, 0
	v_lshlrev_b64 v[2:3], 1, v[2:3]
	v_mov_b32_e32 v5, s15
	v_add_co_u32_e32 v4, vcc, s14, v2
	v_addc_co_u32_e32 v5, vcc, v5, v3, vcc
	v_mov_b32_e32 v8, s11
	v_add_co_u32_e32 v2, vcc, s10, v2
	v_addc_co_u32_e32 v3, vcc, v8, v3, vcc
	global_load_ushort v16, v[2:3], off
	global_load_ushort v33, v[4:5], off
	v_add_u32_e32 v6, 0x100, v6
.LBB73_218:
	s_or_b64 exec, exec, s[4:5]
	v_cmp_gt_i32_e32 vcc, s12, v6
	v_mov_b32_e32 v32, 0
	s_and_saveexec_b64 s[4:5], vcc
	s_cbranch_execz .LBB73_220
; %bb.219:
	v_add_u32_e32 v2, s2, v6
	v_mov_b32_e32 v3, 0
	v_lshlrev_b64 v[2:3], 1, v[2:3]
	v_mov_b32_e32 v5, s15
	v_add_co_u32_e32 v4, vcc, s14, v2
	v_addc_co_u32_e32 v5, vcc, v5, v3, vcc
	v_mov_b32_e32 v8, s11
	v_add_co_u32_e32 v2, vcc, s10, v2
	v_addc_co_u32_e32 v3, vcc, v8, v3, vcc
	global_load_ushort v21, v[2:3], off
	global_load_ushort v32, v[4:5], off
	v_add_u32_e32 v6, 0x100, v6
.LBB73_220:
	s_or_b64 exec, exec, s[4:5]
	v_cmp_gt_i32_e32 vcc, s12, v6
	v_mov_b32_e32 v27, 0
	v_mov_b32_e32 v24, 0
	v_mov_b32_e32 v31, 0
	s_and_saveexec_b64 s[4:5], vcc
	s_cbranch_execz .LBB73_222
; %bb.221:
	v_add_u32_e32 v2, s2, v6
	v_mov_b32_e32 v3, 0
	v_lshlrev_b64 v[2:3], 1, v[2:3]
	v_mov_b32_e32 v5, s15
	v_add_co_u32_e32 v4, vcc, s14, v2
	v_addc_co_u32_e32 v5, vcc, v5, v3, vcc
	v_mov_b32_e32 v8, s11
	v_add_co_u32_e32 v2, vcc, s10, v2
	v_addc_co_u32_e32 v3, vcc, v8, v3, vcc
	global_load_ushort v24, v[2:3], off
	global_load_ushort v31, v[4:5], off
	v_add_u32_e32 v6, 0x100, v6
.LBB73_222:
	;; [unrolled: 40-line block ×7, first 2 shown]
	s_or_b64 exec, exec, s[4:5]
	v_cmp_gt_i32_e32 vcc, s12, v6
	v_mov_b32_e32 v3, 0
	s_and_saveexec_b64 s[4:5], vcc
	s_cbranch_execz .LBB73_244
; %bb.243:
	v_add_u32_e32 v2, s2, v6
	v_mov_b32_e32 v3, 0
	v_lshlrev_b64 v[2:3], 1, v[2:3]
	v_mov_b32_e32 v6, s15
	v_add_co_u32_e32 v35, vcc, s14, v2
	v_addc_co_u32_e32 v36, vcc, v6, v3, vcc
	v_mov_b32_e32 v6, s11
	v_add_co_u32_e32 v37, vcc, s10, v2
	v_addc_co_u32_e32 v38, vcc, v6, v3, vcc
	global_load_ushort v2, v[37:38], off
	global_load_ushort v3, v[35:36], off
.LBB73_244:
	s_or_b64 exec, exec, s[4:5]
                                        ; implicit-def: $vgpr6
	s_and_saveexec_b64 s[4:5], s[0:1]
	s_cbranch_execz .LBB73_276
; %bb.245:
	s_cmp_lt_i32 s13, 1
	s_mov_b64 s[6:7], 0
	s_cbranch_scc1 .LBB73_250
; %bb.246:
	s_cmp_gt_i32 s13, 1
	s_cbranch_scc0 .LBB73_266
; %bb.247:
	s_cmp_eq_u32 s13, 2
	s_cbranch_scc0 .LBB73_267
; %bb.248:
	s_waitcnt vmcnt(0)
	v_cmp_le_i16_e64 s[10:11], v7, v10
	s_mov_b64 s[14:15], 0
	s_branch .LBB73_268
.LBB73_249:
	s_waitcnt vmcnt(0)
	v_cmp_lt_i16_sdwa s[46:47], v4, v8 src0_sel:WORD_1 src1_sel:WORD_1
	s_andn2_b64 s[42:43], s[42:43], exec
	s_and_b64 s[46:47], s[46:47], exec
	s_or_b64 s[42:43], s[42:43], s[46:47]
	s_cbranch_execz .LBB73_209
	s_branch .LBB73_210
.LBB73_250:
                                        ; implicit-def: $sgpr10_sgpr11
	s_mov_b64 s[14:15], 0
	s_cbranch_execnz .LBB73_271
	s_branch .LBB73_272
.LBB73_251:
	s_mov_b64 s[16:17], -1
                                        ; implicit-def: $sgpr4_sgpr5
	s_branch .LBB73_23
.LBB73_252:
	s_mov_b64 s[18:19], -1
                                        ; implicit-def: $sgpr6_sgpr7
	s_branch .LBB73_36
.LBB73_253:
	s_mov_b64 s[20:21], -1
                                        ; implicit-def: $sgpr16_sgpr17
	s_branch .LBB73_49
.LBB73_254:
	s_mov_b64 s[22:23], -1
                                        ; implicit-def: $sgpr18_sgpr19
	s_branch .LBB73_62
.LBB73_255:
	s_mov_b64 s[24:25], -1
                                        ; implicit-def: $sgpr20_sgpr21
	s_branch .LBB73_75
.LBB73_256:
	s_mov_b64 s[26:27], -1
                                        ; implicit-def: $sgpr22_sgpr23
	s_branch .LBB73_88
.LBB73_257:
	s_mov_b64 s[28:29], -1
                                        ; implicit-def: $sgpr24_sgpr25
	s_branch .LBB73_101
.LBB73_258:
	s_mov_b64 s[30:31], -1
                                        ; implicit-def: $sgpr26_sgpr27
	s_branch .LBB73_114
.LBB73_259:
	s_mov_b64 s[34:35], -1
                                        ; implicit-def: $sgpr28_sgpr29
	s_branch .LBB73_127
.LBB73_260:
	s_mov_b64 s[36:37], -1
                                        ; implicit-def: $sgpr30_sgpr31
	s_branch .LBB73_140
.LBB73_261:
	s_mov_b64 s[38:39], -1
                                        ; implicit-def: $sgpr34_sgpr35
	s_branch .LBB73_153
.LBB73_262:
	s_mov_b64 s[40:41], -1
                                        ; implicit-def: $sgpr36_sgpr37
	s_branch .LBB73_166
.LBB73_263:
	s_mov_b64 s[42:43], -1
                                        ; implicit-def: $sgpr38_sgpr39
	s_branch .LBB73_179
.LBB73_264:
	s_mov_b64 s[44:45], -1
                                        ; implicit-def: $sgpr40_sgpr41
	s_branch .LBB73_192
.LBB73_265:
	s_mov_b64 s[46:47], -1
                                        ; implicit-def: $sgpr42_sgpr43
	s_branch .LBB73_205
.LBB73_266:
	s_mov_b64 s[14:15], 0
                                        ; implicit-def: $sgpr10_sgpr11
	s_cbranch_execnz .LBB73_269
	s_branch .LBB73_270
.LBB73_267:
	s_mov_b64 s[14:15], -1
                                        ; implicit-def: $sgpr10_sgpr11
.LBB73_268:
	s_branch .LBB73_270
.LBB73_269:
	s_waitcnt vmcnt(0)
	v_cmp_gt_i16_e32 vcc, v7, v10
	s_andn2_b64 s[10:11], s[10:11], exec
	s_and_b64 s[16:17], vcc, exec
	s_or_b64 s[10:11], s[10:11], s[16:17]
.LBB73_270:
	s_branch .LBB73_272
.LBB73_271:
	s_cmp_lg_u32 s13, 0
	s_mov_b64 s[6:7], -1
	s_cselect_b64 s[14:15], -1, 0
.LBB73_272:
	s_andn2_b64 vcc, exec, s[14:15]
	s_cbranch_vccz .LBB73_281
; %bb.273:
	s_andn2_b64 vcc, exec, s[6:7]
	s_cbranch_vccnz .LBB73_275
.LBB73_274:
	s_waitcnt vmcnt(0)
	v_cmp_ge_i16_e32 vcc, v7, v10
	s_andn2_b64 s[6:7], s[10:11], exec
	s_and_b64 s[10:11], vcc, exec
	s_or_b64 s[10:11], s[6:7], s[10:11]
.LBB73_275:
	v_cndmask_b32_e64 v6, 0, 1, s[10:11]
.LBB73_276:
	s_or_b64 exec, exec, s[4:5]
	s_waitcnt vmcnt(1)
	v_or_b32_e32 v7, 0x100, v0
	v_cmp_gt_i32_e32 vcc, s12, v7
                                        ; implicit-def: $vgpr10
	s_and_saveexec_b64 s[4:5], vcc
	s_cbranch_execz .LBB73_291
; %bb.277:
	s_cmp_lt_i32 s13, 1
	s_mov_b64 s[6:7], 0
	s_cbranch_scc1 .LBB73_282
; %bb.278:
	s_cmp_gt_i32 s13, 1
	s_cbranch_scc0 .LBB73_283
; %bb.279:
	s_cmp_eq_u32 s13, 2
	s_cbranch_scc0 .LBB73_535
; %bb.280:
	s_waitcnt vmcnt(0)
	v_cmp_le_i16_e64 s[10:11], v14, v34
	s_mov_b64 s[14:15], 0
	s_branch .LBB73_285
.LBB73_281:
	s_waitcnt vmcnt(0)
	v_cmp_lt_i16_e32 vcc, v7, v10
	s_andn2_b64 s[10:11], s[10:11], exec
	s_and_b64 s[14:15], vcc, exec
	s_or_b64 s[10:11], s[10:11], s[14:15]
	s_cbranch_execz .LBB73_274
	s_branch .LBB73_275
.LBB73_282:
                                        ; implicit-def: $sgpr10_sgpr11
	s_mov_b64 s[14:15], 0
	s_cbranch_execnz .LBB73_286
	s_branch .LBB73_287
.LBB73_283:
	s_mov_b64 s[14:15], 0
                                        ; implicit-def: $sgpr10_sgpr11
	s_cbranch_execz .LBB73_285
; %bb.284:
	s_waitcnt vmcnt(0)
	v_cmp_gt_i16_e32 vcc, v14, v34
	s_andn2_b64 s[10:11], s[10:11], exec
	s_and_b64 s[16:17], vcc, exec
	s_or_b64 s[10:11], s[10:11], s[16:17]
.LBB73_285:
	s_branch .LBB73_287
.LBB73_286:
	s_cmp_lg_u32 s13, 0
	s_mov_b64 s[6:7], -1
	s_cselect_b64 s[14:15], -1, 0
.LBB73_287:
	s_andn2_b64 vcc, exec, s[14:15]
	s_cbranch_vccz .LBB73_296
; %bb.288:
	s_andn2_b64 vcc, exec, s[6:7]
	s_cbranch_vccnz .LBB73_290
.LBB73_289:
	s_waitcnt vmcnt(0)
	v_cmp_ge_i16_e32 vcc, v14, v34
	s_andn2_b64 s[6:7], s[10:11], exec
	s_and_b64 s[10:11], vcc, exec
	s_or_b64 s[10:11], s[6:7], s[10:11]
.LBB73_290:
	s_waitcnt vmcnt(0)
	v_cndmask_b32_e64 v10, 0, 1, s[10:11]
.LBB73_291:
	s_or_b64 exec, exec, s[4:5]
	v_or_b32_e32 v14, 0x200, v0
	v_cmp_gt_i32_e32 vcc, s12, v14
                                        ; implicit-def: $vgpr14
	s_and_saveexec_b64 s[4:5], vcc
	s_cbranch_execz .LBB73_306
; %bb.292:
	s_cmp_lt_i32 s13, 1
	s_mov_b64 s[6:7], 0
	s_cbranch_scc1 .LBB73_297
; %bb.293:
	s_cmp_gt_i32 s13, 1
	s_cbranch_scc0 .LBB73_298
; %bb.294:
	s_cmp_eq_u32 s13, 2
	s_cbranch_scc0 .LBB73_536
; %bb.295:
	s_waitcnt vmcnt(0)
	v_cmp_le_i16_e64 s[10:11], v16, v33
	s_mov_b64 s[14:15], 0
	s_branch .LBB73_300
.LBB73_296:
	s_waitcnt vmcnt(0)
	v_cmp_lt_i16_e32 vcc, v14, v34
	s_andn2_b64 s[10:11], s[10:11], exec
	s_and_b64 s[14:15], vcc, exec
	s_or_b64 s[10:11], s[10:11], s[14:15]
	s_cbranch_execz .LBB73_289
	s_branch .LBB73_290
.LBB73_297:
                                        ; implicit-def: $sgpr10_sgpr11
	s_mov_b64 s[14:15], 0
	s_cbranch_execnz .LBB73_301
	s_branch .LBB73_302
.LBB73_298:
	s_mov_b64 s[14:15], 0
                                        ; implicit-def: $sgpr10_sgpr11
	s_cbranch_execz .LBB73_300
; %bb.299:
	s_waitcnt vmcnt(0)
	v_cmp_gt_i16_e32 vcc, v16, v33
	s_andn2_b64 s[10:11], s[10:11], exec
	s_and_b64 s[16:17], vcc, exec
	s_or_b64 s[10:11], s[10:11], s[16:17]
.LBB73_300:
	s_branch .LBB73_302
.LBB73_301:
	s_cmp_lg_u32 s13, 0
	s_mov_b64 s[6:7], -1
	s_cselect_b64 s[14:15], -1, 0
.LBB73_302:
	s_andn2_b64 vcc, exec, s[14:15]
	s_cbranch_vccz .LBB73_311
; %bb.303:
	s_andn2_b64 vcc, exec, s[6:7]
	s_cbranch_vccnz .LBB73_305
.LBB73_304:
	s_waitcnt vmcnt(0)
	v_cmp_ge_i16_e32 vcc, v16, v33
	s_andn2_b64 s[6:7], s[10:11], exec
	s_and_b64 s[10:11], vcc, exec
	s_or_b64 s[10:11], s[6:7], s[10:11]
.LBB73_305:
	v_cndmask_b32_e64 v14, 0, 1, s[10:11]
.LBB73_306:
	s_or_b64 exec, exec, s[4:5]
	v_or_b32_e32 v16, 0x300, v0
	v_cmp_gt_i32_e32 vcc, s12, v16
                                        ; implicit-def: $vgpr16
	s_and_saveexec_b64 s[4:5], vcc
	s_cbranch_execz .LBB73_321
; %bb.307:
	s_cmp_lt_i32 s13, 1
	s_mov_b64 s[6:7], 0
	s_cbranch_scc1 .LBB73_312
; %bb.308:
	s_cmp_gt_i32 s13, 1
	s_cbranch_scc0 .LBB73_313
; %bb.309:
	s_cmp_eq_u32 s13, 2
	s_cbranch_scc0 .LBB73_537
; %bb.310:
	s_waitcnt vmcnt(0)
	v_cmp_le_i16_e64 s[10:11], v21, v32
	s_mov_b64 s[14:15], 0
	s_branch .LBB73_315
.LBB73_311:
	s_waitcnt vmcnt(0)
	v_cmp_lt_i16_e32 vcc, v16, v33
	s_andn2_b64 s[10:11], s[10:11], exec
	s_and_b64 s[14:15], vcc, exec
	s_or_b64 s[10:11], s[10:11], s[14:15]
	s_cbranch_execz .LBB73_304
	s_branch .LBB73_305
.LBB73_312:
                                        ; implicit-def: $sgpr10_sgpr11
	s_mov_b64 s[14:15], 0
	s_cbranch_execnz .LBB73_316
	s_branch .LBB73_317
.LBB73_313:
	s_mov_b64 s[14:15], 0
                                        ; implicit-def: $sgpr10_sgpr11
	s_cbranch_execz .LBB73_315
; %bb.314:
	s_waitcnt vmcnt(0)
	v_cmp_gt_i16_e32 vcc, v21, v32
	s_andn2_b64 s[10:11], s[10:11], exec
	s_and_b64 s[16:17], vcc, exec
	s_or_b64 s[10:11], s[10:11], s[16:17]
.LBB73_315:
	s_branch .LBB73_317
.LBB73_316:
	s_cmp_lg_u32 s13, 0
	s_mov_b64 s[6:7], -1
	s_cselect_b64 s[14:15], -1, 0
.LBB73_317:
	s_andn2_b64 vcc, exec, s[14:15]
	s_cbranch_vccz .LBB73_326
; %bb.318:
	s_andn2_b64 vcc, exec, s[6:7]
	s_cbranch_vccnz .LBB73_320
.LBB73_319:
	s_waitcnt vmcnt(0)
	v_cmp_ge_i16_e32 vcc, v21, v32
	s_andn2_b64 s[6:7], s[10:11], exec
	s_and_b64 s[10:11], vcc, exec
	s_or_b64 s[10:11], s[6:7], s[10:11]
.LBB73_320:
	v_cndmask_b32_e64 v16, 0, 1, s[10:11]
.LBB73_321:
	s_or_b64 exec, exec, s[4:5]
	v_or_b32_e32 v21, 0x400, v0
	v_cmp_gt_i32_e32 vcc, s12, v21
                                        ; implicit-def: $vgpr21
	s_and_saveexec_b64 s[4:5], vcc
	s_cbranch_execz .LBB73_336
; %bb.322:
	s_cmp_lt_i32 s13, 1
	s_mov_b64 s[6:7], 0
	s_cbranch_scc1 .LBB73_327
; %bb.323:
	s_cmp_gt_i32 s13, 1
	s_cbranch_scc0 .LBB73_328
; %bb.324:
	s_cmp_eq_u32 s13, 2
	s_cbranch_scc0 .LBB73_538
; %bb.325:
	s_waitcnt vmcnt(0)
	v_cmp_le_i16_e64 s[10:11], v24, v31
	s_mov_b64 s[14:15], 0
	s_branch .LBB73_330
.LBB73_326:
	s_waitcnt vmcnt(0)
	v_cmp_lt_i16_e32 vcc, v21, v32
	s_andn2_b64 s[10:11], s[10:11], exec
	s_and_b64 s[14:15], vcc, exec
	s_or_b64 s[10:11], s[10:11], s[14:15]
	s_cbranch_execz .LBB73_319
	s_branch .LBB73_320
.LBB73_327:
                                        ; implicit-def: $sgpr10_sgpr11
	s_mov_b64 s[14:15], 0
	s_cbranch_execnz .LBB73_331
	s_branch .LBB73_332
.LBB73_328:
	s_mov_b64 s[14:15], 0
                                        ; implicit-def: $sgpr10_sgpr11
	s_cbranch_execz .LBB73_330
; %bb.329:
	s_waitcnt vmcnt(0)
	v_cmp_gt_i16_e32 vcc, v24, v31
	s_andn2_b64 s[10:11], s[10:11], exec
	s_and_b64 s[16:17], vcc, exec
	s_or_b64 s[10:11], s[10:11], s[16:17]
.LBB73_330:
	s_branch .LBB73_332
.LBB73_331:
	s_cmp_lg_u32 s13, 0
	s_mov_b64 s[6:7], -1
	s_cselect_b64 s[14:15], -1, 0
.LBB73_332:
	s_andn2_b64 vcc, exec, s[14:15]
	s_cbranch_vccz .LBB73_341
; %bb.333:
	s_andn2_b64 vcc, exec, s[6:7]
	s_cbranch_vccnz .LBB73_335
.LBB73_334:
	s_waitcnt vmcnt(0)
	v_cmp_ge_i16_e32 vcc, v24, v31
	s_andn2_b64 s[6:7], s[10:11], exec
	s_and_b64 s[10:11], vcc, exec
	s_or_b64 s[10:11], s[6:7], s[10:11]
.LBB73_335:
	v_cndmask_b32_e64 v21, 0, 1, s[10:11]
.LBB73_336:
	s_or_b64 exec, exec, s[4:5]
	v_or_b32_e32 v24, 0x500, v0
	v_cmp_gt_i32_e32 vcc, s12, v24
                                        ; implicit-def: $vgpr24
	s_and_saveexec_b64 s[4:5], vcc
	s_cbranch_execz .LBB73_351
; %bb.337:
	s_cmp_lt_i32 s13, 1
	s_mov_b64 s[6:7], 0
	s_cbranch_scc1 .LBB73_342
; %bb.338:
	s_cmp_gt_i32 s13, 1
	s_cbranch_scc0 .LBB73_343
; %bb.339:
	s_cmp_eq_u32 s13, 2
	s_cbranch_scc0 .LBB73_539
; %bb.340:
	s_waitcnt vmcnt(0)
	v_cmp_le_i16_e64 s[10:11], v27, v30
	s_mov_b64 s[14:15], 0
	s_branch .LBB73_345
.LBB73_341:
	s_waitcnt vmcnt(0)
	v_cmp_lt_i16_e32 vcc, v24, v31
	s_andn2_b64 s[10:11], s[10:11], exec
	s_and_b64 s[14:15], vcc, exec
	s_or_b64 s[10:11], s[10:11], s[14:15]
	s_cbranch_execz .LBB73_334
	s_branch .LBB73_335
.LBB73_342:
                                        ; implicit-def: $sgpr10_sgpr11
	s_mov_b64 s[14:15], 0
	s_cbranch_execnz .LBB73_346
	s_branch .LBB73_347
.LBB73_343:
	s_mov_b64 s[14:15], 0
                                        ; implicit-def: $sgpr10_sgpr11
	s_cbranch_execz .LBB73_345
; %bb.344:
	s_waitcnt vmcnt(0)
	v_cmp_gt_i16_e32 vcc, v27, v30
	s_andn2_b64 s[10:11], s[10:11], exec
	s_and_b64 s[16:17], vcc, exec
	s_or_b64 s[10:11], s[10:11], s[16:17]
.LBB73_345:
	s_branch .LBB73_347
.LBB73_346:
	s_cmp_lg_u32 s13, 0
	s_mov_b64 s[6:7], -1
	s_cselect_b64 s[14:15], -1, 0
.LBB73_347:
	s_andn2_b64 vcc, exec, s[14:15]
	s_cbranch_vccz .LBB73_356
; %bb.348:
	s_andn2_b64 vcc, exec, s[6:7]
	s_cbranch_vccnz .LBB73_350
.LBB73_349:
	s_waitcnt vmcnt(0)
	v_cmp_ge_i16_e32 vcc, v27, v30
	s_andn2_b64 s[6:7], s[10:11], exec
	s_and_b64 s[10:11], vcc, exec
	s_or_b64 s[10:11], s[6:7], s[10:11]
.LBB73_350:
	v_cndmask_b32_e64 v24, 0, 1, s[10:11]
.LBB73_351:
	s_or_b64 exec, exec, s[4:5]
	v_or_b32_e32 v27, 0x600, v0
	v_cmp_gt_i32_e32 vcc, s12, v27
                                        ; implicit-def: $vgpr27
	s_and_saveexec_b64 s[4:5], vcc
	s_cbranch_execz .LBB73_366
; %bb.352:
	s_cmp_lt_i32 s13, 1
	s_mov_b64 s[6:7], 0
	s_cbranch_scc1 .LBB73_357
; %bb.353:
	s_cmp_gt_i32 s13, 1
	s_cbranch_scc0 .LBB73_358
; %bb.354:
	s_cmp_eq_u32 s13, 2
	s_cbranch_scc0 .LBB73_540
; %bb.355:
	s_waitcnt vmcnt(0)
	v_cmp_le_i16_e64 s[10:11], v28, v29
	s_mov_b64 s[14:15], 0
	s_branch .LBB73_360
.LBB73_356:
	s_waitcnt vmcnt(0)
	v_cmp_lt_i16_e32 vcc, v27, v30
	s_andn2_b64 s[10:11], s[10:11], exec
	s_and_b64 s[14:15], vcc, exec
	s_or_b64 s[10:11], s[10:11], s[14:15]
	s_cbranch_execz .LBB73_349
	s_branch .LBB73_350
.LBB73_357:
                                        ; implicit-def: $sgpr10_sgpr11
	s_mov_b64 s[14:15], 0
	s_cbranch_execnz .LBB73_361
	s_branch .LBB73_362
.LBB73_358:
	s_mov_b64 s[14:15], 0
                                        ; implicit-def: $sgpr10_sgpr11
	s_cbranch_execz .LBB73_360
; %bb.359:
	s_waitcnt vmcnt(0)
	v_cmp_gt_i16_e32 vcc, v28, v29
	s_andn2_b64 s[10:11], s[10:11], exec
	s_and_b64 s[16:17], vcc, exec
	s_or_b64 s[10:11], s[10:11], s[16:17]
.LBB73_360:
	s_branch .LBB73_362
.LBB73_361:
	s_cmp_lg_u32 s13, 0
	s_mov_b64 s[6:7], -1
	s_cselect_b64 s[14:15], -1, 0
.LBB73_362:
	s_andn2_b64 vcc, exec, s[14:15]
	s_cbranch_vccz .LBB73_371
; %bb.363:
	s_andn2_b64 vcc, exec, s[6:7]
	s_cbranch_vccnz .LBB73_365
.LBB73_364:
	s_waitcnt vmcnt(0)
	v_cmp_ge_i16_e32 vcc, v28, v29
	s_andn2_b64 s[6:7], s[10:11], exec
	s_and_b64 s[10:11], vcc, exec
	s_or_b64 s[10:11], s[6:7], s[10:11]
.LBB73_365:
	v_cndmask_b32_e64 v27, 0, 1, s[10:11]
.LBB73_366:
	s_or_b64 exec, exec, s[4:5]
	v_or_b32_e32 v28, 0x700, v0
	v_cmp_gt_i32_e32 vcc, s12, v28
                                        ; implicit-def: $vgpr28
	s_and_saveexec_b64 s[4:5], vcc
	s_cbranch_execz .LBB73_381
; %bb.367:
	s_cmp_lt_i32 s13, 1
	s_mov_b64 s[6:7], 0
	s_cbranch_scc1 .LBB73_372
; %bb.368:
	s_cmp_gt_i32 s13, 1
	s_cbranch_scc0 .LBB73_373
; %bb.369:
	s_cmp_eq_u32 s13, 2
	s_cbranch_scc0 .LBB73_541
; %bb.370:
	s_waitcnt vmcnt(0)
	v_cmp_le_i16_e64 s[10:11], v25, v26
	s_mov_b64 s[14:15], 0
	s_branch .LBB73_375
.LBB73_371:
	s_waitcnt vmcnt(0)
	v_cmp_lt_i16_e32 vcc, v28, v29
	s_andn2_b64 s[10:11], s[10:11], exec
	s_and_b64 s[14:15], vcc, exec
	s_or_b64 s[10:11], s[10:11], s[14:15]
	s_cbranch_execz .LBB73_364
	s_branch .LBB73_365
.LBB73_372:
                                        ; implicit-def: $sgpr10_sgpr11
	s_mov_b64 s[14:15], 0
	s_cbranch_execnz .LBB73_376
	s_branch .LBB73_377
.LBB73_373:
	s_mov_b64 s[14:15], 0
                                        ; implicit-def: $sgpr10_sgpr11
	s_cbranch_execz .LBB73_375
; %bb.374:
	s_waitcnt vmcnt(0)
	v_cmp_gt_i16_e32 vcc, v25, v26
	s_andn2_b64 s[10:11], s[10:11], exec
	s_and_b64 s[16:17], vcc, exec
	s_or_b64 s[10:11], s[10:11], s[16:17]
.LBB73_375:
	s_branch .LBB73_377
.LBB73_376:
	s_cmp_lg_u32 s13, 0
	s_mov_b64 s[6:7], -1
	s_cselect_b64 s[14:15], -1, 0
.LBB73_377:
	s_andn2_b64 vcc, exec, s[14:15]
	s_cbranch_vccz .LBB73_386
; %bb.378:
	s_andn2_b64 vcc, exec, s[6:7]
	s_cbranch_vccnz .LBB73_380
.LBB73_379:
	s_waitcnt vmcnt(0)
	v_cmp_ge_i16_e32 vcc, v25, v26
	s_andn2_b64 s[6:7], s[10:11], exec
	s_and_b64 s[10:11], vcc, exec
	s_or_b64 s[10:11], s[6:7], s[10:11]
.LBB73_380:
	v_cndmask_b32_e64 v28, 0, 1, s[10:11]
.LBB73_381:
	s_or_b64 exec, exec, s[4:5]
	v_or_b32_e32 v25, 0x800, v0
	v_cmp_gt_i32_e32 vcc, s12, v25
                                        ; implicit-def: $vgpr25
	s_and_saveexec_b64 s[4:5], vcc
	s_cbranch_execz .LBB73_396
; %bb.382:
	s_cmp_lt_i32 s13, 1
	s_mov_b64 s[6:7], 0
	s_cbranch_scc1 .LBB73_387
; %bb.383:
	s_cmp_gt_i32 s13, 1
	s_cbranch_scc0 .LBB73_388
; %bb.384:
	s_cmp_eq_u32 s13, 2
	s_cbranch_scc0 .LBB73_542
; %bb.385:
	s_waitcnt vmcnt(0)
	v_cmp_le_i16_e64 s[10:11], v22, v23
	s_mov_b64 s[14:15], 0
	s_branch .LBB73_390
.LBB73_386:
	s_waitcnt vmcnt(0)
	v_cmp_lt_i16_e32 vcc, v25, v26
	s_andn2_b64 s[10:11], s[10:11], exec
	s_and_b64 s[14:15], vcc, exec
	s_or_b64 s[10:11], s[10:11], s[14:15]
	s_cbranch_execz .LBB73_379
	s_branch .LBB73_380
.LBB73_387:
                                        ; implicit-def: $sgpr10_sgpr11
	s_mov_b64 s[14:15], 0
	s_cbranch_execnz .LBB73_391
	s_branch .LBB73_392
.LBB73_388:
	s_mov_b64 s[14:15], 0
                                        ; implicit-def: $sgpr10_sgpr11
	s_cbranch_execz .LBB73_390
; %bb.389:
	s_waitcnt vmcnt(0)
	v_cmp_gt_i16_e32 vcc, v22, v23
	s_andn2_b64 s[10:11], s[10:11], exec
	s_and_b64 s[16:17], vcc, exec
	s_or_b64 s[10:11], s[10:11], s[16:17]
.LBB73_390:
	s_branch .LBB73_392
.LBB73_391:
	s_cmp_lg_u32 s13, 0
	s_mov_b64 s[6:7], -1
	s_cselect_b64 s[14:15], -1, 0
.LBB73_392:
	s_andn2_b64 vcc, exec, s[14:15]
	s_cbranch_vccz .LBB73_401
; %bb.393:
	s_andn2_b64 vcc, exec, s[6:7]
	s_cbranch_vccnz .LBB73_395
.LBB73_394:
	s_waitcnt vmcnt(0)
	v_cmp_ge_i16_e32 vcc, v22, v23
	s_andn2_b64 s[6:7], s[10:11], exec
	s_and_b64 s[10:11], vcc, exec
	s_or_b64 s[10:11], s[6:7], s[10:11]
.LBB73_395:
	v_cndmask_b32_e64 v25, 0, 1, s[10:11]
.LBB73_396:
	s_or_b64 exec, exec, s[4:5]
	v_or_b32_e32 v22, 0x900, v0
	v_cmp_gt_i32_e32 vcc, s12, v22
                                        ; implicit-def: $vgpr22
	s_and_saveexec_b64 s[4:5], vcc
	s_cbranch_execz .LBB73_411
; %bb.397:
	s_cmp_lt_i32 s13, 1
	s_mov_b64 s[6:7], 0
	s_cbranch_scc1 .LBB73_402
; %bb.398:
	s_cmp_gt_i32 s13, 1
	s_cbranch_scc0 .LBB73_403
; %bb.399:
	s_cmp_eq_u32 s13, 2
	s_cbranch_scc0 .LBB73_543
; %bb.400:
	s_waitcnt vmcnt(0)
	v_cmp_le_i16_e64 s[10:11], v19, v20
	s_mov_b64 s[14:15], 0
	s_branch .LBB73_405
.LBB73_401:
	s_waitcnt vmcnt(0)
	v_cmp_lt_i16_e32 vcc, v22, v23
	s_andn2_b64 s[10:11], s[10:11], exec
	s_and_b64 s[14:15], vcc, exec
	s_or_b64 s[10:11], s[10:11], s[14:15]
	s_cbranch_execz .LBB73_394
	s_branch .LBB73_395
.LBB73_402:
                                        ; implicit-def: $sgpr10_sgpr11
	s_mov_b64 s[14:15], 0
	s_cbranch_execnz .LBB73_406
	s_branch .LBB73_407
.LBB73_403:
	s_mov_b64 s[14:15], 0
                                        ; implicit-def: $sgpr10_sgpr11
	s_cbranch_execz .LBB73_405
; %bb.404:
	s_waitcnt vmcnt(0)
	v_cmp_gt_i16_e32 vcc, v19, v20
	s_andn2_b64 s[10:11], s[10:11], exec
	s_and_b64 s[16:17], vcc, exec
	s_or_b64 s[10:11], s[10:11], s[16:17]
.LBB73_405:
	s_branch .LBB73_407
.LBB73_406:
	s_cmp_lg_u32 s13, 0
	s_mov_b64 s[6:7], -1
	s_cselect_b64 s[14:15], -1, 0
.LBB73_407:
	s_andn2_b64 vcc, exec, s[14:15]
	s_cbranch_vccz .LBB73_416
; %bb.408:
	s_andn2_b64 vcc, exec, s[6:7]
	s_cbranch_vccnz .LBB73_410
.LBB73_409:
	s_waitcnt vmcnt(0)
	v_cmp_ge_i16_e32 vcc, v19, v20
	s_andn2_b64 s[6:7], s[10:11], exec
	s_and_b64 s[10:11], vcc, exec
	s_or_b64 s[10:11], s[6:7], s[10:11]
.LBB73_410:
	v_cndmask_b32_e64 v22, 0, 1, s[10:11]
.LBB73_411:
	s_or_b64 exec, exec, s[4:5]
	v_or_b32_e32 v19, 0xa00, v0
	v_cmp_gt_i32_e32 vcc, s12, v19
                                        ; implicit-def: $vgpr19
	s_and_saveexec_b64 s[4:5], vcc
	s_cbranch_execz .LBB73_426
; %bb.412:
	s_cmp_lt_i32 s13, 1
	s_mov_b64 s[6:7], 0
	s_cbranch_scc1 .LBB73_417
; %bb.413:
	s_cmp_gt_i32 s13, 1
	s_cbranch_scc0 .LBB73_418
; %bb.414:
	s_cmp_eq_u32 s13, 2
	s_cbranch_scc0 .LBB73_544
; %bb.415:
	s_waitcnt vmcnt(0)
	v_cmp_le_i16_e64 s[10:11], v17, v18
	s_mov_b64 s[14:15], 0
	s_branch .LBB73_420
.LBB73_416:
	s_waitcnt vmcnt(0)
	v_cmp_lt_i16_e32 vcc, v19, v20
	s_andn2_b64 s[10:11], s[10:11], exec
	s_and_b64 s[14:15], vcc, exec
	s_or_b64 s[10:11], s[10:11], s[14:15]
	s_cbranch_execz .LBB73_409
	s_branch .LBB73_410
.LBB73_417:
                                        ; implicit-def: $sgpr10_sgpr11
	s_mov_b64 s[14:15], 0
	s_cbranch_execnz .LBB73_421
	s_branch .LBB73_422
.LBB73_418:
	s_mov_b64 s[14:15], 0
                                        ; implicit-def: $sgpr10_sgpr11
	s_cbranch_execz .LBB73_420
; %bb.419:
	s_waitcnt vmcnt(0)
	v_cmp_gt_i16_e32 vcc, v17, v18
	s_andn2_b64 s[10:11], s[10:11], exec
	s_and_b64 s[16:17], vcc, exec
	s_or_b64 s[10:11], s[10:11], s[16:17]
.LBB73_420:
	s_branch .LBB73_422
.LBB73_421:
	s_cmp_lg_u32 s13, 0
	s_mov_b64 s[6:7], -1
	s_cselect_b64 s[14:15], -1, 0
.LBB73_422:
	s_andn2_b64 vcc, exec, s[14:15]
	s_cbranch_vccz .LBB73_431
; %bb.423:
	s_andn2_b64 vcc, exec, s[6:7]
	s_cbranch_vccnz .LBB73_425
.LBB73_424:
	s_waitcnt vmcnt(0)
	v_cmp_ge_i16_e32 vcc, v17, v18
	s_andn2_b64 s[6:7], s[10:11], exec
	s_and_b64 s[10:11], vcc, exec
	s_or_b64 s[10:11], s[6:7], s[10:11]
.LBB73_425:
	v_cndmask_b32_e64 v19, 0, 1, s[10:11]
.LBB73_426:
	s_or_b64 exec, exec, s[4:5]
	v_or_b32_e32 v17, 0xb00, v0
	v_cmp_gt_i32_e32 vcc, s12, v17
                                        ; implicit-def: $vgpr17
	s_and_saveexec_b64 s[4:5], vcc
	s_cbranch_execz .LBB73_441
; %bb.427:
	s_cmp_lt_i32 s13, 1
	s_mov_b64 s[6:7], 0
	s_cbranch_scc1 .LBB73_432
; %bb.428:
	s_cmp_gt_i32 s13, 1
	s_cbranch_scc0 .LBB73_433
; %bb.429:
	s_cmp_eq_u32 s13, 2
	s_cbranch_scc0 .LBB73_545
; %bb.430:
	s_waitcnt vmcnt(0)
	v_cmp_le_i16_e64 s[10:11], v13, v15
	s_mov_b64 s[14:15], 0
	s_branch .LBB73_435
.LBB73_431:
	s_waitcnt vmcnt(0)
	v_cmp_lt_i16_e32 vcc, v17, v18
	s_andn2_b64 s[10:11], s[10:11], exec
	s_and_b64 s[14:15], vcc, exec
	s_or_b64 s[10:11], s[10:11], s[14:15]
	s_cbranch_execz .LBB73_424
	s_branch .LBB73_425
.LBB73_432:
                                        ; implicit-def: $sgpr10_sgpr11
	s_mov_b64 s[14:15], 0
	s_cbranch_execnz .LBB73_436
	s_branch .LBB73_437
.LBB73_433:
	s_mov_b64 s[14:15], 0
                                        ; implicit-def: $sgpr10_sgpr11
	s_cbranch_execz .LBB73_435
; %bb.434:
	s_waitcnt vmcnt(0)
	v_cmp_gt_i16_e32 vcc, v13, v15
	s_andn2_b64 s[10:11], s[10:11], exec
	s_and_b64 s[16:17], vcc, exec
	s_or_b64 s[10:11], s[10:11], s[16:17]
.LBB73_435:
	s_branch .LBB73_437
.LBB73_436:
	s_cmp_lg_u32 s13, 0
	s_mov_b64 s[6:7], -1
	s_cselect_b64 s[14:15], -1, 0
.LBB73_437:
	s_andn2_b64 vcc, exec, s[14:15]
	s_cbranch_vccz .LBB73_446
; %bb.438:
	s_andn2_b64 vcc, exec, s[6:7]
	s_cbranch_vccnz .LBB73_440
.LBB73_439:
	s_waitcnt vmcnt(0)
	v_cmp_ge_i16_e32 vcc, v13, v15
	s_andn2_b64 s[6:7], s[10:11], exec
	s_and_b64 s[10:11], vcc, exec
	s_or_b64 s[10:11], s[6:7], s[10:11]
.LBB73_440:
	v_cndmask_b32_e64 v17, 0, 1, s[10:11]
.LBB73_441:
	s_or_b64 exec, exec, s[4:5]
	v_or_b32_e32 v13, 0xc00, v0
	v_cmp_gt_i32_e32 vcc, s12, v13
                                        ; implicit-def: $vgpr13
	s_and_saveexec_b64 s[4:5], vcc
	s_cbranch_execz .LBB73_456
; %bb.442:
	s_cmp_lt_i32 s13, 1
	s_mov_b64 s[6:7], 0
	s_cbranch_scc1 .LBB73_447
; %bb.443:
	s_cmp_gt_i32 s13, 1
	s_cbranch_scc0 .LBB73_448
; %bb.444:
	s_cmp_eq_u32 s13, 2
	s_cbranch_scc0 .LBB73_546
; %bb.445:
	s_waitcnt vmcnt(0)
	v_cmp_le_i16_e64 s[10:11], v11, v12
	s_mov_b64 s[14:15], 0
	s_branch .LBB73_450
.LBB73_446:
	s_waitcnt vmcnt(0)
	v_cmp_lt_i16_e32 vcc, v13, v15
	s_andn2_b64 s[10:11], s[10:11], exec
	s_and_b64 s[14:15], vcc, exec
	s_or_b64 s[10:11], s[10:11], s[14:15]
	s_cbranch_execz .LBB73_439
	s_branch .LBB73_440
.LBB73_447:
                                        ; implicit-def: $sgpr10_sgpr11
	s_mov_b64 s[14:15], 0
	s_cbranch_execnz .LBB73_451
	s_branch .LBB73_452
.LBB73_448:
	s_mov_b64 s[14:15], 0
                                        ; implicit-def: $sgpr10_sgpr11
	s_cbranch_execz .LBB73_450
; %bb.449:
	s_waitcnt vmcnt(0)
	v_cmp_gt_i16_e32 vcc, v11, v12
	s_andn2_b64 s[10:11], s[10:11], exec
	s_and_b64 s[16:17], vcc, exec
	s_or_b64 s[10:11], s[10:11], s[16:17]
.LBB73_450:
	s_branch .LBB73_452
.LBB73_451:
	s_cmp_lg_u32 s13, 0
	s_mov_b64 s[6:7], -1
	s_cselect_b64 s[14:15], -1, 0
.LBB73_452:
	s_andn2_b64 vcc, exec, s[14:15]
	s_cbranch_vccz .LBB73_461
; %bb.453:
	s_andn2_b64 vcc, exec, s[6:7]
	s_cbranch_vccnz .LBB73_455
.LBB73_454:
	s_waitcnt vmcnt(0)
	v_cmp_ge_i16_e32 vcc, v11, v12
	s_andn2_b64 s[6:7], s[10:11], exec
	s_and_b64 s[10:11], vcc, exec
	s_or_b64 s[10:11], s[6:7], s[10:11]
.LBB73_455:
	v_cndmask_b32_e64 v13, 0, 1, s[10:11]
.LBB73_456:
	s_or_b64 exec, exec, s[4:5]
	v_or_b32_e32 v11, 0xd00, v0
	v_cmp_gt_i32_e32 vcc, s12, v11
                                        ; implicit-def: $vgpr11
	s_and_saveexec_b64 s[4:5], vcc
	s_cbranch_execz .LBB73_471
; %bb.457:
	s_cmp_lt_i32 s13, 1
	s_mov_b64 s[6:7], 0
	s_cbranch_scc1 .LBB73_462
; %bb.458:
	s_cmp_gt_i32 s13, 1
	s_cbranch_scc0 .LBB73_463
; %bb.459:
	s_cmp_eq_u32 s13, 2
	s_cbranch_scc0 .LBB73_547
; %bb.460:
	s_waitcnt vmcnt(0)
	v_cmp_le_i16_e64 s[10:11], v8, v9
	s_mov_b64 s[14:15], 0
	s_branch .LBB73_465
.LBB73_461:
	s_waitcnt vmcnt(0)
	v_cmp_lt_i16_e32 vcc, v11, v12
	s_andn2_b64 s[10:11], s[10:11], exec
	s_and_b64 s[14:15], vcc, exec
	s_or_b64 s[10:11], s[10:11], s[14:15]
	s_cbranch_execz .LBB73_454
	s_branch .LBB73_455
.LBB73_462:
                                        ; implicit-def: $sgpr10_sgpr11
	s_mov_b64 s[14:15], 0
	s_cbranch_execnz .LBB73_466
	s_branch .LBB73_467
.LBB73_463:
	s_mov_b64 s[14:15], 0
                                        ; implicit-def: $sgpr10_sgpr11
	s_cbranch_execz .LBB73_465
; %bb.464:
	s_waitcnt vmcnt(0)
	v_cmp_gt_i16_e32 vcc, v8, v9
	s_andn2_b64 s[10:11], s[10:11], exec
	s_and_b64 s[16:17], vcc, exec
	s_or_b64 s[10:11], s[10:11], s[16:17]
.LBB73_465:
	s_branch .LBB73_467
.LBB73_466:
	s_cmp_lg_u32 s13, 0
	s_mov_b64 s[6:7], -1
	s_cselect_b64 s[14:15], -1, 0
.LBB73_467:
	s_andn2_b64 vcc, exec, s[14:15]
	s_cbranch_vccz .LBB73_476
; %bb.468:
	s_andn2_b64 vcc, exec, s[6:7]
	s_cbranch_vccnz .LBB73_470
.LBB73_469:
	s_waitcnt vmcnt(0)
	v_cmp_ge_i16_e32 vcc, v8, v9
	s_andn2_b64 s[6:7], s[10:11], exec
	s_and_b64 s[10:11], vcc, exec
	s_or_b64 s[10:11], s[6:7], s[10:11]
.LBB73_470:
	v_cndmask_b32_e64 v11, 0, 1, s[10:11]
.LBB73_471:
	s_or_b64 exec, exec, s[4:5]
	v_or_b32_e32 v8, 0xe00, v0
	v_cmp_gt_i32_e32 vcc, s12, v8
                                        ; implicit-def: $vgpr8
	s_and_saveexec_b64 s[4:5], vcc
	s_cbranch_execz .LBB73_486
; %bb.472:
	s_cmp_lt_i32 s13, 1
	s_mov_b64 s[6:7], 0
	s_cbranch_scc1 .LBB73_477
; %bb.473:
	s_cmp_gt_i32 s13, 1
	s_cbranch_scc0 .LBB73_478
; %bb.474:
	s_cmp_eq_u32 s13, 2
	s_cbranch_scc0 .LBB73_548
; %bb.475:
	s_waitcnt vmcnt(0)
	v_cmp_le_i16_e64 s[10:11], v4, v5
	s_mov_b64 s[14:15], 0
	s_branch .LBB73_480
.LBB73_476:
	s_waitcnt vmcnt(0)
	v_cmp_lt_i16_e32 vcc, v8, v9
	s_andn2_b64 s[10:11], s[10:11], exec
	s_and_b64 s[14:15], vcc, exec
	s_or_b64 s[10:11], s[10:11], s[14:15]
	s_cbranch_execz .LBB73_469
	s_branch .LBB73_470
.LBB73_477:
                                        ; implicit-def: $sgpr10_sgpr11
	s_mov_b64 s[14:15], 0
	s_cbranch_execnz .LBB73_481
	s_branch .LBB73_482
.LBB73_478:
	s_mov_b64 s[14:15], 0
                                        ; implicit-def: $sgpr10_sgpr11
	s_cbranch_execz .LBB73_480
; %bb.479:
	s_waitcnt vmcnt(0)
	v_cmp_gt_i16_e32 vcc, v4, v5
	s_andn2_b64 s[10:11], s[10:11], exec
	s_and_b64 s[16:17], vcc, exec
	s_or_b64 s[10:11], s[10:11], s[16:17]
.LBB73_480:
	s_branch .LBB73_482
.LBB73_481:
	s_cmp_lg_u32 s13, 0
	s_mov_b64 s[6:7], -1
	s_cselect_b64 s[14:15], -1, 0
.LBB73_482:
	s_andn2_b64 vcc, exec, s[14:15]
	s_cbranch_vccz .LBB73_491
; %bb.483:
	s_andn2_b64 vcc, exec, s[6:7]
	s_cbranch_vccnz .LBB73_485
.LBB73_484:
	s_waitcnt vmcnt(0)
	v_cmp_ge_i16_e32 vcc, v4, v5
	s_andn2_b64 s[6:7], s[10:11], exec
	s_and_b64 s[10:11], vcc, exec
	s_or_b64 s[10:11], s[6:7], s[10:11]
.LBB73_485:
	v_cndmask_b32_e64 v8, 0, 1, s[10:11]
.LBB73_486:
	s_or_b64 exec, exec, s[4:5]
	v_or_b32_e32 v4, 0xf00, v0
	v_cmp_gt_i32_e32 vcc, s12, v4
                                        ; implicit-def: $vgpr4
	s_and_saveexec_b64 s[4:5], vcc
	s_cbranch_execz .LBB73_501
; %bb.487:
	s_cmp_lt_i32 s13, 1
	s_mov_b64 s[6:7], 0
	s_cbranch_scc1 .LBB73_492
; %bb.488:
	s_cmp_gt_i32 s13, 1
	s_cbranch_scc0 .LBB73_493
; %bb.489:
	s_cmp_eq_u32 s13, 2
	s_cbranch_scc0 .LBB73_549
; %bb.490:
	s_waitcnt vmcnt(0)
	v_cmp_le_i16_e64 s[10:11], v2, v3
	s_mov_b64 s[14:15], 0
	s_branch .LBB73_495
.LBB73_491:
	s_waitcnt vmcnt(0)
	v_cmp_lt_i16_e32 vcc, v4, v5
	s_andn2_b64 s[10:11], s[10:11], exec
	s_and_b64 s[14:15], vcc, exec
	s_or_b64 s[10:11], s[10:11], s[14:15]
	s_cbranch_execz .LBB73_484
	s_branch .LBB73_485
.LBB73_492:
                                        ; implicit-def: $sgpr10_sgpr11
	s_mov_b64 s[14:15], 0
	s_cbranch_execnz .LBB73_496
	s_branch .LBB73_497
.LBB73_493:
	s_mov_b64 s[14:15], 0
                                        ; implicit-def: $sgpr10_sgpr11
	s_cbranch_execz .LBB73_495
; %bb.494:
	s_waitcnt vmcnt(0)
	v_cmp_gt_i16_e32 vcc, v2, v3
	s_andn2_b64 s[10:11], s[10:11], exec
	s_and_b64 s[16:17], vcc, exec
	s_or_b64 s[10:11], s[10:11], s[16:17]
.LBB73_495:
	s_branch .LBB73_497
.LBB73_496:
	s_cmp_lg_u32 s13, 0
	s_mov_b64 s[6:7], -1
	s_cselect_b64 s[14:15], -1, 0
.LBB73_497:
	s_andn2_b64 vcc, exec, s[14:15]
	s_cbranch_vccz .LBB73_534
; %bb.498:
	s_andn2_b64 vcc, exec, s[6:7]
	s_cbranch_vccnz .LBB73_500
.LBB73_499:
	s_waitcnt vmcnt(0)
	v_cmp_ge_i16_e32 vcc, v2, v3
	s_andn2_b64 s[6:7], s[10:11], exec
	s_and_b64 s[10:11], vcc, exec
	s_or_b64 s[10:11], s[6:7], s[10:11]
.LBB73_500:
	v_cndmask_b32_e64 v4, 0, 1, s[10:11]
.LBB73_501:
	s_or_b64 exec, exec, s[4:5]
	s_and_saveexec_b64 s[4:5], s[0:1]
	s_xor_b64 s[0:1], exec, s[4:5]
	s_cbranch_execz .LBB73_503
; %bb.502:
	v_mov_b32_e32 v0, v7
	global_store_byte v1, v6, s[8:9]
.LBB73_503:
	s_or_b64 exec, exec, s[0:1]
	v_cmp_gt_i32_e32 vcc, s12, v0
	s_and_saveexec_b64 s[0:1], vcc
	s_cbranch_execnz .LBB73_520
; %bb.504:
	s_or_b64 exec, exec, s[0:1]
	v_cmp_gt_i32_e32 vcc, s12, v0
	s_and_saveexec_b64 s[0:1], vcc
	s_cbranch_execnz .LBB73_521
.LBB73_505:
	s_or_b64 exec, exec, s[0:1]
	v_cmp_gt_i32_e32 vcc, s12, v0
	s_and_saveexec_b64 s[0:1], vcc
	s_cbranch_execnz .LBB73_522
.LBB73_506:
	s_or_b64 exec, exec, s[0:1]
	v_cmp_gt_i32_e32 vcc, s12, v0
	s_and_saveexec_b64 s[0:1], vcc
	s_cbranch_execnz .LBB73_523
.LBB73_507:
	s_or_b64 exec, exec, s[0:1]
	v_cmp_gt_i32_e32 vcc, s12, v0
	s_and_saveexec_b64 s[0:1], vcc
	s_cbranch_execnz .LBB73_524
.LBB73_508:
	s_or_b64 exec, exec, s[0:1]
	v_cmp_gt_i32_e32 vcc, s12, v0
	s_and_saveexec_b64 s[0:1], vcc
	s_cbranch_execnz .LBB73_525
.LBB73_509:
	s_or_b64 exec, exec, s[0:1]
	v_cmp_gt_i32_e32 vcc, s12, v0
	s_and_saveexec_b64 s[0:1], vcc
	s_cbranch_execnz .LBB73_526
.LBB73_510:
	s_or_b64 exec, exec, s[0:1]
	v_cmp_gt_i32_e32 vcc, s12, v0
	s_and_saveexec_b64 s[0:1], vcc
	s_cbranch_execnz .LBB73_527
.LBB73_511:
	s_or_b64 exec, exec, s[0:1]
	v_cmp_gt_i32_e32 vcc, s12, v0
	s_and_saveexec_b64 s[0:1], vcc
	s_cbranch_execnz .LBB73_528
.LBB73_512:
	s_or_b64 exec, exec, s[0:1]
	v_cmp_gt_i32_e32 vcc, s12, v0
	s_and_saveexec_b64 s[0:1], vcc
	s_cbranch_execnz .LBB73_529
.LBB73_513:
	s_or_b64 exec, exec, s[0:1]
	v_cmp_gt_i32_e32 vcc, s12, v0
	s_and_saveexec_b64 s[0:1], vcc
	s_cbranch_execnz .LBB73_530
.LBB73_514:
	s_or_b64 exec, exec, s[0:1]
	v_cmp_gt_i32_e32 vcc, s12, v0
	s_and_saveexec_b64 s[0:1], vcc
	s_cbranch_execnz .LBB73_531
.LBB73_515:
	s_or_b64 exec, exec, s[0:1]
	v_cmp_gt_i32_e32 vcc, s12, v0
	s_and_saveexec_b64 s[0:1], vcc
	s_cbranch_execnz .LBB73_532
.LBB73_516:
	s_or_b64 exec, exec, s[0:1]
	v_cmp_gt_i32_e32 vcc, s12, v0
	s_and_saveexec_b64 s[0:1], vcc
	s_cbranch_execnz .LBB73_533
.LBB73_517:
	s_or_b64 exec, exec, s[0:1]
	v_cmp_gt_i32_e32 vcc, s12, v0
	s_and_saveexec_b64 s[0:1], vcc
	s_cbranch_execz .LBB73_519
.LBB73_518:
	v_add_u32_e32 v0, s2, v0
	global_store_byte v0, v4, s[8:9]
.LBB73_519:
	s_endpgm
.LBB73_520:
	v_add_u32_e32 v1, s2, v0
	v_add_u32_e32 v0, 0x100, v0
	s_waitcnt vmcnt(0)
	global_store_byte v1, v10, s[8:9]
	s_or_b64 exec, exec, s[0:1]
	v_cmp_gt_i32_e32 vcc, s12, v0
	s_and_saveexec_b64 s[0:1], vcc
	s_cbranch_execz .LBB73_505
.LBB73_521:
	v_add_u32_e32 v1, s2, v0
	v_add_u32_e32 v0, 0x100, v0
	global_store_byte v1, v14, s[8:9]
	s_or_b64 exec, exec, s[0:1]
	v_cmp_gt_i32_e32 vcc, s12, v0
	s_and_saveexec_b64 s[0:1], vcc
	s_cbranch_execz .LBB73_506
.LBB73_522:
	v_add_u32_e32 v1, s2, v0
	v_add_u32_e32 v0, 0x100, v0
	global_store_byte v1, v16, s[8:9]
	s_or_b64 exec, exec, s[0:1]
	v_cmp_gt_i32_e32 vcc, s12, v0
	s_and_saveexec_b64 s[0:1], vcc
	s_cbranch_execz .LBB73_507
.LBB73_523:
	v_add_u32_e32 v1, s2, v0
	v_add_u32_e32 v0, 0x100, v0
	global_store_byte v1, v21, s[8:9]
	s_or_b64 exec, exec, s[0:1]
	v_cmp_gt_i32_e32 vcc, s12, v0
	s_and_saveexec_b64 s[0:1], vcc
	s_cbranch_execz .LBB73_508
.LBB73_524:
	v_add_u32_e32 v1, s2, v0
	v_add_u32_e32 v0, 0x100, v0
	global_store_byte v1, v24, s[8:9]
	s_or_b64 exec, exec, s[0:1]
	v_cmp_gt_i32_e32 vcc, s12, v0
	s_and_saveexec_b64 s[0:1], vcc
	s_cbranch_execz .LBB73_509
.LBB73_525:
	v_add_u32_e32 v1, s2, v0
	v_add_u32_e32 v0, 0x100, v0
	global_store_byte v1, v27, s[8:9]
	s_or_b64 exec, exec, s[0:1]
	v_cmp_gt_i32_e32 vcc, s12, v0
	s_and_saveexec_b64 s[0:1], vcc
	s_cbranch_execz .LBB73_510
.LBB73_526:
	v_add_u32_e32 v1, s2, v0
	v_add_u32_e32 v0, 0x100, v0
	global_store_byte v1, v28, s[8:9]
	s_or_b64 exec, exec, s[0:1]
	v_cmp_gt_i32_e32 vcc, s12, v0
	s_and_saveexec_b64 s[0:1], vcc
	s_cbranch_execz .LBB73_511
.LBB73_527:
	v_add_u32_e32 v1, s2, v0
	v_add_u32_e32 v0, 0x100, v0
	global_store_byte v1, v25, s[8:9]
	s_or_b64 exec, exec, s[0:1]
	v_cmp_gt_i32_e32 vcc, s12, v0
	s_and_saveexec_b64 s[0:1], vcc
	s_cbranch_execz .LBB73_512
.LBB73_528:
	v_add_u32_e32 v1, s2, v0
	v_add_u32_e32 v0, 0x100, v0
	global_store_byte v1, v22, s[8:9]
	s_or_b64 exec, exec, s[0:1]
	v_cmp_gt_i32_e32 vcc, s12, v0
	s_and_saveexec_b64 s[0:1], vcc
	s_cbranch_execz .LBB73_513
.LBB73_529:
	v_add_u32_e32 v1, s2, v0
	v_add_u32_e32 v0, 0x100, v0
	global_store_byte v1, v19, s[8:9]
	s_or_b64 exec, exec, s[0:1]
	v_cmp_gt_i32_e32 vcc, s12, v0
	s_and_saveexec_b64 s[0:1], vcc
	s_cbranch_execz .LBB73_514
.LBB73_530:
	v_add_u32_e32 v1, s2, v0
	v_add_u32_e32 v0, 0x100, v0
	global_store_byte v1, v17, s[8:9]
	s_or_b64 exec, exec, s[0:1]
	v_cmp_gt_i32_e32 vcc, s12, v0
	s_and_saveexec_b64 s[0:1], vcc
	s_cbranch_execz .LBB73_515
.LBB73_531:
	v_add_u32_e32 v1, s2, v0
	v_add_u32_e32 v0, 0x100, v0
	global_store_byte v1, v13, s[8:9]
	s_or_b64 exec, exec, s[0:1]
	v_cmp_gt_i32_e32 vcc, s12, v0
	s_and_saveexec_b64 s[0:1], vcc
	s_cbranch_execz .LBB73_516
.LBB73_532:
	v_add_u32_e32 v1, s2, v0
	v_add_u32_e32 v0, 0x100, v0
	global_store_byte v1, v11, s[8:9]
	s_or_b64 exec, exec, s[0:1]
	v_cmp_gt_i32_e32 vcc, s12, v0
	s_and_saveexec_b64 s[0:1], vcc
	s_cbranch_execz .LBB73_517
.LBB73_533:
	v_add_u32_e32 v1, s2, v0
	v_add_u32_e32 v0, 0x100, v0
	global_store_byte v1, v8, s[8:9]
	s_or_b64 exec, exec, s[0:1]
	v_cmp_gt_i32_e32 vcc, s12, v0
	s_and_saveexec_b64 s[0:1], vcc
	s_cbranch_execnz .LBB73_518
	s_branch .LBB73_519
.LBB73_534:
	s_waitcnt vmcnt(0)
	v_cmp_lt_i16_e32 vcc, v2, v3
	s_andn2_b64 s[10:11], s[10:11], exec
	s_and_b64 s[14:15], vcc, exec
	s_or_b64 s[10:11], s[10:11], s[14:15]
	s_cbranch_execz .LBB73_499
	s_branch .LBB73_500
.LBB73_535:
	s_mov_b64 s[14:15], -1
                                        ; implicit-def: $sgpr10_sgpr11
	s_branch .LBB73_285
.LBB73_536:
	s_mov_b64 s[14:15], -1
                                        ; implicit-def: $sgpr10_sgpr11
	s_branch .LBB73_300
.LBB73_537:
	s_mov_b64 s[14:15], -1
                                        ; implicit-def: $sgpr10_sgpr11
	s_branch .LBB73_315
.LBB73_538:
	s_mov_b64 s[14:15], -1
                                        ; implicit-def: $sgpr10_sgpr11
	s_branch .LBB73_330
.LBB73_539:
	s_mov_b64 s[14:15], -1
                                        ; implicit-def: $sgpr10_sgpr11
	s_branch .LBB73_345
.LBB73_540:
	s_mov_b64 s[14:15], -1
                                        ; implicit-def: $sgpr10_sgpr11
	s_branch .LBB73_360
.LBB73_541:
	s_mov_b64 s[14:15], -1
                                        ; implicit-def: $sgpr10_sgpr11
	s_branch .LBB73_375
.LBB73_542:
	s_mov_b64 s[14:15], -1
                                        ; implicit-def: $sgpr10_sgpr11
	s_branch .LBB73_390
.LBB73_543:
	s_mov_b64 s[14:15], -1
                                        ; implicit-def: $sgpr10_sgpr11
	s_branch .LBB73_405
.LBB73_544:
	s_mov_b64 s[14:15], -1
                                        ; implicit-def: $sgpr10_sgpr11
	s_branch .LBB73_420
.LBB73_545:
	s_mov_b64 s[14:15], -1
                                        ; implicit-def: $sgpr10_sgpr11
	s_branch .LBB73_435
.LBB73_546:
	s_mov_b64 s[14:15], -1
                                        ; implicit-def: $sgpr10_sgpr11
	s_branch .LBB73_450
.LBB73_547:
	s_mov_b64 s[14:15], -1
                                        ; implicit-def: $sgpr10_sgpr11
	s_branch .LBB73_465
.LBB73_548:
	s_mov_b64 s[14:15], -1
                                        ; implicit-def: $sgpr10_sgpr11
	s_branch .LBB73_480
.LBB73_549:
	s_mov_b64 s[14:15], -1
                                        ; implicit-def: $sgpr10_sgpr11
	s_branch .LBB73_495
	.section	.rodata,"a",@progbits
	.p2align	6, 0x0
	.amdhsa_kernel _ZN2at6native29vectorized_elementwise_kernelILi8ENS0_12_GLOBAL__N_114CompareFunctorIsEESt5arrayIPcLm3EEEEviT0_T1_
		.amdhsa_group_segment_fixed_size 0
		.amdhsa_private_segment_fixed_size 0
		.amdhsa_kernarg_size 32
		.amdhsa_user_sgpr_count 6
		.amdhsa_user_sgpr_private_segment_buffer 1
		.amdhsa_user_sgpr_dispatch_ptr 0
		.amdhsa_user_sgpr_queue_ptr 0
		.amdhsa_user_sgpr_kernarg_segment_ptr 1
		.amdhsa_user_sgpr_dispatch_id 0
		.amdhsa_user_sgpr_flat_scratch_init 0
		.amdhsa_user_sgpr_private_segment_size 0
		.amdhsa_uses_dynamic_stack 0
		.amdhsa_system_sgpr_private_segment_wavefront_offset 0
		.amdhsa_system_sgpr_workgroup_id_x 1
		.amdhsa_system_sgpr_workgroup_id_y 0
		.amdhsa_system_sgpr_workgroup_id_z 0
		.amdhsa_system_sgpr_workgroup_info 0
		.amdhsa_system_vgpr_workitem_id 0
		.amdhsa_next_free_vgpr 39
		.amdhsa_next_free_sgpr 50
		.amdhsa_reserve_vcc 1
		.amdhsa_reserve_flat_scratch 0
		.amdhsa_float_round_mode_32 0
		.amdhsa_float_round_mode_16_64 0
		.amdhsa_float_denorm_mode_32 3
		.amdhsa_float_denorm_mode_16_64 3
		.amdhsa_dx10_clamp 1
		.amdhsa_ieee_mode 1
		.amdhsa_fp16_overflow 0
		.amdhsa_exception_fp_ieee_invalid_op 0
		.amdhsa_exception_fp_denorm_src 0
		.amdhsa_exception_fp_ieee_div_zero 0
		.amdhsa_exception_fp_ieee_overflow 0
		.amdhsa_exception_fp_ieee_underflow 0
		.amdhsa_exception_fp_ieee_inexact 0
		.amdhsa_exception_int_div_zero 0
	.end_amdhsa_kernel
	.section	.text._ZN2at6native29vectorized_elementwise_kernelILi8ENS0_12_GLOBAL__N_114CompareFunctorIsEESt5arrayIPcLm3EEEEviT0_T1_,"axG",@progbits,_ZN2at6native29vectorized_elementwise_kernelILi8ENS0_12_GLOBAL__N_114CompareFunctorIsEESt5arrayIPcLm3EEEEviT0_T1_,comdat
.Lfunc_end73:
	.size	_ZN2at6native29vectorized_elementwise_kernelILi8ENS0_12_GLOBAL__N_114CompareFunctorIsEESt5arrayIPcLm3EEEEviT0_T1_, .Lfunc_end73-_ZN2at6native29vectorized_elementwise_kernelILi8ENS0_12_GLOBAL__N_114CompareFunctorIsEESt5arrayIPcLm3EEEEviT0_T1_
                                        ; -- End function
	.set _ZN2at6native29vectorized_elementwise_kernelILi8ENS0_12_GLOBAL__N_114CompareFunctorIsEESt5arrayIPcLm3EEEEviT0_T1_.num_vgpr, 39
	.set _ZN2at6native29vectorized_elementwise_kernelILi8ENS0_12_GLOBAL__N_114CompareFunctorIsEESt5arrayIPcLm3EEEEviT0_T1_.num_agpr, 0
	.set _ZN2at6native29vectorized_elementwise_kernelILi8ENS0_12_GLOBAL__N_114CompareFunctorIsEESt5arrayIPcLm3EEEEviT0_T1_.numbered_sgpr, 50
	.set _ZN2at6native29vectorized_elementwise_kernelILi8ENS0_12_GLOBAL__N_114CompareFunctorIsEESt5arrayIPcLm3EEEEviT0_T1_.num_named_barrier, 0
	.set _ZN2at6native29vectorized_elementwise_kernelILi8ENS0_12_GLOBAL__N_114CompareFunctorIsEESt5arrayIPcLm3EEEEviT0_T1_.private_seg_size, 0
	.set _ZN2at6native29vectorized_elementwise_kernelILi8ENS0_12_GLOBAL__N_114CompareFunctorIsEESt5arrayIPcLm3EEEEviT0_T1_.uses_vcc, 1
	.set _ZN2at6native29vectorized_elementwise_kernelILi8ENS0_12_GLOBAL__N_114CompareFunctorIsEESt5arrayIPcLm3EEEEviT0_T1_.uses_flat_scratch, 0
	.set _ZN2at6native29vectorized_elementwise_kernelILi8ENS0_12_GLOBAL__N_114CompareFunctorIsEESt5arrayIPcLm3EEEEviT0_T1_.has_dyn_sized_stack, 0
	.set _ZN2at6native29vectorized_elementwise_kernelILi8ENS0_12_GLOBAL__N_114CompareFunctorIsEESt5arrayIPcLm3EEEEviT0_T1_.has_recursion, 0
	.set _ZN2at6native29vectorized_elementwise_kernelILi8ENS0_12_GLOBAL__N_114CompareFunctorIsEESt5arrayIPcLm3EEEEviT0_T1_.has_indirect_call, 0
	.section	.AMDGPU.csdata,"",@progbits
; Kernel info:
; codeLenInByte = 9020
; TotalNumSgprs: 54
; NumVgprs: 39
; ScratchSize: 0
; MemoryBound: 0
; FloatMode: 240
; IeeeMode: 1
; LDSByteSize: 0 bytes/workgroup (compile time only)
; SGPRBlocks: 6
; VGPRBlocks: 9
; NumSGPRsForWavesPerEU: 54
; NumVGPRsForWavesPerEU: 39
; Occupancy: 6
; WaveLimiterHint : 1
; COMPUTE_PGM_RSRC2:SCRATCH_EN: 0
; COMPUTE_PGM_RSRC2:USER_SGPR: 6
; COMPUTE_PGM_RSRC2:TRAP_HANDLER: 0
; COMPUTE_PGM_RSRC2:TGID_X_EN: 1
; COMPUTE_PGM_RSRC2:TGID_Y_EN: 0
; COMPUTE_PGM_RSRC2:TGID_Z_EN: 0
; COMPUTE_PGM_RSRC2:TIDIG_COMP_CNT: 0
	.section	.text._ZN2at6native29vectorized_elementwise_kernelILi4ENS0_12_GLOBAL__N_114CompareFunctorIsEESt5arrayIPcLm3EEEEviT0_T1_,"axG",@progbits,_ZN2at6native29vectorized_elementwise_kernelILi4ENS0_12_GLOBAL__N_114CompareFunctorIsEESt5arrayIPcLm3EEEEviT0_T1_,comdat
	.globl	_ZN2at6native29vectorized_elementwise_kernelILi4ENS0_12_GLOBAL__N_114CompareFunctorIsEESt5arrayIPcLm3EEEEviT0_T1_ ; -- Begin function _ZN2at6native29vectorized_elementwise_kernelILi4ENS0_12_GLOBAL__N_114CompareFunctorIsEESt5arrayIPcLm3EEEEviT0_T1_
	.p2align	8
	.type	_ZN2at6native29vectorized_elementwise_kernelILi4ENS0_12_GLOBAL__N_114CompareFunctorIsEESt5arrayIPcLm3EEEEviT0_T1_,@function
_ZN2at6native29vectorized_elementwise_kernelILi4ENS0_12_GLOBAL__N_114CompareFunctorIsEESt5arrayIPcLm3EEEEviT0_T1_: ; @_ZN2at6native29vectorized_elementwise_kernelILi4ENS0_12_GLOBAL__N_114CompareFunctorIsEESt5arrayIPcLm3EEEEviT0_T1_
; %bb.0:
	s_load_dwordx2 s[12:13], s[4:5], 0x0
	s_load_dwordx4 s[8:11], s[4:5], 0x8
	s_load_dwordx2 s[14:15], s[4:5], 0x18
	s_lshl_b32 s2, s6, 12
	s_mov_b64 s[0:1], -1
	s_waitcnt lgkmcnt(0)
	s_sub_i32 s12, s12, s2
	s_cmpk_gt_i32 s12, 0xfff
	s_cbranch_scc0 .LBB74_211
; %bb.1:
	s_ashr_i32 s3, s2, 31
	s_lshl_b64 s[0:1], s[2:3], 1
	s_add_u32 s4, s10, s0
	s_addc_u32 s5, s11, s1
	v_lshlrev_b32_e32 v7, 3, v0
	v_mov_b32_e32 v1, s5
	v_add_co_u32_e32 v2, vcc, s4, v7
	v_addc_co_u32_e32 v1, vcc, 0, v1, vcc
	v_add_co_u32_e32 v3, vcc, 0x1000, v2
	s_add_u32 s0, s14, s0
	v_addc_co_u32_e32 v4, vcc, 0, v1, vcc
	s_addc_u32 s1, s15, s1
	global_load_dwordx2 v[5:6], v[3:4], off
	global_load_dwordx2 v[1:2], v[3:4], off offset:2048
	v_mov_b32_e32 v3, s1
	v_add_co_u32_e32 v4, vcc, s0, v7
	v_addc_co_u32_e32 v3, vcc, 0, v3, vcc
	global_load_dwordx2 v[13:14], v7, s[4:5]
	global_load_dwordx2 v[9:10], v7, s[4:5] offset:2048
	global_load_dwordx2 v[15:16], v7, s[0:1]
	global_load_dwordx2 v[11:12], v7, s[0:1] offset:2048
	v_add_co_u32_e32 v17, vcc, 0x1000, v4
	v_addc_co_u32_e32 v18, vcc, 0, v3, vcc
	global_load_dwordx2 v[7:8], v[17:18], off
	global_load_dwordx2 v[3:4], v[17:18], off offset:2048
	s_cmp_lt_i32 s13, 1
	s_mov_b64 s[4:5], 0
	s_cbranch_scc1 .LBB74_5
; %bb.2:
	s_cmp_gt_i32 s13, 1
	s_cbranch_scc0 .LBB74_6
; %bb.3:
	s_cmp_eq_u32 s13, 2
	s_cbranch_scc0 .LBB74_7
; %bb.4:
	s_waitcnt vmcnt(3)
	v_cmp_le_i16_e64 s[0:1], v13, v15
	s_mov_b64 s[6:7], 0
	s_branch .LBB74_8
.LBB74_5:
                                        ; implicit-def: $sgpr0_sgpr1
	s_mov_b64 s[6:7], 0
	s_cbranch_execnz .LBB74_11
	s_branch .LBB74_12
.LBB74_6:
	s_mov_b64 s[6:7], 0
                                        ; implicit-def: $sgpr0_sgpr1
	s_cbranch_execnz .LBB74_9
	s_branch .LBB74_10
.LBB74_7:
	s_mov_b64 s[6:7], -1
                                        ; implicit-def: $sgpr0_sgpr1
.LBB74_8:
	s_branch .LBB74_10
.LBB74_9:
	s_waitcnt vmcnt(3)
	v_cmp_gt_i16_e32 vcc, v13, v15
	s_andn2_b64 s[0:1], s[0:1], exec
	s_and_b64 s[16:17], vcc, exec
	s_or_b64 s[0:1], s[0:1], s[16:17]
.LBB74_10:
	s_branch .LBB74_12
.LBB74_11:
	s_cmp_lg_u32 s13, 0
	s_mov_b64 s[4:5], -1
	s_cselect_b64 s[6:7], -1, 0
.LBB74_12:
	s_andn2_b64 vcc, exec, s[6:7]
	s_cbranch_vccz .LBB74_18
; %bb.13:
	s_andn2_b64 vcc, exec, s[4:5]
	s_cbranch_vccz .LBB74_19
.LBB74_14:
	s_cmp_lt_i32 s13, 1
	s_mov_b64 s[6:7], 0
	s_cbranch_scc1 .LBB74_20
.LBB74_15:
	s_cmp_gt_i32 s13, 1
	s_cbranch_scc0 .LBB74_21
; %bb.16:
	s_cmp_eq_u32 s13, 2
	s_cbranch_scc0 .LBB74_251
; %bb.17:
	s_waitcnt vmcnt(3)
	v_cmp_le_i16_sdwa s[4:5], v13, v15 src0_sel:WORD_1 src1_sel:WORD_1
	s_mov_b64 s[16:17], 0
	s_branch .LBB74_23
.LBB74_18:
	s_waitcnt vmcnt(3)
	v_cmp_lt_i16_e32 vcc, v13, v15
	s_andn2_b64 s[0:1], s[0:1], exec
	s_and_b64 s[6:7], vcc, exec
	s_or_b64 s[0:1], s[0:1], s[6:7]
	s_cbranch_execnz .LBB74_14
.LBB74_19:
	s_waitcnt vmcnt(3)
	v_cmp_ge_i16_e32 vcc, v13, v15
	s_andn2_b64 s[0:1], s[0:1], exec
	s_and_b64 s[4:5], vcc, exec
	s_or_b64 s[0:1], s[0:1], s[4:5]
	s_cmp_lt_i32 s13, 1
	s_mov_b64 s[6:7], 0
	s_cbranch_scc0 .LBB74_15
.LBB74_20:
                                        ; implicit-def: $sgpr4_sgpr5
	s_mov_b64 s[16:17], 0
	s_cbranch_execnz .LBB74_24
	s_branch .LBB74_25
.LBB74_21:
	s_mov_b64 s[16:17], 0
                                        ; implicit-def: $sgpr4_sgpr5
	s_cbranch_execz .LBB74_23
; %bb.22:
	s_waitcnt vmcnt(3)
	v_cmp_gt_i16_sdwa s[18:19], v13, v15 src0_sel:WORD_1 src1_sel:WORD_1
	s_andn2_b64 s[4:5], s[4:5], exec
	s_and_b64 s[18:19], s[18:19], exec
	s_or_b64 s[4:5], s[4:5], s[18:19]
.LBB74_23:
	s_branch .LBB74_25
.LBB74_24:
	s_cmp_lg_u32 s13, 0
	s_mov_b64 s[6:7], -1
	s_cselect_b64 s[16:17], -1, 0
.LBB74_25:
	s_andn2_b64 vcc, exec, s[16:17]
	s_cbranch_vccz .LBB74_31
; %bb.26:
	s_andn2_b64 vcc, exec, s[6:7]
	s_cbranch_vccz .LBB74_32
.LBB74_27:
	s_cmp_lt_i32 s13, 1
	s_mov_b64 s[16:17], 0
	s_cbranch_scc1 .LBB74_33
.LBB74_28:
	s_cmp_gt_i32 s13, 1
	s_cbranch_scc0 .LBB74_34
; %bb.29:
	s_cmp_eq_u32 s13, 2
	s_cbranch_scc0 .LBB74_252
; %bb.30:
	s_waitcnt vmcnt(3)
	v_cmp_le_i16_e64 s[6:7], v14, v16
	s_mov_b64 s[18:19], 0
	s_branch .LBB74_36
.LBB74_31:
	s_waitcnt vmcnt(3)
	v_cmp_lt_i16_sdwa s[16:17], v13, v15 src0_sel:WORD_1 src1_sel:WORD_1
	s_andn2_b64 s[4:5], s[4:5], exec
	s_and_b64 s[16:17], s[16:17], exec
	s_or_b64 s[4:5], s[4:5], s[16:17]
	s_cbranch_execnz .LBB74_27
.LBB74_32:
	s_waitcnt vmcnt(3)
	v_cmp_ge_i16_sdwa s[6:7], v13, v15 src0_sel:WORD_1 src1_sel:WORD_1
	s_andn2_b64 s[4:5], s[4:5], exec
	s_and_b64 s[6:7], s[6:7], exec
	s_or_b64 s[4:5], s[4:5], s[6:7]
	s_cmp_lt_i32 s13, 1
	s_mov_b64 s[16:17], 0
	s_cbranch_scc0 .LBB74_28
.LBB74_33:
                                        ; implicit-def: $sgpr6_sgpr7
	s_mov_b64 s[18:19], 0
	s_cbranch_execnz .LBB74_37
	s_branch .LBB74_38
.LBB74_34:
	s_mov_b64 s[18:19], 0
                                        ; implicit-def: $sgpr6_sgpr7
	s_cbranch_execz .LBB74_36
; %bb.35:
	s_waitcnt vmcnt(3)
	v_cmp_gt_i16_e32 vcc, v14, v16
	s_andn2_b64 s[6:7], s[6:7], exec
	s_and_b64 s[20:21], vcc, exec
	s_or_b64 s[6:7], s[6:7], s[20:21]
.LBB74_36:
	s_branch .LBB74_38
.LBB74_37:
	s_cmp_lg_u32 s13, 0
	s_mov_b64 s[16:17], -1
	s_cselect_b64 s[18:19], -1, 0
.LBB74_38:
	s_andn2_b64 vcc, exec, s[18:19]
	s_cbranch_vccz .LBB74_44
; %bb.39:
	s_andn2_b64 vcc, exec, s[16:17]
	s_cbranch_vccz .LBB74_45
.LBB74_40:
	s_cmp_lt_i32 s13, 1
	s_mov_b64 s[18:19], 0
	s_cbranch_scc1 .LBB74_46
.LBB74_41:
	s_cmp_gt_i32 s13, 1
	s_cbranch_scc0 .LBB74_47
; %bb.42:
	s_cmp_eq_u32 s13, 2
	s_cbranch_scc0 .LBB74_253
; %bb.43:
	s_waitcnt vmcnt(3)
	v_cmp_le_i16_sdwa s[16:17], v14, v16 src0_sel:WORD_1 src1_sel:WORD_1
	s_mov_b64 s[20:21], 0
	s_branch .LBB74_49
.LBB74_44:
	s_waitcnt vmcnt(3)
	v_cmp_lt_i16_e32 vcc, v14, v16
	s_andn2_b64 s[6:7], s[6:7], exec
	s_and_b64 s[18:19], vcc, exec
	s_or_b64 s[6:7], s[6:7], s[18:19]
	s_cbranch_execnz .LBB74_40
.LBB74_45:
	s_waitcnt vmcnt(3)
	v_cmp_ge_i16_e32 vcc, v14, v16
	s_andn2_b64 s[6:7], s[6:7], exec
	s_and_b64 s[16:17], vcc, exec
	s_or_b64 s[6:7], s[6:7], s[16:17]
	s_cmp_lt_i32 s13, 1
	s_mov_b64 s[18:19], 0
	s_cbranch_scc0 .LBB74_41
.LBB74_46:
                                        ; implicit-def: $sgpr16_sgpr17
	s_mov_b64 s[20:21], 0
	s_cbranch_execnz .LBB74_50
	s_branch .LBB74_51
.LBB74_47:
	s_mov_b64 s[20:21], 0
                                        ; implicit-def: $sgpr16_sgpr17
	s_cbranch_execz .LBB74_49
; %bb.48:
	s_waitcnt vmcnt(3)
	v_cmp_gt_i16_sdwa s[22:23], v14, v16 src0_sel:WORD_1 src1_sel:WORD_1
	s_andn2_b64 s[16:17], s[16:17], exec
	s_and_b64 s[22:23], s[22:23], exec
	s_or_b64 s[16:17], s[16:17], s[22:23]
.LBB74_49:
	s_branch .LBB74_51
.LBB74_50:
	s_cmp_lg_u32 s13, 0
	s_mov_b64 s[18:19], -1
	s_cselect_b64 s[20:21], -1, 0
.LBB74_51:
	s_andn2_b64 vcc, exec, s[20:21]
	s_cbranch_vccz .LBB74_57
; %bb.52:
	s_andn2_b64 vcc, exec, s[18:19]
	s_cbranch_vccz .LBB74_58
.LBB74_53:
	s_cmp_lt_i32 s13, 1
	s_mov_b64 s[20:21], 0
	s_cbranch_scc1 .LBB74_59
.LBB74_54:
	s_cmp_gt_i32 s13, 1
	s_cbranch_scc0 .LBB74_60
; %bb.55:
	s_cmp_eq_u32 s13, 2
	s_cbranch_scc0 .LBB74_254
; %bb.56:
	s_waitcnt vmcnt(2)
	v_cmp_le_i16_e64 s[18:19], v9, v11
	s_mov_b64 s[22:23], 0
	s_branch .LBB74_62
.LBB74_57:
	s_waitcnt vmcnt(3)
	v_cmp_lt_i16_sdwa s[20:21], v14, v16 src0_sel:WORD_1 src1_sel:WORD_1
	s_andn2_b64 s[16:17], s[16:17], exec
	s_and_b64 s[20:21], s[20:21], exec
	s_or_b64 s[16:17], s[16:17], s[20:21]
	s_cbranch_execnz .LBB74_53
.LBB74_58:
	s_waitcnt vmcnt(3)
	v_cmp_ge_i16_sdwa s[18:19], v14, v16 src0_sel:WORD_1 src1_sel:WORD_1
	s_andn2_b64 s[16:17], s[16:17], exec
	s_and_b64 s[18:19], s[18:19], exec
	s_or_b64 s[16:17], s[16:17], s[18:19]
	s_cmp_lt_i32 s13, 1
	s_mov_b64 s[20:21], 0
	s_cbranch_scc0 .LBB74_54
.LBB74_59:
                                        ; implicit-def: $sgpr18_sgpr19
	s_mov_b64 s[22:23], 0
	s_cbranch_execnz .LBB74_63
	s_branch .LBB74_64
.LBB74_60:
	s_mov_b64 s[22:23], 0
                                        ; implicit-def: $sgpr18_sgpr19
	s_cbranch_execz .LBB74_62
; %bb.61:
	s_waitcnt vmcnt(2)
	v_cmp_gt_i16_e32 vcc, v9, v11
	s_andn2_b64 s[18:19], s[18:19], exec
	s_and_b64 s[24:25], vcc, exec
	s_or_b64 s[18:19], s[18:19], s[24:25]
.LBB74_62:
	s_branch .LBB74_64
.LBB74_63:
	s_cmp_lg_u32 s13, 0
	s_mov_b64 s[20:21], -1
	s_cselect_b64 s[22:23], -1, 0
.LBB74_64:
	s_andn2_b64 vcc, exec, s[22:23]
	s_cbranch_vccz .LBB74_70
; %bb.65:
	s_andn2_b64 vcc, exec, s[20:21]
	s_cbranch_vccz .LBB74_71
.LBB74_66:
	s_cmp_lt_i32 s13, 1
	s_mov_b64 s[22:23], 0
	s_cbranch_scc1 .LBB74_72
.LBB74_67:
	s_cmp_gt_i32 s13, 1
	s_cbranch_scc0 .LBB74_73
; %bb.68:
	s_cmp_eq_u32 s13, 2
	s_cbranch_scc0 .LBB74_255
; %bb.69:
	s_waitcnt vmcnt(2)
	v_cmp_le_i16_sdwa s[20:21], v9, v11 src0_sel:WORD_1 src1_sel:WORD_1
	s_mov_b64 s[24:25], 0
	s_branch .LBB74_75
.LBB74_70:
	s_waitcnt vmcnt(2)
	v_cmp_lt_i16_e32 vcc, v9, v11
	s_andn2_b64 s[18:19], s[18:19], exec
	s_and_b64 s[22:23], vcc, exec
	s_or_b64 s[18:19], s[18:19], s[22:23]
	s_cbranch_execnz .LBB74_66
.LBB74_71:
	s_waitcnt vmcnt(2)
	v_cmp_ge_i16_e32 vcc, v9, v11
	s_andn2_b64 s[18:19], s[18:19], exec
	s_and_b64 s[20:21], vcc, exec
	s_or_b64 s[18:19], s[18:19], s[20:21]
	s_cmp_lt_i32 s13, 1
	s_mov_b64 s[22:23], 0
	s_cbranch_scc0 .LBB74_67
.LBB74_72:
                                        ; implicit-def: $sgpr20_sgpr21
	s_mov_b64 s[24:25], 0
	s_cbranch_execnz .LBB74_76
	s_branch .LBB74_77
.LBB74_73:
	s_mov_b64 s[24:25], 0
                                        ; implicit-def: $sgpr20_sgpr21
	s_cbranch_execz .LBB74_75
; %bb.74:
	s_waitcnt vmcnt(2)
	v_cmp_gt_i16_sdwa s[26:27], v9, v11 src0_sel:WORD_1 src1_sel:WORD_1
	s_andn2_b64 s[20:21], s[20:21], exec
	s_and_b64 s[26:27], s[26:27], exec
	s_or_b64 s[20:21], s[20:21], s[26:27]
.LBB74_75:
	s_branch .LBB74_77
.LBB74_76:
	s_cmp_lg_u32 s13, 0
	s_mov_b64 s[22:23], -1
	s_cselect_b64 s[24:25], -1, 0
.LBB74_77:
	s_andn2_b64 vcc, exec, s[24:25]
	s_cbranch_vccz .LBB74_83
; %bb.78:
	s_andn2_b64 vcc, exec, s[22:23]
	s_cbranch_vccz .LBB74_84
.LBB74_79:
	s_cmp_lt_i32 s13, 1
	s_mov_b64 s[24:25], 0
	s_cbranch_scc1 .LBB74_85
.LBB74_80:
	s_cmp_gt_i32 s13, 1
	s_cbranch_scc0 .LBB74_86
; %bb.81:
	s_cmp_eq_u32 s13, 2
	s_cbranch_scc0 .LBB74_256
; %bb.82:
	s_waitcnt vmcnt(2)
	v_cmp_le_i16_e64 s[22:23], v10, v12
	s_mov_b64 s[26:27], 0
	s_branch .LBB74_88
.LBB74_83:
	s_waitcnt vmcnt(2)
	v_cmp_lt_i16_sdwa s[24:25], v9, v11 src0_sel:WORD_1 src1_sel:WORD_1
	s_andn2_b64 s[20:21], s[20:21], exec
	s_and_b64 s[24:25], s[24:25], exec
	s_or_b64 s[20:21], s[20:21], s[24:25]
	s_cbranch_execnz .LBB74_79
.LBB74_84:
	s_waitcnt vmcnt(2)
	v_cmp_ge_i16_sdwa s[22:23], v9, v11 src0_sel:WORD_1 src1_sel:WORD_1
	s_andn2_b64 s[20:21], s[20:21], exec
	s_and_b64 s[22:23], s[22:23], exec
	s_or_b64 s[20:21], s[20:21], s[22:23]
	s_cmp_lt_i32 s13, 1
	s_mov_b64 s[24:25], 0
	s_cbranch_scc0 .LBB74_80
.LBB74_85:
                                        ; implicit-def: $sgpr22_sgpr23
	s_mov_b64 s[26:27], 0
	s_cbranch_execnz .LBB74_89
	s_branch .LBB74_90
.LBB74_86:
	s_mov_b64 s[26:27], 0
                                        ; implicit-def: $sgpr22_sgpr23
	s_cbranch_execz .LBB74_88
; %bb.87:
	s_waitcnt vmcnt(2)
	v_cmp_gt_i16_e32 vcc, v10, v12
	s_andn2_b64 s[22:23], s[22:23], exec
	s_and_b64 s[28:29], vcc, exec
	s_or_b64 s[22:23], s[22:23], s[28:29]
.LBB74_88:
	s_branch .LBB74_90
.LBB74_89:
	s_cmp_lg_u32 s13, 0
	s_mov_b64 s[24:25], -1
	s_cselect_b64 s[26:27], -1, 0
.LBB74_90:
	s_andn2_b64 vcc, exec, s[26:27]
	s_cbranch_vccz .LBB74_96
; %bb.91:
	s_andn2_b64 vcc, exec, s[24:25]
	s_cbranch_vccz .LBB74_97
.LBB74_92:
	s_cmp_lt_i32 s13, 1
	s_mov_b64 s[26:27], 0
	s_cbranch_scc1 .LBB74_98
.LBB74_93:
	s_cmp_gt_i32 s13, 1
	s_cbranch_scc0 .LBB74_99
; %bb.94:
	s_cmp_eq_u32 s13, 2
	s_cbranch_scc0 .LBB74_257
; %bb.95:
	s_waitcnt vmcnt(2)
	v_cmp_le_i16_sdwa s[24:25], v10, v12 src0_sel:WORD_1 src1_sel:WORD_1
	s_mov_b64 s[28:29], 0
	s_branch .LBB74_101
.LBB74_96:
	s_waitcnt vmcnt(2)
	v_cmp_lt_i16_e32 vcc, v10, v12
	s_andn2_b64 s[22:23], s[22:23], exec
	s_and_b64 s[26:27], vcc, exec
	s_or_b64 s[22:23], s[22:23], s[26:27]
	s_cbranch_execnz .LBB74_92
.LBB74_97:
	s_waitcnt vmcnt(2)
	v_cmp_ge_i16_e32 vcc, v10, v12
	s_andn2_b64 s[22:23], s[22:23], exec
	s_and_b64 s[24:25], vcc, exec
	s_or_b64 s[22:23], s[22:23], s[24:25]
	s_cmp_lt_i32 s13, 1
	s_mov_b64 s[26:27], 0
	s_cbranch_scc0 .LBB74_93
.LBB74_98:
                                        ; implicit-def: $sgpr24_sgpr25
	s_mov_b64 s[28:29], 0
	s_cbranch_execnz .LBB74_102
	s_branch .LBB74_103
.LBB74_99:
	s_mov_b64 s[28:29], 0
                                        ; implicit-def: $sgpr24_sgpr25
	s_cbranch_execz .LBB74_101
; %bb.100:
	s_waitcnt vmcnt(2)
	v_cmp_gt_i16_sdwa s[30:31], v10, v12 src0_sel:WORD_1 src1_sel:WORD_1
	s_andn2_b64 s[24:25], s[24:25], exec
	s_and_b64 s[30:31], s[30:31], exec
	s_or_b64 s[24:25], s[24:25], s[30:31]
.LBB74_101:
	s_branch .LBB74_103
.LBB74_102:
	s_cmp_lg_u32 s13, 0
	s_mov_b64 s[26:27], -1
	s_cselect_b64 s[28:29], -1, 0
.LBB74_103:
	s_andn2_b64 vcc, exec, s[28:29]
	s_cbranch_vccz .LBB74_109
; %bb.104:
	s_andn2_b64 vcc, exec, s[26:27]
	s_cbranch_vccz .LBB74_110
.LBB74_105:
	s_cmp_lt_i32 s13, 1
	s_mov_b64 s[28:29], 0
	s_cbranch_scc1 .LBB74_111
.LBB74_106:
	s_cmp_gt_i32 s13, 1
	s_cbranch_scc0 .LBB74_112
; %bb.107:
	s_cmp_eq_u32 s13, 2
	s_cbranch_scc0 .LBB74_258
; %bb.108:
	s_waitcnt vmcnt(1)
	v_cmp_le_i16_e64 s[26:27], v5, v7
	s_mov_b64 s[30:31], 0
	s_branch .LBB74_114
.LBB74_109:
	s_waitcnt vmcnt(2)
	v_cmp_lt_i16_sdwa s[28:29], v10, v12 src0_sel:WORD_1 src1_sel:WORD_1
	s_andn2_b64 s[24:25], s[24:25], exec
	s_and_b64 s[28:29], s[28:29], exec
	s_or_b64 s[24:25], s[24:25], s[28:29]
	s_cbranch_execnz .LBB74_105
.LBB74_110:
	s_waitcnt vmcnt(2)
	v_cmp_ge_i16_sdwa s[26:27], v10, v12 src0_sel:WORD_1 src1_sel:WORD_1
	s_andn2_b64 s[24:25], s[24:25], exec
	s_and_b64 s[26:27], s[26:27], exec
	s_or_b64 s[24:25], s[24:25], s[26:27]
	s_cmp_lt_i32 s13, 1
	s_mov_b64 s[28:29], 0
	s_cbranch_scc0 .LBB74_106
.LBB74_111:
                                        ; implicit-def: $sgpr26_sgpr27
	s_mov_b64 s[30:31], 0
	s_cbranch_execnz .LBB74_115
	s_branch .LBB74_116
.LBB74_112:
	s_mov_b64 s[30:31], 0
                                        ; implicit-def: $sgpr26_sgpr27
	s_cbranch_execz .LBB74_114
; %bb.113:
	s_waitcnt vmcnt(1)
	v_cmp_gt_i16_e32 vcc, v5, v7
	s_andn2_b64 s[26:27], s[26:27], exec
	s_and_b64 s[34:35], vcc, exec
	s_or_b64 s[26:27], s[26:27], s[34:35]
.LBB74_114:
	s_branch .LBB74_116
.LBB74_115:
	s_cmp_lg_u32 s13, 0
	s_mov_b64 s[28:29], -1
	s_cselect_b64 s[30:31], -1, 0
.LBB74_116:
	s_andn2_b64 vcc, exec, s[30:31]
	s_cbranch_vccz .LBB74_122
; %bb.117:
	s_andn2_b64 vcc, exec, s[28:29]
	s_cbranch_vccz .LBB74_123
.LBB74_118:
	s_cmp_lt_i32 s13, 1
	s_mov_b64 s[30:31], 0
	s_cbranch_scc1 .LBB74_124
.LBB74_119:
	s_cmp_gt_i32 s13, 1
	s_cbranch_scc0 .LBB74_125
; %bb.120:
	s_cmp_eq_u32 s13, 2
	s_cbranch_scc0 .LBB74_259
; %bb.121:
	s_waitcnt vmcnt(1)
	v_cmp_le_i16_sdwa s[28:29], v5, v7 src0_sel:WORD_1 src1_sel:WORD_1
	s_mov_b64 s[34:35], 0
	s_branch .LBB74_127
.LBB74_122:
	s_waitcnt vmcnt(1)
	v_cmp_lt_i16_e32 vcc, v5, v7
	s_andn2_b64 s[26:27], s[26:27], exec
	s_and_b64 s[30:31], vcc, exec
	s_or_b64 s[26:27], s[26:27], s[30:31]
	s_cbranch_execnz .LBB74_118
.LBB74_123:
	s_waitcnt vmcnt(1)
	v_cmp_ge_i16_e32 vcc, v5, v7
	s_andn2_b64 s[26:27], s[26:27], exec
	s_and_b64 s[28:29], vcc, exec
	s_or_b64 s[26:27], s[26:27], s[28:29]
	s_cmp_lt_i32 s13, 1
	s_mov_b64 s[30:31], 0
	s_cbranch_scc0 .LBB74_119
.LBB74_124:
                                        ; implicit-def: $sgpr28_sgpr29
	s_mov_b64 s[34:35], 0
	s_cbranch_execnz .LBB74_128
	s_branch .LBB74_129
.LBB74_125:
	s_mov_b64 s[34:35], 0
                                        ; implicit-def: $sgpr28_sgpr29
	s_cbranch_execz .LBB74_127
; %bb.126:
	s_waitcnt vmcnt(1)
	v_cmp_gt_i16_sdwa s[36:37], v5, v7 src0_sel:WORD_1 src1_sel:WORD_1
	s_andn2_b64 s[28:29], s[28:29], exec
	s_and_b64 s[36:37], s[36:37], exec
	s_or_b64 s[28:29], s[28:29], s[36:37]
.LBB74_127:
	s_branch .LBB74_129
.LBB74_128:
	s_cmp_lg_u32 s13, 0
	s_mov_b64 s[30:31], -1
	s_cselect_b64 s[34:35], -1, 0
.LBB74_129:
	s_andn2_b64 vcc, exec, s[34:35]
	s_cbranch_vccz .LBB74_135
; %bb.130:
	s_andn2_b64 vcc, exec, s[30:31]
	s_cbranch_vccz .LBB74_136
.LBB74_131:
	s_cmp_lt_i32 s13, 1
	s_mov_b64 s[34:35], 0
	s_cbranch_scc1 .LBB74_137
.LBB74_132:
	s_cmp_gt_i32 s13, 1
	s_cbranch_scc0 .LBB74_138
; %bb.133:
	s_cmp_eq_u32 s13, 2
	s_cbranch_scc0 .LBB74_260
; %bb.134:
	s_waitcnt vmcnt(1)
	v_cmp_le_i16_e64 s[30:31], v6, v8
	s_mov_b64 s[36:37], 0
	s_branch .LBB74_140
.LBB74_135:
	s_waitcnt vmcnt(1)
	v_cmp_lt_i16_sdwa s[34:35], v5, v7 src0_sel:WORD_1 src1_sel:WORD_1
	s_andn2_b64 s[28:29], s[28:29], exec
	s_and_b64 s[34:35], s[34:35], exec
	s_or_b64 s[28:29], s[28:29], s[34:35]
	s_cbranch_execnz .LBB74_131
.LBB74_136:
	s_waitcnt vmcnt(1)
	v_cmp_ge_i16_sdwa s[30:31], v5, v7 src0_sel:WORD_1 src1_sel:WORD_1
	s_andn2_b64 s[28:29], s[28:29], exec
	s_and_b64 s[30:31], s[30:31], exec
	s_or_b64 s[28:29], s[28:29], s[30:31]
	s_cmp_lt_i32 s13, 1
	s_mov_b64 s[34:35], 0
	s_cbranch_scc0 .LBB74_132
.LBB74_137:
                                        ; implicit-def: $sgpr30_sgpr31
	s_mov_b64 s[36:37], 0
	s_cbranch_execnz .LBB74_141
	s_branch .LBB74_142
.LBB74_138:
	s_mov_b64 s[36:37], 0
                                        ; implicit-def: $sgpr30_sgpr31
	s_cbranch_execz .LBB74_140
; %bb.139:
	s_waitcnt vmcnt(1)
	v_cmp_gt_i16_e32 vcc, v6, v8
	s_andn2_b64 s[30:31], s[30:31], exec
	s_and_b64 s[38:39], vcc, exec
	s_or_b64 s[30:31], s[30:31], s[38:39]
.LBB74_140:
	s_branch .LBB74_142
.LBB74_141:
	s_cmp_lg_u32 s13, 0
	s_mov_b64 s[34:35], -1
	s_cselect_b64 s[36:37], -1, 0
.LBB74_142:
	s_andn2_b64 vcc, exec, s[36:37]
	s_cbranch_vccz .LBB74_148
; %bb.143:
	s_andn2_b64 vcc, exec, s[34:35]
	s_cbranch_vccz .LBB74_149
.LBB74_144:
	s_cmp_lt_i32 s13, 1
	s_mov_b64 s[36:37], 0
	s_cbranch_scc1 .LBB74_150
.LBB74_145:
	s_cmp_gt_i32 s13, 1
	s_cbranch_scc0 .LBB74_151
; %bb.146:
	s_cmp_eq_u32 s13, 2
	s_cbranch_scc0 .LBB74_261
; %bb.147:
	s_waitcnt vmcnt(1)
	v_cmp_le_i16_sdwa s[34:35], v6, v8 src0_sel:WORD_1 src1_sel:WORD_1
	s_mov_b64 s[38:39], 0
	s_branch .LBB74_153
.LBB74_148:
	s_waitcnt vmcnt(1)
	v_cmp_lt_i16_e32 vcc, v6, v8
	s_andn2_b64 s[30:31], s[30:31], exec
	s_and_b64 s[36:37], vcc, exec
	s_or_b64 s[30:31], s[30:31], s[36:37]
	s_cbranch_execnz .LBB74_144
.LBB74_149:
	s_waitcnt vmcnt(1)
	v_cmp_ge_i16_e32 vcc, v6, v8
	s_andn2_b64 s[30:31], s[30:31], exec
	s_and_b64 s[34:35], vcc, exec
	s_or_b64 s[30:31], s[30:31], s[34:35]
	s_cmp_lt_i32 s13, 1
	s_mov_b64 s[36:37], 0
	s_cbranch_scc0 .LBB74_145
.LBB74_150:
                                        ; implicit-def: $sgpr34_sgpr35
	s_mov_b64 s[38:39], 0
	s_cbranch_execnz .LBB74_154
	s_branch .LBB74_155
.LBB74_151:
	s_mov_b64 s[38:39], 0
                                        ; implicit-def: $sgpr34_sgpr35
	s_cbranch_execz .LBB74_153
; %bb.152:
	s_waitcnt vmcnt(1)
	v_cmp_gt_i16_sdwa s[40:41], v6, v8 src0_sel:WORD_1 src1_sel:WORD_1
	s_andn2_b64 s[34:35], s[34:35], exec
	s_and_b64 s[40:41], s[40:41], exec
	s_or_b64 s[34:35], s[34:35], s[40:41]
.LBB74_153:
	s_branch .LBB74_155
.LBB74_154:
	s_cmp_lg_u32 s13, 0
	s_mov_b64 s[36:37], -1
	s_cselect_b64 s[38:39], -1, 0
.LBB74_155:
	s_andn2_b64 vcc, exec, s[38:39]
	s_cbranch_vccz .LBB74_161
; %bb.156:
	s_andn2_b64 vcc, exec, s[36:37]
	s_cbranch_vccz .LBB74_162
.LBB74_157:
	s_cmp_lt_i32 s13, 1
	s_mov_b64 s[38:39], 0
	s_cbranch_scc1 .LBB74_163
.LBB74_158:
	s_cmp_gt_i32 s13, 1
	s_cbranch_scc0 .LBB74_164
; %bb.159:
	s_cmp_eq_u32 s13, 2
	s_cbranch_scc0 .LBB74_262
; %bb.160:
	s_waitcnt vmcnt(0)
	v_cmp_le_i16_e64 s[36:37], v1, v3
	s_mov_b64 s[40:41], 0
	s_branch .LBB74_166
.LBB74_161:
	s_waitcnt vmcnt(1)
	v_cmp_lt_i16_sdwa s[38:39], v6, v8 src0_sel:WORD_1 src1_sel:WORD_1
	s_andn2_b64 s[34:35], s[34:35], exec
	s_and_b64 s[38:39], s[38:39], exec
	s_or_b64 s[34:35], s[34:35], s[38:39]
	s_cbranch_execnz .LBB74_157
.LBB74_162:
	s_waitcnt vmcnt(1)
	v_cmp_ge_i16_sdwa s[36:37], v6, v8 src0_sel:WORD_1 src1_sel:WORD_1
	s_andn2_b64 s[34:35], s[34:35], exec
	s_and_b64 s[36:37], s[36:37], exec
	s_or_b64 s[34:35], s[34:35], s[36:37]
	s_cmp_lt_i32 s13, 1
	s_mov_b64 s[38:39], 0
	s_cbranch_scc0 .LBB74_158
.LBB74_163:
                                        ; implicit-def: $sgpr36_sgpr37
	s_mov_b64 s[40:41], 0
	s_cbranch_execnz .LBB74_167
	s_branch .LBB74_168
.LBB74_164:
	s_mov_b64 s[40:41], 0
                                        ; implicit-def: $sgpr36_sgpr37
	s_cbranch_execz .LBB74_166
; %bb.165:
	s_waitcnt vmcnt(0)
	v_cmp_gt_i16_e32 vcc, v1, v3
	s_andn2_b64 s[36:37], s[36:37], exec
	s_and_b64 s[42:43], vcc, exec
	s_or_b64 s[36:37], s[36:37], s[42:43]
.LBB74_166:
	s_branch .LBB74_168
.LBB74_167:
	s_cmp_lg_u32 s13, 0
	s_mov_b64 s[38:39], -1
	s_cselect_b64 s[40:41], -1, 0
.LBB74_168:
	s_andn2_b64 vcc, exec, s[40:41]
	s_cbranch_vccz .LBB74_174
; %bb.169:
	s_andn2_b64 vcc, exec, s[38:39]
	s_cbranch_vccz .LBB74_175
.LBB74_170:
	s_cmp_lt_i32 s13, 1
	s_mov_b64 s[40:41], 0
	s_cbranch_scc1 .LBB74_176
.LBB74_171:
	s_cmp_gt_i32 s13, 1
	s_cbranch_scc0 .LBB74_177
; %bb.172:
	s_cmp_eq_u32 s13, 2
	s_cbranch_scc0 .LBB74_263
; %bb.173:
	s_waitcnt vmcnt(0)
	v_cmp_le_i16_sdwa s[38:39], v1, v3 src0_sel:WORD_1 src1_sel:WORD_1
	s_mov_b64 s[42:43], 0
	s_branch .LBB74_179
.LBB74_174:
	s_waitcnt vmcnt(0)
	v_cmp_lt_i16_e32 vcc, v1, v3
	s_andn2_b64 s[36:37], s[36:37], exec
	s_and_b64 s[40:41], vcc, exec
	s_or_b64 s[36:37], s[36:37], s[40:41]
	s_cbranch_execnz .LBB74_170
.LBB74_175:
	s_waitcnt vmcnt(0)
	v_cmp_ge_i16_e32 vcc, v1, v3
	s_andn2_b64 s[36:37], s[36:37], exec
	s_and_b64 s[38:39], vcc, exec
	s_or_b64 s[36:37], s[36:37], s[38:39]
	s_cmp_lt_i32 s13, 1
	s_mov_b64 s[40:41], 0
	s_cbranch_scc0 .LBB74_171
.LBB74_176:
                                        ; implicit-def: $sgpr38_sgpr39
	s_mov_b64 s[42:43], 0
	s_cbranch_execnz .LBB74_180
	s_branch .LBB74_181
.LBB74_177:
	s_mov_b64 s[42:43], 0
                                        ; implicit-def: $sgpr38_sgpr39
	s_cbranch_execz .LBB74_179
; %bb.178:
	s_waitcnt vmcnt(0)
	v_cmp_gt_i16_sdwa s[44:45], v1, v3 src0_sel:WORD_1 src1_sel:WORD_1
	s_andn2_b64 s[38:39], s[38:39], exec
	s_and_b64 s[44:45], s[44:45], exec
	s_or_b64 s[38:39], s[38:39], s[44:45]
.LBB74_179:
	s_branch .LBB74_181
.LBB74_180:
	s_cmp_lg_u32 s13, 0
	s_mov_b64 s[40:41], -1
	s_cselect_b64 s[42:43], -1, 0
.LBB74_181:
	s_andn2_b64 vcc, exec, s[42:43]
	s_cbranch_vccz .LBB74_187
; %bb.182:
	s_andn2_b64 vcc, exec, s[40:41]
	s_cbranch_vccz .LBB74_188
.LBB74_183:
	s_cmp_lt_i32 s13, 1
	s_mov_b64 s[42:43], 0
	s_cbranch_scc1 .LBB74_189
.LBB74_184:
	s_cmp_gt_i32 s13, 1
	s_cbranch_scc0 .LBB74_190
; %bb.185:
	s_cmp_eq_u32 s13, 2
	s_cbranch_scc0 .LBB74_264
; %bb.186:
	s_waitcnt vmcnt(0)
	v_cmp_le_i16_e64 s[40:41], v2, v4
	s_mov_b64 s[44:45], 0
	s_branch .LBB74_192
.LBB74_187:
	s_waitcnt vmcnt(0)
	v_cmp_lt_i16_sdwa s[42:43], v1, v3 src0_sel:WORD_1 src1_sel:WORD_1
	s_andn2_b64 s[38:39], s[38:39], exec
	s_and_b64 s[42:43], s[42:43], exec
	s_or_b64 s[38:39], s[38:39], s[42:43]
	s_cbranch_execnz .LBB74_183
.LBB74_188:
	s_waitcnt vmcnt(0)
	v_cmp_ge_i16_sdwa s[40:41], v1, v3 src0_sel:WORD_1 src1_sel:WORD_1
	s_andn2_b64 s[38:39], s[38:39], exec
	s_and_b64 s[40:41], s[40:41], exec
	s_or_b64 s[38:39], s[38:39], s[40:41]
	s_cmp_lt_i32 s13, 1
	s_mov_b64 s[42:43], 0
	s_cbranch_scc0 .LBB74_184
.LBB74_189:
                                        ; implicit-def: $sgpr40_sgpr41
	s_mov_b64 s[44:45], 0
	s_cbranch_execnz .LBB74_193
	s_branch .LBB74_194
.LBB74_190:
	s_mov_b64 s[44:45], 0
                                        ; implicit-def: $sgpr40_sgpr41
	s_cbranch_execz .LBB74_192
; %bb.191:
	s_waitcnt vmcnt(0)
	v_cmp_gt_i16_e32 vcc, v2, v4
	s_andn2_b64 s[40:41], s[40:41], exec
	s_and_b64 s[46:47], vcc, exec
	s_or_b64 s[40:41], s[40:41], s[46:47]
.LBB74_192:
	s_branch .LBB74_194
.LBB74_193:
	s_cmp_lg_u32 s13, 0
	s_mov_b64 s[42:43], -1
	s_cselect_b64 s[44:45], -1, 0
.LBB74_194:
	s_andn2_b64 vcc, exec, s[44:45]
	s_cbranch_vccz .LBB74_200
; %bb.195:
	s_andn2_b64 vcc, exec, s[42:43]
	s_cbranch_vccz .LBB74_201
.LBB74_196:
	s_cmp_lt_i32 s13, 1
	s_mov_b64 s[44:45], 0
	s_cbranch_scc1 .LBB74_202
.LBB74_197:
	s_cmp_gt_i32 s13, 1
	s_cbranch_scc0 .LBB74_203
; %bb.198:
	s_cmp_eq_u32 s13, 2
	s_cbranch_scc0 .LBB74_265
; %bb.199:
	s_waitcnt vmcnt(0)
	v_cmp_le_i16_sdwa s[42:43], v2, v4 src0_sel:WORD_1 src1_sel:WORD_1
	s_mov_b64 s[46:47], 0
	s_branch .LBB74_205
.LBB74_200:
	s_waitcnt vmcnt(0)
	v_cmp_lt_i16_e32 vcc, v2, v4
	s_andn2_b64 s[40:41], s[40:41], exec
	s_and_b64 s[44:45], vcc, exec
	s_or_b64 s[40:41], s[40:41], s[44:45]
	s_cbranch_execnz .LBB74_196
.LBB74_201:
	s_waitcnt vmcnt(0)
	v_cmp_ge_i16_e32 vcc, v2, v4
	s_andn2_b64 s[40:41], s[40:41], exec
	s_and_b64 s[42:43], vcc, exec
	s_or_b64 s[40:41], s[40:41], s[42:43]
	s_cmp_lt_i32 s13, 1
	s_mov_b64 s[44:45], 0
	s_cbranch_scc0 .LBB74_197
.LBB74_202:
                                        ; implicit-def: $sgpr42_sgpr43
	s_mov_b64 s[46:47], 0
	s_cbranch_execnz .LBB74_206
	s_branch .LBB74_207
.LBB74_203:
	s_mov_b64 s[46:47], 0
                                        ; implicit-def: $sgpr42_sgpr43
	s_cbranch_execz .LBB74_205
; %bb.204:
	s_waitcnt vmcnt(0)
	v_cmp_gt_i16_sdwa s[48:49], v2, v4 src0_sel:WORD_1 src1_sel:WORD_1
	s_andn2_b64 s[42:43], s[42:43], exec
	s_and_b64 s[48:49], s[48:49], exec
	s_or_b64 s[42:43], s[42:43], s[48:49]
.LBB74_205:
	s_branch .LBB74_207
.LBB74_206:
	s_cmp_lg_u32 s13, 0
	s_mov_b64 s[44:45], -1
	s_cselect_b64 s[46:47], -1, 0
.LBB74_207:
	s_andn2_b64 vcc, exec, s[46:47]
	s_cbranch_vccz .LBB74_249
; %bb.208:
	s_andn2_b64 vcc, exec, s[44:45]
	s_cbranch_vccnz .LBB74_210
.LBB74_209:
	s_waitcnt vmcnt(0)
	v_cmp_ge_i16_sdwa s[44:45], v2, v4 src0_sel:WORD_1 src1_sel:WORD_1
	s_andn2_b64 s[42:43], s[42:43], exec
	s_and_b64 s[44:45], s[44:45], exec
	s_or_b64 s[42:43], s[42:43], s[44:45]
.LBB74_210:
	s_waitcnt vmcnt(6)
	v_mov_b32_e32 v1, 0x100
	v_cndmask_b32_e64 v2, 0, v1, s[38:39]
	s_waitcnt vmcnt(0)
	v_cndmask_b32_e64 v3, 0, 1, s[36:37]
	v_or_b32_e32 v2, v2, v3
	v_mov_b32_e32 v3, 0x10000
	v_cndmask_b32_e64 v5, 0, v1, s[28:29]
	v_cndmask_b32_e64 v6, 0, 1, s[26:27]
	v_mov_b32_e32 v7, 0x1000000
	v_or_b32_e32 v5, v5, v6
	v_cndmask_b32_e64 v6, 0, v3, s[30:31]
	v_cndmask_b32_e64 v8, 0, v7, s[34:35]
	v_or3_b32 v5, v5, v6, v8
	v_cndmask_b32_e64 v6, 0, v1, s[20:21]
	v_cndmask_b32_e64 v8, 0, 1, s[18:19]
	v_or_b32_e32 v6, v6, v8
	v_cndmask_b32_e64 v8, 0, v3, s[22:23]
	v_cndmask_b32_e64 v9, 0, v7, s[24:25]
	v_or3_b32 v6, v6, v8, v9
	v_cndmask_b32_e64 v1, 0, v1, s[4:5]
	v_cndmask_b32_e64 v8, 0, 1, s[0:1]
	;; [unrolled: 1-line block ×3, first 2 shown]
	v_or_b32_e32 v1, v1, v8
	v_cndmask_b32_e64 v3, 0, v3, s[6:7]
	v_cndmask_b32_e64 v8, 0, v7, s[16:17]
	v_or3_b32 v1, v1, v3, v8
	v_cndmask_b32_e64 v3, 0, v7, s[42:43]
	s_add_u32 s0, s8, s2
	v_or3_b32 v2, v2, v4, v3
	s_addc_u32 s1, s9, s3
	v_lshlrev_b32_e32 v3, 2, v0
	global_store_dword v3, v1, s[0:1]
	global_store_dword v3, v6, s[0:1] offset:1024
	global_store_dword v3, v5, s[0:1] offset:2048
	;; [unrolled: 1-line block ×3, first 2 shown]
	s_mov_b64 s[0:1], 0
.LBB74_211:
	s_and_b64 vcc, exec, s[0:1]
	s_cbranch_vccz .LBB74_519
; %bb.212:
	v_cmp_gt_i32_e64 s[0:1], s12, v0
	v_mov_b32_e32 v14, 0
	v_or_b32_e32 v1, s2, v0
	v_mov_b32_e32 v7, 0
	v_mov_b32_e32 v10, 0
	;; [unrolled: 1-line block ×3, first 2 shown]
	s_and_saveexec_b64 s[4:5], s[0:1]
	s_cbranch_execz .LBB74_214
; %bb.213:
	v_mov_b32_e32 v2, 0
	v_lshlrev_b64 v[2:3], 1, v[1:2]
	v_mov_b32_e32 v5, s15
	v_add_co_u32_e32 v4, vcc, s14, v2
	v_addc_co_u32_e32 v5, vcc, v5, v3, vcc
	v_mov_b32_e32 v6, s11
	v_add_co_u32_e32 v2, vcc, s10, v2
	v_addc_co_u32_e32 v3, vcc, v6, v3, vcc
	global_load_ushort v7, v[2:3], off
	global_load_ushort v10, v[4:5], off
	v_or_b32_e32 v6, 0x100, v0
.LBB74_214:
	s_or_b64 exec, exec, s[4:5]
	v_cmp_gt_i32_e32 vcc, s12, v6
	v_mov_b32_e32 v34, 0
	s_and_saveexec_b64 s[4:5], vcc
	s_cbranch_execz .LBB74_216
; %bb.215:
	v_add_u32_e32 v2, s2, v6
	v_mov_b32_e32 v3, 0
	v_lshlrev_b64 v[2:3], 1, v[2:3]
	v_mov_b32_e32 v5, s15
	v_add_co_u32_e32 v4, vcc, s14, v2
	v_addc_co_u32_e32 v5, vcc, v5, v3, vcc
	v_mov_b32_e32 v8, s11
	v_add_co_u32_e32 v2, vcc, s10, v2
	v_addc_co_u32_e32 v3, vcc, v8, v3, vcc
	global_load_ushort v14, v[2:3], off
	global_load_ushort v34, v[4:5], off
	v_add_u32_e32 v6, 0x100, v6
.LBB74_216:
	s_or_b64 exec, exec, s[4:5]
	v_cmp_gt_i32_e32 vcc, s12, v6
	v_mov_b32_e32 v21, 0
	v_mov_b32_e32 v16, 0
	v_mov_b32_e32 v33, 0
	s_and_saveexec_b64 s[4:5], vcc
	s_cbranch_execz .LBB74_218
; %bb.217:
	v_add_u32_e32 v2, s2, v6
	v_mov_b32_e32 v3, 0
	v_lshlrev_b64 v[2:3], 1, v[2:3]
	v_mov_b32_e32 v5, s15
	v_add_co_u32_e32 v4, vcc, s14, v2
	v_addc_co_u32_e32 v5, vcc, v5, v3, vcc
	v_mov_b32_e32 v8, s11
	v_add_co_u32_e32 v2, vcc, s10, v2
	v_addc_co_u32_e32 v3, vcc, v8, v3, vcc
	global_load_ushort v16, v[2:3], off
	global_load_ushort v33, v[4:5], off
	v_add_u32_e32 v6, 0x100, v6
.LBB74_218:
	s_or_b64 exec, exec, s[4:5]
	v_cmp_gt_i32_e32 vcc, s12, v6
	v_mov_b32_e32 v32, 0
	s_and_saveexec_b64 s[4:5], vcc
	s_cbranch_execz .LBB74_220
; %bb.219:
	v_add_u32_e32 v2, s2, v6
	v_mov_b32_e32 v3, 0
	v_lshlrev_b64 v[2:3], 1, v[2:3]
	v_mov_b32_e32 v5, s15
	v_add_co_u32_e32 v4, vcc, s14, v2
	v_addc_co_u32_e32 v5, vcc, v5, v3, vcc
	v_mov_b32_e32 v8, s11
	v_add_co_u32_e32 v2, vcc, s10, v2
	v_addc_co_u32_e32 v3, vcc, v8, v3, vcc
	global_load_ushort v21, v[2:3], off
	global_load_ushort v32, v[4:5], off
	v_add_u32_e32 v6, 0x100, v6
.LBB74_220:
	s_or_b64 exec, exec, s[4:5]
	v_cmp_gt_i32_e32 vcc, s12, v6
	v_mov_b32_e32 v27, 0
	v_mov_b32_e32 v24, 0
	v_mov_b32_e32 v31, 0
	s_and_saveexec_b64 s[4:5], vcc
	s_cbranch_execz .LBB74_222
; %bb.221:
	v_add_u32_e32 v2, s2, v6
	v_mov_b32_e32 v3, 0
	v_lshlrev_b64 v[2:3], 1, v[2:3]
	v_mov_b32_e32 v5, s15
	v_add_co_u32_e32 v4, vcc, s14, v2
	v_addc_co_u32_e32 v5, vcc, v5, v3, vcc
	v_mov_b32_e32 v8, s11
	v_add_co_u32_e32 v2, vcc, s10, v2
	v_addc_co_u32_e32 v3, vcc, v8, v3, vcc
	global_load_ushort v24, v[2:3], off
	global_load_ushort v31, v[4:5], off
	v_add_u32_e32 v6, 0x100, v6
.LBB74_222:
	;; [unrolled: 40-line block ×7, first 2 shown]
	s_or_b64 exec, exec, s[4:5]
	v_cmp_gt_i32_e32 vcc, s12, v6
	v_mov_b32_e32 v3, 0
	s_and_saveexec_b64 s[4:5], vcc
	s_cbranch_execz .LBB74_244
; %bb.243:
	v_add_u32_e32 v2, s2, v6
	v_mov_b32_e32 v3, 0
	v_lshlrev_b64 v[2:3], 1, v[2:3]
	v_mov_b32_e32 v6, s15
	v_add_co_u32_e32 v35, vcc, s14, v2
	v_addc_co_u32_e32 v36, vcc, v6, v3, vcc
	v_mov_b32_e32 v6, s11
	v_add_co_u32_e32 v37, vcc, s10, v2
	v_addc_co_u32_e32 v38, vcc, v6, v3, vcc
	global_load_ushort v2, v[37:38], off
	global_load_ushort v3, v[35:36], off
.LBB74_244:
	s_or_b64 exec, exec, s[4:5]
                                        ; implicit-def: $vgpr6
	s_and_saveexec_b64 s[4:5], s[0:1]
	s_cbranch_execz .LBB74_276
; %bb.245:
	s_cmp_lt_i32 s13, 1
	s_mov_b64 s[6:7], 0
	s_cbranch_scc1 .LBB74_250
; %bb.246:
	s_cmp_gt_i32 s13, 1
	s_cbranch_scc0 .LBB74_266
; %bb.247:
	s_cmp_eq_u32 s13, 2
	s_cbranch_scc0 .LBB74_267
; %bb.248:
	s_waitcnt vmcnt(0)
	v_cmp_le_i16_e64 s[10:11], v7, v10
	s_mov_b64 s[14:15], 0
	s_branch .LBB74_268
.LBB74_249:
	s_waitcnt vmcnt(0)
	v_cmp_lt_i16_sdwa s[46:47], v2, v4 src0_sel:WORD_1 src1_sel:WORD_1
	s_andn2_b64 s[42:43], s[42:43], exec
	s_and_b64 s[46:47], s[46:47], exec
	s_or_b64 s[42:43], s[42:43], s[46:47]
	s_cbranch_execz .LBB74_209
	s_branch .LBB74_210
.LBB74_250:
                                        ; implicit-def: $sgpr10_sgpr11
	s_mov_b64 s[14:15], 0
	s_cbranch_execnz .LBB74_271
	s_branch .LBB74_272
.LBB74_251:
	s_mov_b64 s[16:17], -1
                                        ; implicit-def: $sgpr4_sgpr5
	s_branch .LBB74_23
.LBB74_252:
	s_mov_b64 s[18:19], -1
                                        ; implicit-def: $sgpr6_sgpr7
	s_branch .LBB74_36
.LBB74_253:
	s_mov_b64 s[20:21], -1
                                        ; implicit-def: $sgpr16_sgpr17
	s_branch .LBB74_49
.LBB74_254:
	s_mov_b64 s[22:23], -1
                                        ; implicit-def: $sgpr18_sgpr19
	s_branch .LBB74_62
.LBB74_255:
	s_mov_b64 s[24:25], -1
                                        ; implicit-def: $sgpr20_sgpr21
	s_branch .LBB74_75
.LBB74_256:
	s_mov_b64 s[26:27], -1
                                        ; implicit-def: $sgpr22_sgpr23
	s_branch .LBB74_88
.LBB74_257:
	s_mov_b64 s[28:29], -1
                                        ; implicit-def: $sgpr24_sgpr25
	s_branch .LBB74_101
.LBB74_258:
	s_mov_b64 s[30:31], -1
                                        ; implicit-def: $sgpr26_sgpr27
	s_branch .LBB74_114
.LBB74_259:
	s_mov_b64 s[34:35], -1
                                        ; implicit-def: $sgpr28_sgpr29
	s_branch .LBB74_127
.LBB74_260:
	s_mov_b64 s[36:37], -1
                                        ; implicit-def: $sgpr30_sgpr31
	s_branch .LBB74_140
.LBB74_261:
	s_mov_b64 s[38:39], -1
                                        ; implicit-def: $sgpr34_sgpr35
	s_branch .LBB74_153
.LBB74_262:
	s_mov_b64 s[40:41], -1
                                        ; implicit-def: $sgpr36_sgpr37
	s_branch .LBB74_166
.LBB74_263:
	s_mov_b64 s[42:43], -1
                                        ; implicit-def: $sgpr38_sgpr39
	s_branch .LBB74_179
.LBB74_264:
	s_mov_b64 s[44:45], -1
                                        ; implicit-def: $sgpr40_sgpr41
	s_branch .LBB74_192
.LBB74_265:
	s_mov_b64 s[46:47], -1
                                        ; implicit-def: $sgpr42_sgpr43
	s_branch .LBB74_205
.LBB74_266:
	s_mov_b64 s[14:15], 0
                                        ; implicit-def: $sgpr10_sgpr11
	s_cbranch_execnz .LBB74_269
	s_branch .LBB74_270
.LBB74_267:
	s_mov_b64 s[14:15], -1
                                        ; implicit-def: $sgpr10_sgpr11
.LBB74_268:
	s_branch .LBB74_270
.LBB74_269:
	s_waitcnt vmcnt(0)
	v_cmp_gt_i16_e32 vcc, v7, v10
	s_andn2_b64 s[10:11], s[10:11], exec
	s_and_b64 s[16:17], vcc, exec
	s_or_b64 s[10:11], s[10:11], s[16:17]
.LBB74_270:
	s_branch .LBB74_272
.LBB74_271:
	s_cmp_lg_u32 s13, 0
	s_mov_b64 s[6:7], -1
	s_cselect_b64 s[14:15], -1, 0
.LBB74_272:
	s_andn2_b64 vcc, exec, s[14:15]
	s_cbranch_vccz .LBB74_281
; %bb.273:
	s_andn2_b64 vcc, exec, s[6:7]
	s_cbranch_vccnz .LBB74_275
.LBB74_274:
	s_waitcnt vmcnt(0)
	v_cmp_ge_i16_e32 vcc, v7, v10
	s_andn2_b64 s[6:7], s[10:11], exec
	s_and_b64 s[10:11], vcc, exec
	s_or_b64 s[10:11], s[6:7], s[10:11]
.LBB74_275:
	v_cndmask_b32_e64 v6, 0, 1, s[10:11]
.LBB74_276:
	s_or_b64 exec, exec, s[4:5]
	s_waitcnt vmcnt(1)
	v_or_b32_e32 v7, 0x100, v0
	v_cmp_gt_i32_e32 vcc, s12, v7
                                        ; implicit-def: $vgpr10
	s_and_saveexec_b64 s[4:5], vcc
	s_cbranch_execz .LBB74_291
; %bb.277:
	s_cmp_lt_i32 s13, 1
	s_mov_b64 s[6:7], 0
	s_cbranch_scc1 .LBB74_282
; %bb.278:
	s_cmp_gt_i32 s13, 1
	s_cbranch_scc0 .LBB74_283
; %bb.279:
	s_cmp_eq_u32 s13, 2
	s_cbranch_scc0 .LBB74_535
; %bb.280:
	s_waitcnt vmcnt(0)
	v_cmp_le_i16_e64 s[10:11], v14, v34
	s_mov_b64 s[14:15], 0
	s_branch .LBB74_285
.LBB74_281:
	s_waitcnt vmcnt(0)
	v_cmp_lt_i16_e32 vcc, v7, v10
	s_andn2_b64 s[10:11], s[10:11], exec
	s_and_b64 s[14:15], vcc, exec
	s_or_b64 s[10:11], s[10:11], s[14:15]
	s_cbranch_execz .LBB74_274
	s_branch .LBB74_275
.LBB74_282:
                                        ; implicit-def: $sgpr10_sgpr11
	s_mov_b64 s[14:15], 0
	s_cbranch_execnz .LBB74_286
	s_branch .LBB74_287
.LBB74_283:
	s_mov_b64 s[14:15], 0
                                        ; implicit-def: $sgpr10_sgpr11
	s_cbranch_execz .LBB74_285
; %bb.284:
	s_waitcnt vmcnt(0)
	v_cmp_gt_i16_e32 vcc, v14, v34
	s_andn2_b64 s[10:11], s[10:11], exec
	s_and_b64 s[16:17], vcc, exec
	s_or_b64 s[10:11], s[10:11], s[16:17]
.LBB74_285:
	s_branch .LBB74_287
.LBB74_286:
	s_cmp_lg_u32 s13, 0
	s_mov_b64 s[6:7], -1
	s_cselect_b64 s[14:15], -1, 0
.LBB74_287:
	s_andn2_b64 vcc, exec, s[14:15]
	s_cbranch_vccz .LBB74_296
; %bb.288:
	s_andn2_b64 vcc, exec, s[6:7]
	s_cbranch_vccnz .LBB74_290
.LBB74_289:
	s_waitcnt vmcnt(0)
	v_cmp_ge_i16_e32 vcc, v14, v34
	s_andn2_b64 s[6:7], s[10:11], exec
	s_and_b64 s[10:11], vcc, exec
	s_or_b64 s[10:11], s[6:7], s[10:11]
.LBB74_290:
	s_waitcnt vmcnt(0)
	v_cndmask_b32_e64 v10, 0, 1, s[10:11]
.LBB74_291:
	s_or_b64 exec, exec, s[4:5]
	v_or_b32_e32 v14, 0x200, v0
	v_cmp_gt_i32_e32 vcc, s12, v14
                                        ; implicit-def: $vgpr14
	s_and_saveexec_b64 s[4:5], vcc
	s_cbranch_execz .LBB74_306
; %bb.292:
	s_cmp_lt_i32 s13, 1
	s_mov_b64 s[6:7], 0
	s_cbranch_scc1 .LBB74_297
; %bb.293:
	s_cmp_gt_i32 s13, 1
	s_cbranch_scc0 .LBB74_298
; %bb.294:
	s_cmp_eq_u32 s13, 2
	s_cbranch_scc0 .LBB74_536
; %bb.295:
	s_waitcnt vmcnt(0)
	v_cmp_le_i16_e64 s[10:11], v16, v33
	s_mov_b64 s[14:15], 0
	s_branch .LBB74_300
.LBB74_296:
	s_waitcnt vmcnt(0)
	v_cmp_lt_i16_e32 vcc, v14, v34
	s_andn2_b64 s[10:11], s[10:11], exec
	s_and_b64 s[14:15], vcc, exec
	s_or_b64 s[10:11], s[10:11], s[14:15]
	s_cbranch_execz .LBB74_289
	s_branch .LBB74_290
.LBB74_297:
                                        ; implicit-def: $sgpr10_sgpr11
	s_mov_b64 s[14:15], 0
	s_cbranch_execnz .LBB74_301
	s_branch .LBB74_302
.LBB74_298:
	s_mov_b64 s[14:15], 0
                                        ; implicit-def: $sgpr10_sgpr11
	s_cbranch_execz .LBB74_300
; %bb.299:
	s_waitcnt vmcnt(0)
	v_cmp_gt_i16_e32 vcc, v16, v33
	s_andn2_b64 s[10:11], s[10:11], exec
	s_and_b64 s[16:17], vcc, exec
	s_or_b64 s[10:11], s[10:11], s[16:17]
.LBB74_300:
	s_branch .LBB74_302
.LBB74_301:
	s_cmp_lg_u32 s13, 0
	s_mov_b64 s[6:7], -1
	s_cselect_b64 s[14:15], -1, 0
.LBB74_302:
	s_andn2_b64 vcc, exec, s[14:15]
	s_cbranch_vccz .LBB74_311
; %bb.303:
	s_andn2_b64 vcc, exec, s[6:7]
	s_cbranch_vccnz .LBB74_305
.LBB74_304:
	s_waitcnt vmcnt(0)
	v_cmp_ge_i16_e32 vcc, v16, v33
	s_andn2_b64 s[6:7], s[10:11], exec
	s_and_b64 s[10:11], vcc, exec
	s_or_b64 s[10:11], s[6:7], s[10:11]
.LBB74_305:
	v_cndmask_b32_e64 v14, 0, 1, s[10:11]
.LBB74_306:
	s_or_b64 exec, exec, s[4:5]
	v_or_b32_e32 v16, 0x300, v0
	v_cmp_gt_i32_e32 vcc, s12, v16
                                        ; implicit-def: $vgpr16
	s_and_saveexec_b64 s[4:5], vcc
	s_cbranch_execz .LBB74_321
; %bb.307:
	s_cmp_lt_i32 s13, 1
	s_mov_b64 s[6:7], 0
	s_cbranch_scc1 .LBB74_312
; %bb.308:
	s_cmp_gt_i32 s13, 1
	s_cbranch_scc0 .LBB74_313
; %bb.309:
	s_cmp_eq_u32 s13, 2
	s_cbranch_scc0 .LBB74_537
; %bb.310:
	s_waitcnt vmcnt(0)
	v_cmp_le_i16_e64 s[10:11], v21, v32
	s_mov_b64 s[14:15], 0
	s_branch .LBB74_315
.LBB74_311:
	s_waitcnt vmcnt(0)
	v_cmp_lt_i16_e32 vcc, v16, v33
	s_andn2_b64 s[10:11], s[10:11], exec
	s_and_b64 s[14:15], vcc, exec
	s_or_b64 s[10:11], s[10:11], s[14:15]
	s_cbranch_execz .LBB74_304
	s_branch .LBB74_305
.LBB74_312:
                                        ; implicit-def: $sgpr10_sgpr11
	s_mov_b64 s[14:15], 0
	s_cbranch_execnz .LBB74_316
	s_branch .LBB74_317
.LBB74_313:
	s_mov_b64 s[14:15], 0
                                        ; implicit-def: $sgpr10_sgpr11
	s_cbranch_execz .LBB74_315
; %bb.314:
	s_waitcnt vmcnt(0)
	v_cmp_gt_i16_e32 vcc, v21, v32
	s_andn2_b64 s[10:11], s[10:11], exec
	s_and_b64 s[16:17], vcc, exec
	s_or_b64 s[10:11], s[10:11], s[16:17]
.LBB74_315:
	s_branch .LBB74_317
.LBB74_316:
	s_cmp_lg_u32 s13, 0
	s_mov_b64 s[6:7], -1
	s_cselect_b64 s[14:15], -1, 0
.LBB74_317:
	s_andn2_b64 vcc, exec, s[14:15]
	s_cbranch_vccz .LBB74_326
; %bb.318:
	s_andn2_b64 vcc, exec, s[6:7]
	s_cbranch_vccnz .LBB74_320
.LBB74_319:
	s_waitcnt vmcnt(0)
	v_cmp_ge_i16_e32 vcc, v21, v32
	s_andn2_b64 s[6:7], s[10:11], exec
	s_and_b64 s[10:11], vcc, exec
	s_or_b64 s[10:11], s[6:7], s[10:11]
.LBB74_320:
	v_cndmask_b32_e64 v16, 0, 1, s[10:11]
.LBB74_321:
	s_or_b64 exec, exec, s[4:5]
	v_or_b32_e32 v21, 0x400, v0
	v_cmp_gt_i32_e32 vcc, s12, v21
                                        ; implicit-def: $vgpr21
	s_and_saveexec_b64 s[4:5], vcc
	s_cbranch_execz .LBB74_336
; %bb.322:
	s_cmp_lt_i32 s13, 1
	s_mov_b64 s[6:7], 0
	s_cbranch_scc1 .LBB74_327
; %bb.323:
	s_cmp_gt_i32 s13, 1
	s_cbranch_scc0 .LBB74_328
; %bb.324:
	s_cmp_eq_u32 s13, 2
	s_cbranch_scc0 .LBB74_538
; %bb.325:
	s_waitcnt vmcnt(0)
	v_cmp_le_i16_e64 s[10:11], v24, v31
	s_mov_b64 s[14:15], 0
	s_branch .LBB74_330
.LBB74_326:
	s_waitcnt vmcnt(0)
	v_cmp_lt_i16_e32 vcc, v21, v32
	s_andn2_b64 s[10:11], s[10:11], exec
	s_and_b64 s[14:15], vcc, exec
	s_or_b64 s[10:11], s[10:11], s[14:15]
	s_cbranch_execz .LBB74_319
	s_branch .LBB74_320
.LBB74_327:
                                        ; implicit-def: $sgpr10_sgpr11
	s_mov_b64 s[14:15], 0
	s_cbranch_execnz .LBB74_331
	s_branch .LBB74_332
.LBB74_328:
	s_mov_b64 s[14:15], 0
                                        ; implicit-def: $sgpr10_sgpr11
	s_cbranch_execz .LBB74_330
; %bb.329:
	s_waitcnt vmcnt(0)
	v_cmp_gt_i16_e32 vcc, v24, v31
	s_andn2_b64 s[10:11], s[10:11], exec
	s_and_b64 s[16:17], vcc, exec
	s_or_b64 s[10:11], s[10:11], s[16:17]
.LBB74_330:
	s_branch .LBB74_332
.LBB74_331:
	s_cmp_lg_u32 s13, 0
	s_mov_b64 s[6:7], -1
	s_cselect_b64 s[14:15], -1, 0
.LBB74_332:
	s_andn2_b64 vcc, exec, s[14:15]
	s_cbranch_vccz .LBB74_341
; %bb.333:
	s_andn2_b64 vcc, exec, s[6:7]
	s_cbranch_vccnz .LBB74_335
.LBB74_334:
	s_waitcnt vmcnt(0)
	v_cmp_ge_i16_e32 vcc, v24, v31
	s_andn2_b64 s[6:7], s[10:11], exec
	s_and_b64 s[10:11], vcc, exec
	s_or_b64 s[10:11], s[6:7], s[10:11]
.LBB74_335:
	v_cndmask_b32_e64 v21, 0, 1, s[10:11]
.LBB74_336:
	s_or_b64 exec, exec, s[4:5]
	v_or_b32_e32 v24, 0x500, v0
	v_cmp_gt_i32_e32 vcc, s12, v24
                                        ; implicit-def: $vgpr24
	s_and_saveexec_b64 s[4:5], vcc
	s_cbranch_execz .LBB74_351
; %bb.337:
	s_cmp_lt_i32 s13, 1
	s_mov_b64 s[6:7], 0
	s_cbranch_scc1 .LBB74_342
; %bb.338:
	s_cmp_gt_i32 s13, 1
	s_cbranch_scc0 .LBB74_343
; %bb.339:
	s_cmp_eq_u32 s13, 2
	s_cbranch_scc0 .LBB74_539
; %bb.340:
	s_waitcnt vmcnt(0)
	v_cmp_le_i16_e64 s[10:11], v27, v30
	s_mov_b64 s[14:15], 0
	s_branch .LBB74_345
.LBB74_341:
	s_waitcnt vmcnt(0)
	v_cmp_lt_i16_e32 vcc, v24, v31
	s_andn2_b64 s[10:11], s[10:11], exec
	s_and_b64 s[14:15], vcc, exec
	s_or_b64 s[10:11], s[10:11], s[14:15]
	s_cbranch_execz .LBB74_334
	s_branch .LBB74_335
.LBB74_342:
                                        ; implicit-def: $sgpr10_sgpr11
	s_mov_b64 s[14:15], 0
	s_cbranch_execnz .LBB74_346
	s_branch .LBB74_347
.LBB74_343:
	s_mov_b64 s[14:15], 0
                                        ; implicit-def: $sgpr10_sgpr11
	s_cbranch_execz .LBB74_345
; %bb.344:
	s_waitcnt vmcnt(0)
	v_cmp_gt_i16_e32 vcc, v27, v30
	s_andn2_b64 s[10:11], s[10:11], exec
	s_and_b64 s[16:17], vcc, exec
	s_or_b64 s[10:11], s[10:11], s[16:17]
.LBB74_345:
	s_branch .LBB74_347
.LBB74_346:
	s_cmp_lg_u32 s13, 0
	s_mov_b64 s[6:7], -1
	s_cselect_b64 s[14:15], -1, 0
.LBB74_347:
	s_andn2_b64 vcc, exec, s[14:15]
	s_cbranch_vccz .LBB74_356
; %bb.348:
	s_andn2_b64 vcc, exec, s[6:7]
	s_cbranch_vccnz .LBB74_350
.LBB74_349:
	s_waitcnt vmcnt(0)
	v_cmp_ge_i16_e32 vcc, v27, v30
	s_andn2_b64 s[6:7], s[10:11], exec
	s_and_b64 s[10:11], vcc, exec
	s_or_b64 s[10:11], s[6:7], s[10:11]
.LBB74_350:
	v_cndmask_b32_e64 v24, 0, 1, s[10:11]
.LBB74_351:
	s_or_b64 exec, exec, s[4:5]
	v_or_b32_e32 v27, 0x600, v0
	v_cmp_gt_i32_e32 vcc, s12, v27
                                        ; implicit-def: $vgpr27
	s_and_saveexec_b64 s[4:5], vcc
	s_cbranch_execz .LBB74_366
; %bb.352:
	s_cmp_lt_i32 s13, 1
	s_mov_b64 s[6:7], 0
	s_cbranch_scc1 .LBB74_357
; %bb.353:
	s_cmp_gt_i32 s13, 1
	s_cbranch_scc0 .LBB74_358
; %bb.354:
	s_cmp_eq_u32 s13, 2
	s_cbranch_scc0 .LBB74_540
; %bb.355:
	s_waitcnt vmcnt(0)
	v_cmp_le_i16_e64 s[10:11], v28, v29
	s_mov_b64 s[14:15], 0
	s_branch .LBB74_360
.LBB74_356:
	s_waitcnt vmcnt(0)
	v_cmp_lt_i16_e32 vcc, v27, v30
	s_andn2_b64 s[10:11], s[10:11], exec
	s_and_b64 s[14:15], vcc, exec
	s_or_b64 s[10:11], s[10:11], s[14:15]
	s_cbranch_execz .LBB74_349
	s_branch .LBB74_350
.LBB74_357:
                                        ; implicit-def: $sgpr10_sgpr11
	s_mov_b64 s[14:15], 0
	s_cbranch_execnz .LBB74_361
	s_branch .LBB74_362
.LBB74_358:
	s_mov_b64 s[14:15], 0
                                        ; implicit-def: $sgpr10_sgpr11
	s_cbranch_execz .LBB74_360
; %bb.359:
	s_waitcnt vmcnt(0)
	v_cmp_gt_i16_e32 vcc, v28, v29
	s_andn2_b64 s[10:11], s[10:11], exec
	s_and_b64 s[16:17], vcc, exec
	s_or_b64 s[10:11], s[10:11], s[16:17]
.LBB74_360:
	s_branch .LBB74_362
.LBB74_361:
	s_cmp_lg_u32 s13, 0
	s_mov_b64 s[6:7], -1
	s_cselect_b64 s[14:15], -1, 0
.LBB74_362:
	s_andn2_b64 vcc, exec, s[14:15]
	s_cbranch_vccz .LBB74_371
; %bb.363:
	s_andn2_b64 vcc, exec, s[6:7]
	s_cbranch_vccnz .LBB74_365
.LBB74_364:
	s_waitcnt vmcnt(0)
	v_cmp_ge_i16_e32 vcc, v28, v29
	s_andn2_b64 s[6:7], s[10:11], exec
	s_and_b64 s[10:11], vcc, exec
	s_or_b64 s[10:11], s[6:7], s[10:11]
.LBB74_365:
	v_cndmask_b32_e64 v27, 0, 1, s[10:11]
.LBB74_366:
	s_or_b64 exec, exec, s[4:5]
	v_or_b32_e32 v28, 0x700, v0
	v_cmp_gt_i32_e32 vcc, s12, v28
                                        ; implicit-def: $vgpr28
	s_and_saveexec_b64 s[4:5], vcc
	s_cbranch_execz .LBB74_381
; %bb.367:
	s_cmp_lt_i32 s13, 1
	s_mov_b64 s[6:7], 0
	s_cbranch_scc1 .LBB74_372
; %bb.368:
	s_cmp_gt_i32 s13, 1
	s_cbranch_scc0 .LBB74_373
; %bb.369:
	s_cmp_eq_u32 s13, 2
	s_cbranch_scc0 .LBB74_541
; %bb.370:
	s_waitcnt vmcnt(0)
	v_cmp_le_i16_e64 s[10:11], v25, v26
	s_mov_b64 s[14:15], 0
	s_branch .LBB74_375
.LBB74_371:
	s_waitcnt vmcnt(0)
	v_cmp_lt_i16_e32 vcc, v28, v29
	s_andn2_b64 s[10:11], s[10:11], exec
	s_and_b64 s[14:15], vcc, exec
	s_or_b64 s[10:11], s[10:11], s[14:15]
	s_cbranch_execz .LBB74_364
	s_branch .LBB74_365
.LBB74_372:
                                        ; implicit-def: $sgpr10_sgpr11
	s_mov_b64 s[14:15], 0
	s_cbranch_execnz .LBB74_376
	s_branch .LBB74_377
.LBB74_373:
	s_mov_b64 s[14:15], 0
                                        ; implicit-def: $sgpr10_sgpr11
	s_cbranch_execz .LBB74_375
; %bb.374:
	s_waitcnt vmcnt(0)
	v_cmp_gt_i16_e32 vcc, v25, v26
	s_andn2_b64 s[10:11], s[10:11], exec
	s_and_b64 s[16:17], vcc, exec
	s_or_b64 s[10:11], s[10:11], s[16:17]
.LBB74_375:
	s_branch .LBB74_377
.LBB74_376:
	s_cmp_lg_u32 s13, 0
	s_mov_b64 s[6:7], -1
	s_cselect_b64 s[14:15], -1, 0
.LBB74_377:
	s_andn2_b64 vcc, exec, s[14:15]
	s_cbranch_vccz .LBB74_386
; %bb.378:
	s_andn2_b64 vcc, exec, s[6:7]
	s_cbranch_vccnz .LBB74_380
.LBB74_379:
	s_waitcnt vmcnt(0)
	v_cmp_ge_i16_e32 vcc, v25, v26
	s_andn2_b64 s[6:7], s[10:11], exec
	s_and_b64 s[10:11], vcc, exec
	s_or_b64 s[10:11], s[6:7], s[10:11]
.LBB74_380:
	v_cndmask_b32_e64 v28, 0, 1, s[10:11]
.LBB74_381:
	s_or_b64 exec, exec, s[4:5]
	v_or_b32_e32 v25, 0x800, v0
	v_cmp_gt_i32_e32 vcc, s12, v25
                                        ; implicit-def: $vgpr25
	s_and_saveexec_b64 s[4:5], vcc
	s_cbranch_execz .LBB74_396
; %bb.382:
	s_cmp_lt_i32 s13, 1
	s_mov_b64 s[6:7], 0
	s_cbranch_scc1 .LBB74_387
; %bb.383:
	s_cmp_gt_i32 s13, 1
	s_cbranch_scc0 .LBB74_388
; %bb.384:
	s_cmp_eq_u32 s13, 2
	s_cbranch_scc0 .LBB74_542
; %bb.385:
	s_waitcnt vmcnt(0)
	v_cmp_le_i16_e64 s[10:11], v22, v23
	s_mov_b64 s[14:15], 0
	s_branch .LBB74_390
.LBB74_386:
	s_waitcnt vmcnt(0)
	v_cmp_lt_i16_e32 vcc, v25, v26
	s_andn2_b64 s[10:11], s[10:11], exec
	s_and_b64 s[14:15], vcc, exec
	s_or_b64 s[10:11], s[10:11], s[14:15]
	s_cbranch_execz .LBB74_379
	s_branch .LBB74_380
.LBB74_387:
                                        ; implicit-def: $sgpr10_sgpr11
	s_mov_b64 s[14:15], 0
	s_cbranch_execnz .LBB74_391
	s_branch .LBB74_392
.LBB74_388:
	s_mov_b64 s[14:15], 0
                                        ; implicit-def: $sgpr10_sgpr11
	s_cbranch_execz .LBB74_390
; %bb.389:
	s_waitcnt vmcnt(0)
	v_cmp_gt_i16_e32 vcc, v22, v23
	s_andn2_b64 s[10:11], s[10:11], exec
	s_and_b64 s[16:17], vcc, exec
	s_or_b64 s[10:11], s[10:11], s[16:17]
.LBB74_390:
	s_branch .LBB74_392
.LBB74_391:
	s_cmp_lg_u32 s13, 0
	s_mov_b64 s[6:7], -1
	s_cselect_b64 s[14:15], -1, 0
.LBB74_392:
	s_andn2_b64 vcc, exec, s[14:15]
	s_cbranch_vccz .LBB74_401
; %bb.393:
	s_andn2_b64 vcc, exec, s[6:7]
	s_cbranch_vccnz .LBB74_395
.LBB74_394:
	s_waitcnt vmcnt(0)
	v_cmp_ge_i16_e32 vcc, v22, v23
	s_andn2_b64 s[6:7], s[10:11], exec
	s_and_b64 s[10:11], vcc, exec
	s_or_b64 s[10:11], s[6:7], s[10:11]
.LBB74_395:
	v_cndmask_b32_e64 v25, 0, 1, s[10:11]
.LBB74_396:
	s_or_b64 exec, exec, s[4:5]
	v_or_b32_e32 v22, 0x900, v0
	v_cmp_gt_i32_e32 vcc, s12, v22
                                        ; implicit-def: $vgpr22
	s_and_saveexec_b64 s[4:5], vcc
	s_cbranch_execz .LBB74_411
; %bb.397:
	s_cmp_lt_i32 s13, 1
	s_mov_b64 s[6:7], 0
	s_cbranch_scc1 .LBB74_402
; %bb.398:
	s_cmp_gt_i32 s13, 1
	s_cbranch_scc0 .LBB74_403
; %bb.399:
	s_cmp_eq_u32 s13, 2
	s_cbranch_scc0 .LBB74_543
; %bb.400:
	s_waitcnt vmcnt(0)
	v_cmp_le_i16_e64 s[10:11], v19, v20
	s_mov_b64 s[14:15], 0
	s_branch .LBB74_405
.LBB74_401:
	s_waitcnt vmcnt(0)
	v_cmp_lt_i16_e32 vcc, v22, v23
	s_andn2_b64 s[10:11], s[10:11], exec
	s_and_b64 s[14:15], vcc, exec
	s_or_b64 s[10:11], s[10:11], s[14:15]
	s_cbranch_execz .LBB74_394
	s_branch .LBB74_395
.LBB74_402:
                                        ; implicit-def: $sgpr10_sgpr11
	s_mov_b64 s[14:15], 0
	s_cbranch_execnz .LBB74_406
	s_branch .LBB74_407
.LBB74_403:
	s_mov_b64 s[14:15], 0
                                        ; implicit-def: $sgpr10_sgpr11
	s_cbranch_execz .LBB74_405
; %bb.404:
	s_waitcnt vmcnt(0)
	v_cmp_gt_i16_e32 vcc, v19, v20
	s_andn2_b64 s[10:11], s[10:11], exec
	s_and_b64 s[16:17], vcc, exec
	s_or_b64 s[10:11], s[10:11], s[16:17]
.LBB74_405:
	s_branch .LBB74_407
.LBB74_406:
	s_cmp_lg_u32 s13, 0
	s_mov_b64 s[6:7], -1
	s_cselect_b64 s[14:15], -1, 0
.LBB74_407:
	s_andn2_b64 vcc, exec, s[14:15]
	s_cbranch_vccz .LBB74_416
; %bb.408:
	s_andn2_b64 vcc, exec, s[6:7]
	s_cbranch_vccnz .LBB74_410
.LBB74_409:
	s_waitcnt vmcnt(0)
	v_cmp_ge_i16_e32 vcc, v19, v20
	s_andn2_b64 s[6:7], s[10:11], exec
	s_and_b64 s[10:11], vcc, exec
	s_or_b64 s[10:11], s[6:7], s[10:11]
.LBB74_410:
	v_cndmask_b32_e64 v22, 0, 1, s[10:11]
.LBB74_411:
	s_or_b64 exec, exec, s[4:5]
	v_or_b32_e32 v19, 0xa00, v0
	v_cmp_gt_i32_e32 vcc, s12, v19
                                        ; implicit-def: $vgpr19
	s_and_saveexec_b64 s[4:5], vcc
	s_cbranch_execz .LBB74_426
; %bb.412:
	s_cmp_lt_i32 s13, 1
	s_mov_b64 s[6:7], 0
	s_cbranch_scc1 .LBB74_417
; %bb.413:
	s_cmp_gt_i32 s13, 1
	s_cbranch_scc0 .LBB74_418
; %bb.414:
	s_cmp_eq_u32 s13, 2
	s_cbranch_scc0 .LBB74_544
; %bb.415:
	s_waitcnt vmcnt(0)
	v_cmp_le_i16_e64 s[10:11], v17, v18
	s_mov_b64 s[14:15], 0
	s_branch .LBB74_420
.LBB74_416:
	s_waitcnt vmcnt(0)
	v_cmp_lt_i16_e32 vcc, v19, v20
	s_andn2_b64 s[10:11], s[10:11], exec
	s_and_b64 s[14:15], vcc, exec
	s_or_b64 s[10:11], s[10:11], s[14:15]
	s_cbranch_execz .LBB74_409
	s_branch .LBB74_410
.LBB74_417:
                                        ; implicit-def: $sgpr10_sgpr11
	s_mov_b64 s[14:15], 0
	s_cbranch_execnz .LBB74_421
	s_branch .LBB74_422
.LBB74_418:
	s_mov_b64 s[14:15], 0
                                        ; implicit-def: $sgpr10_sgpr11
	s_cbranch_execz .LBB74_420
; %bb.419:
	s_waitcnt vmcnt(0)
	v_cmp_gt_i16_e32 vcc, v17, v18
	s_andn2_b64 s[10:11], s[10:11], exec
	s_and_b64 s[16:17], vcc, exec
	s_or_b64 s[10:11], s[10:11], s[16:17]
.LBB74_420:
	s_branch .LBB74_422
.LBB74_421:
	s_cmp_lg_u32 s13, 0
	s_mov_b64 s[6:7], -1
	s_cselect_b64 s[14:15], -1, 0
.LBB74_422:
	s_andn2_b64 vcc, exec, s[14:15]
	s_cbranch_vccz .LBB74_431
; %bb.423:
	s_andn2_b64 vcc, exec, s[6:7]
	s_cbranch_vccnz .LBB74_425
.LBB74_424:
	s_waitcnt vmcnt(0)
	v_cmp_ge_i16_e32 vcc, v17, v18
	s_andn2_b64 s[6:7], s[10:11], exec
	s_and_b64 s[10:11], vcc, exec
	s_or_b64 s[10:11], s[6:7], s[10:11]
.LBB74_425:
	v_cndmask_b32_e64 v19, 0, 1, s[10:11]
.LBB74_426:
	s_or_b64 exec, exec, s[4:5]
	v_or_b32_e32 v17, 0xb00, v0
	v_cmp_gt_i32_e32 vcc, s12, v17
                                        ; implicit-def: $vgpr17
	s_and_saveexec_b64 s[4:5], vcc
	s_cbranch_execz .LBB74_441
; %bb.427:
	s_cmp_lt_i32 s13, 1
	s_mov_b64 s[6:7], 0
	s_cbranch_scc1 .LBB74_432
; %bb.428:
	s_cmp_gt_i32 s13, 1
	s_cbranch_scc0 .LBB74_433
; %bb.429:
	s_cmp_eq_u32 s13, 2
	s_cbranch_scc0 .LBB74_545
; %bb.430:
	s_waitcnt vmcnt(0)
	v_cmp_le_i16_e64 s[10:11], v13, v15
	s_mov_b64 s[14:15], 0
	s_branch .LBB74_435
.LBB74_431:
	s_waitcnt vmcnt(0)
	v_cmp_lt_i16_e32 vcc, v17, v18
	s_andn2_b64 s[10:11], s[10:11], exec
	s_and_b64 s[14:15], vcc, exec
	s_or_b64 s[10:11], s[10:11], s[14:15]
	s_cbranch_execz .LBB74_424
	s_branch .LBB74_425
.LBB74_432:
                                        ; implicit-def: $sgpr10_sgpr11
	s_mov_b64 s[14:15], 0
	s_cbranch_execnz .LBB74_436
	s_branch .LBB74_437
.LBB74_433:
	s_mov_b64 s[14:15], 0
                                        ; implicit-def: $sgpr10_sgpr11
	s_cbranch_execz .LBB74_435
; %bb.434:
	s_waitcnt vmcnt(0)
	v_cmp_gt_i16_e32 vcc, v13, v15
	s_andn2_b64 s[10:11], s[10:11], exec
	s_and_b64 s[16:17], vcc, exec
	s_or_b64 s[10:11], s[10:11], s[16:17]
.LBB74_435:
	s_branch .LBB74_437
.LBB74_436:
	s_cmp_lg_u32 s13, 0
	s_mov_b64 s[6:7], -1
	s_cselect_b64 s[14:15], -1, 0
.LBB74_437:
	s_andn2_b64 vcc, exec, s[14:15]
	s_cbranch_vccz .LBB74_446
; %bb.438:
	s_andn2_b64 vcc, exec, s[6:7]
	s_cbranch_vccnz .LBB74_440
.LBB74_439:
	s_waitcnt vmcnt(0)
	v_cmp_ge_i16_e32 vcc, v13, v15
	s_andn2_b64 s[6:7], s[10:11], exec
	s_and_b64 s[10:11], vcc, exec
	s_or_b64 s[10:11], s[6:7], s[10:11]
.LBB74_440:
	v_cndmask_b32_e64 v17, 0, 1, s[10:11]
.LBB74_441:
	s_or_b64 exec, exec, s[4:5]
	v_or_b32_e32 v13, 0xc00, v0
	v_cmp_gt_i32_e32 vcc, s12, v13
                                        ; implicit-def: $vgpr13
	s_and_saveexec_b64 s[4:5], vcc
	s_cbranch_execz .LBB74_456
; %bb.442:
	s_cmp_lt_i32 s13, 1
	s_mov_b64 s[6:7], 0
	s_cbranch_scc1 .LBB74_447
; %bb.443:
	s_cmp_gt_i32 s13, 1
	s_cbranch_scc0 .LBB74_448
; %bb.444:
	s_cmp_eq_u32 s13, 2
	s_cbranch_scc0 .LBB74_546
; %bb.445:
	s_waitcnt vmcnt(0)
	v_cmp_le_i16_e64 s[10:11], v11, v12
	s_mov_b64 s[14:15], 0
	s_branch .LBB74_450
.LBB74_446:
	s_waitcnt vmcnt(0)
	v_cmp_lt_i16_e32 vcc, v13, v15
	s_andn2_b64 s[10:11], s[10:11], exec
	s_and_b64 s[14:15], vcc, exec
	s_or_b64 s[10:11], s[10:11], s[14:15]
	s_cbranch_execz .LBB74_439
	s_branch .LBB74_440
.LBB74_447:
                                        ; implicit-def: $sgpr10_sgpr11
	s_mov_b64 s[14:15], 0
	s_cbranch_execnz .LBB74_451
	s_branch .LBB74_452
.LBB74_448:
	s_mov_b64 s[14:15], 0
                                        ; implicit-def: $sgpr10_sgpr11
	s_cbranch_execz .LBB74_450
; %bb.449:
	s_waitcnt vmcnt(0)
	v_cmp_gt_i16_e32 vcc, v11, v12
	s_andn2_b64 s[10:11], s[10:11], exec
	s_and_b64 s[16:17], vcc, exec
	s_or_b64 s[10:11], s[10:11], s[16:17]
.LBB74_450:
	s_branch .LBB74_452
.LBB74_451:
	s_cmp_lg_u32 s13, 0
	s_mov_b64 s[6:7], -1
	s_cselect_b64 s[14:15], -1, 0
.LBB74_452:
	s_andn2_b64 vcc, exec, s[14:15]
	s_cbranch_vccz .LBB74_461
; %bb.453:
	s_andn2_b64 vcc, exec, s[6:7]
	s_cbranch_vccnz .LBB74_455
.LBB74_454:
	s_waitcnt vmcnt(0)
	v_cmp_ge_i16_e32 vcc, v11, v12
	s_andn2_b64 s[6:7], s[10:11], exec
	s_and_b64 s[10:11], vcc, exec
	s_or_b64 s[10:11], s[6:7], s[10:11]
.LBB74_455:
	v_cndmask_b32_e64 v13, 0, 1, s[10:11]
.LBB74_456:
	s_or_b64 exec, exec, s[4:5]
	v_or_b32_e32 v11, 0xd00, v0
	v_cmp_gt_i32_e32 vcc, s12, v11
                                        ; implicit-def: $vgpr11
	s_and_saveexec_b64 s[4:5], vcc
	s_cbranch_execz .LBB74_471
; %bb.457:
	s_cmp_lt_i32 s13, 1
	s_mov_b64 s[6:7], 0
	s_cbranch_scc1 .LBB74_462
; %bb.458:
	s_cmp_gt_i32 s13, 1
	s_cbranch_scc0 .LBB74_463
; %bb.459:
	s_cmp_eq_u32 s13, 2
	s_cbranch_scc0 .LBB74_547
; %bb.460:
	s_waitcnt vmcnt(0)
	v_cmp_le_i16_e64 s[10:11], v8, v9
	s_mov_b64 s[14:15], 0
	s_branch .LBB74_465
.LBB74_461:
	s_waitcnt vmcnt(0)
	v_cmp_lt_i16_e32 vcc, v11, v12
	s_andn2_b64 s[10:11], s[10:11], exec
	s_and_b64 s[14:15], vcc, exec
	s_or_b64 s[10:11], s[10:11], s[14:15]
	s_cbranch_execz .LBB74_454
	s_branch .LBB74_455
.LBB74_462:
                                        ; implicit-def: $sgpr10_sgpr11
	s_mov_b64 s[14:15], 0
	s_cbranch_execnz .LBB74_466
	s_branch .LBB74_467
.LBB74_463:
	s_mov_b64 s[14:15], 0
                                        ; implicit-def: $sgpr10_sgpr11
	s_cbranch_execz .LBB74_465
; %bb.464:
	s_waitcnt vmcnt(0)
	v_cmp_gt_i16_e32 vcc, v8, v9
	s_andn2_b64 s[10:11], s[10:11], exec
	s_and_b64 s[16:17], vcc, exec
	s_or_b64 s[10:11], s[10:11], s[16:17]
.LBB74_465:
	s_branch .LBB74_467
.LBB74_466:
	s_cmp_lg_u32 s13, 0
	s_mov_b64 s[6:7], -1
	s_cselect_b64 s[14:15], -1, 0
.LBB74_467:
	s_andn2_b64 vcc, exec, s[14:15]
	s_cbranch_vccz .LBB74_476
; %bb.468:
	s_andn2_b64 vcc, exec, s[6:7]
	s_cbranch_vccnz .LBB74_470
.LBB74_469:
	s_waitcnt vmcnt(0)
	v_cmp_ge_i16_e32 vcc, v8, v9
	s_andn2_b64 s[6:7], s[10:11], exec
	s_and_b64 s[10:11], vcc, exec
	s_or_b64 s[10:11], s[6:7], s[10:11]
.LBB74_470:
	v_cndmask_b32_e64 v11, 0, 1, s[10:11]
.LBB74_471:
	s_or_b64 exec, exec, s[4:5]
	v_or_b32_e32 v8, 0xe00, v0
	v_cmp_gt_i32_e32 vcc, s12, v8
                                        ; implicit-def: $vgpr8
	s_and_saveexec_b64 s[4:5], vcc
	s_cbranch_execz .LBB74_486
; %bb.472:
	s_cmp_lt_i32 s13, 1
	s_mov_b64 s[6:7], 0
	s_cbranch_scc1 .LBB74_477
; %bb.473:
	s_cmp_gt_i32 s13, 1
	s_cbranch_scc0 .LBB74_478
; %bb.474:
	s_cmp_eq_u32 s13, 2
	s_cbranch_scc0 .LBB74_548
; %bb.475:
	s_waitcnt vmcnt(0)
	v_cmp_le_i16_e64 s[10:11], v4, v5
	s_mov_b64 s[14:15], 0
	s_branch .LBB74_480
.LBB74_476:
	s_waitcnt vmcnt(0)
	v_cmp_lt_i16_e32 vcc, v8, v9
	s_andn2_b64 s[10:11], s[10:11], exec
	s_and_b64 s[14:15], vcc, exec
	s_or_b64 s[10:11], s[10:11], s[14:15]
	s_cbranch_execz .LBB74_469
	s_branch .LBB74_470
.LBB74_477:
                                        ; implicit-def: $sgpr10_sgpr11
	s_mov_b64 s[14:15], 0
	s_cbranch_execnz .LBB74_481
	s_branch .LBB74_482
.LBB74_478:
	s_mov_b64 s[14:15], 0
                                        ; implicit-def: $sgpr10_sgpr11
	s_cbranch_execz .LBB74_480
; %bb.479:
	s_waitcnt vmcnt(0)
	v_cmp_gt_i16_e32 vcc, v4, v5
	s_andn2_b64 s[10:11], s[10:11], exec
	s_and_b64 s[16:17], vcc, exec
	s_or_b64 s[10:11], s[10:11], s[16:17]
.LBB74_480:
	s_branch .LBB74_482
.LBB74_481:
	s_cmp_lg_u32 s13, 0
	s_mov_b64 s[6:7], -1
	s_cselect_b64 s[14:15], -1, 0
.LBB74_482:
	s_andn2_b64 vcc, exec, s[14:15]
	s_cbranch_vccz .LBB74_491
; %bb.483:
	s_andn2_b64 vcc, exec, s[6:7]
	s_cbranch_vccnz .LBB74_485
.LBB74_484:
	s_waitcnt vmcnt(0)
	v_cmp_ge_i16_e32 vcc, v4, v5
	s_andn2_b64 s[6:7], s[10:11], exec
	s_and_b64 s[10:11], vcc, exec
	s_or_b64 s[10:11], s[6:7], s[10:11]
.LBB74_485:
	v_cndmask_b32_e64 v8, 0, 1, s[10:11]
.LBB74_486:
	s_or_b64 exec, exec, s[4:5]
	v_or_b32_e32 v4, 0xf00, v0
	v_cmp_gt_i32_e32 vcc, s12, v4
                                        ; implicit-def: $vgpr4
	s_and_saveexec_b64 s[4:5], vcc
	s_cbranch_execz .LBB74_501
; %bb.487:
	s_cmp_lt_i32 s13, 1
	s_mov_b64 s[6:7], 0
	s_cbranch_scc1 .LBB74_492
; %bb.488:
	s_cmp_gt_i32 s13, 1
	s_cbranch_scc0 .LBB74_493
; %bb.489:
	s_cmp_eq_u32 s13, 2
	s_cbranch_scc0 .LBB74_549
; %bb.490:
	s_waitcnt vmcnt(0)
	v_cmp_le_i16_e64 s[10:11], v2, v3
	s_mov_b64 s[14:15], 0
	s_branch .LBB74_495
.LBB74_491:
	s_waitcnt vmcnt(0)
	v_cmp_lt_i16_e32 vcc, v4, v5
	s_andn2_b64 s[10:11], s[10:11], exec
	s_and_b64 s[14:15], vcc, exec
	s_or_b64 s[10:11], s[10:11], s[14:15]
	s_cbranch_execz .LBB74_484
	s_branch .LBB74_485
.LBB74_492:
                                        ; implicit-def: $sgpr10_sgpr11
	s_mov_b64 s[14:15], 0
	s_cbranch_execnz .LBB74_496
	s_branch .LBB74_497
.LBB74_493:
	s_mov_b64 s[14:15], 0
                                        ; implicit-def: $sgpr10_sgpr11
	s_cbranch_execz .LBB74_495
; %bb.494:
	s_waitcnt vmcnt(0)
	v_cmp_gt_i16_e32 vcc, v2, v3
	s_andn2_b64 s[10:11], s[10:11], exec
	s_and_b64 s[16:17], vcc, exec
	s_or_b64 s[10:11], s[10:11], s[16:17]
.LBB74_495:
	s_branch .LBB74_497
.LBB74_496:
	s_cmp_lg_u32 s13, 0
	s_mov_b64 s[6:7], -1
	s_cselect_b64 s[14:15], -1, 0
.LBB74_497:
	s_andn2_b64 vcc, exec, s[14:15]
	s_cbranch_vccz .LBB74_534
; %bb.498:
	s_andn2_b64 vcc, exec, s[6:7]
	s_cbranch_vccnz .LBB74_500
.LBB74_499:
	s_waitcnt vmcnt(0)
	v_cmp_ge_i16_e32 vcc, v2, v3
	s_andn2_b64 s[6:7], s[10:11], exec
	s_and_b64 s[10:11], vcc, exec
	s_or_b64 s[10:11], s[6:7], s[10:11]
.LBB74_500:
	v_cndmask_b32_e64 v4, 0, 1, s[10:11]
.LBB74_501:
	s_or_b64 exec, exec, s[4:5]
	s_and_saveexec_b64 s[4:5], s[0:1]
	s_xor_b64 s[0:1], exec, s[4:5]
	s_cbranch_execz .LBB74_503
; %bb.502:
	v_mov_b32_e32 v0, v7
	global_store_byte v1, v6, s[8:9]
.LBB74_503:
	s_or_b64 exec, exec, s[0:1]
	v_cmp_gt_i32_e32 vcc, s12, v0
	s_and_saveexec_b64 s[0:1], vcc
	s_cbranch_execnz .LBB74_520
; %bb.504:
	s_or_b64 exec, exec, s[0:1]
	v_cmp_gt_i32_e32 vcc, s12, v0
	s_and_saveexec_b64 s[0:1], vcc
	s_cbranch_execnz .LBB74_521
.LBB74_505:
	s_or_b64 exec, exec, s[0:1]
	v_cmp_gt_i32_e32 vcc, s12, v0
	s_and_saveexec_b64 s[0:1], vcc
	s_cbranch_execnz .LBB74_522
.LBB74_506:
	s_or_b64 exec, exec, s[0:1]
	v_cmp_gt_i32_e32 vcc, s12, v0
	s_and_saveexec_b64 s[0:1], vcc
	s_cbranch_execnz .LBB74_523
.LBB74_507:
	s_or_b64 exec, exec, s[0:1]
	v_cmp_gt_i32_e32 vcc, s12, v0
	s_and_saveexec_b64 s[0:1], vcc
	s_cbranch_execnz .LBB74_524
.LBB74_508:
	s_or_b64 exec, exec, s[0:1]
	v_cmp_gt_i32_e32 vcc, s12, v0
	s_and_saveexec_b64 s[0:1], vcc
	s_cbranch_execnz .LBB74_525
.LBB74_509:
	s_or_b64 exec, exec, s[0:1]
	v_cmp_gt_i32_e32 vcc, s12, v0
	s_and_saveexec_b64 s[0:1], vcc
	s_cbranch_execnz .LBB74_526
.LBB74_510:
	s_or_b64 exec, exec, s[0:1]
	v_cmp_gt_i32_e32 vcc, s12, v0
	s_and_saveexec_b64 s[0:1], vcc
	s_cbranch_execnz .LBB74_527
.LBB74_511:
	s_or_b64 exec, exec, s[0:1]
	v_cmp_gt_i32_e32 vcc, s12, v0
	s_and_saveexec_b64 s[0:1], vcc
	s_cbranch_execnz .LBB74_528
.LBB74_512:
	s_or_b64 exec, exec, s[0:1]
	v_cmp_gt_i32_e32 vcc, s12, v0
	s_and_saveexec_b64 s[0:1], vcc
	s_cbranch_execnz .LBB74_529
.LBB74_513:
	s_or_b64 exec, exec, s[0:1]
	v_cmp_gt_i32_e32 vcc, s12, v0
	s_and_saveexec_b64 s[0:1], vcc
	s_cbranch_execnz .LBB74_530
.LBB74_514:
	s_or_b64 exec, exec, s[0:1]
	v_cmp_gt_i32_e32 vcc, s12, v0
	s_and_saveexec_b64 s[0:1], vcc
	s_cbranch_execnz .LBB74_531
.LBB74_515:
	s_or_b64 exec, exec, s[0:1]
	v_cmp_gt_i32_e32 vcc, s12, v0
	s_and_saveexec_b64 s[0:1], vcc
	s_cbranch_execnz .LBB74_532
.LBB74_516:
	s_or_b64 exec, exec, s[0:1]
	v_cmp_gt_i32_e32 vcc, s12, v0
	s_and_saveexec_b64 s[0:1], vcc
	s_cbranch_execnz .LBB74_533
.LBB74_517:
	s_or_b64 exec, exec, s[0:1]
	v_cmp_gt_i32_e32 vcc, s12, v0
	s_and_saveexec_b64 s[0:1], vcc
	s_cbranch_execz .LBB74_519
.LBB74_518:
	v_add_u32_e32 v0, s2, v0
	global_store_byte v0, v4, s[8:9]
.LBB74_519:
	s_endpgm
.LBB74_520:
	v_add_u32_e32 v1, s2, v0
	v_add_u32_e32 v0, 0x100, v0
	s_waitcnt vmcnt(0)
	global_store_byte v1, v10, s[8:9]
	s_or_b64 exec, exec, s[0:1]
	v_cmp_gt_i32_e32 vcc, s12, v0
	s_and_saveexec_b64 s[0:1], vcc
	s_cbranch_execz .LBB74_505
.LBB74_521:
	v_add_u32_e32 v1, s2, v0
	v_add_u32_e32 v0, 0x100, v0
	global_store_byte v1, v14, s[8:9]
	s_or_b64 exec, exec, s[0:1]
	v_cmp_gt_i32_e32 vcc, s12, v0
	s_and_saveexec_b64 s[0:1], vcc
	s_cbranch_execz .LBB74_506
.LBB74_522:
	v_add_u32_e32 v1, s2, v0
	v_add_u32_e32 v0, 0x100, v0
	global_store_byte v1, v16, s[8:9]
	s_or_b64 exec, exec, s[0:1]
	v_cmp_gt_i32_e32 vcc, s12, v0
	s_and_saveexec_b64 s[0:1], vcc
	s_cbranch_execz .LBB74_507
.LBB74_523:
	v_add_u32_e32 v1, s2, v0
	v_add_u32_e32 v0, 0x100, v0
	global_store_byte v1, v21, s[8:9]
	s_or_b64 exec, exec, s[0:1]
	v_cmp_gt_i32_e32 vcc, s12, v0
	s_and_saveexec_b64 s[0:1], vcc
	s_cbranch_execz .LBB74_508
.LBB74_524:
	v_add_u32_e32 v1, s2, v0
	v_add_u32_e32 v0, 0x100, v0
	global_store_byte v1, v24, s[8:9]
	s_or_b64 exec, exec, s[0:1]
	v_cmp_gt_i32_e32 vcc, s12, v0
	s_and_saveexec_b64 s[0:1], vcc
	s_cbranch_execz .LBB74_509
.LBB74_525:
	v_add_u32_e32 v1, s2, v0
	v_add_u32_e32 v0, 0x100, v0
	global_store_byte v1, v27, s[8:9]
	s_or_b64 exec, exec, s[0:1]
	v_cmp_gt_i32_e32 vcc, s12, v0
	s_and_saveexec_b64 s[0:1], vcc
	s_cbranch_execz .LBB74_510
.LBB74_526:
	v_add_u32_e32 v1, s2, v0
	v_add_u32_e32 v0, 0x100, v0
	global_store_byte v1, v28, s[8:9]
	s_or_b64 exec, exec, s[0:1]
	v_cmp_gt_i32_e32 vcc, s12, v0
	s_and_saveexec_b64 s[0:1], vcc
	s_cbranch_execz .LBB74_511
.LBB74_527:
	v_add_u32_e32 v1, s2, v0
	v_add_u32_e32 v0, 0x100, v0
	global_store_byte v1, v25, s[8:9]
	s_or_b64 exec, exec, s[0:1]
	v_cmp_gt_i32_e32 vcc, s12, v0
	s_and_saveexec_b64 s[0:1], vcc
	s_cbranch_execz .LBB74_512
.LBB74_528:
	v_add_u32_e32 v1, s2, v0
	v_add_u32_e32 v0, 0x100, v0
	global_store_byte v1, v22, s[8:9]
	s_or_b64 exec, exec, s[0:1]
	v_cmp_gt_i32_e32 vcc, s12, v0
	s_and_saveexec_b64 s[0:1], vcc
	s_cbranch_execz .LBB74_513
.LBB74_529:
	v_add_u32_e32 v1, s2, v0
	v_add_u32_e32 v0, 0x100, v0
	global_store_byte v1, v19, s[8:9]
	s_or_b64 exec, exec, s[0:1]
	v_cmp_gt_i32_e32 vcc, s12, v0
	s_and_saveexec_b64 s[0:1], vcc
	s_cbranch_execz .LBB74_514
.LBB74_530:
	v_add_u32_e32 v1, s2, v0
	v_add_u32_e32 v0, 0x100, v0
	global_store_byte v1, v17, s[8:9]
	s_or_b64 exec, exec, s[0:1]
	v_cmp_gt_i32_e32 vcc, s12, v0
	s_and_saveexec_b64 s[0:1], vcc
	s_cbranch_execz .LBB74_515
.LBB74_531:
	v_add_u32_e32 v1, s2, v0
	v_add_u32_e32 v0, 0x100, v0
	global_store_byte v1, v13, s[8:9]
	s_or_b64 exec, exec, s[0:1]
	v_cmp_gt_i32_e32 vcc, s12, v0
	s_and_saveexec_b64 s[0:1], vcc
	s_cbranch_execz .LBB74_516
.LBB74_532:
	v_add_u32_e32 v1, s2, v0
	v_add_u32_e32 v0, 0x100, v0
	global_store_byte v1, v11, s[8:9]
	s_or_b64 exec, exec, s[0:1]
	v_cmp_gt_i32_e32 vcc, s12, v0
	s_and_saveexec_b64 s[0:1], vcc
	s_cbranch_execz .LBB74_517
.LBB74_533:
	v_add_u32_e32 v1, s2, v0
	v_add_u32_e32 v0, 0x100, v0
	global_store_byte v1, v8, s[8:9]
	s_or_b64 exec, exec, s[0:1]
	v_cmp_gt_i32_e32 vcc, s12, v0
	s_and_saveexec_b64 s[0:1], vcc
	s_cbranch_execnz .LBB74_518
	s_branch .LBB74_519
.LBB74_534:
	s_waitcnt vmcnt(0)
	v_cmp_lt_i16_e32 vcc, v2, v3
	s_andn2_b64 s[10:11], s[10:11], exec
	s_and_b64 s[14:15], vcc, exec
	s_or_b64 s[10:11], s[10:11], s[14:15]
	s_cbranch_execz .LBB74_499
	s_branch .LBB74_500
.LBB74_535:
	s_mov_b64 s[14:15], -1
                                        ; implicit-def: $sgpr10_sgpr11
	s_branch .LBB74_285
.LBB74_536:
	s_mov_b64 s[14:15], -1
                                        ; implicit-def: $sgpr10_sgpr11
	s_branch .LBB74_300
.LBB74_537:
	s_mov_b64 s[14:15], -1
                                        ; implicit-def: $sgpr10_sgpr11
	s_branch .LBB74_315
.LBB74_538:
	s_mov_b64 s[14:15], -1
                                        ; implicit-def: $sgpr10_sgpr11
	s_branch .LBB74_330
.LBB74_539:
	s_mov_b64 s[14:15], -1
                                        ; implicit-def: $sgpr10_sgpr11
	s_branch .LBB74_345
.LBB74_540:
	s_mov_b64 s[14:15], -1
                                        ; implicit-def: $sgpr10_sgpr11
	s_branch .LBB74_360
.LBB74_541:
	s_mov_b64 s[14:15], -1
                                        ; implicit-def: $sgpr10_sgpr11
	s_branch .LBB74_375
.LBB74_542:
	s_mov_b64 s[14:15], -1
                                        ; implicit-def: $sgpr10_sgpr11
	s_branch .LBB74_390
.LBB74_543:
	s_mov_b64 s[14:15], -1
                                        ; implicit-def: $sgpr10_sgpr11
	s_branch .LBB74_405
.LBB74_544:
	s_mov_b64 s[14:15], -1
                                        ; implicit-def: $sgpr10_sgpr11
	s_branch .LBB74_420
.LBB74_545:
	s_mov_b64 s[14:15], -1
                                        ; implicit-def: $sgpr10_sgpr11
	s_branch .LBB74_435
.LBB74_546:
	s_mov_b64 s[14:15], -1
                                        ; implicit-def: $sgpr10_sgpr11
	s_branch .LBB74_450
.LBB74_547:
	s_mov_b64 s[14:15], -1
                                        ; implicit-def: $sgpr10_sgpr11
	s_branch .LBB74_465
.LBB74_548:
	s_mov_b64 s[14:15], -1
                                        ; implicit-def: $sgpr10_sgpr11
	s_branch .LBB74_480
.LBB74_549:
	s_mov_b64 s[14:15], -1
                                        ; implicit-def: $sgpr10_sgpr11
	s_branch .LBB74_495
	.section	.rodata,"a",@progbits
	.p2align	6, 0x0
	.amdhsa_kernel _ZN2at6native29vectorized_elementwise_kernelILi4ENS0_12_GLOBAL__N_114CompareFunctorIsEESt5arrayIPcLm3EEEEviT0_T1_
		.amdhsa_group_segment_fixed_size 0
		.amdhsa_private_segment_fixed_size 0
		.amdhsa_kernarg_size 32
		.amdhsa_user_sgpr_count 6
		.amdhsa_user_sgpr_private_segment_buffer 1
		.amdhsa_user_sgpr_dispatch_ptr 0
		.amdhsa_user_sgpr_queue_ptr 0
		.amdhsa_user_sgpr_kernarg_segment_ptr 1
		.amdhsa_user_sgpr_dispatch_id 0
		.amdhsa_user_sgpr_flat_scratch_init 0
		.amdhsa_user_sgpr_private_segment_size 0
		.amdhsa_uses_dynamic_stack 0
		.amdhsa_system_sgpr_private_segment_wavefront_offset 0
		.amdhsa_system_sgpr_workgroup_id_x 1
		.amdhsa_system_sgpr_workgroup_id_y 0
		.amdhsa_system_sgpr_workgroup_id_z 0
		.amdhsa_system_sgpr_workgroup_info 0
		.amdhsa_system_vgpr_workitem_id 0
		.amdhsa_next_free_vgpr 39
		.amdhsa_next_free_sgpr 50
		.amdhsa_reserve_vcc 1
		.amdhsa_reserve_flat_scratch 0
		.amdhsa_float_round_mode_32 0
		.amdhsa_float_round_mode_16_64 0
		.amdhsa_float_denorm_mode_32 3
		.amdhsa_float_denorm_mode_16_64 3
		.amdhsa_dx10_clamp 1
		.amdhsa_ieee_mode 1
		.amdhsa_fp16_overflow 0
		.amdhsa_exception_fp_ieee_invalid_op 0
		.amdhsa_exception_fp_denorm_src 0
		.amdhsa_exception_fp_ieee_div_zero 0
		.amdhsa_exception_fp_ieee_overflow 0
		.amdhsa_exception_fp_ieee_underflow 0
		.amdhsa_exception_fp_ieee_inexact 0
		.amdhsa_exception_int_div_zero 0
	.end_amdhsa_kernel
	.section	.text._ZN2at6native29vectorized_elementwise_kernelILi4ENS0_12_GLOBAL__N_114CompareFunctorIsEESt5arrayIPcLm3EEEEviT0_T1_,"axG",@progbits,_ZN2at6native29vectorized_elementwise_kernelILi4ENS0_12_GLOBAL__N_114CompareFunctorIsEESt5arrayIPcLm3EEEEviT0_T1_,comdat
.Lfunc_end74:
	.size	_ZN2at6native29vectorized_elementwise_kernelILi4ENS0_12_GLOBAL__N_114CompareFunctorIsEESt5arrayIPcLm3EEEEviT0_T1_, .Lfunc_end74-_ZN2at6native29vectorized_elementwise_kernelILi4ENS0_12_GLOBAL__N_114CompareFunctorIsEESt5arrayIPcLm3EEEEviT0_T1_
                                        ; -- End function
	.set _ZN2at6native29vectorized_elementwise_kernelILi4ENS0_12_GLOBAL__N_114CompareFunctorIsEESt5arrayIPcLm3EEEEviT0_T1_.num_vgpr, 39
	.set _ZN2at6native29vectorized_elementwise_kernelILi4ENS0_12_GLOBAL__N_114CompareFunctorIsEESt5arrayIPcLm3EEEEviT0_T1_.num_agpr, 0
	.set _ZN2at6native29vectorized_elementwise_kernelILi4ENS0_12_GLOBAL__N_114CompareFunctorIsEESt5arrayIPcLm3EEEEviT0_T1_.numbered_sgpr, 50
	.set _ZN2at6native29vectorized_elementwise_kernelILi4ENS0_12_GLOBAL__N_114CompareFunctorIsEESt5arrayIPcLm3EEEEviT0_T1_.num_named_barrier, 0
	.set _ZN2at6native29vectorized_elementwise_kernelILi4ENS0_12_GLOBAL__N_114CompareFunctorIsEESt5arrayIPcLm3EEEEviT0_T1_.private_seg_size, 0
	.set _ZN2at6native29vectorized_elementwise_kernelILi4ENS0_12_GLOBAL__N_114CompareFunctorIsEESt5arrayIPcLm3EEEEviT0_T1_.uses_vcc, 1
	.set _ZN2at6native29vectorized_elementwise_kernelILi4ENS0_12_GLOBAL__N_114CompareFunctorIsEESt5arrayIPcLm3EEEEviT0_T1_.uses_flat_scratch, 0
	.set _ZN2at6native29vectorized_elementwise_kernelILi4ENS0_12_GLOBAL__N_114CompareFunctorIsEESt5arrayIPcLm3EEEEviT0_T1_.has_dyn_sized_stack, 0
	.set _ZN2at6native29vectorized_elementwise_kernelILi4ENS0_12_GLOBAL__N_114CompareFunctorIsEESt5arrayIPcLm3EEEEviT0_T1_.has_recursion, 0
	.set _ZN2at6native29vectorized_elementwise_kernelILi4ENS0_12_GLOBAL__N_114CompareFunctorIsEESt5arrayIPcLm3EEEEviT0_T1_.has_indirect_call, 0
	.section	.AMDGPU.csdata,"",@progbits
; Kernel info:
; codeLenInByte = 9016
; TotalNumSgprs: 54
; NumVgprs: 39
; ScratchSize: 0
; MemoryBound: 0
; FloatMode: 240
; IeeeMode: 1
; LDSByteSize: 0 bytes/workgroup (compile time only)
; SGPRBlocks: 6
; VGPRBlocks: 9
; NumSGPRsForWavesPerEU: 54
; NumVGPRsForWavesPerEU: 39
; Occupancy: 6
; WaveLimiterHint : 1
; COMPUTE_PGM_RSRC2:SCRATCH_EN: 0
; COMPUTE_PGM_RSRC2:USER_SGPR: 6
; COMPUTE_PGM_RSRC2:TRAP_HANDLER: 0
; COMPUTE_PGM_RSRC2:TGID_X_EN: 1
; COMPUTE_PGM_RSRC2:TGID_Y_EN: 0
; COMPUTE_PGM_RSRC2:TGID_Z_EN: 0
; COMPUTE_PGM_RSRC2:TIDIG_COMP_CNT: 0
	.section	.text._ZN2at6native29vectorized_elementwise_kernelILi2ENS0_12_GLOBAL__N_114CompareFunctorIsEESt5arrayIPcLm3EEEEviT0_T1_,"axG",@progbits,_ZN2at6native29vectorized_elementwise_kernelILi2ENS0_12_GLOBAL__N_114CompareFunctorIsEESt5arrayIPcLm3EEEEviT0_T1_,comdat
	.globl	_ZN2at6native29vectorized_elementwise_kernelILi2ENS0_12_GLOBAL__N_114CompareFunctorIsEESt5arrayIPcLm3EEEEviT0_T1_ ; -- Begin function _ZN2at6native29vectorized_elementwise_kernelILi2ENS0_12_GLOBAL__N_114CompareFunctorIsEESt5arrayIPcLm3EEEEviT0_T1_
	.p2align	8
	.type	_ZN2at6native29vectorized_elementwise_kernelILi2ENS0_12_GLOBAL__N_114CompareFunctorIsEESt5arrayIPcLm3EEEEviT0_T1_,@function
_ZN2at6native29vectorized_elementwise_kernelILi2ENS0_12_GLOBAL__N_114CompareFunctorIsEESt5arrayIPcLm3EEEEviT0_T1_: ; @_ZN2at6native29vectorized_elementwise_kernelILi2ENS0_12_GLOBAL__N_114CompareFunctorIsEESt5arrayIPcLm3EEEEviT0_T1_
; %bb.0:
	s_load_dwordx2 s[12:13], s[4:5], 0x0
	s_load_dwordx4 s[8:11], s[4:5], 0x8
	s_load_dwordx2 s[14:15], s[4:5], 0x18
	s_lshl_b32 s2, s6, 12
	s_mov_b64 s[0:1], -1
	s_waitcnt lgkmcnt(0)
	s_sub_i32 s12, s12, s2
	s_cmpk_gt_i32 s12, 0xfff
	s_cbranch_scc0 .LBB75_211
; %bb.1:
	s_ashr_i32 s3, s2, 31
	s_lshl_b64 s[0:1], s[2:3], 1
	s_add_u32 s4, s10, s0
	s_addc_u32 s5, s11, s1
	v_lshlrev_b32_e32 v2, 2, v0
	v_mov_b32_e32 v1, s5
	v_add_co_u32_e32 v3, vcc, s4, v2
	v_addc_co_u32_e32 v1, vcc, 0, v1, vcc
	v_add_co_u32_e32 v8, vcc, 0x1000, v3
	s_add_u32 s0, s14, s0
	v_addc_co_u32_e32 v9, vcc, 0, v1, vcc
	s_addc_u32 s1, s15, s1
	global_load_dword v7, v[8:9], off
	global_load_dword v5, v[8:9], off offset:1024
	global_load_dword v3, v[8:9], off offset:2048
	;; [unrolled: 1-line block ×3, first 2 shown]
	v_mov_b32_e32 v4, s1
	v_add_co_u32_e32 v6, vcc, s0, v2
	global_load_dword v15, v2, s[4:5]
	global_load_dword v13, v2, s[4:5] offset:1024
	global_load_dword v11, v2, s[4:5] offset:2048
	;; [unrolled: 1-line block ×3, first 2 shown]
	global_load_dword v16, v2, s[0:1]
	global_load_dword v14, v2, s[0:1] offset:1024
	global_load_dword v12, v2, s[0:1] offset:2048
	;; [unrolled: 1-line block ×3, first 2 shown]
	v_addc_co_u32_e32 v4, vcc, 0, v4, vcc
	v_add_co_u32_e32 v17, vcc, 0x1000, v6
	v_addc_co_u32_e32 v18, vcc, 0, v4, vcc
	global_load_dword v8, v[17:18], off
	global_load_dword v6, v[17:18], off offset:1024
	global_load_dword v4, v[17:18], off offset:2048
	;; [unrolled: 1-line block ×3, first 2 shown]
	s_cmp_lt_i32 s13, 1
	s_mov_b64 s[4:5], 0
	s_cbranch_scc1 .LBB75_5
; %bb.2:
	s_cmp_gt_i32 s13, 1
	s_cbranch_scc0 .LBB75_6
; %bb.3:
	s_cmp_eq_u32 s13, 2
	s_cbranch_scc0 .LBB75_7
; %bb.4:
	s_waitcnt vmcnt(7)
	v_cmp_le_i16_e64 s[0:1], v15, v16
	s_mov_b64 s[6:7], 0
	s_branch .LBB75_8
.LBB75_5:
                                        ; implicit-def: $sgpr0_sgpr1
	s_mov_b64 s[6:7], 0
	s_cbranch_execnz .LBB75_11
	s_branch .LBB75_12
.LBB75_6:
	s_mov_b64 s[6:7], 0
                                        ; implicit-def: $sgpr0_sgpr1
	s_cbranch_execnz .LBB75_9
	s_branch .LBB75_10
.LBB75_7:
	s_mov_b64 s[6:7], -1
                                        ; implicit-def: $sgpr0_sgpr1
.LBB75_8:
	s_branch .LBB75_10
.LBB75_9:
	s_waitcnt vmcnt(7)
	v_cmp_gt_i16_e32 vcc, v15, v16
	s_andn2_b64 s[0:1], s[0:1], exec
	s_and_b64 s[16:17], vcc, exec
	s_or_b64 s[0:1], s[0:1], s[16:17]
.LBB75_10:
	s_branch .LBB75_12
.LBB75_11:
	s_cmp_lg_u32 s13, 0
	s_mov_b64 s[4:5], -1
	s_cselect_b64 s[6:7], -1, 0
.LBB75_12:
	s_andn2_b64 vcc, exec, s[6:7]
	s_cbranch_vccz .LBB75_18
; %bb.13:
	s_andn2_b64 vcc, exec, s[4:5]
	s_cbranch_vccz .LBB75_19
.LBB75_14:
	s_cmp_lt_i32 s13, 1
	s_mov_b64 s[6:7], 0
	s_cbranch_scc1 .LBB75_20
.LBB75_15:
	s_cmp_gt_i32 s13, 1
	s_cbranch_scc0 .LBB75_21
; %bb.16:
	s_cmp_eq_u32 s13, 2
	s_cbranch_scc0 .LBB75_251
; %bb.17:
	s_waitcnt vmcnt(7)
	v_cmp_le_i16_sdwa s[4:5], v15, v16 src0_sel:WORD_1 src1_sel:WORD_1
	s_mov_b64 s[16:17], 0
	s_branch .LBB75_23
.LBB75_18:
	s_waitcnt vmcnt(7)
	v_cmp_lt_i16_e32 vcc, v15, v16
	s_andn2_b64 s[0:1], s[0:1], exec
	s_and_b64 s[6:7], vcc, exec
	s_or_b64 s[0:1], s[0:1], s[6:7]
	s_cbranch_execnz .LBB75_14
.LBB75_19:
	s_waitcnt vmcnt(7)
	v_cmp_ge_i16_e32 vcc, v15, v16
	s_andn2_b64 s[0:1], s[0:1], exec
	s_and_b64 s[4:5], vcc, exec
	s_or_b64 s[0:1], s[0:1], s[4:5]
	s_cmp_lt_i32 s13, 1
	s_mov_b64 s[6:7], 0
	s_cbranch_scc0 .LBB75_15
.LBB75_20:
                                        ; implicit-def: $sgpr4_sgpr5
	s_mov_b64 s[16:17], 0
	s_cbranch_execnz .LBB75_24
	s_branch .LBB75_25
.LBB75_21:
	s_mov_b64 s[16:17], 0
                                        ; implicit-def: $sgpr4_sgpr5
	s_cbranch_execz .LBB75_23
; %bb.22:
	s_waitcnt vmcnt(7)
	v_cmp_gt_i16_sdwa s[18:19], v15, v16 src0_sel:WORD_1 src1_sel:WORD_1
	s_andn2_b64 s[4:5], s[4:5], exec
	s_and_b64 s[18:19], s[18:19], exec
	s_or_b64 s[4:5], s[4:5], s[18:19]
.LBB75_23:
	s_branch .LBB75_25
.LBB75_24:
	s_cmp_lg_u32 s13, 0
	s_mov_b64 s[6:7], -1
	s_cselect_b64 s[16:17], -1, 0
.LBB75_25:
	s_andn2_b64 vcc, exec, s[16:17]
	s_cbranch_vccz .LBB75_31
; %bb.26:
	s_andn2_b64 vcc, exec, s[6:7]
	s_cbranch_vccz .LBB75_32
.LBB75_27:
	s_cmp_lt_i32 s13, 1
	s_mov_b64 s[16:17], 0
	s_cbranch_scc1 .LBB75_33
.LBB75_28:
	s_cmp_gt_i32 s13, 1
	s_cbranch_scc0 .LBB75_34
; %bb.29:
	s_cmp_eq_u32 s13, 2
	s_cbranch_scc0 .LBB75_252
; %bb.30:
	s_waitcnt vmcnt(6)
	v_cmp_le_i16_e64 s[6:7], v13, v14
	s_mov_b64 s[18:19], 0
	s_branch .LBB75_36
.LBB75_31:
	s_waitcnt vmcnt(7)
	v_cmp_lt_i16_sdwa s[16:17], v15, v16 src0_sel:WORD_1 src1_sel:WORD_1
	s_andn2_b64 s[4:5], s[4:5], exec
	s_and_b64 s[16:17], s[16:17], exec
	s_or_b64 s[4:5], s[4:5], s[16:17]
	s_cbranch_execnz .LBB75_27
.LBB75_32:
	s_waitcnt vmcnt(7)
	v_cmp_ge_i16_sdwa s[6:7], v15, v16 src0_sel:WORD_1 src1_sel:WORD_1
	s_andn2_b64 s[4:5], s[4:5], exec
	s_and_b64 s[6:7], s[6:7], exec
	s_or_b64 s[4:5], s[4:5], s[6:7]
	s_cmp_lt_i32 s13, 1
	s_mov_b64 s[16:17], 0
	s_cbranch_scc0 .LBB75_28
.LBB75_33:
                                        ; implicit-def: $sgpr6_sgpr7
	s_mov_b64 s[18:19], 0
	s_cbranch_execnz .LBB75_37
	s_branch .LBB75_38
.LBB75_34:
	s_mov_b64 s[18:19], 0
                                        ; implicit-def: $sgpr6_sgpr7
	s_cbranch_execz .LBB75_36
; %bb.35:
	s_waitcnt vmcnt(6)
	v_cmp_gt_i16_e32 vcc, v13, v14
	s_andn2_b64 s[6:7], s[6:7], exec
	s_and_b64 s[20:21], vcc, exec
	s_or_b64 s[6:7], s[6:7], s[20:21]
.LBB75_36:
	s_branch .LBB75_38
.LBB75_37:
	s_cmp_lg_u32 s13, 0
	s_mov_b64 s[16:17], -1
	s_cselect_b64 s[18:19], -1, 0
.LBB75_38:
	s_andn2_b64 vcc, exec, s[18:19]
	s_cbranch_vccz .LBB75_44
; %bb.39:
	s_andn2_b64 vcc, exec, s[16:17]
	s_cbranch_vccz .LBB75_45
.LBB75_40:
	s_cmp_lt_i32 s13, 1
	s_mov_b64 s[18:19], 0
	s_cbranch_scc1 .LBB75_46
.LBB75_41:
	s_cmp_gt_i32 s13, 1
	s_cbranch_scc0 .LBB75_47
; %bb.42:
	s_cmp_eq_u32 s13, 2
	s_cbranch_scc0 .LBB75_253
; %bb.43:
	s_waitcnt vmcnt(6)
	v_cmp_le_i16_sdwa s[16:17], v13, v14 src0_sel:WORD_1 src1_sel:WORD_1
	s_mov_b64 s[20:21], 0
	s_branch .LBB75_49
.LBB75_44:
	s_waitcnt vmcnt(6)
	v_cmp_lt_i16_e32 vcc, v13, v14
	s_andn2_b64 s[6:7], s[6:7], exec
	s_and_b64 s[18:19], vcc, exec
	s_or_b64 s[6:7], s[6:7], s[18:19]
	s_cbranch_execnz .LBB75_40
.LBB75_45:
	s_waitcnt vmcnt(6)
	v_cmp_ge_i16_e32 vcc, v13, v14
	s_andn2_b64 s[6:7], s[6:7], exec
	s_and_b64 s[16:17], vcc, exec
	s_or_b64 s[6:7], s[6:7], s[16:17]
	s_cmp_lt_i32 s13, 1
	s_mov_b64 s[18:19], 0
	s_cbranch_scc0 .LBB75_41
.LBB75_46:
                                        ; implicit-def: $sgpr16_sgpr17
	s_mov_b64 s[20:21], 0
	s_cbranch_execnz .LBB75_50
	s_branch .LBB75_51
.LBB75_47:
	s_mov_b64 s[20:21], 0
                                        ; implicit-def: $sgpr16_sgpr17
	s_cbranch_execz .LBB75_49
; %bb.48:
	s_waitcnt vmcnt(6)
	v_cmp_gt_i16_sdwa s[22:23], v13, v14 src0_sel:WORD_1 src1_sel:WORD_1
	s_andn2_b64 s[16:17], s[16:17], exec
	s_and_b64 s[22:23], s[22:23], exec
	s_or_b64 s[16:17], s[16:17], s[22:23]
.LBB75_49:
	s_branch .LBB75_51
.LBB75_50:
	s_cmp_lg_u32 s13, 0
	s_mov_b64 s[18:19], -1
	s_cselect_b64 s[20:21], -1, 0
.LBB75_51:
	s_andn2_b64 vcc, exec, s[20:21]
	s_cbranch_vccz .LBB75_57
; %bb.52:
	s_andn2_b64 vcc, exec, s[18:19]
	s_cbranch_vccz .LBB75_58
.LBB75_53:
	s_cmp_lt_i32 s13, 1
	s_mov_b64 s[20:21], 0
	s_cbranch_scc1 .LBB75_59
.LBB75_54:
	s_cmp_gt_i32 s13, 1
	s_cbranch_scc0 .LBB75_60
; %bb.55:
	s_cmp_eq_u32 s13, 2
	s_cbranch_scc0 .LBB75_254
; %bb.56:
	s_waitcnt vmcnt(5)
	v_cmp_le_i16_e64 s[18:19], v11, v12
	s_mov_b64 s[22:23], 0
	s_branch .LBB75_62
.LBB75_57:
	s_waitcnt vmcnt(6)
	v_cmp_lt_i16_sdwa s[20:21], v13, v14 src0_sel:WORD_1 src1_sel:WORD_1
	s_andn2_b64 s[16:17], s[16:17], exec
	s_and_b64 s[20:21], s[20:21], exec
	s_or_b64 s[16:17], s[16:17], s[20:21]
	s_cbranch_execnz .LBB75_53
.LBB75_58:
	s_waitcnt vmcnt(6)
	v_cmp_ge_i16_sdwa s[18:19], v13, v14 src0_sel:WORD_1 src1_sel:WORD_1
	s_andn2_b64 s[16:17], s[16:17], exec
	s_and_b64 s[18:19], s[18:19], exec
	s_or_b64 s[16:17], s[16:17], s[18:19]
	s_cmp_lt_i32 s13, 1
	s_mov_b64 s[20:21], 0
	s_cbranch_scc0 .LBB75_54
.LBB75_59:
                                        ; implicit-def: $sgpr18_sgpr19
	s_mov_b64 s[22:23], 0
	s_cbranch_execnz .LBB75_63
	s_branch .LBB75_64
.LBB75_60:
	s_mov_b64 s[22:23], 0
                                        ; implicit-def: $sgpr18_sgpr19
	s_cbranch_execz .LBB75_62
; %bb.61:
	s_waitcnt vmcnt(5)
	v_cmp_gt_i16_e32 vcc, v11, v12
	s_andn2_b64 s[18:19], s[18:19], exec
	s_and_b64 s[24:25], vcc, exec
	s_or_b64 s[18:19], s[18:19], s[24:25]
.LBB75_62:
	s_branch .LBB75_64
.LBB75_63:
	s_cmp_lg_u32 s13, 0
	s_mov_b64 s[20:21], -1
	s_cselect_b64 s[22:23], -1, 0
.LBB75_64:
	s_andn2_b64 vcc, exec, s[22:23]
	s_cbranch_vccz .LBB75_70
; %bb.65:
	s_andn2_b64 vcc, exec, s[20:21]
	s_cbranch_vccz .LBB75_71
.LBB75_66:
	s_cmp_lt_i32 s13, 1
	s_mov_b64 s[22:23], 0
	s_cbranch_scc1 .LBB75_72
.LBB75_67:
	s_cmp_gt_i32 s13, 1
	s_cbranch_scc0 .LBB75_73
; %bb.68:
	s_cmp_eq_u32 s13, 2
	s_cbranch_scc0 .LBB75_255
; %bb.69:
	s_waitcnt vmcnt(5)
	v_cmp_le_i16_sdwa s[20:21], v11, v12 src0_sel:WORD_1 src1_sel:WORD_1
	s_mov_b64 s[24:25], 0
	s_branch .LBB75_75
.LBB75_70:
	s_waitcnt vmcnt(5)
	v_cmp_lt_i16_e32 vcc, v11, v12
	s_andn2_b64 s[18:19], s[18:19], exec
	s_and_b64 s[22:23], vcc, exec
	s_or_b64 s[18:19], s[18:19], s[22:23]
	s_cbranch_execnz .LBB75_66
.LBB75_71:
	s_waitcnt vmcnt(5)
	v_cmp_ge_i16_e32 vcc, v11, v12
	s_andn2_b64 s[18:19], s[18:19], exec
	s_and_b64 s[20:21], vcc, exec
	s_or_b64 s[18:19], s[18:19], s[20:21]
	s_cmp_lt_i32 s13, 1
	s_mov_b64 s[22:23], 0
	s_cbranch_scc0 .LBB75_67
.LBB75_72:
                                        ; implicit-def: $sgpr20_sgpr21
	s_mov_b64 s[24:25], 0
	s_cbranch_execnz .LBB75_76
	s_branch .LBB75_77
.LBB75_73:
	s_mov_b64 s[24:25], 0
                                        ; implicit-def: $sgpr20_sgpr21
	s_cbranch_execz .LBB75_75
; %bb.74:
	s_waitcnt vmcnt(5)
	v_cmp_gt_i16_sdwa s[26:27], v11, v12 src0_sel:WORD_1 src1_sel:WORD_1
	s_andn2_b64 s[20:21], s[20:21], exec
	s_and_b64 s[26:27], s[26:27], exec
	s_or_b64 s[20:21], s[20:21], s[26:27]
.LBB75_75:
	s_branch .LBB75_77
.LBB75_76:
	s_cmp_lg_u32 s13, 0
	s_mov_b64 s[22:23], -1
	s_cselect_b64 s[24:25], -1, 0
.LBB75_77:
	s_andn2_b64 vcc, exec, s[24:25]
	s_cbranch_vccz .LBB75_83
; %bb.78:
	s_andn2_b64 vcc, exec, s[22:23]
	s_cbranch_vccz .LBB75_84
.LBB75_79:
	s_cmp_lt_i32 s13, 1
	s_mov_b64 s[24:25], 0
	s_cbranch_scc1 .LBB75_85
.LBB75_80:
	s_cmp_gt_i32 s13, 1
	s_cbranch_scc0 .LBB75_86
; %bb.81:
	s_cmp_eq_u32 s13, 2
	s_cbranch_scc0 .LBB75_256
; %bb.82:
	s_waitcnt vmcnt(4)
	v_cmp_le_i16_e64 s[22:23], v9, v10
	s_mov_b64 s[26:27], 0
	s_branch .LBB75_88
.LBB75_83:
	s_waitcnt vmcnt(5)
	v_cmp_lt_i16_sdwa s[24:25], v11, v12 src0_sel:WORD_1 src1_sel:WORD_1
	s_andn2_b64 s[20:21], s[20:21], exec
	s_and_b64 s[24:25], s[24:25], exec
	s_or_b64 s[20:21], s[20:21], s[24:25]
	s_cbranch_execnz .LBB75_79
.LBB75_84:
	s_waitcnt vmcnt(5)
	v_cmp_ge_i16_sdwa s[22:23], v11, v12 src0_sel:WORD_1 src1_sel:WORD_1
	s_andn2_b64 s[20:21], s[20:21], exec
	s_and_b64 s[22:23], s[22:23], exec
	s_or_b64 s[20:21], s[20:21], s[22:23]
	s_cmp_lt_i32 s13, 1
	s_mov_b64 s[24:25], 0
	s_cbranch_scc0 .LBB75_80
.LBB75_85:
                                        ; implicit-def: $sgpr22_sgpr23
	s_mov_b64 s[26:27], 0
	s_cbranch_execnz .LBB75_89
	s_branch .LBB75_90
.LBB75_86:
	s_mov_b64 s[26:27], 0
                                        ; implicit-def: $sgpr22_sgpr23
	s_cbranch_execz .LBB75_88
; %bb.87:
	s_waitcnt vmcnt(4)
	v_cmp_gt_i16_e32 vcc, v9, v10
	s_andn2_b64 s[22:23], s[22:23], exec
	s_and_b64 s[28:29], vcc, exec
	s_or_b64 s[22:23], s[22:23], s[28:29]
.LBB75_88:
	s_branch .LBB75_90
.LBB75_89:
	s_cmp_lg_u32 s13, 0
	s_mov_b64 s[24:25], -1
	s_cselect_b64 s[26:27], -1, 0
.LBB75_90:
	s_andn2_b64 vcc, exec, s[26:27]
	s_cbranch_vccz .LBB75_96
; %bb.91:
	s_andn2_b64 vcc, exec, s[24:25]
	s_cbranch_vccz .LBB75_97
.LBB75_92:
	s_cmp_lt_i32 s13, 1
	s_mov_b64 s[26:27], 0
	s_cbranch_scc1 .LBB75_98
.LBB75_93:
	s_cmp_gt_i32 s13, 1
	s_cbranch_scc0 .LBB75_99
; %bb.94:
	s_cmp_eq_u32 s13, 2
	s_cbranch_scc0 .LBB75_257
; %bb.95:
	s_waitcnt vmcnt(4)
	v_cmp_le_i16_sdwa s[24:25], v9, v10 src0_sel:WORD_1 src1_sel:WORD_1
	s_mov_b64 s[28:29], 0
	s_branch .LBB75_101
.LBB75_96:
	s_waitcnt vmcnt(4)
	v_cmp_lt_i16_e32 vcc, v9, v10
	s_andn2_b64 s[22:23], s[22:23], exec
	s_and_b64 s[26:27], vcc, exec
	s_or_b64 s[22:23], s[22:23], s[26:27]
	s_cbranch_execnz .LBB75_92
.LBB75_97:
	s_waitcnt vmcnt(4)
	v_cmp_ge_i16_e32 vcc, v9, v10
	s_andn2_b64 s[22:23], s[22:23], exec
	s_and_b64 s[24:25], vcc, exec
	s_or_b64 s[22:23], s[22:23], s[24:25]
	s_cmp_lt_i32 s13, 1
	s_mov_b64 s[26:27], 0
	s_cbranch_scc0 .LBB75_93
.LBB75_98:
                                        ; implicit-def: $sgpr24_sgpr25
	s_mov_b64 s[28:29], 0
	s_cbranch_execnz .LBB75_102
	s_branch .LBB75_103
.LBB75_99:
	s_mov_b64 s[28:29], 0
                                        ; implicit-def: $sgpr24_sgpr25
	s_cbranch_execz .LBB75_101
; %bb.100:
	s_waitcnt vmcnt(4)
	v_cmp_gt_i16_sdwa s[30:31], v9, v10 src0_sel:WORD_1 src1_sel:WORD_1
	s_andn2_b64 s[24:25], s[24:25], exec
	s_and_b64 s[30:31], s[30:31], exec
	s_or_b64 s[24:25], s[24:25], s[30:31]
.LBB75_101:
	s_branch .LBB75_103
.LBB75_102:
	s_cmp_lg_u32 s13, 0
	s_mov_b64 s[26:27], -1
	s_cselect_b64 s[28:29], -1, 0
.LBB75_103:
	s_andn2_b64 vcc, exec, s[28:29]
	s_cbranch_vccz .LBB75_109
; %bb.104:
	s_andn2_b64 vcc, exec, s[26:27]
	s_cbranch_vccz .LBB75_110
.LBB75_105:
	s_cmp_lt_i32 s13, 1
	s_mov_b64 s[28:29], 0
	s_cbranch_scc1 .LBB75_111
.LBB75_106:
	s_cmp_gt_i32 s13, 1
	s_cbranch_scc0 .LBB75_112
; %bb.107:
	s_cmp_eq_u32 s13, 2
	s_cbranch_scc0 .LBB75_258
; %bb.108:
	s_waitcnt vmcnt(3)
	v_cmp_le_i16_e64 s[26:27], v7, v8
	s_mov_b64 s[30:31], 0
	s_branch .LBB75_114
.LBB75_109:
	s_waitcnt vmcnt(4)
	v_cmp_lt_i16_sdwa s[28:29], v9, v10 src0_sel:WORD_1 src1_sel:WORD_1
	s_andn2_b64 s[24:25], s[24:25], exec
	s_and_b64 s[28:29], s[28:29], exec
	s_or_b64 s[24:25], s[24:25], s[28:29]
	s_cbranch_execnz .LBB75_105
.LBB75_110:
	s_waitcnt vmcnt(4)
	v_cmp_ge_i16_sdwa s[26:27], v9, v10 src0_sel:WORD_1 src1_sel:WORD_1
	s_andn2_b64 s[24:25], s[24:25], exec
	s_and_b64 s[26:27], s[26:27], exec
	s_or_b64 s[24:25], s[24:25], s[26:27]
	s_cmp_lt_i32 s13, 1
	s_mov_b64 s[28:29], 0
	s_cbranch_scc0 .LBB75_106
.LBB75_111:
                                        ; implicit-def: $sgpr26_sgpr27
	s_mov_b64 s[30:31], 0
	s_cbranch_execnz .LBB75_115
	s_branch .LBB75_116
.LBB75_112:
	s_mov_b64 s[30:31], 0
                                        ; implicit-def: $sgpr26_sgpr27
	s_cbranch_execz .LBB75_114
; %bb.113:
	s_waitcnt vmcnt(3)
	v_cmp_gt_i16_e32 vcc, v7, v8
	s_andn2_b64 s[26:27], s[26:27], exec
	s_and_b64 s[34:35], vcc, exec
	s_or_b64 s[26:27], s[26:27], s[34:35]
.LBB75_114:
	s_branch .LBB75_116
.LBB75_115:
	s_cmp_lg_u32 s13, 0
	s_mov_b64 s[28:29], -1
	s_cselect_b64 s[30:31], -1, 0
.LBB75_116:
	s_andn2_b64 vcc, exec, s[30:31]
	s_cbranch_vccz .LBB75_122
; %bb.117:
	s_andn2_b64 vcc, exec, s[28:29]
	s_cbranch_vccz .LBB75_123
.LBB75_118:
	s_cmp_lt_i32 s13, 1
	s_mov_b64 s[30:31], 0
	s_cbranch_scc1 .LBB75_124
.LBB75_119:
	s_cmp_gt_i32 s13, 1
	s_cbranch_scc0 .LBB75_125
; %bb.120:
	s_cmp_eq_u32 s13, 2
	s_cbranch_scc0 .LBB75_259
; %bb.121:
	s_waitcnt vmcnt(3)
	v_cmp_le_i16_sdwa s[28:29], v7, v8 src0_sel:WORD_1 src1_sel:WORD_1
	s_mov_b64 s[34:35], 0
	s_branch .LBB75_127
.LBB75_122:
	s_waitcnt vmcnt(3)
	v_cmp_lt_i16_e32 vcc, v7, v8
	s_andn2_b64 s[26:27], s[26:27], exec
	s_and_b64 s[30:31], vcc, exec
	s_or_b64 s[26:27], s[26:27], s[30:31]
	s_cbranch_execnz .LBB75_118
.LBB75_123:
	s_waitcnt vmcnt(3)
	v_cmp_ge_i16_e32 vcc, v7, v8
	s_andn2_b64 s[26:27], s[26:27], exec
	s_and_b64 s[28:29], vcc, exec
	s_or_b64 s[26:27], s[26:27], s[28:29]
	s_cmp_lt_i32 s13, 1
	s_mov_b64 s[30:31], 0
	s_cbranch_scc0 .LBB75_119
.LBB75_124:
                                        ; implicit-def: $sgpr28_sgpr29
	s_mov_b64 s[34:35], 0
	s_cbranch_execnz .LBB75_128
	s_branch .LBB75_129
.LBB75_125:
	s_mov_b64 s[34:35], 0
                                        ; implicit-def: $sgpr28_sgpr29
	s_cbranch_execz .LBB75_127
; %bb.126:
	s_waitcnt vmcnt(3)
	v_cmp_gt_i16_sdwa s[36:37], v7, v8 src0_sel:WORD_1 src1_sel:WORD_1
	s_andn2_b64 s[28:29], s[28:29], exec
	s_and_b64 s[36:37], s[36:37], exec
	s_or_b64 s[28:29], s[28:29], s[36:37]
.LBB75_127:
	s_branch .LBB75_129
.LBB75_128:
	s_cmp_lg_u32 s13, 0
	s_mov_b64 s[30:31], -1
	s_cselect_b64 s[34:35], -1, 0
.LBB75_129:
	s_andn2_b64 vcc, exec, s[34:35]
	s_cbranch_vccz .LBB75_135
; %bb.130:
	s_andn2_b64 vcc, exec, s[30:31]
	s_cbranch_vccz .LBB75_136
.LBB75_131:
	s_cmp_lt_i32 s13, 1
	s_mov_b64 s[34:35], 0
	s_cbranch_scc1 .LBB75_137
.LBB75_132:
	s_cmp_gt_i32 s13, 1
	s_cbranch_scc0 .LBB75_138
; %bb.133:
	s_cmp_eq_u32 s13, 2
	s_cbranch_scc0 .LBB75_260
; %bb.134:
	s_waitcnt vmcnt(2)
	v_cmp_le_i16_e64 s[30:31], v5, v6
	s_mov_b64 s[36:37], 0
	s_branch .LBB75_140
.LBB75_135:
	s_waitcnt vmcnt(3)
	v_cmp_lt_i16_sdwa s[34:35], v7, v8 src0_sel:WORD_1 src1_sel:WORD_1
	s_andn2_b64 s[28:29], s[28:29], exec
	s_and_b64 s[34:35], s[34:35], exec
	s_or_b64 s[28:29], s[28:29], s[34:35]
	s_cbranch_execnz .LBB75_131
.LBB75_136:
	s_waitcnt vmcnt(3)
	v_cmp_ge_i16_sdwa s[30:31], v7, v8 src0_sel:WORD_1 src1_sel:WORD_1
	s_andn2_b64 s[28:29], s[28:29], exec
	s_and_b64 s[30:31], s[30:31], exec
	s_or_b64 s[28:29], s[28:29], s[30:31]
	s_cmp_lt_i32 s13, 1
	s_mov_b64 s[34:35], 0
	s_cbranch_scc0 .LBB75_132
.LBB75_137:
                                        ; implicit-def: $sgpr30_sgpr31
	s_mov_b64 s[36:37], 0
	s_cbranch_execnz .LBB75_141
	s_branch .LBB75_142
.LBB75_138:
	s_mov_b64 s[36:37], 0
                                        ; implicit-def: $sgpr30_sgpr31
	s_cbranch_execz .LBB75_140
; %bb.139:
	s_waitcnt vmcnt(2)
	v_cmp_gt_i16_e32 vcc, v5, v6
	s_andn2_b64 s[30:31], s[30:31], exec
	s_and_b64 s[38:39], vcc, exec
	s_or_b64 s[30:31], s[30:31], s[38:39]
.LBB75_140:
	s_branch .LBB75_142
.LBB75_141:
	s_cmp_lg_u32 s13, 0
	s_mov_b64 s[34:35], -1
	s_cselect_b64 s[36:37], -1, 0
.LBB75_142:
	s_andn2_b64 vcc, exec, s[36:37]
	s_cbranch_vccz .LBB75_148
; %bb.143:
	s_andn2_b64 vcc, exec, s[34:35]
	s_cbranch_vccz .LBB75_149
.LBB75_144:
	s_cmp_lt_i32 s13, 1
	s_mov_b64 s[36:37], 0
	s_cbranch_scc1 .LBB75_150
.LBB75_145:
	s_cmp_gt_i32 s13, 1
	s_cbranch_scc0 .LBB75_151
; %bb.146:
	s_cmp_eq_u32 s13, 2
	s_cbranch_scc0 .LBB75_261
; %bb.147:
	s_waitcnt vmcnt(2)
	v_cmp_le_i16_sdwa s[34:35], v5, v6 src0_sel:WORD_1 src1_sel:WORD_1
	s_mov_b64 s[38:39], 0
	s_branch .LBB75_153
.LBB75_148:
	s_waitcnt vmcnt(2)
	v_cmp_lt_i16_e32 vcc, v5, v6
	s_andn2_b64 s[30:31], s[30:31], exec
	s_and_b64 s[36:37], vcc, exec
	s_or_b64 s[30:31], s[30:31], s[36:37]
	s_cbranch_execnz .LBB75_144
.LBB75_149:
	s_waitcnt vmcnt(2)
	v_cmp_ge_i16_e32 vcc, v5, v6
	s_andn2_b64 s[30:31], s[30:31], exec
	s_and_b64 s[34:35], vcc, exec
	s_or_b64 s[30:31], s[30:31], s[34:35]
	s_cmp_lt_i32 s13, 1
	s_mov_b64 s[36:37], 0
	s_cbranch_scc0 .LBB75_145
.LBB75_150:
                                        ; implicit-def: $sgpr34_sgpr35
	s_mov_b64 s[38:39], 0
	s_cbranch_execnz .LBB75_154
	s_branch .LBB75_155
.LBB75_151:
	s_mov_b64 s[38:39], 0
                                        ; implicit-def: $sgpr34_sgpr35
	s_cbranch_execz .LBB75_153
; %bb.152:
	s_waitcnt vmcnt(2)
	v_cmp_gt_i16_sdwa s[40:41], v5, v6 src0_sel:WORD_1 src1_sel:WORD_1
	s_andn2_b64 s[34:35], s[34:35], exec
	s_and_b64 s[40:41], s[40:41], exec
	s_or_b64 s[34:35], s[34:35], s[40:41]
.LBB75_153:
	s_branch .LBB75_155
.LBB75_154:
	s_cmp_lg_u32 s13, 0
	s_mov_b64 s[36:37], -1
	s_cselect_b64 s[38:39], -1, 0
.LBB75_155:
	s_andn2_b64 vcc, exec, s[38:39]
	s_cbranch_vccz .LBB75_161
; %bb.156:
	s_andn2_b64 vcc, exec, s[36:37]
	s_cbranch_vccz .LBB75_162
.LBB75_157:
	s_cmp_lt_i32 s13, 1
	s_mov_b64 s[38:39], 0
	s_cbranch_scc1 .LBB75_163
.LBB75_158:
	s_cmp_gt_i32 s13, 1
	s_cbranch_scc0 .LBB75_164
; %bb.159:
	s_cmp_eq_u32 s13, 2
	s_cbranch_scc0 .LBB75_262
; %bb.160:
	s_waitcnt vmcnt(1)
	v_cmp_le_i16_e64 s[36:37], v3, v4
	s_mov_b64 s[40:41], 0
	s_branch .LBB75_166
.LBB75_161:
	s_waitcnt vmcnt(2)
	v_cmp_lt_i16_sdwa s[38:39], v5, v6 src0_sel:WORD_1 src1_sel:WORD_1
	s_andn2_b64 s[34:35], s[34:35], exec
	s_and_b64 s[38:39], s[38:39], exec
	s_or_b64 s[34:35], s[34:35], s[38:39]
	s_cbranch_execnz .LBB75_157
.LBB75_162:
	s_waitcnt vmcnt(2)
	v_cmp_ge_i16_sdwa s[36:37], v5, v6 src0_sel:WORD_1 src1_sel:WORD_1
	s_andn2_b64 s[34:35], s[34:35], exec
	s_and_b64 s[36:37], s[36:37], exec
	s_or_b64 s[34:35], s[34:35], s[36:37]
	s_cmp_lt_i32 s13, 1
	s_mov_b64 s[38:39], 0
	s_cbranch_scc0 .LBB75_158
.LBB75_163:
                                        ; implicit-def: $sgpr36_sgpr37
	s_mov_b64 s[40:41], 0
	s_cbranch_execnz .LBB75_167
	s_branch .LBB75_168
.LBB75_164:
	s_mov_b64 s[40:41], 0
                                        ; implicit-def: $sgpr36_sgpr37
	s_cbranch_execz .LBB75_166
; %bb.165:
	s_waitcnt vmcnt(1)
	v_cmp_gt_i16_e32 vcc, v3, v4
	s_andn2_b64 s[36:37], s[36:37], exec
	s_and_b64 s[42:43], vcc, exec
	s_or_b64 s[36:37], s[36:37], s[42:43]
.LBB75_166:
	s_branch .LBB75_168
.LBB75_167:
	s_cmp_lg_u32 s13, 0
	s_mov_b64 s[38:39], -1
	s_cselect_b64 s[40:41], -1, 0
.LBB75_168:
	s_andn2_b64 vcc, exec, s[40:41]
	s_cbranch_vccz .LBB75_174
; %bb.169:
	s_andn2_b64 vcc, exec, s[38:39]
	s_cbranch_vccz .LBB75_175
.LBB75_170:
	s_cmp_lt_i32 s13, 1
	s_mov_b64 s[40:41], 0
	s_cbranch_scc1 .LBB75_176
.LBB75_171:
	s_cmp_gt_i32 s13, 1
	s_cbranch_scc0 .LBB75_177
; %bb.172:
	s_cmp_eq_u32 s13, 2
	s_cbranch_scc0 .LBB75_263
; %bb.173:
	s_waitcnt vmcnt(1)
	v_cmp_le_i16_sdwa s[38:39], v3, v4 src0_sel:WORD_1 src1_sel:WORD_1
	s_mov_b64 s[42:43], 0
	s_branch .LBB75_179
.LBB75_174:
	s_waitcnt vmcnt(1)
	v_cmp_lt_i16_e32 vcc, v3, v4
	s_andn2_b64 s[36:37], s[36:37], exec
	s_and_b64 s[40:41], vcc, exec
	s_or_b64 s[36:37], s[36:37], s[40:41]
	s_cbranch_execnz .LBB75_170
.LBB75_175:
	s_waitcnt vmcnt(1)
	v_cmp_ge_i16_e32 vcc, v3, v4
	s_andn2_b64 s[36:37], s[36:37], exec
	s_and_b64 s[38:39], vcc, exec
	s_or_b64 s[36:37], s[36:37], s[38:39]
	s_cmp_lt_i32 s13, 1
	s_mov_b64 s[40:41], 0
	s_cbranch_scc0 .LBB75_171
.LBB75_176:
                                        ; implicit-def: $sgpr38_sgpr39
	s_mov_b64 s[42:43], 0
	s_cbranch_execnz .LBB75_180
	s_branch .LBB75_181
.LBB75_177:
	s_mov_b64 s[42:43], 0
                                        ; implicit-def: $sgpr38_sgpr39
	s_cbranch_execz .LBB75_179
; %bb.178:
	s_waitcnt vmcnt(1)
	v_cmp_gt_i16_sdwa s[44:45], v3, v4 src0_sel:WORD_1 src1_sel:WORD_1
	s_andn2_b64 s[38:39], s[38:39], exec
	s_and_b64 s[44:45], s[44:45], exec
	s_or_b64 s[38:39], s[38:39], s[44:45]
.LBB75_179:
	s_branch .LBB75_181
.LBB75_180:
	s_cmp_lg_u32 s13, 0
	s_mov_b64 s[40:41], -1
	s_cselect_b64 s[42:43], -1, 0
.LBB75_181:
	s_andn2_b64 vcc, exec, s[42:43]
	s_cbranch_vccz .LBB75_187
; %bb.182:
	s_andn2_b64 vcc, exec, s[40:41]
	s_cbranch_vccz .LBB75_188
.LBB75_183:
	s_cmp_lt_i32 s13, 1
	s_mov_b64 s[42:43], 0
	s_cbranch_scc1 .LBB75_189
.LBB75_184:
	s_cmp_gt_i32 s13, 1
	s_cbranch_scc0 .LBB75_190
; %bb.185:
	s_cmp_eq_u32 s13, 2
	s_cbranch_scc0 .LBB75_264
; %bb.186:
	s_waitcnt vmcnt(0)
	v_cmp_le_i16_e64 s[40:41], v1, v2
	s_mov_b64 s[44:45], 0
	s_branch .LBB75_192
.LBB75_187:
	s_waitcnt vmcnt(1)
	v_cmp_lt_i16_sdwa s[42:43], v3, v4 src0_sel:WORD_1 src1_sel:WORD_1
	s_andn2_b64 s[38:39], s[38:39], exec
	s_and_b64 s[42:43], s[42:43], exec
	s_or_b64 s[38:39], s[38:39], s[42:43]
	s_cbranch_execnz .LBB75_183
.LBB75_188:
	s_waitcnt vmcnt(1)
	v_cmp_ge_i16_sdwa s[40:41], v3, v4 src0_sel:WORD_1 src1_sel:WORD_1
	s_andn2_b64 s[38:39], s[38:39], exec
	s_and_b64 s[40:41], s[40:41], exec
	s_or_b64 s[38:39], s[38:39], s[40:41]
	s_cmp_lt_i32 s13, 1
	s_mov_b64 s[42:43], 0
	s_cbranch_scc0 .LBB75_184
.LBB75_189:
                                        ; implicit-def: $sgpr40_sgpr41
	s_mov_b64 s[44:45], 0
	s_cbranch_execnz .LBB75_193
	s_branch .LBB75_194
.LBB75_190:
	s_mov_b64 s[44:45], 0
                                        ; implicit-def: $sgpr40_sgpr41
	s_cbranch_execz .LBB75_192
; %bb.191:
	s_waitcnt vmcnt(0)
	v_cmp_gt_i16_e32 vcc, v1, v2
	s_andn2_b64 s[40:41], s[40:41], exec
	s_and_b64 s[46:47], vcc, exec
	s_or_b64 s[40:41], s[40:41], s[46:47]
.LBB75_192:
	s_branch .LBB75_194
.LBB75_193:
	s_cmp_lg_u32 s13, 0
	s_mov_b64 s[42:43], -1
	s_cselect_b64 s[44:45], -1, 0
.LBB75_194:
	s_andn2_b64 vcc, exec, s[44:45]
	s_cbranch_vccz .LBB75_200
; %bb.195:
	s_andn2_b64 vcc, exec, s[42:43]
	s_cbranch_vccz .LBB75_201
.LBB75_196:
	s_cmp_lt_i32 s13, 1
	s_mov_b64 s[44:45], 0
	s_cbranch_scc1 .LBB75_202
.LBB75_197:
	s_cmp_gt_i32 s13, 1
	s_cbranch_scc0 .LBB75_203
; %bb.198:
	s_cmp_eq_u32 s13, 2
	s_cbranch_scc0 .LBB75_265
; %bb.199:
	s_waitcnt vmcnt(0)
	v_cmp_le_i16_sdwa s[42:43], v1, v2 src0_sel:WORD_1 src1_sel:WORD_1
	s_mov_b64 s[46:47], 0
	s_branch .LBB75_205
.LBB75_200:
	s_waitcnt vmcnt(0)
	v_cmp_lt_i16_e32 vcc, v1, v2
	s_andn2_b64 s[40:41], s[40:41], exec
	s_and_b64 s[44:45], vcc, exec
	s_or_b64 s[40:41], s[40:41], s[44:45]
	s_cbranch_execnz .LBB75_196
.LBB75_201:
	s_waitcnt vmcnt(0)
	v_cmp_ge_i16_e32 vcc, v1, v2
	s_andn2_b64 s[40:41], s[40:41], exec
	s_and_b64 s[42:43], vcc, exec
	s_or_b64 s[40:41], s[40:41], s[42:43]
	s_cmp_lt_i32 s13, 1
	s_mov_b64 s[44:45], 0
	s_cbranch_scc0 .LBB75_197
.LBB75_202:
                                        ; implicit-def: $sgpr42_sgpr43
	s_mov_b64 s[46:47], 0
	s_cbranch_execnz .LBB75_206
	s_branch .LBB75_207
.LBB75_203:
	s_mov_b64 s[46:47], 0
                                        ; implicit-def: $sgpr42_sgpr43
	s_cbranch_execz .LBB75_205
; %bb.204:
	s_waitcnt vmcnt(0)
	v_cmp_gt_i16_sdwa s[48:49], v1, v2 src0_sel:WORD_1 src1_sel:WORD_1
	s_andn2_b64 s[42:43], s[42:43], exec
	s_and_b64 s[48:49], s[48:49], exec
	s_or_b64 s[42:43], s[42:43], s[48:49]
.LBB75_205:
	s_branch .LBB75_207
.LBB75_206:
	s_cmp_lg_u32 s13, 0
	s_mov_b64 s[44:45], -1
	s_cselect_b64 s[46:47], -1, 0
.LBB75_207:
	s_andn2_b64 vcc, exec, s[46:47]
	s_cbranch_vccz .LBB75_249
; %bb.208:
	s_andn2_b64 vcc, exec, s[44:45]
	s_cbranch_vccnz .LBB75_210
.LBB75_209:
	s_waitcnt vmcnt(0)
	v_cmp_ge_i16_sdwa s[44:45], v1, v2 src0_sel:WORD_1 src1_sel:WORD_1
	s_andn2_b64 s[42:43], s[42:43], exec
	s_and_b64 s[44:45], s[44:45], exec
	s_or_b64 s[42:43], s[42:43], s[44:45]
.LBB75_210:
	s_waitcnt vmcnt(13)
	v_mov_b32_e32 v3, 0x100
	s_waitcnt vmcnt(0)
	v_cndmask_b32_e64 v2, 0, 1, s[36:37]
	v_cndmask_b32_e64 v4, 0, v3, s[38:39]
	v_or_b32_e32 v2, v4, v2
	v_cndmask_b32_e64 v4, 0, 1, s[30:31]
	v_cndmask_b32_e64 v5, 0, v3, s[34:35]
	v_or_b32_e32 v4, v5, v4
	;; [unrolled: 3-line block ×5, first 2 shown]
	v_cndmask_b32_e64 v8, 0, 1, s[6:7]
	v_cndmask_b32_e64 v9, 0, v3, s[16:17]
	;; [unrolled: 1-line block ×3, first 2 shown]
	v_or_b32_e32 v8, v9, v8
	v_cndmask_b32_e64 v9, 0, 1, s[0:1]
	v_cndmask_b32_e64 v10, 0, v3, s[4:5]
	;; [unrolled: 1-line block ×3, first 2 shown]
	s_add_u32 s0, s8, s2
	v_or_b32_e32 v9, v10, v9
	v_or_b32_e32 v1, v3, v1
	s_addc_u32 s1, s9, s3
	v_lshlrev_b32_e32 v3, 1, v0
	global_store_short v3, v9, s[0:1]
	global_store_short v3, v8, s[0:1] offset:512
	global_store_short v3, v7, s[0:1] offset:1024
	;; [unrolled: 1-line block ×7, first 2 shown]
	s_mov_b64 s[0:1], 0
.LBB75_211:
	s_and_b64 vcc, exec, s[0:1]
	s_cbranch_vccz .LBB75_519
; %bb.212:
	v_cmp_gt_i32_e64 s[0:1], s12, v0
	v_mov_b32_e32 v14, 0
	v_or_b32_e32 v1, s2, v0
	v_mov_b32_e32 v7, 0
	v_mov_b32_e32 v10, 0
	;; [unrolled: 1-line block ×3, first 2 shown]
	s_and_saveexec_b64 s[4:5], s[0:1]
	s_cbranch_execz .LBB75_214
; %bb.213:
	v_mov_b32_e32 v2, 0
	v_lshlrev_b64 v[2:3], 1, v[1:2]
	v_mov_b32_e32 v5, s15
	v_add_co_u32_e32 v4, vcc, s14, v2
	v_addc_co_u32_e32 v5, vcc, v5, v3, vcc
	v_mov_b32_e32 v6, s11
	v_add_co_u32_e32 v2, vcc, s10, v2
	v_addc_co_u32_e32 v3, vcc, v6, v3, vcc
	global_load_ushort v7, v[2:3], off
	global_load_ushort v10, v[4:5], off
	v_or_b32_e32 v6, 0x100, v0
.LBB75_214:
	s_or_b64 exec, exec, s[4:5]
	v_cmp_gt_i32_e32 vcc, s12, v6
	v_mov_b32_e32 v34, 0
	s_and_saveexec_b64 s[4:5], vcc
	s_cbranch_execz .LBB75_216
; %bb.215:
	v_add_u32_e32 v2, s2, v6
	v_mov_b32_e32 v3, 0
	v_lshlrev_b64 v[2:3], 1, v[2:3]
	v_mov_b32_e32 v5, s15
	v_add_co_u32_e32 v4, vcc, s14, v2
	v_addc_co_u32_e32 v5, vcc, v5, v3, vcc
	v_mov_b32_e32 v8, s11
	v_add_co_u32_e32 v2, vcc, s10, v2
	v_addc_co_u32_e32 v3, vcc, v8, v3, vcc
	global_load_ushort v14, v[2:3], off
	global_load_ushort v34, v[4:5], off
	v_add_u32_e32 v6, 0x100, v6
.LBB75_216:
	s_or_b64 exec, exec, s[4:5]
	v_cmp_gt_i32_e32 vcc, s12, v6
	v_mov_b32_e32 v21, 0
	v_mov_b32_e32 v16, 0
	v_mov_b32_e32 v33, 0
	s_and_saveexec_b64 s[4:5], vcc
	s_cbranch_execz .LBB75_218
; %bb.217:
	v_add_u32_e32 v2, s2, v6
	v_mov_b32_e32 v3, 0
	v_lshlrev_b64 v[2:3], 1, v[2:3]
	v_mov_b32_e32 v5, s15
	v_add_co_u32_e32 v4, vcc, s14, v2
	v_addc_co_u32_e32 v5, vcc, v5, v3, vcc
	v_mov_b32_e32 v8, s11
	v_add_co_u32_e32 v2, vcc, s10, v2
	v_addc_co_u32_e32 v3, vcc, v8, v3, vcc
	global_load_ushort v16, v[2:3], off
	global_load_ushort v33, v[4:5], off
	v_add_u32_e32 v6, 0x100, v6
.LBB75_218:
	s_or_b64 exec, exec, s[4:5]
	v_cmp_gt_i32_e32 vcc, s12, v6
	v_mov_b32_e32 v32, 0
	s_and_saveexec_b64 s[4:5], vcc
	s_cbranch_execz .LBB75_220
; %bb.219:
	v_add_u32_e32 v2, s2, v6
	v_mov_b32_e32 v3, 0
	v_lshlrev_b64 v[2:3], 1, v[2:3]
	v_mov_b32_e32 v5, s15
	v_add_co_u32_e32 v4, vcc, s14, v2
	v_addc_co_u32_e32 v5, vcc, v5, v3, vcc
	v_mov_b32_e32 v8, s11
	v_add_co_u32_e32 v2, vcc, s10, v2
	v_addc_co_u32_e32 v3, vcc, v8, v3, vcc
	global_load_ushort v21, v[2:3], off
	global_load_ushort v32, v[4:5], off
	v_add_u32_e32 v6, 0x100, v6
.LBB75_220:
	s_or_b64 exec, exec, s[4:5]
	v_cmp_gt_i32_e32 vcc, s12, v6
	v_mov_b32_e32 v27, 0
	v_mov_b32_e32 v24, 0
	v_mov_b32_e32 v31, 0
	s_and_saveexec_b64 s[4:5], vcc
	s_cbranch_execz .LBB75_222
; %bb.221:
	v_add_u32_e32 v2, s2, v6
	v_mov_b32_e32 v3, 0
	v_lshlrev_b64 v[2:3], 1, v[2:3]
	v_mov_b32_e32 v5, s15
	v_add_co_u32_e32 v4, vcc, s14, v2
	v_addc_co_u32_e32 v5, vcc, v5, v3, vcc
	v_mov_b32_e32 v8, s11
	v_add_co_u32_e32 v2, vcc, s10, v2
	v_addc_co_u32_e32 v3, vcc, v8, v3, vcc
	global_load_ushort v24, v[2:3], off
	global_load_ushort v31, v[4:5], off
	v_add_u32_e32 v6, 0x100, v6
.LBB75_222:
	;; [unrolled: 40-line block ×7, first 2 shown]
	s_or_b64 exec, exec, s[4:5]
	v_cmp_gt_i32_e32 vcc, s12, v6
	v_mov_b32_e32 v3, 0
	s_and_saveexec_b64 s[4:5], vcc
	s_cbranch_execz .LBB75_244
; %bb.243:
	v_add_u32_e32 v2, s2, v6
	v_mov_b32_e32 v3, 0
	v_lshlrev_b64 v[2:3], 1, v[2:3]
	v_mov_b32_e32 v6, s15
	v_add_co_u32_e32 v35, vcc, s14, v2
	v_addc_co_u32_e32 v36, vcc, v6, v3, vcc
	v_mov_b32_e32 v6, s11
	v_add_co_u32_e32 v37, vcc, s10, v2
	v_addc_co_u32_e32 v38, vcc, v6, v3, vcc
	global_load_ushort v2, v[37:38], off
	global_load_ushort v3, v[35:36], off
.LBB75_244:
	s_or_b64 exec, exec, s[4:5]
                                        ; implicit-def: $vgpr6
	s_and_saveexec_b64 s[4:5], s[0:1]
	s_cbranch_execz .LBB75_276
; %bb.245:
	s_cmp_lt_i32 s13, 1
	s_mov_b64 s[6:7], 0
	s_cbranch_scc1 .LBB75_250
; %bb.246:
	s_cmp_gt_i32 s13, 1
	s_cbranch_scc0 .LBB75_266
; %bb.247:
	s_cmp_eq_u32 s13, 2
	s_cbranch_scc0 .LBB75_267
; %bb.248:
	s_waitcnt vmcnt(0)
	v_cmp_le_i16_e64 s[10:11], v7, v10
	s_mov_b64 s[14:15], 0
	s_branch .LBB75_268
.LBB75_249:
	s_waitcnt vmcnt(0)
	v_cmp_lt_i16_sdwa s[46:47], v1, v2 src0_sel:WORD_1 src1_sel:WORD_1
	s_andn2_b64 s[42:43], s[42:43], exec
	s_and_b64 s[46:47], s[46:47], exec
	s_or_b64 s[42:43], s[42:43], s[46:47]
	s_cbranch_execz .LBB75_209
	s_branch .LBB75_210
.LBB75_250:
                                        ; implicit-def: $sgpr10_sgpr11
	s_mov_b64 s[14:15], 0
	s_cbranch_execnz .LBB75_271
	s_branch .LBB75_272
.LBB75_251:
	s_mov_b64 s[16:17], -1
                                        ; implicit-def: $sgpr4_sgpr5
	s_branch .LBB75_23
.LBB75_252:
	s_mov_b64 s[18:19], -1
                                        ; implicit-def: $sgpr6_sgpr7
	s_branch .LBB75_36
.LBB75_253:
	s_mov_b64 s[20:21], -1
                                        ; implicit-def: $sgpr16_sgpr17
	s_branch .LBB75_49
.LBB75_254:
	s_mov_b64 s[22:23], -1
                                        ; implicit-def: $sgpr18_sgpr19
	s_branch .LBB75_62
.LBB75_255:
	s_mov_b64 s[24:25], -1
                                        ; implicit-def: $sgpr20_sgpr21
	s_branch .LBB75_75
.LBB75_256:
	s_mov_b64 s[26:27], -1
                                        ; implicit-def: $sgpr22_sgpr23
	s_branch .LBB75_88
.LBB75_257:
	s_mov_b64 s[28:29], -1
                                        ; implicit-def: $sgpr24_sgpr25
	s_branch .LBB75_101
.LBB75_258:
	s_mov_b64 s[30:31], -1
                                        ; implicit-def: $sgpr26_sgpr27
	s_branch .LBB75_114
.LBB75_259:
	s_mov_b64 s[34:35], -1
                                        ; implicit-def: $sgpr28_sgpr29
	s_branch .LBB75_127
.LBB75_260:
	s_mov_b64 s[36:37], -1
                                        ; implicit-def: $sgpr30_sgpr31
	s_branch .LBB75_140
.LBB75_261:
	s_mov_b64 s[38:39], -1
                                        ; implicit-def: $sgpr34_sgpr35
	s_branch .LBB75_153
.LBB75_262:
	s_mov_b64 s[40:41], -1
                                        ; implicit-def: $sgpr36_sgpr37
	s_branch .LBB75_166
.LBB75_263:
	s_mov_b64 s[42:43], -1
                                        ; implicit-def: $sgpr38_sgpr39
	s_branch .LBB75_179
.LBB75_264:
	s_mov_b64 s[44:45], -1
                                        ; implicit-def: $sgpr40_sgpr41
	s_branch .LBB75_192
.LBB75_265:
	s_mov_b64 s[46:47], -1
                                        ; implicit-def: $sgpr42_sgpr43
	s_branch .LBB75_205
.LBB75_266:
	s_mov_b64 s[14:15], 0
                                        ; implicit-def: $sgpr10_sgpr11
	s_cbranch_execnz .LBB75_269
	s_branch .LBB75_270
.LBB75_267:
	s_mov_b64 s[14:15], -1
                                        ; implicit-def: $sgpr10_sgpr11
.LBB75_268:
	s_branch .LBB75_270
.LBB75_269:
	s_waitcnt vmcnt(0)
	v_cmp_gt_i16_e32 vcc, v7, v10
	s_andn2_b64 s[10:11], s[10:11], exec
	s_and_b64 s[16:17], vcc, exec
	s_or_b64 s[10:11], s[10:11], s[16:17]
.LBB75_270:
	s_branch .LBB75_272
.LBB75_271:
	s_cmp_lg_u32 s13, 0
	s_mov_b64 s[6:7], -1
	s_cselect_b64 s[14:15], -1, 0
.LBB75_272:
	s_andn2_b64 vcc, exec, s[14:15]
	s_cbranch_vccz .LBB75_281
; %bb.273:
	s_andn2_b64 vcc, exec, s[6:7]
	s_cbranch_vccnz .LBB75_275
.LBB75_274:
	s_waitcnt vmcnt(0)
	v_cmp_ge_i16_e32 vcc, v7, v10
	s_andn2_b64 s[6:7], s[10:11], exec
	s_and_b64 s[10:11], vcc, exec
	s_or_b64 s[10:11], s[6:7], s[10:11]
.LBB75_275:
	v_cndmask_b32_e64 v6, 0, 1, s[10:11]
.LBB75_276:
	s_or_b64 exec, exec, s[4:5]
	s_waitcnt vmcnt(1)
	v_or_b32_e32 v7, 0x100, v0
	v_cmp_gt_i32_e32 vcc, s12, v7
                                        ; implicit-def: $vgpr10
	s_and_saveexec_b64 s[4:5], vcc
	s_cbranch_execz .LBB75_291
; %bb.277:
	s_cmp_lt_i32 s13, 1
	s_mov_b64 s[6:7], 0
	s_cbranch_scc1 .LBB75_282
; %bb.278:
	s_cmp_gt_i32 s13, 1
	s_cbranch_scc0 .LBB75_283
; %bb.279:
	s_cmp_eq_u32 s13, 2
	s_cbranch_scc0 .LBB75_535
; %bb.280:
	s_waitcnt vmcnt(0)
	v_cmp_le_i16_e64 s[10:11], v14, v34
	s_mov_b64 s[14:15], 0
	s_branch .LBB75_285
.LBB75_281:
	s_waitcnt vmcnt(0)
	v_cmp_lt_i16_e32 vcc, v7, v10
	s_andn2_b64 s[10:11], s[10:11], exec
	s_and_b64 s[14:15], vcc, exec
	s_or_b64 s[10:11], s[10:11], s[14:15]
	s_cbranch_execz .LBB75_274
	s_branch .LBB75_275
.LBB75_282:
                                        ; implicit-def: $sgpr10_sgpr11
	s_mov_b64 s[14:15], 0
	s_cbranch_execnz .LBB75_286
	s_branch .LBB75_287
.LBB75_283:
	s_mov_b64 s[14:15], 0
                                        ; implicit-def: $sgpr10_sgpr11
	s_cbranch_execz .LBB75_285
; %bb.284:
	s_waitcnt vmcnt(0)
	v_cmp_gt_i16_e32 vcc, v14, v34
	s_andn2_b64 s[10:11], s[10:11], exec
	s_and_b64 s[16:17], vcc, exec
	s_or_b64 s[10:11], s[10:11], s[16:17]
.LBB75_285:
	s_branch .LBB75_287
.LBB75_286:
	s_cmp_lg_u32 s13, 0
	s_mov_b64 s[6:7], -1
	s_cselect_b64 s[14:15], -1, 0
.LBB75_287:
	s_andn2_b64 vcc, exec, s[14:15]
	s_cbranch_vccz .LBB75_296
; %bb.288:
	s_andn2_b64 vcc, exec, s[6:7]
	s_cbranch_vccnz .LBB75_290
.LBB75_289:
	s_waitcnt vmcnt(0)
	v_cmp_ge_i16_e32 vcc, v14, v34
	s_andn2_b64 s[6:7], s[10:11], exec
	s_and_b64 s[10:11], vcc, exec
	s_or_b64 s[10:11], s[6:7], s[10:11]
.LBB75_290:
	s_waitcnt vmcnt(0)
	v_cndmask_b32_e64 v10, 0, 1, s[10:11]
.LBB75_291:
	s_or_b64 exec, exec, s[4:5]
	v_or_b32_e32 v14, 0x200, v0
	v_cmp_gt_i32_e32 vcc, s12, v14
                                        ; implicit-def: $vgpr14
	s_and_saveexec_b64 s[4:5], vcc
	s_cbranch_execz .LBB75_306
; %bb.292:
	s_cmp_lt_i32 s13, 1
	s_mov_b64 s[6:7], 0
	s_cbranch_scc1 .LBB75_297
; %bb.293:
	s_cmp_gt_i32 s13, 1
	s_cbranch_scc0 .LBB75_298
; %bb.294:
	s_cmp_eq_u32 s13, 2
	s_cbranch_scc0 .LBB75_536
; %bb.295:
	s_waitcnt vmcnt(0)
	v_cmp_le_i16_e64 s[10:11], v16, v33
	s_mov_b64 s[14:15], 0
	s_branch .LBB75_300
.LBB75_296:
	s_waitcnt vmcnt(0)
	v_cmp_lt_i16_e32 vcc, v14, v34
	s_andn2_b64 s[10:11], s[10:11], exec
	s_and_b64 s[14:15], vcc, exec
	s_or_b64 s[10:11], s[10:11], s[14:15]
	s_cbranch_execz .LBB75_289
	s_branch .LBB75_290
.LBB75_297:
                                        ; implicit-def: $sgpr10_sgpr11
	s_mov_b64 s[14:15], 0
	s_cbranch_execnz .LBB75_301
	s_branch .LBB75_302
.LBB75_298:
	s_mov_b64 s[14:15], 0
                                        ; implicit-def: $sgpr10_sgpr11
	s_cbranch_execz .LBB75_300
; %bb.299:
	s_waitcnt vmcnt(0)
	v_cmp_gt_i16_e32 vcc, v16, v33
	s_andn2_b64 s[10:11], s[10:11], exec
	s_and_b64 s[16:17], vcc, exec
	s_or_b64 s[10:11], s[10:11], s[16:17]
.LBB75_300:
	s_branch .LBB75_302
.LBB75_301:
	s_cmp_lg_u32 s13, 0
	s_mov_b64 s[6:7], -1
	s_cselect_b64 s[14:15], -1, 0
.LBB75_302:
	s_andn2_b64 vcc, exec, s[14:15]
	s_cbranch_vccz .LBB75_311
; %bb.303:
	s_andn2_b64 vcc, exec, s[6:7]
	s_cbranch_vccnz .LBB75_305
.LBB75_304:
	s_waitcnt vmcnt(0)
	v_cmp_ge_i16_e32 vcc, v16, v33
	s_andn2_b64 s[6:7], s[10:11], exec
	s_and_b64 s[10:11], vcc, exec
	s_or_b64 s[10:11], s[6:7], s[10:11]
.LBB75_305:
	v_cndmask_b32_e64 v14, 0, 1, s[10:11]
.LBB75_306:
	s_or_b64 exec, exec, s[4:5]
	v_or_b32_e32 v16, 0x300, v0
	v_cmp_gt_i32_e32 vcc, s12, v16
                                        ; implicit-def: $vgpr16
	s_and_saveexec_b64 s[4:5], vcc
	s_cbranch_execz .LBB75_321
; %bb.307:
	s_cmp_lt_i32 s13, 1
	s_mov_b64 s[6:7], 0
	s_cbranch_scc1 .LBB75_312
; %bb.308:
	s_cmp_gt_i32 s13, 1
	s_cbranch_scc0 .LBB75_313
; %bb.309:
	s_cmp_eq_u32 s13, 2
	s_cbranch_scc0 .LBB75_537
; %bb.310:
	s_waitcnt vmcnt(0)
	v_cmp_le_i16_e64 s[10:11], v21, v32
	s_mov_b64 s[14:15], 0
	s_branch .LBB75_315
.LBB75_311:
	s_waitcnt vmcnt(0)
	v_cmp_lt_i16_e32 vcc, v16, v33
	s_andn2_b64 s[10:11], s[10:11], exec
	s_and_b64 s[14:15], vcc, exec
	s_or_b64 s[10:11], s[10:11], s[14:15]
	s_cbranch_execz .LBB75_304
	s_branch .LBB75_305
.LBB75_312:
                                        ; implicit-def: $sgpr10_sgpr11
	s_mov_b64 s[14:15], 0
	s_cbranch_execnz .LBB75_316
	s_branch .LBB75_317
.LBB75_313:
	s_mov_b64 s[14:15], 0
                                        ; implicit-def: $sgpr10_sgpr11
	s_cbranch_execz .LBB75_315
; %bb.314:
	s_waitcnt vmcnt(0)
	v_cmp_gt_i16_e32 vcc, v21, v32
	s_andn2_b64 s[10:11], s[10:11], exec
	s_and_b64 s[16:17], vcc, exec
	s_or_b64 s[10:11], s[10:11], s[16:17]
.LBB75_315:
	s_branch .LBB75_317
.LBB75_316:
	s_cmp_lg_u32 s13, 0
	s_mov_b64 s[6:7], -1
	s_cselect_b64 s[14:15], -1, 0
.LBB75_317:
	s_andn2_b64 vcc, exec, s[14:15]
	s_cbranch_vccz .LBB75_326
; %bb.318:
	s_andn2_b64 vcc, exec, s[6:7]
	s_cbranch_vccnz .LBB75_320
.LBB75_319:
	s_waitcnt vmcnt(0)
	v_cmp_ge_i16_e32 vcc, v21, v32
	s_andn2_b64 s[6:7], s[10:11], exec
	s_and_b64 s[10:11], vcc, exec
	s_or_b64 s[10:11], s[6:7], s[10:11]
.LBB75_320:
	v_cndmask_b32_e64 v16, 0, 1, s[10:11]
.LBB75_321:
	s_or_b64 exec, exec, s[4:5]
	v_or_b32_e32 v21, 0x400, v0
	v_cmp_gt_i32_e32 vcc, s12, v21
                                        ; implicit-def: $vgpr21
	s_and_saveexec_b64 s[4:5], vcc
	s_cbranch_execz .LBB75_336
; %bb.322:
	s_cmp_lt_i32 s13, 1
	s_mov_b64 s[6:7], 0
	s_cbranch_scc1 .LBB75_327
; %bb.323:
	s_cmp_gt_i32 s13, 1
	s_cbranch_scc0 .LBB75_328
; %bb.324:
	s_cmp_eq_u32 s13, 2
	s_cbranch_scc0 .LBB75_538
; %bb.325:
	s_waitcnt vmcnt(0)
	v_cmp_le_i16_e64 s[10:11], v24, v31
	s_mov_b64 s[14:15], 0
	s_branch .LBB75_330
.LBB75_326:
	s_waitcnt vmcnt(0)
	v_cmp_lt_i16_e32 vcc, v21, v32
	s_andn2_b64 s[10:11], s[10:11], exec
	s_and_b64 s[14:15], vcc, exec
	s_or_b64 s[10:11], s[10:11], s[14:15]
	s_cbranch_execz .LBB75_319
	s_branch .LBB75_320
.LBB75_327:
                                        ; implicit-def: $sgpr10_sgpr11
	s_mov_b64 s[14:15], 0
	s_cbranch_execnz .LBB75_331
	s_branch .LBB75_332
.LBB75_328:
	s_mov_b64 s[14:15], 0
                                        ; implicit-def: $sgpr10_sgpr11
	s_cbranch_execz .LBB75_330
; %bb.329:
	s_waitcnt vmcnt(0)
	v_cmp_gt_i16_e32 vcc, v24, v31
	s_andn2_b64 s[10:11], s[10:11], exec
	s_and_b64 s[16:17], vcc, exec
	s_or_b64 s[10:11], s[10:11], s[16:17]
.LBB75_330:
	s_branch .LBB75_332
.LBB75_331:
	s_cmp_lg_u32 s13, 0
	s_mov_b64 s[6:7], -1
	s_cselect_b64 s[14:15], -1, 0
.LBB75_332:
	s_andn2_b64 vcc, exec, s[14:15]
	s_cbranch_vccz .LBB75_341
; %bb.333:
	s_andn2_b64 vcc, exec, s[6:7]
	s_cbranch_vccnz .LBB75_335
.LBB75_334:
	s_waitcnt vmcnt(0)
	v_cmp_ge_i16_e32 vcc, v24, v31
	s_andn2_b64 s[6:7], s[10:11], exec
	s_and_b64 s[10:11], vcc, exec
	s_or_b64 s[10:11], s[6:7], s[10:11]
.LBB75_335:
	v_cndmask_b32_e64 v21, 0, 1, s[10:11]
.LBB75_336:
	s_or_b64 exec, exec, s[4:5]
	v_or_b32_e32 v24, 0x500, v0
	v_cmp_gt_i32_e32 vcc, s12, v24
                                        ; implicit-def: $vgpr24
	s_and_saveexec_b64 s[4:5], vcc
	s_cbranch_execz .LBB75_351
; %bb.337:
	s_cmp_lt_i32 s13, 1
	s_mov_b64 s[6:7], 0
	s_cbranch_scc1 .LBB75_342
; %bb.338:
	s_cmp_gt_i32 s13, 1
	s_cbranch_scc0 .LBB75_343
; %bb.339:
	s_cmp_eq_u32 s13, 2
	s_cbranch_scc0 .LBB75_539
; %bb.340:
	s_waitcnt vmcnt(0)
	v_cmp_le_i16_e64 s[10:11], v27, v30
	s_mov_b64 s[14:15], 0
	s_branch .LBB75_345
.LBB75_341:
	s_waitcnt vmcnt(0)
	v_cmp_lt_i16_e32 vcc, v24, v31
	s_andn2_b64 s[10:11], s[10:11], exec
	s_and_b64 s[14:15], vcc, exec
	s_or_b64 s[10:11], s[10:11], s[14:15]
	s_cbranch_execz .LBB75_334
	s_branch .LBB75_335
.LBB75_342:
                                        ; implicit-def: $sgpr10_sgpr11
	s_mov_b64 s[14:15], 0
	s_cbranch_execnz .LBB75_346
	s_branch .LBB75_347
.LBB75_343:
	s_mov_b64 s[14:15], 0
                                        ; implicit-def: $sgpr10_sgpr11
	s_cbranch_execz .LBB75_345
; %bb.344:
	s_waitcnt vmcnt(0)
	v_cmp_gt_i16_e32 vcc, v27, v30
	s_andn2_b64 s[10:11], s[10:11], exec
	s_and_b64 s[16:17], vcc, exec
	s_or_b64 s[10:11], s[10:11], s[16:17]
.LBB75_345:
	s_branch .LBB75_347
.LBB75_346:
	s_cmp_lg_u32 s13, 0
	s_mov_b64 s[6:7], -1
	s_cselect_b64 s[14:15], -1, 0
.LBB75_347:
	s_andn2_b64 vcc, exec, s[14:15]
	s_cbranch_vccz .LBB75_356
; %bb.348:
	s_andn2_b64 vcc, exec, s[6:7]
	s_cbranch_vccnz .LBB75_350
.LBB75_349:
	s_waitcnt vmcnt(0)
	v_cmp_ge_i16_e32 vcc, v27, v30
	s_andn2_b64 s[6:7], s[10:11], exec
	s_and_b64 s[10:11], vcc, exec
	s_or_b64 s[10:11], s[6:7], s[10:11]
.LBB75_350:
	v_cndmask_b32_e64 v24, 0, 1, s[10:11]
.LBB75_351:
	s_or_b64 exec, exec, s[4:5]
	v_or_b32_e32 v27, 0x600, v0
	v_cmp_gt_i32_e32 vcc, s12, v27
                                        ; implicit-def: $vgpr27
	s_and_saveexec_b64 s[4:5], vcc
	s_cbranch_execz .LBB75_366
; %bb.352:
	s_cmp_lt_i32 s13, 1
	s_mov_b64 s[6:7], 0
	s_cbranch_scc1 .LBB75_357
; %bb.353:
	s_cmp_gt_i32 s13, 1
	s_cbranch_scc0 .LBB75_358
; %bb.354:
	s_cmp_eq_u32 s13, 2
	s_cbranch_scc0 .LBB75_540
; %bb.355:
	s_waitcnt vmcnt(0)
	v_cmp_le_i16_e64 s[10:11], v28, v29
	s_mov_b64 s[14:15], 0
	s_branch .LBB75_360
.LBB75_356:
	s_waitcnt vmcnt(0)
	v_cmp_lt_i16_e32 vcc, v27, v30
	s_andn2_b64 s[10:11], s[10:11], exec
	s_and_b64 s[14:15], vcc, exec
	s_or_b64 s[10:11], s[10:11], s[14:15]
	s_cbranch_execz .LBB75_349
	s_branch .LBB75_350
.LBB75_357:
                                        ; implicit-def: $sgpr10_sgpr11
	s_mov_b64 s[14:15], 0
	s_cbranch_execnz .LBB75_361
	s_branch .LBB75_362
.LBB75_358:
	s_mov_b64 s[14:15], 0
                                        ; implicit-def: $sgpr10_sgpr11
	s_cbranch_execz .LBB75_360
; %bb.359:
	s_waitcnt vmcnt(0)
	v_cmp_gt_i16_e32 vcc, v28, v29
	s_andn2_b64 s[10:11], s[10:11], exec
	s_and_b64 s[16:17], vcc, exec
	s_or_b64 s[10:11], s[10:11], s[16:17]
.LBB75_360:
	s_branch .LBB75_362
.LBB75_361:
	s_cmp_lg_u32 s13, 0
	s_mov_b64 s[6:7], -1
	s_cselect_b64 s[14:15], -1, 0
.LBB75_362:
	s_andn2_b64 vcc, exec, s[14:15]
	s_cbranch_vccz .LBB75_371
; %bb.363:
	s_andn2_b64 vcc, exec, s[6:7]
	s_cbranch_vccnz .LBB75_365
.LBB75_364:
	s_waitcnt vmcnt(0)
	v_cmp_ge_i16_e32 vcc, v28, v29
	s_andn2_b64 s[6:7], s[10:11], exec
	s_and_b64 s[10:11], vcc, exec
	s_or_b64 s[10:11], s[6:7], s[10:11]
.LBB75_365:
	v_cndmask_b32_e64 v27, 0, 1, s[10:11]
.LBB75_366:
	s_or_b64 exec, exec, s[4:5]
	v_or_b32_e32 v28, 0x700, v0
	v_cmp_gt_i32_e32 vcc, s12, v28
                                        ; implicit-def: $vgpr28
	s_and_saveexec_b64 s[4:5], vcc
	s_cbranch_execz .LBB75_381
; %bb.367:
	s_cmp_lt_i32 s13, 1
	s_mov_b64 s[6:7], 0
	s_cbranch_scc1 .LBB75_372
; %bb.368:
	s_cmp_gt_i32 s13, 1
	s_cbranch_scc0 .LBB75_373
; %bb.369:
	s_cmp_eq_u32 s13, 2
	s_cbranch_scc0 .LBB75_541
; %bb.370:
	s_waitcnt vmcnt(0)
	v_cmp_le_i16_e64 s[10:11], v25, v26
	s_mov_b64 s[14:15], 0
	s_branch .LBB75_375
.LBB75_371:
	s_waitcnt vmcnt(0)
	v_cmp_lt_i16_e32 vcc, v28, v29
	s_andn2_b64 s[10:11], s[10:11], exec
	s_and_b64 s[14:15], vcc, exec
	s_or_b64 s[10:11], s[10:11], s[14:15]
	s_cbranch_execz .LBB75_364
	s_branch .LBB75_365
.LBB75_372:
                                        ; implicit-def: $sgpr10_sgpr11
	s_mov_b64 s[14:15], 0
	s_cbranch_execnz .LBB75_376
	s_branch .LBB75_377
.LBB75_373:
	s_mov_b64 s[14:15], 0
                                        ; implicit-def: $sgpr10_sgpr11
	s_cbranch_execz .LBB75_375
; %bb.374:
	s_waitcnt vmcnt(0)
	v_cmp_gt_i16_e32 vcc, v25, v26
	s_andn2_b64 s[10:11], s[10:11], exec
	s_and_b64 s[16:17], vcc, exec
	s_or_b64 s[10:11], s[10:11], s[16:17]
.LBB75_375:
	s_branch .LBB75_377
.LBB75_376:
	s_cmp_lg_u32 s13, 0
	s_mov_b64 s[6:7], -1
	s_cselect_b64 s[14:15], -1, 0
.LBB75_377:
	s_andn2_b64 vcc, exec, s[14:15]
	s_cbranch_vccz .LBB75_386
; %bb.378:
	s_andn2_b64 vcc, exec, s[6:7]
	s_cbranch_vccnz .LBB75_380
.LBB75_379:
	s_waitcnt vmcnt(0)
	v_cmp_ge_i16_e32 vcc, v25, v26
	s_andn2_b64 s[6:7], s[10:11], exec
	s_and_b64 s[10:11], vcc, exec
	s_or_b64 s[10:11], s[6:7], s[10:11]
.LBB75_380:
	v_cndmask_b32_e64 v28, 0, 1, s[10:11]
.LBB75_381:
	s_or_b64 exec, exec, s[4:5]
	v_or_b32_e32 v25, 0x800, v0
	v_cmp_gt_i32_e32 vcc, s12, v25
                                        ; implicit-def: $vgpr25
	s_and_saveexec_b64 s[4:5], vcc
	s_cbranch_execz .LBB75_396
; %bb.382:
	s_cmp_lt_i32 s13, 1
	s_mov_b64 s[6:7], 0
	s_cbranch_scc1 .LBB75_387
; %bb.383:
	s_cmp_gt_i32 s13, 1
	s_cbranch_scc0 .LBB75_388
; %bb.384:
	s_cmp_eq_u32 s13, 2
	s_cbranch_scc0 .LBB75_542
; %bb.385:
	s_waitcnt vmcnt(0)
	v_cmp_le_i16_e64 s[10:11], v22, v23
	s_mov_b64 s[14:15], 0
	s_branch .LBB75_390
.LBB75_386:
	s_waitcnt vmcnt(0)
	v_cmp_lt_i16_e32 vcc, v25, v26
	s_andn2_b64 s[10:11], s[10:11], exec
	s_and_b64 s[14:15], vcc, exec
	s_or_b64 s[10:11], s[10:11], s[14:15]
	s_cbranch_execz .LBB75_379
	s_branch .LBB75_380
.LBB75_387:
                                        ; implicit-def: $sgpr10_sgpr11
	s_mov_b64 s[14:15], 0
	s_cbranch_execnz .LBB75_391
	s_branch .LBB75_392
.LBB75_388:
	s_mov_b64 s[14:15], 0
                                        ; implicit-def: $sgpr10_sgpr11
	s_cbranch_execz .LBB75_390
; %bb.389:
	s_waitcnt vmcnt(0)
	v_cmp_gt_i16_e32 vcc, v22, v23
	s_andn2_b64 s[10:11], s[10:11], exec
	s_and_b64 s[16:17], vcc, exec
	s_or_b64 s[10:11], s[10:11], s[16:17]
.LBB75_390:
	s_branch .LBB75_392
.LBB75_391:
	s_cmp_lg_u32 s13, 0
	s_mov_b64 s[6:7], -1
	s_cselect_b64 s[14:15], -1, 0
.LBB75_392:
	s_andn2_b64 vcc, exec, s[14:15]
	s_cbranch_vccz .LBB75_401
; %bb.393:
	s_andn2_b64 vcc, exec, s[6:7]
	s_cbranch_vccnz .LBB75_395
.LBB75_394:
	s_waitcnt vmcnt(0)
	v_cmp_ge_i16_e32 vcc, v22, v23
	s_andn2_b64 s[6:7], s[10:11], exec
	s_and_b64 s[10:11], vcc, exec
	s_or_b64 s[10:11], s[6:7], s[10:11]
.LBB75_395:
	v_cndmask_b32_e64 v25, 0, 1, s[10:11]
.LBB75_396:
	s_or_b64 exec, exec, s[4:5]
	v_or_b32_e32 v22, 0x900, v0
	v_cmp_gt_i32_e32 vcc, s12, v22
                                        ; implicit-def: $vgpr22
	s_and_saveexec_b64 s[4:5], vcc
	s_cbranch_execz .LBB75_411
; %bb.397:
	s_cmp_lt_i32 s13, 1
	s_mov_b64 s[6:7], 0
	s_cbranch_scc1 .LBB75_402
; %bb.398:
	s_cmp_gt_i32 s13, 1
	s_cbranch_scc0 .LBB75_403
; %bb.399:
	s_cmp_eq_u32 s13, 2
	s_cbranch_scc0 .LBB75_543
; %bb.400:
	s_waitcnt vmcnt(0)
	v_cmp_le_i16_e64 s[10:11], v19, v20
	s_mov_b64 s[14:15], 0
	s_branch .LBB75_405
.LBB75_401:
	s_waitcnt vmcnt(0)
	v_cmp_lt_i16_e32 vcc, v22, v23
	s_andn2_b64 s[10:11], s[10:11], exec
	s_and_b64 s[14:15], vcc, exec
	s_or_b64 s[10:11], s[10:11], s[14:15]
	s_cbranch_execz .LBB75_394
	s_branch .LBB75_395
.LBB75_402:
                                        ; implicit-def: $sgpr10_sgpr11
	s_mov_b64 s[14:15], 0
	s_cbranch_execnz .LBB75_406
	s_branch .LBB75_407
.LBB75_403:
	s_mov_b64 s[14:15], 0
                                        ; implicit-def: $sgpr10_sgpr11
	s_cbranch_execz .LBB75_405
; %bb.404:
	s_waitcnt vmcnt(0)
	v_cmp_gt_i16_e32 vcc, v19, v20
	s_andn2_b64 s[10:11], s[10:11], exec
	s_and_b64 s[16:17], vcc, exec
	s_or_b64 s[10:11], s[10:11], s[16:17]
.LBB75_405:
	s_branch .LBB75_407
.LBB75_406:
	s_cmp_lg_u32 s13, 0
	s_mov_b64 s[6:7], -1
	s_cselect_b64 s[14:15], -1, 0
.LBB75_407:
	s_andn2_b64 vcc, exec, s[14:15]
	s_cbranch_vccz .LBB75_416
; %bb.408:
	s_andn2_b64 vcc, exec, s[6:7]
	s_cbranch_vccnz .LBB75_410
.LBB75_409:
	s_waitcnt vmcnt(0)
	v_cmp_ge_i16_e32 vcc, v19, v20
	s_andn2_b64 s[6:7], s[10:11], exec
	s_and_b64 s[10:11], vcc, exec
	s_or_b64 s[10:11], s[6:7], s[10:11]
.LBB75_410:
	v_cndmask_b32_e64 v22, 0, 1, s[10:11]
.LBB75_411:
	s_or_b64 exec, exec, s[4:5]
	v_or_b32_e32 v19, 0xa00, v0
	v_cmp_gt_i32_e32 vcc, s12, v19
                                        ; implicit-def: $vgpr19
	s_and_saveexec_b64 s[4:5], vcc
	s_cbranch_execz .LBB75_426
; %bb.412:
	s_cmp_lt_i32 s13, 1
	s_mov_b64 s[6:7], 0
	s_cbranch_scc1 .LBB75_417
; %bb.413:
	s_cmp_gt_i32 s13, 1
	s_cbranch_scc0 .LBB75_418
; %bb.414:
	s_cmp_eq_u32 s13, 2
	s_cbranch_scc0 .LBB75_544
; %bb.415:
	s_waitcnt vmcnt(0)
	v_cmp_le_i16_e64 s[10:11], v17, v18
	s_mov_b64 s[14:15], 0
	s_branch .LBB75_420
.LBB75_416:
	s_waitcnt vmcnt(0)
	v_cmp_lt_i16_e32 vcc, v19, v20
	s_andn2_b64 s[10:11], s[10:11], exec
	s_and_b64 s[14:15], vcc, exec
	s_or_b64 s[10:11], s[10:11], s[14:15]
	s_cbranch_execz .LBB75_409
	s_branch .LBB75_410
.LBB75_417:
                                        ; implicit-def: $sgpr10_sgpr11
	s_mov_b64 s[14:15], 0
	s_cbranch_execnz .LBB75_421
	s_branch .LBB75_422
.LBB75_418:
	s_mov_b64 s[14:15], 0
                                        ; implicit-def: $sgpr10_sgpr11
	s_cbranch_execz .LBB75_420
; %bb.419:
	s_waitcnt vmcnt(0)
	v_cmp_gt_i16_e32 vcc, v17, v18
	s_andn2_b64 s[10:11], s[10:11], exec
	s_and_b64 s[16:17], vcc, exec
	s_or_b64 s[10:11], s[10:11], s[16:17]
.LBB75_420:
	s_branch .LBB75_422
.LBB75_421:
	s_cmp_lg_u32 s13, 0
	s_mov_b64 s[6:7], -1
	s_cselect_b64 s[14:15], -1, 0
.LBB75_422:
	s_andn2_b64 vcc, exec, s[14:15]
	s_cbranch_vccz .LBB75_431
; %bb.423:
	s_andn2_b64 vcc, exec, s[6:7]
	s_cbranch_vccnz .LBB75_425
.LBB75_424:
	s_waitcnt vmcnt(0)
	v_cmp_ge_i16_e32 vcc, v17, v18
	s_andn2_b64 s[6:7], s[10:11], exec
	s_and_b64 s[10:11], vcc, exec
	s_or_b64 s[10:11], s[6:7], s[10:11]
.LBB75_425:
	v_cndmask_b32_e64 v19, 0, 1, s[10:11]
.LBB75_426:
	s_or_b64 exec, exec, s[4:5]
	v_or_b32_e32 v17, 0xb00, v0
	v_cmp_gt_i32_e32 vcc, s12, v17
                                        ; implicit-def: $vgpr17
	s_and_saveexec_b64 s[4:5], vcc
	s_cbranch_execz .LBB75_441
; %bb.427:
	s_cmp_lt_i32 s13, 1
	s_mov_b64 s[6:7], 0
	s_cbranch_scc1 .LBB75_432
; %bb.428:
	s_cmp_gt_i32 s13, 1
	s_cbranch_scc0 .LBB75_433
; %bb.429:
	s_cmp_eq_u32 s13, 2
	s_cbranch_scc0 .LBB75_545
; %bb.430:
	s_waitcnt vmcnt(0)
	v_cmp_le_i16_e64 s[10:11], v13, v15
	s_mov_b64 s[14:15], 0
	s_branch .LBB75_435
.LBB75_431:
	s_waitcnt vmcnt(0)
	v_cmp_lt_i16_e32 vcc, v17, v18
	s_andn2_b64 s[10:11], s[10:11], exec
	s_and_b64 s[14:15], vcc, exec
	s_or_b64 s[10:11], s[10:11], s[14:15]
	s_cbranch_execz .LBB75_424
	s_branch .LBB75_425
.LBB75_432:
                                        ; implicit-def: $sgpr10_sgpr11
	s_mov_b64 s[14:15], 0
	s_cbranch_execnz .LBB75_436
	s_branch .LBB75_437
.LBB75_433:
	s_mov_b64 s[14:15], 0
                                        ; implicit-def: $sgpr10_sgpr11
	s_cbranch_execz .LBB75_435
; %bb.434:
	s_waitcnt vmcnt(0)
	v_cmp_gt_i16_e32 vcc, v13, v15
	s_andn2_b64 s[10:11], s[10:11], exec
	s_and_b64 s[16:17], vcc, exec
	s_or_b64 s[10:11], s[10:11], s[16:17]
.LBB75_435:
	s_branch .LBB75_437
.LBB75_436:
	s_cmp_lg_u32 s13, 0
	s_mov_b64 s[6:7], -1
	s_cselect_b64 s[14:15], -1, 0
.LBB75_437:
	s_andn2_b64 vcc, exec, s[14:15]
	s_cbranch_vccz .LBB75_446
; %bb.438:
	s_andn2_b64 vcc, exec, s[6:7]
	s_cbranch_vccnz .LBB75_440
.LBB75_439:
	s_waitcnt vmcnt(0)
	v_cmp_ge_i16_e32 vcc, v13, v15
	s_andn2_b64 s[6:7], s[10:11], exec
	s_and_b64 s[10:11], vcc, exec
	s_or_b64 s[10:11], s[6:7], s[10:11]
.LBB75_440:
	v_cndmask_b32_e64 v17, 0, 1, s[10:11]
.LBB75_441:
	s_or_b64 exec, exec, s[4:5]
	v_or_b32_e32 v13, 0xc00, v0
	v_cmp_gt_i32_e32 vcc, s12, v13
                                        ; implicit-def: $vgpr13
	s_and_saveexec_b64 s[4:5], vcc
	s_cbranch_execz .LBB75_456
; %bb.442:
	s_cmp_lt_i32 s13, 1
	s_mov_b64 s[6:7], 0
	s_cbranch_scc1 .LBB75_447
; %bb.443:
	s_cmp_gt_i32 s13, 1
	s_cbranch_scc0 .LBB75_448
; %bb.444:
	s_cmp_eq_u32 s13, 2
	s_cbranch_scc0 .LBB75_546
; %bb.445:
	s_waitcnt vmcnt(0)
	v_cmp_le_i16_e64 s[10:11], v11, v12
	s_mov_b64 s[14:15], 0
	s_branch .LBB75_450
.LBB75_446:
	s_waitcnt vmcnt(0)
	v_cmp_lt_i16_e32 vcc, v13, v15
	s_andn2_b64 s[10:11], s[10:11], exec
	s_and_b64 s[14:15], vcc, exec
	s_or_b64 s[10:11], s[10:11], s[14:15]
	s_cbranch_execz .LBB75_439
	s_branch .LBB75_440
.LBB75_447:
                                        ; implicit-def: $sgpr10_sgpr11
	s_mov_b64 s[14:15], 0
	s_cbranch_execnz .LBB75_451
	s_branch .LBB75_452
.LBB75_448:
	s_mov_b64 s[14:15], 0
                                        ; implicit-def: $sgpr10_sgpr11
	s_cbranch_execz .LBB75_450
; %bb.449:
	s_waitcnt vmcnt(0)
	v_cmp_gt_i16_e32 vcc, v11, v12
	s_andn2_b64 s[10:11], s[10:11], exec
	s_and_b64 s[16:17], vcc, exec
	s_or_b64 s[10:11], s[10:11], s[16:17]
.LBB75_450:
	s_branch .LBB75_452
.LBB75_451:
	s_cmp_lg_u32 s13, 0
	s_mov_b64 s[6:7], -1
	s_cselect_b64 s[14:15], -1, 0
.LBB75_452:
	s_andn2_b64 vcc, exec, s[14:15]
	s_cbranch_vccz .LBB75_461
; %bb.453:
	s_andn2_b64 vcc, exec, s[6:7]
	s_cbranch_vccnz .LBB75_455
.LBB75_454:
	s_waitcnt vmcnt(0)
	v_cmp_ge_i16_e32 vcc, v11, v12
	s_andn2_b64 s[6:7], s[10:11], exec
	s_and_b64 s[10:11], vcc, exec
	s_or_b64 s[10:11], s[6:7], s[10:11]
.LBB75_455:
	v_cndmask_b32_e64 v13, 0, 1, s[10:11]
.LBB75_456:
	s_or_b64 exec, exec, s[4:5]
	v_or_b32_e32 v11, 0xd00, v0
	v_cmp_gt_i32_e32 vcc, s12, v11
                                        ; implicit-def: $vgpr11
	s_and_saveexec_b64 s[4:5], vcc
	s_cbranch_execz .LBB75_471
; %bb.457:
	s_cmp_lt_i32 s13, 1
	s_mov_b64 s[6:7], 0
	s_cbranch_scc1 .LBB75_462
; %bb.458:
	s_cmp_gt_i32 s13, 1
	s_cbranch_scc0 .LBB75_463
; %bb.459:
	s_cmp_eq_u32 s13, 2
	s_cbranch_scc0 .LBB75_547
; %bb.460:
	s_waitcnt vmcnt(0)
	v_cmp_le_i16_e64 s[10:11], v8, v9
	s_mov_b64 s[14:15], 0
	s_branch .LBB75_465
.LBB75_461:
	s_waitcnt vmcnt(0)
	v_cmp_lt_i16_e32 vcc, v11, v12
	s_andn2_b64 s[10:11], s[10:11], exec
	s_and_b64 s[14:15], vcc, exec
	s_or_b64 s[10:11], s[10:11], s[14:15]
	s_cbranch_execz .LBB75_454
	s_branch .LBB75_455
.LBB75_462:
                                        ; implicit-def: $sgpr10_sgpr11
	s_mov_b64 s[14:15], 0
	s_cbranch_execnz .LBB75_466
	s_branch .LBB75_467
.LBB75_463:
	s_mov_b64 s[14:15], 0
                                        ; implicit-def: $sgpr10_sgpr11
	s_cbranch_execz .LBB75_465
; %bb.464:
	s_waitcnt vmcnt(0)
	v_cmp_gt_i16_e32 vcc, v8, v9
	s_andn2_b64 s[10:11], s[10:11], exec
	s_and_b64 s[16:17], vcc, exec
	s_or_b64 s[10:11], s[10:11], s[16:17]
.LBB75_465:
	s_branch .LBB75_467
.LBB75_466:
	s_cmp_lg_u32 s13, 0
	s_mov_b64 s[6:7], -1
	s_cselect_b64 s[14:15], -1, 0
.LBB75_467:
	s_andn2_b64 vcc, exec, s[14:15]
	s_cbranch_vccz .LBB75_476
; %bb.468:
	s_andn2_b64 vcc, exec, s[6:7]
	s_cbranch_vccnz .LBB75_470
.LBB75_469:
	s_waitcnt vmcnt(0)
	v_cmp_ge_i16_e32 vcc, v8, v9
	s_andn2_b64 s[6:7], s[10:11], exec
	s_and_b64 s[10:11], vcc, exec
	s_or_b64 s[10:11], s[6:7], s[10:11]
.LBB75_470:
	v_cndmask_b32_e64 v11, 0, 1, s[10:11]
.LBB75_471:
	s_or_b64 exec, exec, s[4:5]
	v_or_b32_e32 v8, 0xe00, v0
	v_cmp_gt_i32_e32 vcc, s12, v8
                                        ; implicit-def: $vgpr8
	s_and_saveexec_b64 s[4:5], vcc
	s_cbranch_execz .LBB75_486
; %bb.472:
	s_cmp_lt_i32 s13, 1
	s_mov_b64 s[6:7], 0
	s_cbranch_scc1 .LBB75_477
; %bb.473:
	s_cmp_gt_i32 s13, 1
	s_cbranch_scc0 .LBB75_478
; %bb.474:
	s_cmp_eq_u32 s13, 2
	s_cbranch_scc0 .LBB75_548
; %bb.475:
	s_waitcnt vmcnt(0)
	v_cmp_le_i16_e64 s[10:11], v4, v5
	s_mov_b64 s[14:15], 0
	s_branch .LBB75_480
.LBB75_476:
	s_waitcnt vmcnt(0)
	v_cmp_lt_i16_e32 vcc, v8, v9
	s_andn2_b64 s[10:11], s[10:11], exec
	s_and_b64 s[14:15], vcc, exec
	s_or_b64 s[10:11], s[10:11], s[14:15]
	s_cbranch_execz .LBB75_469
	s_branch .LBB75_470
.LBB75_477:
                                        ; implicit-def: $sgpr10_sgpr11
	s_mov_b64 s[14:15], 0
	s_cbranch_execnz .LBB75_481
	s_branch .LBB75_482
.LBB75_478:
	s_mov_b64 s[14:15], 0
                                        ; implicit-def: $sgpr10_sgpr11
	s_cbranch_execz .LBB75_480
; %bb.479:
	s_waitcnt vmcnt(0)
	v_cmp_gt_i16_e32 vcc, v4, v5
	s_andn2_b64 s[10:11], s[10:11], exec
	s_and_b64 s[16:17], vcc, exec
	s_or_b64 s[10:11], s[10:11], s[16:17]
.LBB75_480:
	s_branch .LBB75_482
.LBB75_481:
	s_cmp_lg_u32 s13, 0
	s_mov_b64 s[6:7], -1
	s_cselect_b64 s[14:15], -1, 0
.LBB75_482:
	s_andn2_b64 vcc, exec, s[14:15]
	s_cbranch_vccz .LBB75_491
; %bb.483:
	s_andn2_b64 vcc, exec, s[6:7]
	s_cbranch_vccnz .LBB75_485
.LBB75_484:
	s_waitcnt vmcnt(0)
	v_cmp_ge_i16_e32 vcc, v4, v5
	s_andn2_b64 s[6:7], s[10:11], exec
	s_and_b64 s[10:11], vcc, exec
	s_or_b64 s[10:11], s[6:7], s[10:11]
.LBB75_485:
	v_cndmask_b32_e64 v8, 0, 1, s[10:11]
.LBB75_486:
	s_or_b64 exec, exec, s[4:5]
	v_or_b32_e32 v4, 0xf00, v0
	v_cmp_gt_i32_e32 vcc, s12, v4
                                        ; implicit-def: $vgpr4
	s_and_saveexec_b64 s[4:5], vcc
	s_cbranch_execz .LBB75_501
; %bb.487:
	s_cmp_lt_i32 s13, 1
	s_mov_b64 s[6:7], 0
	s_cbranch_scc1 .LBB75_492
; %bb.488:
	s_cmp_gt_i32 s13, 1
	s_cbranch_scc0 .LBB75_493
; %bb.489:
	s_cmp_eq_u32 s13, 2
	s_cbranch_scc0 .LBB75_549
; %bb.490:
	s_waitcnt vmcnt(0)
	v_cmp_le_i16_e64 s[10:11], v2, v3
	s_mov_b64 s[14:15], 0
	s_branch .LBB75_495
.LBB75_491:
	s_waitcnt vmcnt(0)
	v_cmp_lt_i16_e32 vcc, v4, v5
	s_andn2_b64 s[10:11], s[10:11], exec
	s_and_b64 s[14:15], vcc, exec
	s_or_b64 s[10:11], s[10:11], s[14:15]
	s_cbranch_execz .LBB75_484
	s_branch .LBB75_485
.LBB75_492:
                                        ; implicit-def: $sgpr10_sgpr11
	s_mov_b64 s[14:15], 0
	s_cbranch_execnz .LBB75_496
	s_branch .LBB75_497
.LBB75_493:
	s_mov_b64 s[14:15], 0
                                        ; implicit-def: $sgpr10_sgpr11
	s_cbranch_execz .LBB75_495
; %bb.494:
	s_waitcnt vmcnt(0)
	v_cmp_gt_i16_e32 vcc, v2, v3
	s_andn2_b64 s[10:11], s[10:11], exec
	s_and_b64 s[16:17], vcc, exec
	s_or_b64 s[10:11], s[10:11], s[16:17]
.LBB75_495:
	s_branch .LBB75_497
.LBB75_496:
	s_cmp_lg_u32 s13, 0
	s_mov_b64 s[6:7], -1
	s_cselect_b64 s[14:15], -1, 0
.LBB75_497:
	s_andn2_b64 vcc, exec, s[14:15]
	s_cbranch_vccz .LBB75_534
; %bb.498:
	s_andn2_b64 vcc, exec, s[6:7]
	s_cbranch_vccnz .LBB75_500
.LBB75_499:
	s_waitcnt vmcnt(0)
	v_cmp_ge_i16_e32 vcc, v2, v3
	s_andn2_b64 s[6:7], s[10:11], exec
	s_and_b64 s[10:11], vcc, exec
	s_or_b64 s[10:11], s[6:7], s[10:11]
.LBB75_500:
	v_cndmask_b32_e64 v4, 0, 1, s[10:11]
.LBB75_501:
	s_or_b64 exec, exec, s[4:5]
	s_and_saveexec_b64 s[4:5], s[0:1]
	s_xor_b64 s[0:1], exec, s[4:5]
	s_cbranch_execz .LBB75_503
; %bb.502:
	v_mov_b32_e32 v0, v7
	global_store_byte v1, v6, s[8:9]
.LBB75_503:
	s_or_b64 exec, exec, s[0:1]
	v_cmp_gt_i32_e32 vcc, s12, v0
	s_and_saveexec_b64 s[0:1], vcc
	s_cbranch_execnz .LBB75_520
; %bb.504:
	s_or_b64 exec, exec, s[0:1]
	v_cmp_gt_i32_e32 vcc, s12, v0
	s_and_saveexec_b64 s[0:1], vcc
	s_cbranch_execnz .LBB75_521
.LBB75_505:
	s_or_b64 exec, exec, s[0:1]
	v_cmp_gt_i32_e32 vcc, s12, v0
	s_and_saveexec_b64 s[0:1], vcc
	s_cbranch_execnz .LBB75_522
.LBB75_506:
	s_or_b64 exec, exec, s[0:1]
	v_cmp_gt_i32_e32 vcc, s12, v0
	s_and_saveexec_b64 s[0:1], vcc
	s_cbranch_execnz .LBB75_523
.LBB75_507:
	s_or_b64 exec, exec, s[0:1]
	v_cmp_gt_i32_e32 vcc, s12, v0
	s_and_saveexec_b64 s[0:1], vcc
	s_cbranch_execnz .LBB75_524
.LBB75_508:
	s_or_b64 exec, exec, s[0:1]
	v_cmp_gt_i32_e32 vcc, s12, v0
	s_and_saveexec_b64 s[0:1], vcc
	s_cbranch_execnz .LBB75_525
.LBB75_509:
	s_or_b64 exec, exec, s[0:1]
	v_cmp_gt_i32_e32 vcc, s12, v0
	s_and_saveexec_b64 s[0:1], vcc
	s_cbranch_execnz .LBB75_526
.LBB75_510:
	s_or_b64 exec, exec, s[0:1]
	v_cmp_gt_i32_e32 vcc, s12, v0
	s_and_saveexec_b64 s[0:1], vcc
	s_cbranch_execnz .LBB75_527
.LBB75_511:
	s_or_b64 exec, exec, s[0:1]
	v_cmp_gt_i32_e32 vcc, s12, v0
	s_and_saveexec_b64 s[0:1], vcc
	s_cbranch_execnz .LBB75_528
.LBB75_512:
	s_or_b64 exec, exec, s[0:1]
	v_cmp_gt_i32_e32 vcc, s12, v0
	s_and_saveexec_b64 s[0:1], vcc
	s_cbranch_execnz .LBB75_529
.LBB75_513:
	s_or_b64 exec, exec, s[0:1]
	v_cmp_gt_i32_e32 vcc, s12, v0
	s_and_saveexec_b64 s[0:1], vcc
	s_cbranch_execnz .LBB75_530
.LBB75_514:
	s_or_b64 exec, exec, s[0:1]
	v_cmp_gt_i32_e32 vcc, s12, v0
	s_and_saveexec_b64 s[0:1], vcc
	s_cbranch_execnz .LBB75_531
.LBB75_515:
	s_or_b64 exec, exec, s[0:1]
	v_cmp_gt_i32_e32 vcc, s12, v0
	s_and_saveexec_b64 s[0:1], vcc
	s_cbranch_execnz .LBB75_532
.LBB75_516:
	s_or_b64 exec, exec, s[0:1]
	v_cmp_gt_i32_e32 vcc, s12, v0
	s_and_saveexec_b64 s[0:1], vcc
	s_cbranch_execnz .LBB75_533
.LBB75_517:
	s_or_b64 exec, exec, s[0:1]
	v_cmp_gt_i32_e32 vcc, s12, v0
	s_and_saveexec_b64 s[0:1], vcc
	s_cbranch_execz .LBB75_519
.LBB75_518:
	v_add_u32_e32 v0, s2, v0
	global_store_byte v0, v4, s[8:9]
.LBB75_519:
	s_endpgm
.LBB75_520:
	v_add_u32_e32 v1, s2, v0
	v_add_u32_e32 v0, 0x100, v0
	s_waitcnt vmcnt(0)
	global_store_byte v1, v10, s[8:9]
	s_or_b64 exec, exec, s[0:1]
	v_cmp_gt_i32_e32 vcc, s12, v0
	s_and_saveexec_b64 s[0:1], vcc
	s_cbranch_execz .LBB75_505
.LBB75_521:
	v_add_u32_e32 v1, s2, v0
	v_add_u32_e32 v0, 0x100, v0
	global_store_byte v1, v14, s[8:9]
	s_or_b64 exec, exec, s[0:1]
	v_cmp_gt_i32_e32 vcc, s12, v0
	s_and_saveexec_b64 s[0:1], vcc
	s_cbranch_execz .LBB75_506
.LBB75_522:
	v_add_u32_e32 v1, s2, v0
	v_add_u32_e32 v0, 0x100, v0
	global_store_byte v1, v16, s[8:9]
	s_or_b64 exec, exec, s[0:1]
	v_cmp_gt_i32_e32 vcc, s12, v0
	s_and_saveexec_b64 s[0:1], vcc
	s_cbranch_execz .LBB75_507
.LBB75_523:
	v_add_u32_e32 v1, s2, v0
	v_add_u32_e32 v0, 0x100, v0
	global_store_byte v1, v21, s[8:9]
	s_or_b64 exec, exec, s[0:1]
	v_cmp_gt_i32_e32 vcc, s12, v0
	s_and_saveexec_b64 s[0:1], vcc
	s_cbranch_execz .LBB75_508
.LBB75_524:
	v_add_u32_e32 v1, s2, v0
	v_add_u32_e32 v0, 0x100, v0
	global_store_byte v1, v24, s[8:9]
	s_or_b64 exec, exec, s[0:1]
	v_cmp_gt_i32_e32 vcc, s12, v0
	s_and_saveexec_b64 s[0:1], vcc
	s_cbranch_execz .LBB75_509
.LBB75_525:
	v_add_u32_e32 v1, s2, v0
	v_add_u32_e32 v0, 0x100, v0
	global_store_byte v1, v27, s[8:9]
	s_or_b64 exec, exec, s[0:1]
	v_cmp_gt_i32_e32 vcc, s12, v0
	s_and_saveexec_b64 s[0:1], vcc
	s_cbranch_execz .LBB75_510
.LBB75_526:
	v_add_u32_e32 v1, s2, v0
	v_add_u32_e32 v0, 0x100, v0
	global_store_byte v1, v28, s[8:9]
	s_or_b64 exec, exec, s[0:1]
	v_cmp_gt_i32_e32 vcc, s12, v0
	s_and_saveexec_b64 s[0:1], vcc
	s_cbranch_execz .LBB75_511
.LBB75_527:
	v_add_u32_e32 v1, s2, v0
	v_add_u32_e32 v0, 0x100, v0
	global_store_byte v1, v25, s[8:9]
	s_or_b64 exec, exec, s[0:1]
	v_cmp_gt_i32_e32 vcc, s12, v0
	s_and_saveexec_b64 s[0:1], vcc
	s_cbranch_execz .LBB75_512
.LBB75_528:
	v_add_u32_e32 v1, s2, v0
	v_add_u32_e32 v0, 0x100, v0
	global_store_byte v1, v22, s[8:9]
	s_or_b64 exec, exec, s[0:1]
	v_cmp_gt_i32_e32 vcc, s12, v0
	s_and_saveexec_b64 s[0:1], vcc
	s_cbranch_execz .LBB75_513
.LBB75_529:
	v_add_u32_e32 v1, s2, v0
	v_add_u32_e32 v0, 0x100, v0
	global_store_byte v1, v19, s[8:9]
	s_or_b64 exec, exec, s[0:1]
	v_cmp_gt_i32_e32 vcc, s12, v0
	s_and_saveexec_b64 s[0:1], vcc
	s_cbranch_execz .LBB75_514
.LBB75_530:
	v_add_u32_e32 v1, s2, v0
	v_add_u32_e32 v0, 0x100, v0
	global_store_byte v1, v17, s[8:9]
	s_or_b64 exec, exec, s[0:1]
	v_cmp_gt_i32_e32 vcc, s12, v0
	s_and_saveexec_b64 s[0:1], vcc
	s_cbranch_execz .LBB75_515
.LBB75_531:
	v_add_u32_e32 v1, s2, v0
	v_add_u32_e32 v0, 0x100, v0
	global_store_byte v1, v13, s[8:9]
	s_or_b64 exec, exec, s[0:1]
	v_cmp_gt_i32_e32 vcc, s12, v0
	s_and_saveexec_b64 s[0:1], vcc
	s_cbranch_execz .LBB75_516
.LBB75_532:
	v_add_u32_e32 v1, s2, v0
	v_add_u32_e32 v0, 0x100, v0
	global_store_byte v1, v11, s[8:9]
	s_or_b64 exec, exec, s[0:1]
	v_cmp_gt_i32_e32 vcc, s12, v0
	s_and_saveexec_b64 s[0:1], vcc
	s_cbranch_execz .LBB75_517
.LBB75_533:
	v_add_u32_e32 v1, s2, v0
	v_add_u32_e32 v0, 0x100, v0
	global_store_byte v1, v8, s[8:9]
	s_or_b64 exec, exec, s[0:1]
	v_cmp_gt_i32_e32 vcc, s12, v0
	s_and_saveexec_b64 s[0:1], vcc
	s_cbranch_execnz .LBB75_518
	s_branch .LBB75_519
.LBB75_534:
	s_waitcnt vmcnt(0)
	v_cmp_lt_i16_e32 vcc, v2, v3
	s_andn2_b64 s[10:11], s[10:11], exec
	s_and_b64 s[14:15], vcc, exec
	s_or_b64 s[10:11], s[10:11], s[14:15]
	s_cbranch_execz .LBB75_499
	s_branch .LBB75_500
.LBB75_535:
	s_mov_b64 s[14:15], -1
                                        ; implicit-def: $sgpr10_sgpr11
	s_branch .LBB75_285
.LBB75_536:
	s_mov_b64 s[14:15], -1
                                        ; implicit-def: $sgpr10_sgpr11
	s_branch .LBB75_300
.LBB75_537:
	s_mov_b64 s[14:15], -1
                                        ; implicit-def: $sgpr10_sgpr11
	s_branch .LBB75_315
.LBB75_538:
	s_mov_b64 s[14:15], -1
                                        ; implicit-def: $sgpr10_sgpr11
	s_branch .LBB75_330
.LBB75_539:
	s_mov_b64 s[14:15], -1
                                        ; implicit-def: $sgpr10_sgpr11
	s_branch .LBB75_345
.LBB75_540:
	s_mov_b64 s[14:15], -1
                                        ; implicit-def: $sgpr10_sgpr11
	s_branch .LBB75_360
.LBB75_541:
	s_mov_b64 s[14:15], -1
                                        ; implicit-def: $sgpr10_sgpr11
	s_branch .LBB75_375
.LBB75_542:
	s_mov_b64 s[14:15], -1
                                        ; implicit-def: $sgpr10_sgpr11
	s_branch .LBB75_390
.LBB75_543:
	s_mov_b64 s[14:15], -1
                                        ; implicit-def: $sgpr10_sgpr11
	s_branch .LBB75_405
.LBB75_544:
	s_mov_b64 s[14:15], -1
                                        ; implicit-def: $sgpr10_sgpr11
	s_branch .LBB75_420
.LBB75_545:
	s_mov_b64 s[14:15], -1
                                        ; implicit-def: $sgpr10_sgpr11
	s_branch .LBB75_435
.LBB75_546:
	s_mov_b64 s[14:15], -1
                                        ; implicit-def: $sgpr10_sgpr11
	s_branch .LBB75_450
.LBB75_547:
	s_mov_b64 s[14:15], -1
                                        ; implicit-def: $sgpr10_sgpr11
	s_branch .LBB75_465
.LBB75_548:
	s_mov_b64 s[14:15], -1
                                        ; implicit-def: $sgpr10_sgpr11
	s_branch .LBB75_480
.LBB75_549:
	s_mov_b64 s[14:15], -1
                                        ; implicit-def: $sgpr10_sgpr11
	s_branch .LBB75_495
	.section	.rodata,"a",@progbits
	.p2align	6, 0x0
	.amdhsa_kernel _ZN2at6native29vectorized_elementwise_kernelILi2ENS0_12_GLOBAL__N_114CompareFunctorIsEESt5arrayIPcLm3EEEEviT0_T1_
		.amdhsa_group_segment_fixed_size 0
		.amdhsa_private_segment_fixed_size 0
		.amdhsa_kernarg_size 32
		.amdhsa_user_sgpr_count 6
		.amdhsa_user_sgpr_private_segment_buffer 1
		.amdhsa_user_sgpr_dispatch_ptr 0
		.amdhsa_user_sgpr_queue_ptr 0
		.amdhsa_user_sgpr_kernarg_segment_ptr 1
		.amdhsa_user_sgpr_dispatch_id 0
		.amdhsa_user_sgpr_flat_scratch_init 0
		.amdhsa_user_sgpr_private_segment_size 0
		.amdhsa_uses_dynamic_stack 0
		.amdhsa_system_sgpr_private_segment_wavefront_offset 0
		.amdhsa_system_sgpr_workgroup_id_x 1
		.amdhsa_system_sgpr_workgroup_id_y 0
		.amdhsa_system_sgpr_workgroup_id_z 0
		.amdhsa_system_sgpr_workgroup_info 0
		.amdhsa_system_vgpr_workitem_id 0
		.amdhsa_next_free_vgpr 39
		.amdhsa_next_free_sgpr 50
		.amdhsa_reserve_vcc 1
		.amdhsa_reserve_flat_scratch 0
		.amdhsa_float_round_mode_32 0
		.amdhsa_float_round_mode_16_64 0
		.amdhsa_float_denorm_mode_32 3
		.amdhsa_float_denorm_mode_16_64 3
		.amdhsa_dx10_clamp 1
		.amdhsa_ieee_mode 1
		.amdhsa_fp16_overflow 0
		.amdhsa_exception_fp_ieee_invalid_op 0
		.amdhsa_exception_fp_denorm_src 0
		.amdhsa_exception_fp_ieee_div_zero 0
		.amdhsa_exception_fp_ieee_overflow 0
		.amdhsa_exception_fp_ieee_underflow 0
		.amdhsa_exception_fp_ieee_inexact 0
		.amdhsa_exception_int_div_zero 0
	.end_amdhsa_kernel
	.section	.text._ZN2at6native29vectorized_elementwise_kernelILi2ENS0_12_GLOBAL__N_114CompareFunctorIsEESt5arrayIPcLm3EEEEviT0_T1_,"axG",@progbits,_ZN2at6native29vectorized_elementwise_kernelILi2ENS0_12_GLOBAL__N_114CompareFunctorIsEESt5arrayIPcLm3EEEEviT0_T1_,comdat
.Lfunc_end75:
	.size	_ZN2at6native29vectorized_elementwise_kernelILi2ENS0_12_GLOBAL__N_114CompareFunctorIsEESt5arrayIPcLm3EEEEviT0_T1_, .Lfunc_end75-_ZN2at6native29vectorized_elementwise_kernelILi2ENS0_12_GLOBAL__N_114CompareFunctorIsEESt5arrayIPcLm3EEEEviT0_T1_
                                        ; -- End function
	.set _ZN2at6native29vectorized_elementwise_kernelILi2ENS0_12_GLOBAL__N_114CompareFunctorIsEESt5arrayIPcLm3EEEEviT0_T1_.num_vgpr, 39
	.set _ZN2at6native29vectorized_elementwise_kernelILi2ENS0_12_GLOBAL__N_114CompareFunctorIsEESt5arrayIPcLm3EEEEviT0_T1_.num_agpr, 0
	.set _ZN2at6native29vectorized_elementwise_kernelILi2ENS0_12_GLOBAL__N_114CompareFunctorIsEESt5arrayIPcLm3EEEEviT0_T1_.numbered_sgpr, 50
	.set _ZN2at6native29vectorized_elementwise_kernelILi2ENS0_12_GLOBAL__N_114CompareFunctorIsEESt5arrayIPcLm3EEEEviT0_T1_.num_named_barrier, 0
	.set _ZN2at6native29vectorized_elementwise_kernelILi2ENS0_12_GLOBAL__N_114CompareFunctorIsEESt5arrayIPcLm3EEEEviT0_T1_.private_seg_size, 0
	.set _ZN2at6native29vectorized_elementwise_kernelILi2ENS0_12_GLOBAL__N_114CompareFunctorIsEESt5arrayIPcLm3EEEEviT0_T1_.uses_vcc, 1
	.set _ZN2at6native29vectorized_elementwise_kernelILi2ENS0_12_GLOBAL__N_114CompareFunctorIsEESt5arrayIPcLm3EEEEviT0_T1_.uses_flat_scratch, 0
	.set _ZN2at6native29vectorized_elementwise_kernelILi2ENS0_12_GLOBAL__N_114CompareFunctorIsEESt5arrayIPcLm3EEEEviT0_T1_.has_dyn_sized_stack, 0
	.set _ZN2at6native29vectorized_elementwise_kernelILi2ENS0_12_GLOBAL__N_114CompareFunctorIsEESt5arrayIPcLm3EEEEviT0_T1_.has_recursion, 0
	.set _ZN2at6native29vectorized_elementwise_kernelILi2ENS0_12_GLOBAL__N_114CompareFunctorIsEESt5arrayIPcLm3EEEEviT0_T1_.has_indirect_call, 0
	.section	.AMDGPU.csdata,"",@progbits
; Kernel info:
; codeLenInByte = 9080
; TotalNumSgprs: 54
; NumVgprs: 39
; ScratchSize: 0
; MemoryBound: 0
; FloatMode: 240
; IeeeMode: 1
; LDSByteSize: 0 bytes/workgroup (compile time only)
; SGPRBlocks: 6
; VGPRBlocks: 9
; NumSGPRsForWavesPerEU: 54
; NumVGPRsForWavesPerEU: 39
; Occupancy: 6
; WaveLimiterHint : 1
; COMPUTE_PGM_RSRC2:SCRATCH_EN: 0
; COMPUTE_PGM_RSRC2:USER_SGPR: 6
; COMPUTE_PGM_RSRC2:TRAP_HANDLER: 0
; COMPUTE_PGM_RSRC2:TGID_X_EN: 1
; COMPUTE_PGM_RSRC2:TGID_Y_EN: 0
; COMPUTE_PGM_RSRC2:TGID_Z_EN: 0
; COMPUTE_PGM_RSRC2:TIDIG_COMP_CNT: 0
	.section	.text._ZN2at6native27unrolled_elementwise_kernelINS0_12_GLOBAL__N_114CompareFunctorIsEESt5arrayIPcLm3EELi4E23TrivialOffsetCalculatorILi2EjES8_ILi1EjENS0_6memory15LoadWithoutCastENSB_16StoreWithoutCastEEEviT_T0_T2_T3_T4_T5_,"axG",@progbits,_ZN2at6native27unrolled_elementwise_kernelINS0_12_GLOBAL__N_114CompareFunctorIsEESt5arrayIPcLm3EELi4E23TrivialOffsetCalculatorILi2EjES8_ILi1EjENS0_6memory15LoadWithoutCastENSB_16StoreWithoutCastEEEviT_T0_T2_T3_T4_T5_,comdat
	.globl	_ZN2at6native27unrolled_elementwise_kernelINS0_12_GLOBAL__N_114CompareFunctorIsEESt5arrayIPcLm3EELi4E23TrivialOffsetCalculatorILi2EjES8_ILi1EjENS0_6memory15LoadWithoutCastENSB_16StoreWithoutCastEEEviT_T0_T2_T3_T4_T5_ ; -- Begin function _ZN2at6native27unrolled_elementwise_kernelINS0_12_GLOBAL__N_114CompareFunctorIsEESt5arrayIPcLm3EELi4E23TrivialOffsetCalculatorILi2EjES8_ILi1EjENS0_6memory15LoadWithoutCastENSB_16StoreWithoutCastEEEviT_T0_T2_T3_T4_T5_
	.p2align	8
	.type	_ZN2at6native27unrolled_elementwise_kernelINS0_12_GLOBAL__N_114CompareFunctorIsEESt5arrayIPcLm3EELi4E23TrivialOffsetCalculatorILi2EjES8_ILi1EjENS0_6memory15LoadWithoutCastENSB_16StoreWithoutCastEEEviT_T0_T2_T3_T4_T5_,@function
_ZN2at6native27unrolled_elementwise_kernelINS0_12_GLOBAL__N_114CompareFunctorIsEESt5arrayIPcLm3EELi4E23TrivialOffsetCalculatorILi2EjES8_ILi1EjENS0_6memory15LoadWithoutCastENSB_16StoreWithoutCastEEEviT_T0_T2_T3_T4_T5_: ; @_ZN2at6native27unrolled_elementwise_kernelINS0_12_GLOBAL__N_114CompareFunctorIsEESt5arrayIPcLm3EELi4E23TrivialOffsetCalculatorILi2EjES8_ILi1EjENS0_6memory15LoadWithoutCastENSB_16StoreWithoutCastEEEviT_T0_T2_T3_T4_T5_
; %bb.0:
	s_load_dwordx2 s[2:3], s[4:5], 0x0
	s_load_dwordx4 s[8:11], s[4:5], 0x8
	s_load_dwordx2 s[12:13], s[4:5], 0x18
	s_lshl_b32 s16, s6, 10
	v_mov_b32_e32 v8, 0
	s_waitcnt lgkmcnt(0)
	s_sub_i32 s2, s2, s16
	v_cmp_gt_i32_e64 s[0:1], s2, v0
	v_or_b32_e32 v1, s16, v0
	v_mov_b32_e32 v7, 0
	v_mov_b32_e32 v10, 0
	;; [unrolled: 1-line block ×3, first 2 shown]
	s_and_saveexec_b64 s[4:5], s[0:1]
	s_cbranch_execz .LBB76_2
; %bb.1:
	v_mov_b32_e32 v2, 0
	v_lshlrev_b64 v[2:3], 1, v[1:2]
	v_mov_b32_e32 v5, s11
	v_add_co_u32_e32 v4, vcc, s10, v2
	v_addc_co_u32_e32 v5, vcc, v5, v3, vcc
	v_mov_b32_e32 v6, s13
	v_add_co_u32_e32 v2, vcc, s12, v2
	v_addc_co_u32_e32 v3, vcc, v6, v3, vcc
	global_load_ushort v7, v[4:5], off
	global_load_ushort v10, v[2:3], off
	v_or_b32_e32 v4, 0x100, v0
.LBB76_2:
	s_or_b64 exec, exec, s[4:5]
	v_cmp_gt_i32_e32 vcc, s2, v4
	v_mov_b32_e32 v9, 0
	s_and_saveexec_b64 s[4:5], vcc
	s_cbranch_execz .LBB76_4
; %bb.3:
	v_add_u32_e32 v2, s16, v4
	v_mov_b32_e32 v3, 0
	v_lshlrev_b64 v[2:3], 1, v[2:3]
	v_mov_b32_e32 v6, s11
	v_add_co_u32_e32 v5, vcc, s10, v2
	v_addc_co_u32_e32 v6, vcc, v6, v3, vcc
	v_mov_b32_e32 v8, s13
	v_add_co_u32_e32 v2, vcc, s12, v2
	v_addc_co_u32_e32 v3, vcc, v8, v3, vcc
	global_load_ushort v8, v[5:6], off
	global_load_ushort v9, v[2:3], off
	v_add_u32_e32 v4, 0x100, v4
.LBB76_4:
	s_or_b64 exec, exec, s[4:5]
	v_cmp_gt_i32_e32 vcc, s2, v4
	v_mov_b32_e32 v2, 0
	v_mov_b32_e32 v5, 0
	;; [unrolled: 1-line block ×3, first 2 shown]
	s_and_saveexec_b64 s[4:5], vcc
	s_cbranch_execz .LBB76_6
; %bb.5:
	v_add_u32_e32 v5, s16, v4
	v_mov_b32_e32 v6, 0
	v_lshlrev_b64 v[5:6], 1, v[5:6]
	v_mov_b32_e32 v3, s11
	v_add_co_u32_e32 v11, vcc, s10, v5
	v_addc_co_u32_e32 v12, vcc, v3, v6, vcc
	v_mov_b32_e32 v3, s13
	v_add_co_u32_e32 v13, vcc, s12, v5
	v_addc_co_u32_e32 v14, vcc, v3, v6, vcc
	global_load_ushort v5, v[11:12], off
	global_load_ushort v6, v[13:14], off
	v_add_u32_e32 v4, 0x100, v4
.LBB76_6:
	s_or_b64 exec, exec, s[4:5]
	v_cmp_gt_i32_e32 vcc, s2, v4
	v_mov_b32_e32 v3, 0
	s_and_saveexec_b64 s[4:5], vcc
	s_cbranch_execz .LBB76_8
; %bb.7:
	v_add_u32_e32 v2, s16, v4
	v_mov_b32_e32 v3, 0
	v_lshlrev_b64 v[2:3], 1, v[2:3]
	v_mov_b32_e32 v4, s11
	v_add_co_u32_e32 v11, vcc, s10, v2
	v_addc_co_u32_e32 v12, vcc, v4, v3, vcc
	v_mov_b32_e32 v4, s13
	v_add_co_u32_e32 v13, vcc, s12, v2
	v_addc_co_u32_e32 v14, vcc, v4, v3, vcc
	global_load_ushort v2, v[11:12], off
	global_load_ushort v3, v[13:14], off
.LBB76_8:
	s_or_b64 exec, exec, s[4:5]
	v_mov_b32_e32 v4, 0
	s_and_saveexec_b64 s[4:5], s[0:1]
	s_cbranch_execz .LBB76_24
; %bb.9:
	s_cmp_lt_i32 s3, 1
	s_mov_b64 s[6:7], 0
	s_cbranch_scc1 .LBB76_13
; %bb.10:
	s_cmp_gt_i32 s3, 1
	s_cbranch_scc0 .LBB76_14
; %bb.11:
	s_cmp_eq_u32 s3, 2
	s_cbranch_scc0 .LBB76_15
; %bb.12:
	s_waitcnt vmcnt(0)
	v_cmp_le_i16_e64 s[10:11], v7, v10
	s_mov_b64 s[12:13], 0
	s_branch .LBB76_16
.LBB76_13:
                                        ; implicit-def: $sgpr10_sgpr11
	s_mov_b64 s[12:13], 0
	s_cbranch_execnz .LBB76_19
	s_branch .LBB76_20
.LBB76_14:
	s_mov_b64 s[12:13], 0
                                        ; implicit-def: $sgpr10_sgpr11
	s_cbranch_execnz .LBB76_17
	s_branch .LBB76_18
.LBB76_15:
	s_mov_b64 s[12:13], -1
                                        ; implicit-def: $sgpr10_sgpr11
.LBB76_16:
	s_branch .LBB76_18
.LBB76_17:
	s_waitcnt vmcnt(0)
	v_cmp_gt_i16_e32 vcc, v7, v10
	s_andn2_b64 s[10:11], s[10:11], exec
	s_and_b64 s[14:15], vcc, exec
	s_or_b64 s[10:11], s[10:11], s[14:15]
.LBB76_18:
	s_branch .LBB76_20
.LBB76_19:
	s_cmp_lg_u32 s3, 0
	s_mov_b64 s[6:7], -1
	s_cselect_b64 s[12:13], -1, 0
.LBB76_20:
	s_andn2_b64 vcc, exec, s[12:13]
	s_cbranch_vccz .LBB76_29
; %bb.21:
	s_andn2_b64 vcc, exec, s[6:7]
	s_cbranch_vccnz .LBB76_23
.LBB76_22:
	s_waitcnt vmcnt(0)
	v_cmp_ge_i16_e32 vcc, v7, v10
	s_andn2_b64 s[6:7], s[10:11], exec
	s_and_b64 s[10:11], vcc, exec
	s_or_b64 s[10:11], s[6:7], s[10:11]
.LBB76_23:
	v_cndmask_b32_e64 v4, 0, 1, s[10:11]
.LBB76_24:
	s_or_b64 exec, exec, s[4:5]
	s_waitcnt vmcnt(1)
	v_or_b32_e32 v7, 0x100, v0
	v_cmp_gt_i32_e32 vcc, s2, v7
	s_and_saveexec_b64 s[4:5], vcc
	s_cbranch_execz .LBB76_39
; %bb.25:
	s_cmp_lt_i32 s3, 1
	s_mov_b64 s[6:7], 0
	s_cbranch_scc1 .LBB76_30
; %bb.26:
	s_cmp_gt_i32 s3, 1
	s_cbranch_scc0 .LBB76_31
; %bb.27:
	s_cmp_eq_u32 s3, 2
	s_cbranch_scc0 .LBB76_79
; %bb.28:
	s_waitcnt vmcnt(0)
	v_cmp_le_i16_e64 s[10:11], v8, v9
	s_mov_b64 s[12:13], 0
	s_branch .LBB76_33
.LBB76_29:
	s_waitcnt vmcnt(0)
	v_cmp_lt_i16_e32 vcc, v7, v10
	s_andn2_b64 s[10:11], s[10:11], exec
	s_and_b64 s[12:13], vcc, exec
	s_or_b64 s[10:11], s[10:11], s[12:13]
	s_cbranch_execz .LBB76_22
	s_branch .LBB76_23
.LBB76_30:
                                        ; implicit-def: $sgpr10_sgpr11
	s_mov_b64 s[12:13], 0
	s_cbranch_execnz .LBB76_34
	s_branch .LBB76_35
.LBB76_31:
	s_mov_b64 s[12:13], 0
                                        ; implicit-def: $sgpr10_sgpr11
	s_cbranch_execz .LBB76_33
; %bb.32:
	s_waitcnt vmcnt(0)
	v_cmp_gt_i16_e32 vcc, v8, v9
	s_andn2_b64 s[10:11], s[10:11], exec
	s_and_b64 s[14:15], vcc, exec
	s_or_b64 s[10:11], s[10:11], s[14:15]
.LBB76_33:
	s_branch .LBB76_35
.LBB76_34:
	s_cmp_lg_u32 s3, 0
	s_mov_b64 s[6:7], -1
	s_cselect_b64 s[12:13], -1, 0
.LBB76_35:
	s_andn2_b64 vcc, exec, s[12:13]
	s_cbranch_vccz .LBB76_44
; %bb.36:
	s_andn2_b64 vcc, exec, s[6:7]
	s_cbranch_vccnz .LBB76_38
.LBB76_37:
	s_waitcnt vmcnt(0)
	v_cmp_ge_i16_e32 vcc, v8, v9
	s_andn2_b64 s[6:7], s[10:11], exec
	s_and_b64 s[10:11], vcc, exec
	s_or_b64 s[10:11], s[6:7], s[10:11]
.LBB76_38:
	v_cndmask_b32_e64 v8, 0, 1, s[10:11]
	v_lshlrev_b16_e32 v8, 8, v8
	v_or_b32_e32 v4, v4, v8
	v_and_b32_e32 v4, 0xffff, v4
.LBB76_39:
	s_or_b64 exec, exec, s[4:5]
	v_or_b32_e32 v8, 0x200, v0
	v_cmp_gt_i32_e32 vcc, s2, v8
	s_and_saveexec_b64 s[4:5], vcc
	s_cbranch_execz .LBB76_54
; %bb.40:
	s_cmp_lt_i32 s3, 1
	s_mov_b64 s[6:7], 0
	s_cbranch_scc1 .LBB76_45
; %bb.41:
	s_cmp_gt_i32 s3, 1
	s_cbranch_scc0 .LBB76_46
; %bb.42:
	s_cmp_eq_u32 s3, 2
	s_cbranch_scc0 .LBB76_80
; %bb.43:
	s_waitcnt vmcnt(0)
	v_cmp_le_i16_e64 s[10:11], v5, v6
	s_mov_b64 s[12:13], 0
	s_branch .LBB76_48
.LBB76_44:
	s_waitcnt vmcnt(0)
	v_cmp_lt_i16_e32 vcc, v8, v9
	s_andn2_b64 s[10:11], s[10:11], exec
	s_and_b64 s[12:13], vcc, exec
	s_or_b64 s[10:11], s[10:11], s[12:13]
	s_cbranch_execz .LBB76_37
	s_branch .LBB76_38
.LBB76_45:
                                        ; implicit-def: $sgpr10_sgpr11
	s_mov_b64 s[12:13], 0
	s_cbranch_execnz .LBB76_49
	s_branch .LBB76_50
.LBB76_46:
	s_mov_b64 s[12:13], 0
                                        ; implicit-def: $sgpr10_sgpr11
	s_cbranch_execz .LBB76_48
; %bb.47:
	s_waitcnt vmcnt(0)
	v_cmp_gt_i16_e32 vcc, v5, v6
	s_andn2_b64 s[10:11], s[10:11], exec
	s_and_b64 s[14:15], vcc, exec
	s_or_b64 s[10:11], s[10:11], s[14:15]
.LBB76_48:
	s_branch .LBB76_50
.LBB76_49:
	s_cmp_lg_u32 s3, 0
	s_mov_b64 s[6:7], -1
	s_cselect_b64 s[12:13], -1, 0
.LBB76_50:
	s_andn2_b64 vcc, exec, s[12:13]
	s_cbranch_vccz .LBB76_59
; %bb.51:
	s_andn2_b64 vcc, exec, s[6:7]
	s_cbranch_vccnz .LBB76_53
.LBB76_52:
	s_waitcnt vmcnt(0)
	v_cmp_ge_i16_e32 vcc, v5, v6
	s_andn2_b64 s[6:7], s[10:11], exec
	s_and_b64 s[10:11], vcc, exec
	s_or_b64 s[10:11], s[6:7], s[10:11]
.LBB76_53:
	v_cndmask_b32_e64 v5, 0, 1, s[10:11]
	v_lshl_or_b32 v4, v5, 16, v4
.LBB76_54:
	s_or_b64 exec, exec, s[4:5]
	v_or_b32_e32 v5, 0x300, v0
	v_cmp_gt_i32_e32 vcc, s2, v5
	s_and_saveexec_b64 s[4:5], vcc
	s_cbranch_execz .LBB76_69
; %bb.55:
	s_cmp_lt_i32 s3, 1
	s_mov_b64 s[6:7], 0
	s_cbranch_scc1 .LBB76_60
; %bb.56:
	s_cmp_gt_i32 s3, 1
	s_cbranch_scc0 .LBB76_61
; %bb.57:
	s_cmp_eq_u32 s3, 2
	s_cbranch_scc0 .LBB76_81
; %bb.58:
	s_waitcnt vmcnt(0)
	v_cmp_le_i16_e64 s[10:11], v2, v3
	s_mov_b64 s[12:13], 0
	s_branch .LBB76_63
.LBB76_59:
	s_waitcnt vmcnt(0)
	v_cmp_lt_i16_e32 vcc, v5, v6
	s_andn2_b64 s[10:11], s[10:11], exec
	s_and_b64 s[12:13], vcc, exec
	s_or_b64 s[10:11], s[10:11], s[12:13]
	s_cbranch_execz .LBB76_52
	s_branch .LBB76_53
.LBB76_60:
                                        ; implicit-def: $sgpr10_sgpr11
	s_mov_b64 s[12:13], 0
	s_cbranch_execnz .LBB76_64
	s_branch .LBB76_65
.LBB76_61:
	s_mov_b64 s[12:13], 0
                                        ; implicit-def: $sgpr10_sgpr11
	s_cbranch_execz .LBB76_63
; %bb.62:
	s_waitcnt vmcnt(0)
	v_cmp_gt_i16_e32 vcc, v2, v3
	s_andn2_b64 s[10:11], s[10:11], exec
	s_and_b64 s[14:15], vcc, exec
	s_or_b64 s[10:11], s[10:11], s[14:15]
.LBB76_63:
	s_branch .LBB76_65
.LBB76_64:
	s_cmp_lg_u32 s3, 0
	s_mov_b64 s[6:7], -1
	s_cselect_b64 s[12:13], -1, 0
.LBB76_65:
	s_andn2_b64 vcc, exec, s[12:13]
	s_cbranch_vccz .LBB76_78
; %bb.66:
	s_andn2_b64 vcc, exec, s[6:7]
	s_cbranch_vccnz .LBB76_68
.LBB76_67:
	s_waitcnt vmcnt(0)
	v_cmp_ge_i16_e32 vcc, v2, v3
	s_andn2_b64 s[6:7], s[10:11], exec
	s_and_b64 s[10:11], vcc, exec
	s_or_b64 s[10:11], s[6:7], s[10:11]
.LBB76_68:
	v_cndmask_b32_e64 v2, 0, 1, s[10:11]
	v_lshlrev_b16_e32 v2, 8, v2
	v_or_b32_sdwa v2, v4, v2 dst_sel:WORD_1 dst_unused:UNUSED_PAD src0_sel:WORD_1 src1_sel:DWORD
	s_mov_b32 s3, 0xffff
	v_and_or_b32 v4, v4, s3, v2
.LBB76_69:
	s_or_b64 exec, exec, s[4:5]
	s_and_saveexec_b64 s[4:5], s[0:1]
	s_xor_b64 s[0:1], exec, s[4:5]
	s_cbranch_execz .LBB76_71
; %bb.70:
	v_mov_b32_e32 v0, v7
	global_store_byte v1, v4, s[8:9]
.LBB76_71:
	s_or_b64 exec, exec, s[0:1]
	v_cmp_gt_i32_e32 vcc, s2, v0
	s_and_saveexec_b64 s[0:1], vcc
	s_cbranch_execnz .LBB76_75
; %bb.72:
	s_or_b64 exec, exec, s[0:1]
	v_cmp_gt_i32_e32 vcc, s2, v0
	s_and_saveexec_b64 s[0:1], vcc
	s_cbranch_execnz .LBB76_76
.LBB76_73:
	s_or_b64 exec, exec, s[0:1]
	v_cmp_gt_i32_e32 vcc, s2, v0
	s_and_saveexec_b64 s[0:1], vcc
	s_cbranch_execnz .LBB76_77
.LBB76_74:
	s_endpgm
.LBB76_75:
	v_add_u32_e32 v1, 0x100, v0
	v_add_u32_e32 v0, s16, v0
	v_lshrrev_b32_e32 v2, 8, v4
	global_store_byte v0, v2, s[8:9]
	v_mov_b32_e32 v0, v1
	s_or_b64 exec, exec, s[0:1]
	v_cmp_gt_i32_e32 vcc, s2, v0
	s_and_saveexec_b64 s[0:1], vcc
	s_cbranch_execz .LBB76_73
.LBB76_76:
	v_add_u32_e32 v1, 0x100, v0
	v_add_u32_e32 v0, s16, v0
	global_store_byte_d16_hi v0, v4, s[8:9]
	v_mov_b32_e32 v0, v1
	s_or_b64 exec, exec, s[0:1]
	v_cmp_gt_i32_e32 vcc, s2, v0
	s_and_saveexec_b64 s[0:1], vcc
	s_cbranch_execz .LBB76_74
.LBB76_77:
	v_add_u32_e32 v0, s16, v0
	v_lshrrev_b32_e32 v1, 24, v4
	global_store_byte v0, v1, s[8:9]
	s_endpgm
.LBB76_78:
	s_waitcnt vmcnt(0)
	v_cmp_lt_i16_e32 vcc, v2, v3
	s_andn2_b64 s[10:11], s[10:11], exec
	s_and_b64 s[12:13], vcc, exec
	s_or_b64 s[10:11], s[10:11], s[12:13]
	s_cbranch_execz .LBB76_67
	s_branch .LBB76_68
.LBB76_79:
	s_mov_b64 s[12:13], -1
                                        ; implicit-def: $sgpr10_sgpr11
	s_branch .LBB76_33
.LBB76_80:
	s_mov_b64 s[12:13], -1
                                        ; implicit-def: $sgpr10_sgpr11
	s_branch .LBB76_48
.LBB76_81:
	s_mov_b64 s[12:13], -1
                                        ; implicit-def: $sgpr10_sgpr11
	s_branch .LBB76_63
	.section	.rodata,"a",@progbits
	.p2align	6, 0x0
	.amdhsa_kernel _ZN2at6native27unrolled_elementwise_kernelINS0_12_GLOBAL__N_114CompareFunctorIsEESt5arrayIPcLm3EELi4E23TrivialOffsetCalculatorILi2EjES8_ILi1EjENS0_6memory15LoadWithoutCastENSB_16StoreWithoutCastEEEviT_T0_T2_T3_T4_T5_
		.amdhsa_group_segment_fixed_size 0
		.amdhsa_private_segment_fixed_size 0
		.amdhsa_kernarg_size 36
		.amdhsa_user_sgpr_count 6
		.amdhsa_user_sgpr_private_segment_buffer 1
		.amdhsa_user_sgpr_dispatch_ptr 0
		.amdhsa_user_sgpr_queue_ptr 0
		.amdhsa_user_sgpr_kernarg_segment_ptr 1
		.amdhsa_user_sgpr_dispatch_id 0
		.amdhsa_user_sgpr_flat_scratch_init 0
		.amdhsa_user_sgpr_private_segment_size 0
		.amdhsa_uses_dynamic_stack 0
		.amdhsa_system_sgpr_private_segment_wavefront_offset 0
		.amdhsa_system_sgpr_workgroup_id_x 1
		.amdhsa_system_sgpr_workgroup_id_y 0
		.amdhsa_system_sgpr_workgroup_id_z 0
		.amdhsa_system_sgpr_workgroup_info 0
		.amdhsa_system_vgpr_workitem_id 0
		.amdhsa_next_free_vgpr 15
		.amdhsa_next_free_sgpr 17
		.amdhsa_reserve_vcc 1
		.amdhsa_reserve_flat_scratch 0
		.amdhsa_float_round_mode_32 0
		.amdhsa_float_round_mode_16_64 0
		.amdhsa_float_denorm_mode_32 3
		.amdhsa_float_denorm_mode_16_64 3
		.amdhsa_dx10_clamp 1
		.amdhsa_ieee_mode 1
		.amdhsa_fp16_overflow 0
		.amdhsa_exception_fp_ieee_invalid_op 0
		.amdhsa_exception_fp_denorm_src 0
		.amdhsa_exception_fp_ieee_div_zero 0
		.amdhsa_exception_fp_ieee_overflow 0
		.amdhsa_exception_fp_ieee_underflow 0
		.amdhsa_exception_fp_ieee_inexact 0
		.amdhsa_exception_int_div_zero 0
	.end_amdhsa_kernel
	.section	.text._ZN2at6native27unrolled_elementwise_kernelINS0_12_GLOBAL__N_114CompareFunctorIsEESt5arrayIPcLm3EELi4E23TrivialOffsetCalculatorILi2EjES8_ILi1EjENS0_6memory15LoadWithoutCastENSB_16StoreWithoutCastEEEviT_T0_T2_T3_T4_T5_,"axG",@progbits,_ZN2at6native27unrolled_elementwise_kernelINS0_12_GLOBAL__N_114CompareFunctorIsEESt5arrayIPcLm3EELi4E23TrivialOffsetCalculatorILi2EjES8_ILi1EjENS0_6memory15LoadWithoutCastENSB_16StoreWithoutCastEEEviT_T0_T2_T3_T4_T5_,comdat
.Lfunc_end76:
	.size	_ZN2at6native27unrolled_elementwise_kernelINS0_12_GLOBAL__N_114CompareFunctorIsEESt5arrayIPcLm3EELi4E23TrivialOffsetCalculatorILi2EjES8_ILi1EjENS0_6memory15LoadWithoutCastENSB_16StoreWithoutCastEEEviT_T0_T2_T3_T4_T5_, .Lfunc_end76-_ZN2at6native27unrolled_elementwise_kernelINS0_12_GLOBAL__N_114CompareFunctorIsEESt5arrayIPcLm3EELi4E23TrivialOffsetCalculatorILi2EjES8_ILi1EjENS0_6memory15LoadWithoutCastENSB_16StoreWithoutCastEEEviT_T0_T2_T3_T4_T5_
                                        ; -- End function
	.set _ZN2at6native27unrolled_elementwise_kernelINS0_12_GLOBAL__N_114CompareFunctorIsEESt5arrayIPcLm3EELi4E23TrivialOffsetCalculatorILi2EjES8_ILi1EjENS0_6memory15LoadWithoutCastENSB_16StoreWithoutCastEEEviT_T0_T2_T3_T4_T5_.num_vgpr, 15
	.set _ZN2at6native27unrolled_elementwise_kernelINS0_12_GLOBAL__N_114CompareFunctorIsEESt5arrayIPcLm3EELi4E23TrivialOffsetCalculatorILi2EjES8_ILi1EjENS0_6memory15LoadWithoutCastENSB_16StoreWithoutCastEEEviT_T0_T2_T3_T4_T5_.num_agpr, 0
	.set _ZN2at6native27unrolled_elementwise_kernelINS0_12_GLOBAL__N_114CompareFunctorIsEESt5arrayIPcLm3EELi4E23TrivialOffsetCalculatorILi2EjES8_ILi1EjENS0_6memory15LoadWithoutCastENSB_16StoreWithoutCastEEEviT_T0_T2_T3_T4_T5_.numbered_sgpr, 17
	.set _ZN2at6native27unrolled_elementwise_kernelINS0_12_GLOBAL__N_114CompareFunctorIsEESt5arrayIPcLm3EELi4E23TrivialOffsetCalculatorILi2EjES8_ILi1EjENS0_6memory15LoadWithoutCastENSB_16StoreWithoutCastEEEviT_T0_T2_T3_T4_T5_.num_named_barrier, 0
	.set _ZN2at6native27unrolled_elementwise_kernelINS0_12_GLOBAL__N_114CompareFunctorIsEESt5arrayIPcLm3EELi4E23TrivialOffsetCalculatorILi2EjES8_ILi1EjENS0_6memory15LoadWithoutCastENSB_16StoreWithoutCastEEEviT_T0_T2_T3_T4_T5_.private_seg_size, 0
	.set _ZN2at6native27unrolled_elementwise_kernelINS0_12_GLOBAL__N_114CompareFunctorIsEESt5arrayIPcLm3EELi4E23TrivialOffsetCalculatorILi2EjES8_ILi1EjENS0_6memory15LoadWithoutCastENSB_16StoreWithoutCastEEEviT_T0_T2_T3_T4_T5_.uses_vcc, 1
	.set _ZN2at6native27unrolled_elementwise_kernelINS0_12_GLOBAL__N_114CompareFunctorIsEESt5arrayIPcLm3EELi4E23TrivialOffsetCalculatorILi2EjES8_ILi1EjENS0_6memory15LoadWithoutCastENSB_16StoreWithoutCastEEEviT_T0_T2_T3_T4_T5_.uses_flat_scratch, 0
	.set _ZN2at6native27unrolled_elementwise_kernelINS0_12_GLOBAL__N_114CompareFunctorIsEESt5arrayIPcLm3EELi4E23TrivialOffsetCalculatorILi2EjES8_ILi1EjENS0_6memory15LoadWithoutCastENSB_16StoreWithoutCastEEEviT_T0_T2_T3_T4_T5_.has_dyn_sized_stack, 0
	.set _ZN2at6native27unrolled_elementwise_kernelINS0_12_GLOBAL__N_114CompareFunctorIsEESt5arrayIPcLm3EELi4E23TrivialOffsetCalculatorILi2EjES8_ILi1EjENS0_6memory15LoadWithoutCastENSB_16StoreWithoutCastEEEviT_T0_T2_T3_T4_T5_.has_recursion, 0
	.set _ZN2at6native27unrolled_elementwise_kernelINS0_12_GLOBAL__N_114CompareFunctorIsEESt5arrayIPcLm3EELi4E23TrivialOffsetCalculatorILi2EjES8_ILi1EjENS0_6memory15LoadWithoutCastENSB_16StoreWithoutCastEEEviT_T0_T2_T3_T4_T5_.has_indirect_call, 0
	.section	.AMDGPU.csdata,"",@progbits
; Kernel info:
; codeLenInByte = 1452
; TotalNumSgprs: 21
; NumVgprs: 15
; ScratchSize: 0
; MemoryBound: 0
; FloatMode: 240
; IeeeMode: 1
; LDSByteSize: 0 bytes/workgroup (compile time only)
; SGPRBlocks: 2
; VGPRBlocks: 3
; NumSGPRsForWavesPerEU: 21
; NumVGPRsForWavesPerEU: 15
; Occupancy: 10
; WaveLimiterHint : 0
; COMPUTE_PGM_RSRC2:SCRATCH_EN: 0
; COMPUTE_PGM_RSRC2:USER_SGPR: 6
; COMPUTE_PGM_RSRC2:TRAP_HANDLER: 0
; COMPUTE_PGM_RSRC2:TGID_X_EN: 1
; COMPUTE_PGM_RSRC2:TGID_Y_EN: 0
; COMPUTE_PGM_RSRC2:TGID_Z_EN: 0
; COMPUTE_PGM_RSRC2:TIDIG_COMP_CNT: 0
	.section	.text._ZN2at6native32elementwise_kernel_manual_unrollILi128ELi8EZNS0_22gpu_kernel_impl_nocastINS0_12_GLOBAL__N_114CompareFunctorIsEEEEvRNS_18TensorIteratorBaseERKT_EUlibE_EEviT1_,"axG",@progbits,_ZN2at6native32elementwise_kernel_manual_unrollILi128ELi8EZNS0_22gpu_kernel_impl_nocastINS0_12_GLOBAL__N_114CompareFunctorIsEEEEvRNS_18TensorIteratorBaseERKT_EUlibE_EEviT1_,comdat
	.globl	_ZN2at6native32elementwise_kernel_manual_unrollILi128ELi8EZNS0_22gpu_kernel_impl_nocastINS0_12_GLOBAL__N_114CompareFunctorIsEEEEvRNS_18TensorIteratorBaseERKT_EUlibE_EEviT1_ ; -- Begin function _ZN2at6native32elementwise_kernel_manual_unrollILi128ELi8EZNS0_22gpu_kernel_impl_nocastINS0_12_GLOBAL__N_114CompareFunctorIsEEEEvRNS_18TensorIteratorBaseERKT_EUlibE_EEviT1_
	.p2align	8
	.type	_ZN2at6native32elementwise_kernel_manual_unrollILi128ELi8EZNS0_22gpu_kernel_impl_nocastINS0_12_GLOBAL__N_114CompareFunctorIsEEEEvRNS_18TensorIteratorBaseERKT_EUlibE_EEviT1_,@function
_ZN2at6native32elementwise_kernel_manual_unrollILi128ELi8EZNS0_22gpu_kernel_impl_nocastINS0_12_GLOBAL__N_114CompareFunctorIsEEEEvRNS_18TensorIteratorBaseERKT_EUlibE_EEviT1_: ; @_ZN2at6native32elementwise_kernel_manual_unrollILi128ELi8EZNS0_22gpu_kernel_impl_nocastINS0_12_GLOBAL__N_114CompareFunctorIsEEEEvRNS_18TensorIteratorBaseERKT_EUlibE_EEviT1_
; %bb.0:
	s_load_dword s43, s[4:5], 0x0
	s_load_dword s33, s[4:5], 0x8
	s_add_u32 s12, s4, 8
	s_addc_u32 s13, s5, 0
	v_lshl_or_b32 v21, s6, 10, v0
	v_or_b32_e32 v37, 0x380, v21
	s_waitcnt lgkmcnt(0)
	s_add_i32 s40, s33, -1
	s_cmp_gt_u32 s40, 1
	v_cmp_le_i32_e32 vcc, s43, v37
	s_cselect_b64 s[14:15], -1, 0
	s_and_saveexec_b64 s[0:1], vcc
	s_xor_b64 s[16:17], exec, s[0:1]
	s_cbranch_execz .LBB77_211
; %bb.1:
	s_load_dwordx4 s[8:11], s[12:13], 0x4
	s_load_dwordx2 s[22:23], s[12:13], 0x14
	s_load_dwordx4 s[4:7], s[12:13], 0xc4
	s_load_dwordx2 s[20:21], s[12:13], 0xd4
	s_load_dwordx2 s[18:19], s[12:13], 0x198
	s_load_dwordx4 s[0:3], s[12:13], 0x188
	s_load_dword s41, s[12:13], 0x1a0
	s_cmp_lg_u32 s33, 0
	s_cselect_b64 s[26:27], -1, 0
	s_min_u32 s42, s40, 15
	s_cmp_gt_u32 s33, 1
	s_cselect_b64 s[24:25], -1, 0
	v_cmp_gt_i32_e32 vcc, s43, v21
	s_and_saveexec_b64 s[28:29], vcc
	s_cbranch_execnz .LBB77_9
; %bb.2:
	s_or_b64 exec, exec, s[28:29]
	v_cmp_gt_i32_e32 vcc, s43, v21
	s_and_saveexec_b64 s[28:29], vcc
	s_cbranch_execnz .LBB77_35
.LBB77_3:
	s_or_b64 exec, exec, s[28:29]
	v_cmp_gt_i32_e32 vcc, s43, v21
	s_and_saveexec_b64 s[28:29], vcc
	s_cbranch_execnz .LBB77_60
.LBB77_4:
	s_or_b64 exec, exec, s[28:29]
	v_cmp_gt_i32_e32 vcc, s43, v21
	s_and_saveexec_b64 s[28:29], vcc
	s_cbranch_execnz .LBB77_85
.LBB77_5:
	s_or_b64 exec, exec, s[28:29]
	v_cmp_gt_i32_e32 vcc, s43, v21
	s_and_saveexec_b64 s[28:29], vcc
	s_cbranch_execnz .LBB77_110
.LBB77_6:
	s_or_b64 exec, exec, s[28:29]
	v_cmp_gt_i32_e32 vcc, s43, v21
	s_and_saveexec_b64 s[28:29], vcc
	s_cbranch_execnz .LBB77_135
.LBB77_7:
	s_or_b64 exec, exec, s[28:29]
	v_cmp_gt_i32_e32 vcc, s43, v21
	s_and_saveexec_b64 s[28:29], vcc
	s_cbranch_execnz .LBB77_160
.LBB77_8:
	s_or_b64 exec, exec, s[28:29]
	v_cmp_gt_i32_e32 vcc, s43, v21
	s_and_saveexec_b64 s[28:29], vcc
	s_cbranch_execnz .LBB77_185
	s_branch .LBB77_210
.LBB77_9:
	s_andn2_b64 vcc, exec, s[14:15]
	s_cbranch_vccnz .LBB77_15
; %bb.10:
	s_andn2_b64 vcc, exec, s[26:27]
	s_cbranch_vccnz .LBB77_16
; %bb.11:
	s_add_i32 s30, s42, 1
	s_and_b32 s34, s30, 30
	s_add_u32 s30, s12, 0xffffffe8
	s_addc_u32 s31, s13, -1
	v_mov_b32_e32 v2, 0
	v_mov_b32_e32 v4, 0
	;; [unrolled: 1-line block ×4, first 2 shown]
.LBB77_12:                              ; =>This Inner Loop Header: Depth=1
	s_load_dwordx4 s[36:39], s[30:31], 0x1c
	s_load_dwordx2 s[48:49], s[30:31], 0x2c
	s_load_dwordx2 s[50:51], s[30:31], 0xec
	s_load_dwordx4 s[44:47], s[30:31], 0xdc
	s_add_u32 s30, s30, 24
	s_waitcnt lgkmcnt(0)
	v_mul_hi_u32 v3, s37, v1
	s_addc_u32 s31, s31, 0
	s_add_i32 s34, s34, -2
	s_cmp_lg_u32 s34, 0
	v_add_u32_e32 v3, v1, v3
	v_lshrrev_b32_e32 v3, s38, v3
	v_mul_lo_u32 v5, v3, s36
	v_mul_hi_u32 v6, s48, v3
	v_sub_u32_e32 v5, v1, v5
	v_add_u32_e32 v1, v3, v6
	v_lshrrev_b32_e32 v1, s49, v1
	v_mul_lo_u32 v8, v1, s39
	v_mul_lo_u32 v6, v5, s44
	;; [unrolled: 1-line block ×4, first 2 shown]
	v_sub_u32_e32 v3, v3, v8
	v_mul_lo_u32 v8, v3, s47
	v_mul_lo_u32 v9, v3, s50
	;; [unrolled: 1-line block ×3, first 2 shown]
	v_add3_u32 v0, v6, v0, v8
	v_add3_u32 v4, v7, v4, v9
	;; [unrolled: 1-line block ×3, first 2 shown]
	s_cbranch_scc1 .LBB77_12
; %bb.13:
	s_bitcmp1_b32 s42, 0
	s_cselect_b64 s[34:35], -1, 0
	s_and_b64 vcc, exec, s[34:35]
	s_cbranch_vccnz .LBB77_17
; %bb.14:
	s_load_dwordx2 s[34:35], s[30:31], 0x1c
	s_load_dword s38, s[30:31], 0x24
	s_load_dwordx2 s[36:37], s[30:31], 0xdc
	s_waitcnt lgkmcnt(0)
	v_mul_hi_u32 v3, s35, v1
	v_add_u32_e32 v3, v1, v3
	v_lshrrev_b32_e32 v3, s38, v3
	v_mul_lo_u32 v3, v3, s34
	s_load_dword s34, s[30:31], 0xe4
	v_sub_u32_e32 v3, v1, v3
	v_mad_u64_u32 v[0:1], s[30:31], v3, s36, v[0:1]
	v_mad_u64_u32 v[4:5], s[30:31], v3, s37, v[4:5]
	s_waitcnt lgkmcnt(0)
	v_mad_u64_u32 v[2:3], s[30:31], v3, s34, v[2:3]
	s_cbranch_execz .LBB77_18
	s_branch .LBB77_20
.LBB77_15:
                                        ; implicit-def: $vgpr0
                                        ; implicit-def: $vgpr4
                                        ; implicit-def: $vgpr2
	s_branch .LBB77_18
.LBB77_16:
	v_mov_b32_e32 v0, 0
	v_mov_b32_e32 v4, 0
	;; [unrolled: 1-line block ×3, first 2 shown]
.LBB77_17:
	s_cbranch_execnz .LBB77_20
.LBB77_18:
	s_waitcnt lgkmcnt(0)
	v_mul_hi_u32 v0, s9, v21
	s_andn2_b64 vcc, exec, s[24:25]
	v_add_u32_e32 v0, v21, v0
	v_lshrrev_b32_e32 v1, s10, v0
	v_mul_lo_u32 v0, v1, s8
	v_sub_u32_e32 v2, v21, v0
	v_mul_lo_u32 v0, v2, s4
	v_mul_lo_u32 v4, v2, s5
	;; [unrolled: 1-line block ×3, first 2 shown]
	s_cbranch_vccnz .LBB77_20
; %bb.19:
	v_mul_hi_u32 v3, s22, v1
	v_add_u32_e32 v3, v1, v3
	v_lshrrev_b32_e32 v3, s23, v3
	v_mul_lo_u32 v3, v3, s11
	v_sub_u32_e32 v3, v1, v3
	v_mad_u64_u32 v[0:1], s[30:31], v3, s7, v[0:1]
	v_mad_u64_u32 v[4:5], s[30:31], v3, s20, v[4:5]
	v_mad_u64_u32 v[2:3], s[30:31], v3, s21, v[2:3]
.LBB77_20:
	s_waitcnt lgkmcnt(0)
	global_load_ushort v1, v4, s[2:3]
	global_load_ushort v3, v2, s[18:19]
	s_cmp_lt_i32 s41, 1
	s_mov_b64 s[30:31], 0
	s_cbranch_scc1 .LBB77_24
; %bb.21:
	s_cmp_gt_i32 s41, 1
	s_cbranch_scc0 .LBB77_25
; %bb.22:
	s_cmp_eq_u32 s41, 2
	s_cbranch_scc0 .LBB77_26
; %bb.23:
	s_waitcnt vmcnt(0)
	v_cmp_le_i16_e64 s[34:35], v1, v3
	s_mov_b64 s[36:37], 0
	s_branch .LBB77_27
.LBB77_24:
                                        ; implicit-def: $sgpr34_sgpr35
	s_mov_b64 s[36:37], 0
	s_cbranch_execnz .LBB77_30
	s_branch .LBB77_31
.LBB77_25:
	s_mov_b64 s[36:37], 0
                                        ; implicit-def: $sgpr34_sgpr35
	s_cbranch_execnz .LBB77_28
	s_branch .LBB77_29
.LBB77_26:
	s_mov_b64 s[36:37], -1
                                        ; implicit-def: $sgpr34_sgpr35
.LBB77_27:
	s_branch .LBB77_29
.LBB77_28:
	s_waitcnt vmcnt(0)
	v_cmp_gt_i16_e32 vcc, v1, v3
	s_andn2_b64 s[34:35], s[34:35], exec
	s_and_b64 s[38:39], vcc, exec
	s_or_b64 s[34:35], s[34:35], s[38:39]
.LBB77_29:
	s_branch .LBB77_31
.LBB77_30:
	s_cmp_lg_u32 s41, 0
	s_mov_b64 s[30:31], -1
	s_cselect_b64 s[36:37], -1, 0
.LBB77_31:
	s_andn2_b64 vcc, exec, s[36:37]
	s_cbranch_vccz .LBB77_41
; %bb.32:
	s_andn2_b64 vcc, exec, s[30:31]
	s_cbranch_vccnz .LBB77_34
.LBB77_33:
	s_waitcnt vmcnt(0)
	v_cmp_ge_i16_e32 vcc, v1, v3
	s_andn2_b64 s[30:31], s[34:35], exec
	s_and_b64 s[34:35], vcc, exec
	s_or_b64 s[34:35], s[30:31], s[34:35]
.LBB77_34:
	s_waitcnt vmcnt(1)
	v_cndmask_b32_e64 v1, 0, 1, s[34:35]
	v_add_u32_e32 v21, 0x80, v21
	global_store_byte v0, v1, s[0:1]
	s_or_b64 exec, exec, s[28:29]
	v_cmp_gt_i32_e32 vcc, s43, v21
	s_and_saveexec_b64 s[28:29], vcc
	s_cbranch_execz .LBB77_3
.LBB77_35:
	s_andn2_b64 vcc, exec, s[14:15]
	s_cbranch_vccnz .LBB77_42
; %bb.36:
	s_andn2_b64 vcc, exec, s[26:27]
	s_cbranch_vccnz .LBB77_43
; %bb.37:
	s_add_i32 s30, s42, 1
	s_and_b32 s34, s30, 30
	s_add_u32 s30, s12, 0xffffffe8
	s_addc_u32 s31, s13, -1
	v_mov_b32_e32 v2, 0
	v_mov_b32_e32 v4, 0
	;; [unrolled: 1-line block ×4, first 2 shown]
.LBB77_38:                              ; =>This Inner Loop Header: Depth=1
	s_load_dwordx4 s[36:39], s[30:31], 0x1c
	s_load_dwordx2 s[48:49], s[30:31], 0x2c
	s_load_dwordx2 s[50:51], s[30:31], 0xec
	s_load_dwordx4 s[44:47], s[30:31], 0xdc
	s_add_u32 s30, s30, 24
	s_waitcnt vmcnt(1) lgkmcnt(0)
	v_mul_hi_u32 v3, s37, v1
	s_addc_u32 s31, s31, 0
	s_add_i32 s34, s34, -2
	s_cmp_eq_u32 s34, 0
	v_add_u32_e32 v3, v1, v3
	v_lshrrev_b32_e32 v3, s38, v3
	v_mul_lo_u32 v5, v3, s36
	v_mul_hi_u32 v6, s48, v3
	v_sub_u32_e32 v5, v1, v5
	v_add_u32_e32 v1, v3, v6
	v_lshrrev_b32_e32 v1, s49, v1
	v_mul_lo_u32 v8, v1, s39
	v_mul_lo_u32 v6, v5, s44
	;; [unrolled: 1-line block ×4, first 2 shown]
	v_sub_u32_e32 v3, v3, v8
	v_mul_lo_u32 v8, v3, s47
	v_mul_lo_u32 v9, v3, s50
	;; [unrolled: 1-line block ×3, first 2 shown]
	v_add3_u32 v0, v6, v0, v8
	v_add3_u32 v4, v7, v4, v9
	;; [unrolled: 1-line block ×3, first 2 shown]
	s_cbranch_scc0 .LBB77_38
; %bb.39:
	s_bitcmp1_b32 s42, 0
	s_cselect_b64 s[34:35], -1, 0
	s_and_b64 vcc, exec, s[34:35]
	s_cbranch_vccnz .LBB77_44
; %bb.40:
	s_load_dwordx2 s[34:35], s[30:31], 0x1c
	s_load_dword s38, s[30:31], 0x24
	s_load_dwordx2 s[36:37], s[30:31], 0xdc
	s_waitcnt lgkmcnt(0)
	v_mul_hi_u32 v3, s35, v1
	v_add_u32_e32 v3, v1, v3
	v_lshrrev_b32_e32 v3, s38, v3
	v_mul_lo_u32 v3, v3, s34
	s_load_dword s34, s[30:31], 0xe4
	v_sub_u32_e32 v3, v1, v3
	v_mad_u64_u32 v[0:1], s[30:31], v3, s36, v[0:1]
	v_mad_u64_u32 v[4:5], s[30:31], v3, s37, v[4:5]
	s_waitcnt lgkmcnt(0)
	v_mad_u64_u32 v[2:3], s[30:31], v3, s34, v[2:3]
	s_branch .LBB77_44
.LBB77_41:
	s_waitcnt vmcnt(0)
	v_cmp_lt_i16_e32 vcc, v1, v3
	s_andn2_b64 s[34:35], s[34:35], exec
	s_and_b64 s[36:37], vcc, exec
	s_or_b64 s[34:35], s[34:35], s[36:37]
	s_cbranch_execz .LBB77_33
	s_branch .LBB77_34
.LBB77_42:
                                        ; implicit-def: $vgpr0
                                        ; implicit-def: $vgpr4
                                        ; implicit-def: $vgpr2
	s_branch .LBB77_45
.LBB77_43:
	v_mov_b32_e32 v0, 0
	v_mov_b32_e32 v4, 0
	;; [unrolled: 1-line block ×3, first 2 shown]
.LBB77_44:
	s_cbranch_execnz .LBB77_47
.LBB77_45:
	s_waitcnt lgkmcnt(0)
	v_mul_hi_u32 v0, s9, v21
	s_andn2_b64 vcc, exec, s[24:25]
	v_add_u32_e32 v0, v21, v0
	v_lshrrev_b32_e32 v1, s10, v0
	v_mul_lo_u32 v0, v1, s8
	v_sub_u32_e32 v2, v21, v0
	v_mul_lo_u32 v0, v2, s4
	v_mul_lo_u32 v4, v2, s5
	;; [unrolled: 1-line block ×3, first 2 shown]
	s_cbranch_vccnz .LBB77_47
; %bb.46:
	s_waitcnt vmcnt(1)
	v_mul_hi_u32 v3, s22, v1
	v_add_u32_e32 v3, v1, v3
	v_lshrrev_b32_e32 v3, s23, v3
	v_mul_lo_u32 v3, v3, s11
	v_sub_u32_e32 v3, v1, v3
	v_mad_u64_u32 v[0:1], s[30:31], v3, s7, v[0:1]
	v_mad_u64_u32 v[4:5], s[30:31], v3, s20, v[4:5]
	;; [unrolled: 1-line block ×3, first 2 shown]
.LBB77_47:
	s_waitcnt lgkmcnt(0)
	global_load_ushort v1, v4, s[2:3]
	global_load_ushort v3, v2, s[18:19]
	s_cmp_lt_i32 s41, 1
	s_mov_b64 s[30:31], 0
	s_cbranch_scc1 .LBB77_51
; %bb.48:
	s_cmp_gt_i32 s41, 1
	s_cbranch_scc0 .LBB77_52
; %bb.49:
	s_cmp_eq_u32 s41, 2
	s_cbranch_scc0 .LBB77_423
; %bb.50:
	s_waitcnt vmcnt(0)
	v_cmp_le_i16_e64 s[34:35], v1, v3
	s_mov_b64 s[36:37], 0
	s_branch .LBB77_54
.LBB77_51:
                                        ; implicit-def: $sgpr34_sgpr35
	s_mov_b64 s[36:37], 0
	s_cbranch_execnz .LBB77_55
	s_branch .LBB77_56
.LBB77_52:
	s_mov_b64 s[36:37], 0
                                        ; implicit-def: $sgpr34_sgpr35
	s_cbranch_execz .LBB77_54
; %bb.53:
	s_waitcnt vmcnt(0)
	v_cmp_gt_i16_e32 vcc, v1, v3
	s_andn2_b64 s[34:35], s[34:35], exec
	s_and_b64 s[38:39], vcc, exec
	s_or_b64 s[34:35], s[34:35], s[38:39]
.LBB77_54:
	s_branch .LBB77_56
.LBB77_55:
	s_cmp_lg_u32 s41, 0
	s_mov_b64 s[30:31], -1
	s_cselect_b64 s[36:37], -1, 0
.LBB77_56:
	s_andn2_b64 vcc, exec, s[36:37]
	s_cbranch_vccz .LBB77_66
; %bb.57:
	s_andn2_b64 vcc, exec, s[30:31]
	s_cbranch_vccnz .LBB77_59
.LBB77_58:
	s_waitcnt vmcnt(0)
	v_cmp_ge_i16_e32 vcc, v1, v3
	s_andn2_b64 s[30:31], s[34:35], exec
	s_and_b64 s[34:35], vcc, exec
	s_or_b64 s[34:35], s[30:31], s[34:35]
.LBB77_59:
	s_waitcnt vmcnt(1)
	v_cndmask_b32_e64 v1, 0, 1, s[34:35]
	v_add_u32_e32 v21, 0x80, v21
	global_store_byte v0, v1, s[0:1]
	s_or_b64 exec, exec, s[28:29]
	v_cmp_gt_i32_e32 vcc, s43, v21
	s_and_saveexec_b64 s[28:29], vcc
	s_cbranch_execz .LBB77_4
.LBB77_60:
	s_andn2_b64 vcc, exec, s[14:15]
	s_cbranch_vccnz .LBB77_67
; %bb.61:
	s_andn2_b64 vcc, exec, s[26:27]
	s_cbranch_vccnz .LBB77_68
; %bb.62:
	s_add_i32 s30, s42, 1
	s_and_b32 s34, s30, 30
	s_add_u32 s30, s12, 0xffffffe8
	s_addc_u32 s31, s13, -1
	v_mov_b32_e32 v2, 0
	v_mov_b32_e32 v4, 0
	;; [unrolled: 1-line block ×4, first 2 shown]
.LBB77_63:                              ; =>This Inner Loop Header: Depth=1
	s_load_dwordx4 s[36:39], s[30:31], 0x1c
	s_load_dwordx2 s[48:49], s[30:31], 0x2c
	s_load_dwordx2 s[50:51], s[30:31], 0xec
	s_load_dwordx4 s[44:47], s[30:31], 0xdc
	s_add_u32 s30, s30, 24
	s_waitcnt vmcnt(1) lgkmcnt(0)
	v_mul_hi_u32 v3, s37, v1
	s_addc_u32 s31, s31, 0
	s_add_i32 s34, s34, -2
	s_cmp_eq_u32 s34, 0
	v_add_u32_e32 v3, v1, v3
	v_lshrrev_b32_e32 v3, s38, v3
	v_mul_lo_u32 v5, v3, s36
	v_mul_hi_u32 v6, s48, v3
	v_sub_u32_e32 v5, v1, v5
	v_add_u32_e32 v1, v3, v6
	v_lshrrev_b32_e32 v1, s49, v1
	v_mul_lo_u32 v8, v1, s39
	v_mul_lo_u32 v6, v5, s44
	;; [unrolled: 1-line block ×4, first 2 shown]
	v_sub_u32_e32 v3, v3, v8
	v_mul_lo_u32 v8, v3, s47
	v_mul_lo_u32 v9, v3, s50
	v_mul_lo_u32 v3, v3, s51
	v_add3_u32 v0, v6, v0, v8
	v_add3_u32 v4, v7, v4, v9
	v_add3_u32 v2, v5, v2, v3
	s_cbranch_scc0 .LBB77_63
; %bb.64:
	s_bitcmp1_b32 s42, 0
	s_cselect_b64 s[34:35], -1, 0
	s_and_b64 vcc, exec, s[34:35]
	s_cbranch_vccnz .LBB77_69
; %bb.65:
	s_load_dwordx2 s[34:35], s[30:31], 0x1c
	s_load_dword s38, s[30:31], 0x24
	s_load_dwordx2 s[36:37], s[30:31], 0xdc
	s_waitcnt lgkmcnt(0)
	v_mul_hi_u32 v3, s35, v1
	v_add_u32_e32 v3, v1, v3
	v_lshrrev_b32_e32 v3, s38, v3
	v_mul_lo_u32 v3, v3, s34
	s_load_dword s34, s[30:31], 0xe4
	v_sub_u32_e32 v3, v1, v3
	v_mad_u64_u32 v[0:1], s[30:31], v3, s36, v[0:1]
	v_mad_u64_u32 v[4:5], s[30:31], v3, s37, v[4:5]
	s_waitcnt lgkmcnt(0)
	v_mad_u64_u32 v[2:3], s[30:31], v3, s34, v[2:3]
	s_branch .LBB77_69
.LBB77_66:
	s_waitcnt vmcnt(0)
	v_cmp_lt_i16_e32 vcc, v1, v3
	s_andn2_b64 s[34:35], s[34:35], exec
	s_and_b64 s[36:37], vcc, exec
	s_or_b64 s[34:35], s[34:35], s[36:37]
	s_cbranch_execz .LBB77_58
	s_branch .LBB77_59
.LBB77_67:
                                        ; implicit-def: $vgpr0
                                        ; implicit-def: $vgpr4
                                        ; implicit-def: $vgpr2
	s_branch .LBB77_70
.LBB77_68:
	v_mov_b32_e32 v0, 0
	v_mov_b32_e32 v4, 0
	;; [unrolled: 1-line block ×3, first 2 shown]
.LBB77_69:
	s_cbranch_execnz .LBB77_72
.LBB77_70:
	s_waitcnt lgkmcnt(0)
	v_mul_hi_u32 v0, s9, v21
	s_andn2_b64 vcc, exec, s[24:25]
	v_add_u32_e32 v0, v21, v0
	v_lshrrev_b32_e32 v1, s10, v0
	v_mul_lo_u32 v0, v1, s8
	v_sub_u32_e32 v2, v21, v0
	v_mul_lo_u32 v0, v2, s4
	v_mul_lo_u32 v4, v2, s5
	;; [unrolled: 1-line block ×3, first 2 shown]
	s_cbranch_vccnz .LBB77_72
; %bb.71:
	s_waitcnt vmcnt(1)
	v_mul_hi_u32 v3, s22, v1
	v_add_u32_e32 v3, v1, v3
	v_lshrrev_b32_e32 v3, s23, v3
	v_mul_lo_u32 v3, v3, s11
	v_sub_u32_e32 v3, v1, v3
	v_mad_u64_u32 v[0:1], s[30:31], v3, s7, v[0:1]
	v_mad_u64_u32 v[4:5], s[30:31], v3, s20, v[4:5]
	;; [unrolled: 1-line block ×3, first 2 shown]
.LBB77_72:
	s_waitcnt lgkmcnt(0)
	global_load_ushort v1, v4, s[2:3]
	global_load_ushort v3, v2, s[18:19]
	s_cmp_lt_i32 s41, 1
	s_mov_b64 s[30:31], 0
	s_cbranch_scc1 .LBB77_76
; %bb.73:
	s_cmp_gt_i32 s41, 1
	s_cbranch_scc0 .LBB77_77
; %bb.74:
	s_cmp_eq_u32 s41, 2
	s_cbranch_scc0 .LBB77_424
; %bb.75:
	s_waitcnt vmcnt(0)
	v_cmp_le_i16_e64 s[34:35], v1, v3
	s_mov_b64 s[36:37], 0
	s_branch .LBB77_79
.LBB77_76:
                                        ; implicit-def: $sgpr34_sgpr35
	s_mov_b64 s[36:37], 0
	s_cbranch_execnz .LBB77_80
	s_branch .LBB77_81
.LBB77_77:
	s_mov_b64 s[36:37], 0
                                        ; implicit-def: $sgpr34_sgpr35
	s_cbranch_execz .LBB77_79
; %bb.78:
	s_waitcnt vmcnt(0)
	v_cmp_gt_i16_e32 vcc, v1, v3
	s_andn2_b64 s[34:35], s[34:35], exec
	s_and_b64 s[38:39], vcc, exec
	s_or_b64 s[34:35], s[34:35], s[38:39]
.LBB77_79:
	s_branch .LBB77_81
.LBB77_80:
	s_cmp_lg_u32 s41, 0
	s_mov_b64 s[30:31], -1
	s_cselect_b64 s[36:37], -1, 0
.LBB77_81:
	s_andn2_b64 vcc, exec, s[36:37]
	s_cbranch_vccz .LBB77_91
; %bb.82:
	s_andn2_b64 vcc, exec, s[30:31]
	s_cbranch_vccnz .LBB77_84
.LBB77_83:
	s_waitcnt vmcnt(0)
	v_cmp_ge_i16_e32 vcc, v1, v3
	s_andn2_b64 s[30:31], s[34:35], exec
	s_and_b64 s[34:35], vcc, exec
	s_or_b64 s[34:35], s[30:31], s[34:35]
.LBB77_84:
	s_waitcnt vmcnt(1)
	v_cndmask_b32_e64 v1, 0, 1, s[34:35]
	v_add_u32_e32 v21, 0x80, v21
	global_store_byte v0, v1, s[0:1]
	s_or_b64 exec, exec, s[28:29]
	v_cmp_gt_i32_e32 vcc, s43, v21
	s_and_saveexec_b64 s[28:29], vcc
	s_cbranch_execz .LBB77_5
.LBB77_85:
	s_andn2_b64 vcc, exec, s[14:15]
	s_cbranch_vccnz .LBB77_92
; %bb.86:
	s_andn2_b64 vcc, exec, s[26:27]
	s_cbranch_vccnz .LBB77_93
; %bb.87:
	s_add_i32 s30, s42, 1
	s_and_b32 s34, s30, 30
	s_add_u32 s30, s12, 0xffffffe8
	s_addc_u32 s31, s13, -1
	v_mov_b32_e32 v2, 0
	v_mov_b32_e32 v4, 0
	;; [unrolled: 1-line block ×4, first 2 shown]
.LBB77_88:                              ; =>This Inner Loop Header: Depth=1
	s_load_dwordx4 s[36:39], s[30:31], 0x1c
	s_load_dwordx2 s[48:49], s[30:31], 0x2c
	s_load_dwordx2 s[50:51], s[30:31], 0xec
	s_load_dwordx4 s[44:47], s[30:31], 0xdc
	s_add_u32 s30, s30, 24
	s_waitcnt vmcnt(1) lgkmcnt(0)
	v_mul_hi_u32 v3, s37, v1
	s_addc_u32 s31, s31, 0
	s_add_i32 s34, s34, -2
	s_cmp_eq_u32 s34, 0
	v_add_u32_e32 v3, v1, v3
	v_lshrrev_b32_e32 v3, s38, v3
	v_mul_lo_u32 v5, v3, s36
	v_mul_hi_u32 v6, s48, v3
	v_sub_u32_e32 v5, v1, v5
	v_add_u32_e32 v1, v3, v6
	v_lshrrev_b32_e32 v1, s49, v1
	v_mul_lo_u32 v8, v1, s39
	v_mul_lo_u32 v6, v5, s44
	;; [unrolled: 1-line block ×4, first 2 shown]
	v_sub_u32_e32 v3, v3, v8
	v_mul_lo_u32 v8, v3, s47
	v_mul_lo_u32 v9, v3, s50
	;; [unrolled: 1-line block ×3, first 2 shown]
	v_add3_u32 v0, v6, v0, v8
	v_add3_u32 v4, v7, v4, v9
	;; [unrolled: 1-line block ×3, first 2 shown]
	s_cbranch_scc0 .LBB77_88
; %bb.89:
	s_bitcmp1_b32 s42, 0
	s_cselect_b64 s[34:35], -1, 0
	s_and_b64 vcc, exec, s[34:35]
	s_cbranch_vccnz .LBB77_94
; %bb.90:
	s_load_dwordx2 s[34:35], s[30:31], 0x1c
	s_load_dword s38, s[30:31], 0x24
	s_load_dwordx2 s[36:37], s[30:31], 0xdc
	s_waitcnt lgkmcnt(0)
	v_mul_hi_u32 v3, s35, v1
	v_add_u32_e32 v3, v1, v3
	v_lshrrev_b32_e32 v3, s38, v3
	v_mul_lo_u32 v3, v3, s34
	s_load_dword s34, s[30:31], 0xe4
	v_sub_u32_e32 v3, v1, v3
	v_mad_u64_u32 v[0:1], s[30:31], v3, s36, v[0:1]
	v_mad_u64_u32 v[4:5], s[30:31], v3, s37, v[4:5]
	s_waitcnt lgkmcnt(0)
	v_mad_u64_u32 v[2:3], s[30:31], v3, s34, v[2:3]
	s_branch .LBB77_94
.LBB77_91:
	s_waitcnt vmcnt(0)
	v_cmp_lt_i16_e32 vcc, v1, v3
	s_andn2_b64 s[34:35], s[34:35], exec
	s_and_b64 s[36:37], vcc, exec
	s_or_b64 s[34:35], s[34:35], s[36:37]
	s_cbranch_execz .LBB77_83
	s_branch .LBB77_84
.LBB77_92:
                                        ; implicit-def: $vgpr0
                                        ; implicit-def: $vgpr4
                                        ; implicit-def: $vgpr2
	s_branch .LBB77_95
.LBB77_93:
	v_mov_b32_e32 v0, 0
	v_mov_b32_e32 v4, 0
	;; [unrolled: 1-line block ×3, first 2 shown]
.LBB77_94:
	s_cbranch_execnz .LBB77_97
.LBB77_95:
	s_waitcnt lgkmcnt(0)
	v_mul_hi_u32 v0, s9, v21
	s_andn2_b64 vcc, exec, s[24:25]
	v_add_u32_e32 v0, v21, v0
	v_lshrrev_b32_e32 v1, s10, v0
	v_mul_lo_u32 v0, v1, s8
	v_sub_u32_e32 v2, v21, v0
	v_mul_lo_u32 v0, v2, s4
	v_mul_lo_u32 v4, v2, s5
	;; [unrolled: 1-line block ×3, first 2 shown]
	s_cbranch_vccnz .LBB77_97
; %bb.96:
	s_waitcnt vmcnt(1)
	v_mul_hi_u32 v3, s22, v1
	v_add_u32_e32 v3, v1, v3
	v_lshrrev_b32_e32 v3, s23, v3
	v_mul_lo_u32 v3, v3, s11
	v_sub_u32_e32 v3, v1, v3
	v_mad_u64_u32 v[0:1], s[30:31], v3, s7, v[0:1]
	v_mad_u64_u32 v[4:5], s[30:31], v3, s20, v[4:5]
	;; [unrolled: 1-line block ×3, first 2 shown]
.LBB77_97:
	s_waitcnt lgkmcnt(0)
	global_load_ushort v1, v4, s[2:3]
	global_load_ushort v3, v2, s[18:19]
	s_cmp_lt_i32 s41, 1
	s_mov_b64 s[30:31], 0
	s_cbranch_scc1 .LBB77_101
; %bb.98:
	s_cmp_gt_i32 s41, 1
	s_cbranch_scc0 .LBB77_102
; %bb.99:
	s_cmp_eq_u32 s41, 2
	s_cbranch_scc0 .LBB77_425
; %bb.100:
	s_waitcnt vmcnt(0)
	v_cmp_le_i16_e64 s[34:35], v1, v3
	s_mov_b64 s[36:37], 0
	s_branch .LBB77_104
.LBB77_101:
                                        ; implicit-def: $sgpr34_sgpr35
	s_mov_b64 s[36:37], 0
	s_cbranch_execnz .LBB77_105
	s_branch .LBB77_106
.LBB77_102:
	s_mov_b64 s[36:37], 0
                                        ; implicit-def: $sgpr34_sgpr35
	s_cbranch_execz .LBB77_104
; %bb.103:
	s_waitcnt vmcnt(0)
	v_cmp_gt_i16_e32 vcc, v1, v3
	s_andn2_b64 s[34:35], s[34:35], exec
	s_and_b64 s[38:39], vcc, exec
	s_or_b64 s[34:35], s[34:35], s[38:39]
.LBB77_104:
	s_branch .LBB77_106
.LBB77_105:
	s_cmp_lg_u32 s41, 0
	s_mov_b64 s[30:31], -1
	s_cselect_b64 s[36:37], -1, 0
.LBB77_106:
	s_andn2_b64 vcc, exec, s[36:37]
	s_cbranch_vccz .LBB77_116
; %bb.107:
	s_andn2_b64 vcc, exec, s[30:31]
	s_cbranch_vccnz .LBB77_109
.LBB77_108:
	s_waitcnt vmcnt(0)
	v_cmp_ge_i16_e32 vcc, v1, v3
	s_andn2_b64 s[30:31], s[34:35], exec
	s_and_b64 s[34:35], vcc, exec
	s_or_b64 s[34:35], s[30:31], s[34:35]
.LBB77_109:
	s_waitcnt vmcnt(1)
	v_cndmask_b32_e64 v1, 0, 1, s[34:35]
	v_add_u32_e32 v21, 0x80, v21
	global_store_byte v0, v1, s[0:1]
	s_or_b64 exec, exec, s[28:29]
	v_cmp_gt_i32_e32 vcc, s43, v21
	s_and_saveexec_b64 s[28:29], vcc
	s_cbranch_execz .LBB77_6
.LBB77_110:
	s_andn2_b64 vcc, exec, s[14:15]
	s_cbranch_vccnz .LBB77_117
; %bb.111:
	s_andn2_b64 vcc, exec, s[26:27]
	s_cbranch_vccnz .LBB77_118
; %bb.112:
	s_add_i32 s30, s42, 1
	s_and_b32 s34, s30, 30
	s_add_u32 s30, s12, 0xffffffe8
	s_addc_u32 s31, s13, -1
	v_mov_b32_e32 v2, 0
	v_mov_b32_e32 v4, 0
	v_mov_b32_e32 v0, 0
	v_mov_b32_e32 v1, v21
.LBB77_113:                             ; =>This Inner Loop Header: Depth=1
	s_load_dwordx4 s[36:39], s[30:31], 0x1c
	s_load_dwordx2 s[48:49], s[30:31], 0x2c
	s_load_dwordx2 s[50:51], s[30:31], 0xec
	s_load_dwordx4 s[44:47], s[30:31], 0xdc
	s_add_u32 s30, s30, 24
	s_waitcnt vmcnt(1) lgkmcnt(0)
	v_mul_hi_u32 v3, s37, v1
	s_addc_u32 s31, s31, 0
	s_add_i32 s34, s34, -2
	s_cmp_eq_u32 s34, 0
	v_add_u32_e32 v3, v1, v3
	v_lshrrev_b32_e32 v3, s38, v3
	v_mul_lo_u32 v5, v3, s36
	v_mul_hi_u32 v6, s48, v3
	v_sub_u32_e32 v5, v1, v5
	v_add_u32_e32 v1, v3, v6
	v_lshrrev_b32_e32 v1, s49, v1
	v_mul_lo_u32 v8, v1, s39
	v_mul_lo_u32 v6, v5, s44
	;; [unrolled: 1-line block ×4, first 2 shown]
	v_sub_u32_e32 v3, v3, v8
	v_mul_lo_u32 v8, v3, s47
	v_mul_lo_u32 v9, v3, s50
	;; [unrolled: 1-line block ×3, first 2 shown]
	v_add3_u32 v0, v6, v0, v8
	v_add3_u32 v4, v7, v4, v9
	;; [unrolled: 1-line block ×3, first 2 shown]
	s_cbranch_scc0 .LBB77_113
; %bb.114:
	s_bitcmp1_b32 s42, 0
	s_cselect_b64 s[34:35], -1, 0
	s_and_b64 vcc, exec, s[34:35]
	s_cbranch_vccnz .LBB77_119
; %bb.115:
	s_load_dwordx2 s[34:35], s[30:31], 0x1c
	s_load_dword s38, s[30:31], 0x24
	s_load_dwordx2 s[36:37], s[30:31], 0xdc
	s_waitcnt lgkmcnt(0)
	v_mul_hi_u32 v3, s35, v1
	v_add_u32_e32 v3, v1, v3
	v_lshrrev_b32_e32 v3, s38, v3
	v_mul_lo_u32 v3, v3, s34
	s_load_dword s34, s[30:31], 0xe4
	v_sub_u32_e32 v3, v1, v3
	v_mad_u64_u32 v[0:1], s[30:31], v3, s36, v[0:1]
	v_mad_u64_u32 v[4:5], s[30:31], v3, s37, v[4:5]
	s_waitcnt lgkmcnt(0)
	v_mad_u64_u32 v[2:3], s[30:31], v3, s34, v[2:3]
	s_branch .LBB77_119
.LBB77_116:
	s_waitcnt vmcnt(0)
	v_cmp_lt_i16_e32 vcc, v1, v3
	s_andn2_b64 s[34:35], s[34:35], exec
	s_and_b64 s[36:37], vcc, exec
	s_or_b64 s[34:35], s[34:35], s[36:37]
	s_cbranch_execz .LBB77_108
	s_branch .LBB77_109
.LBB77_117:
                                        ; implicit-def: $vgpr0
                                        ; implicit-def: $vgpr4
                                        ; implicit-def: $vgpr2
	s_branch .LBB77_120
.LBB77_118:
	v_mov_b32_e32 v0, 0
	v_mov_b32_e32 v4, 0
	v_mov_b32_e32 v2, 0
.LBB77_119:
	s_cbranch_execnz .LBB77_122
.LBB77_120:
	s_waitcnt lgkmcnt(0)
	v_mul_hi_u32 v0, s9, v21
	s_andn2_b64 vcc, exec, s[24:25]
	v_add_u32_e32 v0, v21, v0
	v_lshrrev_b32_e32 v1, s10, v0
	v_mul_lo_u32 v0, v1, s8
	v_sub_u32_e32 v2, v21, v0
	v_mul_lo_u32 v0, v2, s4
	v_mul_lo_u32 v4, v2, s5
	;; [unrolled: 1-line block ×3, first 2 shown]
	s_cbranch_vccnz .LBB77_122
; %bb.121:
	s_waitcnt vmcnt(1)
	v_mul_hi_u32 v3, s22, v1
	v_add_u32_e32 v3, v1, v3
	v_lshrrev_b32_e32 v3, s23, v3
	v_mul_lo_u32 v3, v3, s11
	v_sub_u32_e32 v3, v1, v3
	v_mad_u64_u32 v[0:1], s[30:31], v3, s7, v[0:1]
	v_mad_u64_u32 v[4:5], s[30:31], v3, s20, v[4:5]
	v_mad_u64_u32 v[2:3], s[30:31], v3, s21, v[2:3]
.LBB77_122:
	s_waitcnt lgkmcnt(0)
	global_load_ushort v1, v4, s[2:3]
	global_load_ushort v3, v2, s[18:19]
	s_cmp_lt_i32 s41, 1
	s_mov_b64 s[30:31], 0
	s_cbranch_scc1 .LBB77_126
; %bb.123:
	s_cmp_gt_i32 s41, 1
	s_cbranch_scc0 .LBB77_127
; %bb.124:
	s_cmp_eq_u32 s41, 2
	s_cbranch_scc0 .LBB77_426
; %bb.125:
	s_waitcnt vmcnt(0)
	v_cmp_le_i16_e64 s[34:35], v1, v3
	s_mov_b64 s[36:37], 0
	s_branch .LBB77_129
.LBB77_126:
                                        ; implicit-def: $sgpr34_sgpr35
	s_mov_b64 s[36:37], 0
	s_cbranch_execnz .LBB77_130
	s_branch .LBB77_131
.LBB77_127:
	s_mov_b64 s[36:37], 0
                                        ; implicit-def: $sgpr34_sgpr35
	s_cbranch_execz .LBB77_129
; %bb.128:
	s_waitcnt vmcnt(0)
	v_cmp_gt_i16_e32 vcc, v1, v3
	s_andn2_b64 s[34:35], s[34:35], exec
	s_and_b64 s[38:39], vcc, exec
	s_or_b64 s[34:35], s[34:35], s[38:39]
.LBB77_129:
	s_branch .LBB77_131
.LBB77_130:
	s_cmp_lg_u32 s41, 0
	s_mov_b64 s[30:31], -1
	s_cselect_b64 s[36:37], -1, 0
.LBB77_131:
	s_andn2_b64 vcc, exec, s[36:37]
	s_cbranch_vccz .LBB77_141
; %bb.132:
	s_andn2_b64 vcc, exec, s[30:31]
	s_cbranch_vccnz .LBB77_134
.LBB77_133:
	s_waitcnt vmcnt(0)
	v_cmp_ge_i16_e32 vcc, v1, v3
	s_andn2_b64 s[30:31], s[34:35], exec
	s_and_b64 s[34:35], vcc, exec
	s_or_b64 s[34:35], s[30:31], s[34:35]
.LBB77_134:
	s_waitcnt vmcnt(1)
	v_cndmask_b32_e64 v1, 0, 1, s[34:35]
	v_add_u32_e32 v21, 0x80, v21
	global_store_byte v0, v1, s[0:1]
	s_or_b64 exec, exec, s[28:29]
	v_cmp_gt_i32_e32 vcc, s43, v21
	s_and_saveexec_b64 s[28:29], vcc
	s_cbranch_execz .LBB77_7
.LBB77_135:
	s_andn2_b64 vcc, exec, s[14:15]
	s_cbranch_vccnz .LBB77_142
; %bb.136:
	s_andn2_b64 vcc, exec, s[26:27]
	s_cbranch_vccnz .LBB77_143
; %bb.137:
	s_add_i32 s30, s42, 1
	s_and_b32 s34, s30, 30
	s_add_u32 s30, s12, 0xffffffe8
	s_addc_u32 s31, s13, -1
	v_mov_b32_e32 v2, 0
	v_mov_b32_e32 v4, 0
	;; [unrolled: 1-line block ×4, first 2 shown]
.LBB77_138:                             ; =>This Inner Loop Header: Depth=1
	s_load_dwordx4 s[36:39], s[30:31], 0x1c
	s_load_dwordx2 s[48:49], s[30:31], 0x2c
	s_load_dwordx2 s[50:51], s[30:31], 0xec
	s_load_dwordx4 s[44:47], s[30:31], 0xdc
	s_add_u32 s30, s30, 24
	s_waitcnt vmcnt(1) lgkmcnt(0)
	v_mul_hi_u32 v3, s37, v1
	s_addc_u32 s31, s31, 0
	s_add_i32 s34, s34, -2
	s_cmp_eq_u32 s34, 0
	v_add_u32_e32 v3, v1, v3
	v_lshrrev_b32_e32 v3, s38, v3
	v_mul_lo_u32 v5, v3, s36
	v_mul_hi_u32 v6, s48, v3
	v_sub_u32_e32 v5, v1, v5
	v_add_u32_e32 v1, v3, v6
	v_lshrrev_b32_e32 v1, s49, v1
	v_mul_lo_u32 v8, v1, s39
	v_mul_lo_u32 v6, v5, s44
	;; [unrolled: 1-line block ×4, first 2 shown]
	v_sub_u32_e32 v3, v3, v8
	v_mul_lo_u32 v8, v3, s47
	v_mul_lo_u32 v9, v3, s50
	;; [unrolled: 1-line block ×3, first 2 shown]
	v_add3_u32 v0, v6, v0, v8
	v_add3_u32 v4, v7, v4, v9
	;; [unrolled: 1-line block ×3, first 2 shown]
	s_cbranch_scc0 .LBB77_138
; %bb.139:
	s_bitcmp1_b32 s42, 0
	s_cselect_b64 s[34:35], -1, 0
	s_and_b64 vcc, exec, s[34:35]
	s_cbranch_vccnz .LBB77_144
; %bb.140:
	s_load_dwordx2 s[34:35], s[30:31], 0x1c
	s_load_dword s38, s[30:31], 0x24
	s_load_dwordx2 s[36:37], s[30:31], 0xdc
	s_waitcnt lgkmcnt(0)
	v_mul_hi_u32 v3, s35, v1
	v_add_u32_e32 v3, v1, v3
	v_lshrrev_b32_e32 v3, s38, v3
	v_mul_lo_u32 v3, v3, s34
	s_load_dword s34, s[30:31], 0xe4
	v_sub_u32_e32 v3, v1, v3
	v_mad_u64_u32 v[0:1], s[30:31], v3, s36, v[0:1]
	v_mad_u64_u32 v[4:5], s[30:31], v3, s37, v[4:5]
	s_waitcnt lgkmcnt(0)
	v_mad_u64_u32 v[2:3], s[30:31], v3, s34, v[2:3]
	s_branch .LBB77_144
.LBB77_141:
	s_waitcnt vmcnt(0)
	v_cmp_lt_i16_e32 vcc, v1, v3
	s_andn2_b64 s[34:35], s[34:35], exec
	s_and_b64 s[36:37], vcc, exec
	s_or_b64 s[34:35], s[34:35], s[36:37]
	s_cbranch_execz .LBB77_133
	s_branch .LBB77_134
.LBB77_142:
                                        ; implicit-def: $vgpr0
                                        ; implicit-def: $vgpr4
                                        ; implicit-def: $vgpr2
	s_branch .LBB77_145
.LBB77_143:
	v_mov_b32_e32 v0, 0
	v_mov_b32_e32 v4, 0
	;; [unrolled: 1-line block ×3, first 2 shown]
.LBB77_144:
	s_cbranch_execnz .LBB77_147
.LBB77_145:
	s_waitcnt lgkmcnt(0)
	v_mul_hi_u32 v0, s9, v21
	s_andn2_b64 vcc, exec, s[24:25]
	v_add_u32_e32 v0, v21, v0
	v_lshrrev_b32_e32 v1, s10, v0
	v_mul_lo_u32 v0, v1, s8
	v_sub_u32_e32 v2, v21, v0
	v_mul_lo_u32 v0, v2, s4
	v_mul_lo_u32 v4, v2, s5
	;; [unrolled: 1-line block ×3, first 2 shown]
	s_cbranch_vccnz .LBB77_147
; %bb.146:
	s_waitcnt vmcnt(1)
	v_mul_hi_u32 v3, s22, v1
	v_add_u32_e32 v3, v1, v3
	v_lshrrev_b32_e32 v3, s23, v3
	v_mul_lo_u32 v3, v3, s11
	v_sub_u32_e32 v3, v1, v3
	v_mad_u64_u32 v[0:1], s[30:31], v3, s7, v[0:1]
	v_mad_u64_u32 v[4:5], s[30:31], v3, s20, v[4:5]
	;; [unrolled: 1-line block ×3, first 2 shown]
.LBB77_147:
	s_waitcnt lgkmcnt(0)
	global_load_ushort v1, v4, s[2:3]
	global_load_ushort v3, v2, s[18:19]
	s_cmp_lt_i32 s41, 1
	s_mov_b64 s[30:31], 0
	s_cbranch_scc1 .LBB77_151
; %bb.148:
	s_cmp_gt_i32 s41, 1
	s_cbranch_scc0 .LBB77_152
; %bb.149:
	s_cmp_eq_u32 s41, 2
	s_cbranch_scc0 .LBB77_427
; %bb.150:
	s_waitcnt vmcnt(0)
	v_cmp_le_i16_e64 s[34:35], v1, v3
	s_mov_b64 s[36:37], 0
	s_branch .LBB77_154
.LBB77_151:
                                        ; implicit-def: $sgpr34_sgpr35
	s_mov_b64 s[36:37], 0
	s_cbranch_execnz .LBB77_155
	s_branch .LBB77_156
.LBB77_152:
	s_mov_b64 s[36:37], 0
                                        ; implicit-def: $sgpr34_sgpr35
	s_cbranch_execz .LBB77_154
; %bb.153:
	s_waitcnt vmcnt(0)
	v_cmp_gt_i16_e32 vcc, v1, v3
	s_andn2_b64 s[34:35], s[34:35], exec
	s_and_b64 s[38:39], vcc, exec
	s_or_b64 s[34:35], s[34:35], s[38:39]
.LBB77_154:
	s_branch .LBB77_156
.LBB77_155:
	s_cmp_lg_u32 s41, 0
	s_mov_b64 s[30:31], -1
	s_cselect_b64 s[36:37], -1, 0
.LBB77_156:
	s_andn2_b64 vcc, exec, s[36:37]
	s_cbranch_vccz .LBB77_166
; %bb.157:
	s_andn2_b64 vcc, exec, s[30:31]
	s_cbranch_vccnz .LBB77_159
.LBB77_158:
	s_waitcnt vmcnt(0)
	v_cmp_ge_i16_e32 vcc, v1, v3
	s_andn2_b64 s[30:31], s[34:35], exec
	s_and_b64 s[34:35], vcc, exec
	s_or_b64 s[34:35], s[30:31], s[34:35]
.LBB77_159:
	s_waitcnt vmcnt(1)
	v_cndmask_b32_e64 v1, 0, 1, s[34:35]
	v_add_u32_e32 v21, 0x80, v21
	global_store_byte v0, v1, s[0:1]
	s_or_b64 exec, exec, s[28:29]
	v_cmp_gt_i32_e32 vcc, s43, v21
	s_and_saveexec_b64 s[28:29], vcc
	s_cbranch_execz .LBB77_8
.LBB77_160:
	s_andn2_b64 vcc, exec, s[14:15]
	s_cbranch_vccnz .LBB77_167
; %bb.161:
	s_andn2_b64 vcc, exec, s[26:27]
	s_cbranch_vccnz .LBB77_168
; %bb.162:
	s_add_i32 s30, s42, 1
	s_and_b32 s34, s30, 30
	s_add_u32 s30, s12, 0xffffffe8
	s_addc_u32 s31, s13, -1
	v_mov_b32_e32 v2, 0
	v_mov_b32_e32 v4, 0
	;; [unrolled: 1-line block ×4, first 2 shown]
.LBB77_163:                             ; =>This Inner Loop Header: Depth=1
	s_load_dwordx4 s[36:39], s[30:31], 0x1c
	s_load_dwordx2 s[48:49], s[30:31], 0x2c
	s_load_dwordx2 s[50:51], s[30:31], 0xec
	s_load_dwordx4 s[44:47], s[30:31], 0xdc
	s_add_u32 s30, s30, 24
	s_waitcnt vmcnt(1) lgkmcnt(0)
	v_mul_hi_u32 v3, s37, v1
	s_addc_u32 s31, s31, 0
	s_add_i32 s34, s34, -2
	s_cmp_eq_u32 s34, 0
	v_add_u32_e32 v3, v1, v3
	v_lshrrev_b32_e32 v3, s38, v3
	v_mul_lo_u32 v5, v3, s36
	v_mul_hi_u32 v6, s48, v3
	v_sub_u32_e32 v5, v1, v5
	v_add_u32_e32 v1, v3, v6
	v_lshrrev_b32_e32 v1, s49, v1
	v_mul_lo_u32 v8, v1, s39
	v_mul_lo_u32 v6, v5, s44
	;; [unrolled: 1-line block ×4, first 2 shown]
	v_sub_u32_e32 v3, v3, v8
	v_mul_lo_u32 v8, v3, s47
	v_mul_lo_u32 v9, v3, s50
	;; [unrolled: 1-line block ×3, first 2 shown]
	v_add3_u32 v0, v6, v0, v8
	v_add3_u32 v4, v7, v4, v9
	v_add3_u32 v2, v5, v2, v3
	s_cbranch_scc0 .LBB77_163
; %bb.164:
	s_bitcmp1_b32 s42, 0
	s_cselect_b64 s[34:35], -1, 0
	s_and_b64 vcc, exec, s[34:35]
	s_cbranch_vccnz .LBB77_169
; %bb.165:
	s_load_dwordx2 s[34:35], s[30:31], 0x1c
	s_load_dword s38, s[30:31], 0x24
	s_load_dwordx2 s[36:37], s[30:31], 0xdc
	s_waitcnt lgkmcnt(0)
	v_mul_hi_u32 v3, s35, v1
	v_add_u32_e32 v3, v1, v3
	v_lshrrev_b32_e32 v3, s38, v3
	v_mul_lo_u32 v3, v3, s34
	s_load_dword s34, s[30:31], 0xe4
	v_sub_u32_e32 v3, v1, v3
	v_mad_u64_u32 v[0:1], s[30:31], v3, s36, v[0:1]
	v_mad_u64_u32 v[4:5], s[30:31], v3, s37, v[4:5]
	s_waitcnt lgkmcnt(0)
	v_mad_u64_u32 v[2:3], s[30:31], v3, s34, v[2:3]
	s_branch .LBB77_169
.LBB77_166:
	s_waitcnt vmcnt(0)
	v_cmp_lt_i16_e32 vcc, v1, v3
	s_andn2_b64 s[34:35], s[34:35], exec
	s_and_b64 s[36:37], vcc, exec
	s_or_b64 s[34:35], s[34:35], s[36:37]
	s_cbranch_execz .LBB77_158
	s_branch .LBB77_159
.LBB77_167:
                                        ; implicit-def: $vgpr0
                                        ; implicit-def: $vgpr4
                                        ; implicit-def: $vgpr2
	s_branch .LBB77_170
.LBB77_168:
	v_mov_b32_e32 v0, 0
	v_mov_b32_e32 v4, 0
	;; [unrolled: 1-line block ×3, first 2 shown]
.LBB77_169:
	s_cbranch_execnz .LBB77_172
.LBB77_170:
	s_waitcnt lgkmcnt(0)
	v_mul_hi_u32 v0, s9, v21
	s_andn2_b64 vcc, exec, s[24:25]
	v_add_u32_e32 v0, v21, v0
	v_lshrrev_b32_e32 v1, s10, v0
	v_mul_lo_u32 v0, v1, s8
	v_sub_u32_e32 v2, v21, v0
	v_mul_lo_u32 v0, v2, s4
	v_mul_lo_u32 v4, v2, s5
	;; [unrolled: 1-line block ×3, first 2 shown]
	s_cbranch_vccnz .LBB77_172
; %bb.171:
	s_waitcnt vmcnt(1)
	v_mul_hi_u32 v3, s22, v1
	v_add_u32_e32 v3, v1, v3
	v_lshrrev_b32_e32 v3, s23, v3
	v_mul_lo_u32 v3, v3, s11
	v_sub_u32_e32 v3, v1, v3
	v_mad_u64_u32 v[0:1], s[30:31], v3, s7, v[0:1]
	v_mad_u64_u32 v[4:5], s[30:31], v3, s20, v[4:5]
	;; [unrolled: 1-line block ×3, first 2 shown]
.LBB77_172:
	s_waitcnt lgkmcnt(0)
	global_load_ushort v1, v4, s[2:3]
	global_load_ushort v3, v2, s[18:19]
	s_cmp_lt_i32 s41, 1
	s_mov_b64 s[30:31], 0
	s_cbranch_scc1 .LBB77_176
; %bb.173:
	s_cmp_gt_i32 s41, 1
	s_cbranch_scc0 .LBB77_177
; %bb.174:
	s_cmp_eq_u32 s41, 2
	s_cbranch_scc0 .LBB77_428
; %bb.175:
	s_waitcnt vmcnt(0)
	v_cmp_le_i16_e64 s[34:35], v1, v3
	s_mov_b64 s[36:37], 0
	s_branch .LBB77_179
.LBB77_176:
                                        ; implicit-def: $sgpr34_sgpr35
	s_mov_b64 s[36:37], 0
	s_cbranch_execnz .LBB77_180
	s_branch .LBB77_181
.LBB77_177:
	s_mov_b64 s[36:37], 0
                                        ; implicit-def: $sgpr34_sgpr35
	s_cbranch_execz .LBB77_179
; %bb.178:
	s_waitcnt vmcnt(0)
	v_cmp_gt_i16_e32 vcc, v1, v3
	s_andn2_b64 s[34:35], s[34:35], exec
	s_and_b64 s[38:39], vcc, exec
	s_or_b64 s[34:35], s[34:35], s[38:39]
.LBB77_179:
	s_branch .LBB77_181
.LBB77_180:
	s_cmp_lg_u32 s41, 0
	s_mov_b64 s[30:31], -1
	s_cselect_b64 s[36:37], -1, 0
.LBB77_181:
	s_andn2_b64 vcc, exec, s[36:37]
	s_cbranch_vccz .LBB77_191
; %bb.182:
	s_andn2_b64 vcc, exec, s[30:31]
	s_cbranch_vccnz .LBB77_184
.LBB77_183:
	s_waitcnt vmcnt(0)
	v_cmp_ge_i16_e32 vcc, v1, v3
	s_andn2_b64 s[30:31], s[34:35], exec
	s_and_b64 s[34:35], vcc, exec
	s_or_b64 s[34:35], s[30:31], s[34:35]
.LBB77_184:
	s_waitcnt vmcnt(1)
	v_cndmask_b32_e64 v1, 0, 1, s[34:35]
	v_add_u32_e32 v21, 0x80, v21
	global_store_byte v0, v1, s[0:1]
	s_or_b64 exec, exec, s[28:29]
	v_cmp_gt_i32_e32 vcc, s43, v21
	s_and_saveexec_b64 s[28:29], vcc
	s_cbranch_execz .LBB77_210
.LBB77_185:
	s_andn2_b64 vcc, exec, s[14:15]
	s_cbranch_vccnz .LBB77_192
; %bb.186:
	s_andn2_b64 vcc, exec, s[26:27]
	s_cbranch_vccnz .LBB77_193
; %bb.187:
	s_add_i32 s26, s42, 1
	s_and_b32 s30, s26, 30
	s_add_u32 s26, s12, 0xffffffe8
	s_addc_u32 s27, s13, -1
	v_mov_b32_e32 v2, 0
	v_mov_b32_e32 v4, 0
	;; [unrolled: 1-line block ×4, first 2 shown]
.LBB77_188:                             ; =>This Inner Loop Header: Depth=1
	s_load_dwordx4 s[36:39], s[26:27], 0x1c
	s_load_dwordx2 s[34:35], s[26:27], 0x2c
	s_load_dwordx2 s[48:49], s[26:27], 0xec
	s_load_dwordx4 s[44:47], s[26:27], 0xdc
	s_add_u32 s26, s26, 24
	s_waitcnt vmcnt(1) lgkmcnt(0)
	v_mul_hi_u32 v3, s37, v1
	s_addc_u32 s27, s27, 0
	s_add_i32 s30, s30, -2
	s_cmp_eq_u32 s30, 0
	v_add_u32_e32 v3, v1, v3
	v_lshrrev_b32_e32 v3, s38, v3
	v_mul_lo_u32 v5, v3, s36
	v_mul_hi_u32 v6, s34, v3
	v_sub_u32_e32 v5, v1, v5
	v_add_u32_e32 v1, v3, v6
	v_lshrrev_b32_e32 v1, s35, v1
	v_mul_lo_u32 v8, v1, s39
	v_mul_lo_u32 v6, v5, s44
	;; [unrolled: 1-line block ×4, first 2 shown]
	v_sub_u32_e32 v3, v3, v8
	v_mul_lo_u32 v8, v3, s47
	v_mul_lo_u32 v9, v3, s48
	;; [unrolled: 1-line block ×3, first 2 shown]
	v_add3_u32 v0, v6, v0, v8
	v_add3_u32 v4, v7, v4, v9
	;; [unrolled: 1-line block ×3, first 2 shown]
	s_cbranch_scc0 .LBB77_188
; %bb.189:
	s_bitcmp1_b32 s42, 0
	s_cselect_b64 s[30:31], -1, 0
	s_and_b64 vcc, exec, s[30:31]
	s_cbranch_vccnz .LBB77_194
; %bb.190:
	s_load_dwordx2 s[30:31], s[26:27], 0x1c
	s_load_dword s36, s[26:27], 0x24
	s_load_dwordx2 s[34:35], s[26:27], 0xdc
	s_waitcnt lgkmcnt(0)
	v_mul_hi_u32 v3, s31, v1
	v_add_u32_e32 v3, v1, v3
	v_lshrrev_b32_e32 v3, s36, v3
	v_mul_lo_u32 v3, v3, s30
	s_load_dword s30, s[26:27], 0xe4
	v_sub_u32_e32 v3, v1, v3
	v_mad_u64_u32 v[0:1], s[26:27], v3, s34, v[0:1]
	v_mad_u64_u32 v[4:5], s[26:27], v3, s35, v[4:5]
	s_waitcnt lgkmcnt(0)
	v_mad_u64_u32 v[2:3], s[26:27], v3, s30, v[2:3]
	s_branch .LBB77_194
.LBB77_191:
	s_waitcnt vmcnt(0)
	v_cmp_lt_i16_e32 vcc, v1, v3
	s_andn2_b64 s[34:35], s[34:35], exec
	s_and_b64 s[36:37], vcc, exec
	s_or_b64 s[34:35], s[34:35], s[36:37]
	s_cbranch_execz .LBB77_183
	s_branch .LBB77_184
.LBB77_192:
                                        ; implicit-def: $vgpr0
                                        ; implicit-def: $vgpr4
                                        ; implicit-def: $vgpr2
	s_branch .LBB77_195
.LBB77_193:
	v_mov_b32_e32 v0, 0
	v_mov_b32_e32 v4, 0
	;; [unrolled: 1-line block ×3, first 2 shown]
.LBB77_194:
	s_cbranch_execnz .LBB77_197
.LBB77_195:
	s_waitcnt lgkmcnt(0)
	v_mul_hi_u32 v0, s9, v21
	s_andn2_b64 vcc, exec, s[24:25]
	v_add_u32_e32 v0, v21, v0
	v_lshrrev_b32_e32 v1, s10, v0
	v_mul_lo_u32 v0, v1, s8
	v_sub_u32_e32 v2, v21, v0
	v_mul_lo_u32 v0, v2, s4
	v_mul_lo_u32 v4, v2, s5
	;; [unrolled: 1-line block ×3, first 2 shown]
	s_cbranch_vccnz .LBB77_197
; %bb.196:
	s_waitcnt vmcnt(1)
	v_mul_hi_u32 v3, s22, v1
	v_add_u32_e32 v3, v1, v3
	v_lshrrev_b32_e32 v3, s23, v3
	v_mul_lo_u32 v3, v3, s11
	v_sub_u32_e32 v3, v1, v3
	v_mad_u64_u32 v[0:1], s[4:5], v3, s7, v[0:1]
	v_mad_u64_u32 v[4:5], s[4:5], v3, s20, v[4:5]
	v_mad_u64_u32 v[2:3], s[4:5], v3, s21, v[2:3]
.LBB77_197:
	s_waitcnt lgkmcnt(0)
	global_load_ushort v1, v4, s[2:3]
	global_load_ushort v3, v2, s[18:19]
	s_cmp_lt_i32 s41, 1
	s_mov_b64 s[2:3], 0
	s_cbranch_scc1 .LBB77_201
; %bb.198:
	s_cmp_gt_i32 s41, 1
	s_cbranch_scc0 .LBB77_202
; %bb.199:
	s_cmp_eq_u32 s41, 2
	s_cbranch_scc0 .LBB77_429
; %bb.200:
	s_waitcnt vmcnt(0)
	v_cmp_le_i16_e64 s[4:5], v1, v3
	s_mov_b64 s[6:7], 0
	s_branch .LBB77_204
.LBB77_201:
                                        ; implicit-def: $sgpr4_sgpr5
	s_mov_b64 s[6:7], 0
	s_cbranch_execnz .LBB77_205
	s_branch .LBB77_206
.LBB77_202:
	s_mov_b64 s[6:7], 0
                                        ; implicit-def: $sgpr4_sgpr5
	s_cbranch_execz .LBB77_204
; %bb.203:
	s_waitcnt vmcnt(0)
	v_cmp_gt_i16_e32 vcc, v1, v3
	s_andn2_b64 s[4:5], s[4:5], exec
	s_and_b64 s[8:9], vcc, exec
	s_or_b64 s[4:5], s[4:5], s[8:9]
.LBB77_204:
	s_branch .LBB77_206
.LBB77_205:
	s_cmp_lg_u32 s41, 0
	s_mov_b64 s[2:3], -1
	s_cselect_b64 s[6:7], -1, 0
.LBB77_206:
	s_andn2_b64 vcc, exec, s[6:7]
	s_cbranch_vccz .LBB77_220
; %bb.207:
	s_andn2_b64 vcc, exec, s[2:3]
	s_cbranch_vccnz .LBB77_209
.LBB77_208:
	s_waitcnt vmcnt(0)
	v_cmp_ge_i16_e32 vcc, v1, v3
	s_andn2_b64 s[2:3], s[4:5], exec
	s_and_b64 s[4:5], vcc, exec
	s_or_b64 s[4:5], s[2:3], s[4:5]
.LBB77_209:
	s_waitcnt vmcnt(1)
	v_cndmask_b32_e64 v1, 0, 1, s[4:5]
	global_store_byte v0, v1, s[0:1]
.LBB77_210:
	s_or_b64 exec, exec, s[28:29]
                                        ; implicit-def: $vgpr37
                                        ; implicit-def: $vgpr21
.LBB77_211:
	s_waitcnt lgkmcnt(0)
	s_andn2_saveexec_b64 s[0:1], s[16:17]
	s_cbranch_execz .LBB77_218
; %bb.212:
	v_cndmask_b32_e64 v0, 0, 1, s[14:15]
	v_cmp_ne_u32_e64 s[0:1], 1, v0
	s_andn2_b64 vcc, exec, s[14:15]
	s_cbranch_vccnz .LBB77_219
; %bb.213:
	s_cmp_lg_u32 s33, 0
	s_cbranch_scc0 .LBB77_221
; %bb.214:
	s_min_u32 s4, s40, 15
	s_add_i32 s2, s4, 1
	s_and_b32 s5, s2, 30
	s_add_u32 s2, s12, 0xffffffe8
	s_addc_u32 s3, s13, -1
	v_mov_b32_e32 v6, 0
	v_mov_b32_e32 v8, 0
	;; [unrolled: 1-line block ×4, first 2 shown]
.LBB77_215:                             ; =>This Inner Loop Header: Depth=1
	s_load_dwordx4 s[8:11], s[2:3], 0x1c
	s_load_dwordx2 s[6:7], s[2:3], 0x2c
	s_load_dwordx2 s[14:15], s[2:3], 0xec
	s_load_dwordx4 s[16:19], s[2:3], 0xdc
	s_add_u32 s2, s2, 24
	s_waitcnt lgkmcnt(0)
	v_mul_hi_u32 v2, s9, v1
	s_addc_u32 s3, s3, 0
	s_add_i32 s5, s5, -2
	s_cmp_lg_u32 s5, 0
	v_add_u32_e32 v2, v1, v2
	v_lshrrev_b32_e32 v2, s10, v2
	s_waitcnt vmcnt(1)
	v_mul_lo_u32 v3, v2, s8
	v_mul_hi_u32 v4, s6, v2
	v_sub_u32_e32 v3, v1, v3
	v_add_u32_e32 v1, v2, v4
	v_lshrrev_b32_e32 v1, s7, v1
	v_mul_lo_u32 v7, v1, s11
	v_mul_lo_u32 v4, v3, s16
	;; [unrolled: 1-line block ×4, first 2 shown]
	v_sub_u32_e32 v2, v2, v7
	v_mul_lo_u32 v7, v2, s19
	v_mul_lo_u32 v9, v2, s14
	;; [unrolled: 1-line block ×3, first 2 shown]
	v_add3_u32 v0, v4, v0, v7
	v_add3_u32 v8, v5, v8, v9
	;; [unrolled: 1-line block ×3, first 2 shown]
	s_cbranch_scc1 .LBB77_215
; %bb.216:
	s_bitcmp1_b32 s4, 0
	s_cselect_b64 s[4:5], -1, 0
	s_and_b64 vcc, exec, s[4:5]
	s_cbranch_vccnz .LBB77_222
; %bb.217:
	s_load_dwordx2 s[4:5], s[2:3], 0x1c
	s_load_dword s8, s[2:3], 0x24
	s_load_dwordx2 s[6:7], s[2:3], 0xdc
	s_waitcnt lgkmcnt(0)
	v_mul_hi_u32 v2, s5, v1
	v_add_u32_e32 v2, v1, v2
	v_lshrrev_b32_e32 v2, s8, v2
	v_mul_lo_u32 v2, v2, s4
	s_load_dword s4, s[2:3], 0xe4
	v_sub_u32_e32 v2, v1, v2
	v_mad_u64_u32 v[0:1], s[2:3], v2, s6, v[0:1]
	v_mad_u64_u32 v[8:9], s[2:3], v2, s7, v[8:9]
	s_waitcnt lgkmcnt(0)
	v_mad_u64_u32 v[6:7], s[2:3], v2, s4, v[6:7]
	s_cbranch_execz .LBB77_223
	s_branch .LBB77_225
.LBB77_218:
	s_endpgm
.LBB77_219:
                                        ; implicit-def: $vgpr0
                                        ; implicit-def: $vgpr8
                                        ; implicit-def: $vgpr6
	s_branch .LBB77_223
.LBB77_220:
	s_waitcnt vmcnt(0)
	v_cmp_lt_i16_e32 vcc, v1, v3
	s_andn2_b64 s[4:5], s[4:5], exec
	s_and_b64 s[6:7], vcc, exec
	s_or_b64 s[4:5], s[4:5], s[6:7]
	s_cbranch_execz .LBB77_208
	s_branch .LBB77_209
.LBB77_221:
	v_mov_b32_e32 v0, 0
	v_mov_b32_e32 v8, 0
	;; [unrolled: 1-line block ×3, first 2 shown]
.LBB77_222:
	s_cbranch_execnz .LBB77_225
.LBB77_223:
	s_load_dwordx4 s[4:7], s[12:13], 0x4
	s_load_dwordx4 s[8:11], s[12:13], 0xc4
	s_cmp_lt_u32 s33, 2
	s_waitcnt lgkmcnt(0)
	v_mul_hi_u32 v0, s5, v21
	v_add_u32_e32 v0, v21, v0
	v_lshrrev_b32_e32 v1, s6, v0
	v_mul_lo_u32 v0, v1, s4
	v_sub_u32_e32 v2, v21, v0
	v_mul_lo_u32 v0, v2, s8
	v_mul_lo_u32 v8, v2, s9
	;; [unrolled: 1-line block ×3, first 2 shown]
	s_cbranch_scc1 .LBB77_225
; %bb.224:
	s_load_dwordx4 s[4:7], s[12:13], 0x10
	s_load_dwordx4 s[8:11], s[12:13], 0xd0
	s_waitcnt lgkmcnt(0)
	v_mul_hi_u32 v2, s5, v1
	v_add_u32_e32 v2, v1, v2
	v_lshrrev_b32_e32 v2, s6, v2
	v_mul_lo_u32 v2, v2, s4
	v_sub_u32_e32 v2, v1, v2
	v_mad_u64_u32 v[0:1], s[2:3], v2, s8, v[0:1]
	v_mad_u64_u32 v[8:9], s[2:3], v2, s9, v[8:9]
	;; [unrolled: 1-line block ×3, first 2 shown]
.LBB77_225:
	s_and_b64 vcc, exec, s[0:1]
	s_waitcnt vmcnt(1)
	v_add_u32_e32 v3, 0x80, v21
	s_cbranch_vccnz .LBB77_231
; %bb.226:
	s_cmp_lg_u32 s33, 0
	s_cbranch_scc0 .LBB77_232
; %bb.227:
	s_min_u32 s4, s40, 15
	s_add_i32 s2, s4, 1
	s_and_b32 s5, s2, 30
	s_add_u32 s2, s12, 0xffffffe8
	s_addc_u32 s3, s13, -1
	v_mov_b32_e32 v9, 0
	v_mov_b32_e32 v11, 0
	;; [unrolled: 1-line block ×4, first 2 shown]
.LBB77_228:                             ; =>This Inner Loop Header: Depth=1
	s_load_dwordx4 s[8:11], s[2:3], 0x1c
	s_load_dwordx2 s[6:7], s[2:3], 0x2c
	s_load_dwordx2 s[14:15], s[2:3], 0xec
	s_load_dwordx4 s[16:19], s[2:3], 0xdc
	s_add_u32 s2, s2, 24
	s_waitcnt lgkmcnt(0)
	v_mul_hi_u32 v4, s9, v2
	s_addc_u32 s3, s3, 0
	s_add_i32 s5, s5, -2
	s_cmp_lg_u32 s5, 0
	v_add_u32_e32 v4, v2, v4
	v_lshrrev_b32_e32 v4, s10, v4
	v_mul_lo_u32 v5, v4, s8
	v_mul_hi_u32 v7, s6, v4
	v_sub_u32_e32 v5, v2, v5
	v_add_u32_e32 v2, v4, v7
	v_lshrrev_b32_e32 v2, s7, v2
	v_mul_lo_u32 v12, v2, s11
	v_mul_lo_u32 v7, v5, s16
	;; [unrolled: 1-line block ×4, first 2 shown]
	v_sub_u32_e32 v4, v4, v12
	v_mul_lo_u32 v12, v4, s19
	v_mul_lo_u32 v13, v4, s14
	;; [unrolled: 1-line block ×3, first 2 shown]
	v_add3_u32 v1, v7, v1, v12
	v_add3_u32 v11, v10, v11, v13
	;; [unrolled: 1-line block ×3, first 2 shown]
	s_cbranch_scc1 .LBB77_228
; %bb.229:
	s_bitcmp1_b32 s4, 0
	s_cselect_b64 s[4:5], -1, 0
	s_and_b64 vcc, exec, s[4:5]
	s_cbranch_vccnz .LBB77_233
; %bb.230:
	s_load_dwordx2 s[4:5], s[2:3], 0x1c
	s_load_dword s8, s[2:3], 0x24
	s_load_dwordx2 s[6:7], s[2:3], 0xdc
	s_waitcnt lgkmcnt(0)
	v_mul_hi_u32 v4, s5, v2
	v_add_u32_e32 v4, v2, v4
	v_lshrrev_b32_e32 v4, s8, v4
	v_mul_lo_u32 v4, v4, s4
	s_load_dword s4, s[2:3], 0xe4
	v_sub_u32_e32 v4, v2, v4
	v_mad_u64_u32 v[1:2], s[2:3], v4, s6, v[1:2]
	v_mad_u64_u32 v[11:12], s[2:3], v4, s7, v[11:12]
	s_waitcnt lgkmcnt(0)
	v_mad_u64_u32 v[9:10], s[2:3], v4, s4, v[9:10]
	s_cbranch_execz .LBB77_234
	s_branch .LBB77_236
.LBB77_231:
                                        ; implicit-def: $vgpr1
                                        ; implicit-def: $vgpr11
                                        ; implicit-def: $vgpr9
	s_branch .LBB77_234
.LBB77_232:
	v_mov_b32_e32 v1, 0
	v_mov_b32_e32 v11, 0
	;; [unrolled: 1-line block ×3, first 2 shown]
.LBB77_233:
	s_cbranch_execnz .LBB77_236
.LBB77_234:
	s_load_dwordx4 s[4:7], s[12:13], 0x4
	s_load_dwordx4 s[8:11], s[12:13], 0xc4
	s_cmp_lt_u32 s33, 2
	s_waitcnt lgkmcnt(0)
	v_mul_hi_u32 v1, s5, v3
	v_add_u32_e32 v1, v3, v1
	v_lshrrev_b32_e32 v2, s6, v1
	v_mul_lo_u32 v1, v2, s4
	v_sub_u32_e32 v3, v3, v1
	v_mul_lo_u32 v1, v3, s8
	v_mul_lo_u32 v11, v3, s9
	;; [unrolled: 1-line block ×3, first 2 shown]
	s_cbranch_scc1 .LBB77_236
; %bb.235:
	s_load_dwordx4 s[4:7], s[12:13], 0x10
	s_load_dwordx4 s[8:11], s[12:13], 0xd0
	s_waitcnt lgkmcnt(0)
	v_mul_hi_u32 v3, s5, v2
	v_add_u32_e32 v3, v2, v3
	v_lshrrev_b32_e32 v3, s6, v3
	v_mul_lo_u32 v3, v3, s4
	v_sub_u32_e32 v3, v2, v3
	v_mad_u64_u32 v[1:2], s[2:3], v3, s8, v[1:2]
	v_mad_u64_u32 v[11:12], s[2:3], v3, s9, v[11:12]
	;; [unrolled: 1-line block ×3, first 2 shown]
.LBB77_236:
	s_and_b64 vcc, exec, s[0:1]
	v_add_u32_e32 v4, 0x100, v21
	s_cbranch_vccnz .LBB77_242
; %bb.237:
	s_cmp_lg_u32 s33, 0
	s_cbranch_scc0 .LBB77_243
; %bb.238:
	s_min_u32 s4, s40, 15
	s_add_i32 s2, s4, 1
	s_and_b32 s5, s2, 30
	s_add_u32 s2, s12, 0xffffffe8
	s_addc_u32 s3, s13, -1
	v_mov_b32_e32 v14, 0
	v_mov_b32_e32 v16, 0
	;; [unrolled: 1-line block ×4, first 2 shown]
.LBB77_239:                             ; =>This Inner Loop Header: Depth=1
	s_load_dwordx4 s[8:11], s[2:3], 0x1c
	s_load_dwordx2 s[6:7], s[2:3], 0x2c
	s_load_dwordx2 s[14:15], s[2:3], 0xec
	s_load_dwordx4 s[16:19], s[2:3], 0xdc
	s_add_u32 s2, s2, 24
	s_waitcnt lgkmcnt(0)
	v_mul_hi_u32 v5, s9, v3
	s_addc_u32 s3, s3, 0
	s_add_i32 s5, s5, -2
	s_cmp_lg_u32 s5, 0
	v_add_u32_e32 v5, v3, v5
	v_lshrrev_b32_e32 v5, s10, v5
	v_mul_lo_u32 v7, v5, s8
	v_mul_hi_u32 v10, s6, v5
	v_sub_u32_e32 v7, v3, v7
	v_add_u32_e32 v3, v5, v10
	v_lshrrev_b32_e32 v3, s7, v3
	v_mul_lo_u32 v13, v3, s11
	v_mul_lo_u32 v10, v7, s16
	;; [unrolled: 1-line block ×4, first 2 shown]
	v_sub_u32_e32 v5, v5, v13
	v_mul_lo_u32 v13, v5, s19
	v_mul_lo_u32 v15, v5, s14
	;; [unrolled: 1-line block ×3, first 2 shown]
	v_add3_u32 v2, v10, v2, v13
	v_add3_u32 v16, v12, v16, v15
	;; [unrolled: 1-line block ×3, first 2 shown]
	s_cbranch_scc1 .LBB77_239
; %bb.240:
	s_bitcmp1_b32 s4, 0
	s_cselect_b64 s[4:5], -1, 0
	s_and_b64 vcc, exec, s[4:5]
	s_cbranch_vccnz .LBB77_244
; %bb.241:
	s_load_dwordx2 s[4:5], s[2:3], 0x1c
	s_load_dword s8, s[2:3], 0x24
	s_load_dwordx2 s[6:7], s[2:3], 0xdc
	s_waitcnt lgkmcnt(0)
	v_mul_hi_u32 v5, s5, v3
	v_add_u32_e32 v5, v3, v5
	v_lshrrev_b32_e32 v5, s8, v5
	v_mul_lo_u32 v5, v5, s4
	s_load_dword s4, s[2:3], 0xe4
	v_sub_u32_e32 v5, v3, v5
	v_mad_u64_u32 v[2:3], s[2:3], v5, s6, v[2:3]
	v_mad_u64_u32 v[16:17], s[2:3], v5, s7, v[16:17]
	s_waitcnt lgkmcnt(0)
	v_mad_u64_u32 v[14:15], s[2:3], v5, s4, v[14:15]
	s_cbranch_execz .LBB77_245
	s_branch .LBB77_247
.LBB77_242:
                                        ; implicit-def: $vgpr2
                                        ; implicit-def: $vgpr16
                                        ; implicit-def: $vgpr14
	s_branch .LBB77_245
.LBB77_243:
	v_mov_b32_e32 v2, 0
	v_mov_b32_e32 v16, 0
	v_mov_b32_e32 v14, 0
.LBB77_244:
	s_cbranch_execnz .LBB77_247
.LBB77_245:
	s_load_dwordx4 s[4:7], s[12:13], 0x4
	s_load_dwordx4 s[8:11], s[12:13], 0xc4
	s_cmp_lt_u32 s33, 2
	s_waitcnt lgkmcnt(0)
	v_mul_hi_u32 v2, s5, v4
	v_add_u32_e32 v2, v4, v2
	v_lshrrev_b32_e32 v3, s6, v2
	v_mul_lo_u32 v2, v3, s4
	v_sub_u32_e32 v4, v4, v2
	v_mul_lo_u32 v2, v4, s8
	v_mul_lo_u32 v16, v4, s9
	;; [unrolled: 1-line block ×3, first 2 shown]
	s_cbranch_scc1 .LBB77_247
; %bb.246:
	s_load_dwordx4 s[4:7], s[12:13], 0x10
	s_load_dwordx4 s[8:11], s[12:13], 0xd0
	s_waitcnt lgkmcnt(0)
	v_mul_hi_u32 v4, s5, v3
	v_add_u32_e32 v4, v3, v4
	v_lshrrev_b32_e32 v4, s6, v4
	v_mul_lo_u32 v4, v4, s4
	v_sub_u32_e32 v4, v3, v4
	v_mad_u64_u32 v[2:3], s[2:3], v4, s8, v[2:3]
	v_mad_u64_u32 v[16:17], s[2:3], v4, s9, v[16:17]
	v_mad_u64_u32 v[14:15], s[2:3], v4, s10, v[14:15]
.LBB77_247:
	s_and_b64 vcc, exec, s[0:1]
	v_add_u32_e32 v5, 0x180, v21
	s_cbranch_vccnz .LBB77_253
; %bb.248:
	s_cmp_lg_u32 s33, 0
	s_cbranch_scc0 .LBB77_254
; %bb.249:
	s_min_u32 s4, s40, 15
	s_add_i32 s2, s4, 1
	s_and_b32 s5, s2, 30
	s_add_u32 s2, s12, 0xffffffe8
	s_addc_u32 s3, s13, -1
	v_mov_b32_e32 v17, 0
	v_mov_b32_e32 v19, 0
	;; [unrolled: 1-line block ×4, first 2 shown]
.LBB77_250:                             ; =>This Inner Loop Header: Depth=1
	s_load_dwordx4 s[8:11], s[2:3], 0x1c
	s_load_dwordx2 s[6:7], s[2:3], 0x2c
	s_load_dwordx2 s[14:15], s[2:3], 0xec
	s_load_dwordx4 s[16:19], s[2:3], 0xdc
	s_add_u32 s2, s2, 24
	s_waitcnt lgkmcnt(0)
	v_mul_hi_u32 v7, s9, v4
	s_addc_u32 s3, s3, 0
	s_add_i32 s5, s5, -2
	s_cmp_lg_u32 s5, 0
	v_add_u32_e32 v7, v4, v7
	v_lshrrev_b32_e32 v7, s10, v7
	v_mul_lo_u32 v10, v7, s8
	v_mul_hi_u32 v12, s6, v7
	v_sub_u32_e32 v10, v4, v10
	v_add_u32_e32 v4, v7, v12
	v_lshrrev_b32_e32 v4, s7, v4
	v_mul_lo_u32 v15, v4, s11
	v_mul_lo_u32 v12, v10, s16
	;; [unrolled: 1-line block ×4, first 2 shown]
	v_sub_u32_e32 v7, v7, v15
	v_mul_lo_u32 v15, v7, s19
	v_mul_lo_u32 v18, v7, s14
	;; [unrolled: 1-line block ×3, first 2 shown]
	v_add3_u32 v3, v12, v3, v15
	v_add3_u32 v19, v13, v19, v18
	;; [unrolled: 1-line block ×3, first 2 shown]
	s_cbranch_scc1 .LBB77_250
; %bb.251:
	s_bitcmp1_b32 s4, 0
	s_cselect_b64 s[4:5], -1, 0
	s_and_b64 vcc, exec, s[4:5]
	s_cbranch_vccnz .LBB77_255
; %bb.252:
	s_load_dwordx2 s[4:5], s[2:3], 0x1c
	s_load_dword s8, s[2:3], 0x24
	s_load_dwordx2 s[6:7], s[2:3], 0xdc
	s_waitcnt lgkmcnt(0)
	v_mul_hi_u32 v7, s5, v4
	v_add_u32_e32 v7, v4, v7
	v_lshrrev_b32_e32 v7, s8, v7
	v_mul_lo_u32 v7, v7, s4
	s_load_dword s4, s[2:3], 0xe4
	v_sub_u32_e32 v7, v4, v7
	v_mad_u64_u32 v[3:4], s[2:3], v7, s6, v[3:4]
	v_mad_u64_u32 v[19:20], s[2:3], v7, s7, v[19:20]
	s_waitcnt lgkmcnt(0)
	v_mad_u64_u32 v[17:18], s[2:3], v7, s4, v[17:18]
	s_cbranch_execz .LBB77_256
	s_branch .LBB77_258
.LBB77_253:
                                        ; implicit-def: $vgpr3
                                        ; implicit-def: $vgpr19
                                        ; implicit-def: $vgpr17
	s_branch .LBB77_256
.LBB77_254:
	v_mov_b32_e32 v3, 0
	v_mov_b32_e32 v19, 0
	;; [unrolled: 1-line block ×3, first 2 shown]
.LBB77_255:
	s_cbranch_execnz .LBB77_258
.LBB77_256:
	s_load_dwordx4 s[4:7], s[12:13], 0x4
	s_load_dwordx4 s[8:11], s[12:13], 0xc4
	s_cmp_lt_u32 s33, 2
	s_waitcnt lgkmcnt(0)
	v_mul_hi_u32 v3, s5, v5
	v_add_u32_e32 v3, v5, v3
	v_lshrrev_b32_e32 v4, s6, v3
	v_mul_lo_u32 v3, v4, s4
	v_sub_u32_e32 v5, v5, v3
	v_mul_lo_u32 v3, v5, s8
	v_mul_lo_u32 v19, v5, s9
	;; [unrolled: 1-line block ×3, first 2 shown]
	s_cbranch_scc1 .LBB77_258
; %bb.257:
	s_load_dwordx4 s[4:7], s[12:13], 0x10
	s_load_dwordx4 s[8:11], s[12:13], 0xd0
	s_waitcnt lgkmcnt(0)
	v_mul_hi_u32 v5, s5, v4
	v_add_u32_e32 v5, v4, v5
	v_lshrrev_b32_e32 v5, s6, v5
	v_mul_lo_u32 v5, v5, s4
	v_sub_u32_e32 v5, v4, v5
	v_mad_u64_u32 v[3:4], s[2:3], v5, s8, v[3:4]
	v_mad_u64_u32 v[19:20], s[2:3], v5, s9, v[19:20]
	;; [unrolled: 1-line block ×3, first 2 shown]
.LBB77_258:
	s_and_b64 vcc, exec, s[0:1]
	v_add_u32_e32 v7, 0x200, v21
	s_cbranch_vccnz .LBB77_264
; %bb.259:
	s_cmp_lg_u32 s33, 0
	s_cbranch_scc0 .LBB77_265
; %bb.260:
	s_min_u32 s4, s40, 15
	s_add_i32 s2, s4, 1
	s_and_b32 s5, s2, 30
	s_add_u32 s2, s12, 0xffffffe8
	s_addc_u32 s3, s13, -1
	v_mov_b32_e32 v22, 0
	v_mov_b32_e32 v24, 0
	;; [unrolled: 1-line block ×4, first 2 shown]
.LBB77_261:                             ; =>This Inner Loop Header: Depth=1
	s_load_dwordx4 s[8:11], s[2:3], 0x1c
	s_load_dwordx2 s[6:7], s[2:3], 0x2c
	s_load_dwordx2 s[14:15], s[2:3], 0xec
	s_load_dwordx4 s[16:19], s[2:3], 0xdc
	s_add_u32 s2, s2, 24
	s_waitcnt lgkmcnt(0)
	v_mul_hi_u32 v10, s9, v5
	s_addc_u32 s3, s3, 0
	s_add_i32 s5, s5, -2
	s_cmp_lg_u32 s5, 0
	v_add_u32_e32 v10, v5, v10
	v_lshrrev_b32_e32 v10, s10, v10
	v_mul_lo_u32 v12, v10, s8
	v_mul_hi_u32 v13, s6, v10
	v_sub_u32_e32 v12, v5, v12
	v_add_u32_e32 v5, v10, v13
	v_lshrrev_b32_e32 v5, s7, v5
	v_mul_lo_u32 v18, v5, s11
	v_mul_lo_u32 v13, v12, s16
	;; [unrolled: 1-line block ×4, first 2 shown]
	v_sub_u32_e32 v10, v10, v18
	v_mul_lo_u32 v18, v10, s19
	v_mul_lo_u32 v20, v10, s14
	;; [unrolled: 1-line block ×3, first 2 shown]
	v_add3_u32 v4, v13, v4, v18
	v_add3_u32 v24, v15, v24, v20
	;; [unrolled: 1-line block ×3, first 2 shown]
	s_cbranch_scc1 .LBB77_261
; %bb.262:
	s_bitcmp1_b32 s4, 0
	s_cselect_b64 s[4:5], -1, 0
	s_and_b64 vcc, exec, s[4:5]
	s_cbranch_vccnz .LBB77_266
; %bb.263:
	s_load_dwordx2 s[4:5], s[2:3], 0x1c
	s_load_dword s8, s[2:3], 0x24
	s_load_dwordx2 s[6:7], s[2:3], 0xdc
	s_waitcnt lgkmcnt(0)
	v_mul_hi_u32 v10, s5, v5
	v_add_u32_e32 v10, v5, v10
	v_lshrrev_b32_e32 v10, s8, v10
	v_mul_lo_u32 v10, v10, s4
	s_load_dword s4, s[2:3], 0xe4
	v_sub_u32_e32 v10, v5, v10
	v_mad_u64_u32 v[4:5], s[2:3], v10, s6, v[4:5]
	v_mad_u64_u32 v[24:25], s[2:3], v10, s7, v[24:25]
	s_waitcnt lgkmcnt(0)
	v_mad_u64_u32 v[22:23], s[2:3], v10, s4, v[22:23]
	s_cbranch_execz .LBB77_267
	s_branch .LBB77_269
.LBB77_264:
                                        ; implicit-def: $vgpr4
                                        ; implicit-def: $vgpr24
                                        ; implicit-def: $vgpr22
	s_branch .LBB77_267
.LBB77_265:
	v_mov_b32_e32 v4, 0
	v_mov_b32_e32 v24, 0
	;; [unrolled: 1-line block ×3, first 2 shown]
.LBB77_266:
	s_cbranch_execnz .LBB77_269
.LBB77_267:
	s_load_dwordx4 s[4:7], s[12:13], 0x4
	s_load_dwordx4 s[8:11], s[12:13], 0xc4
	s_cmp_lt_u32 s33, 2
	s_waitcnt lgkmcnt(0)
	v_mul_hi_u32 v4, s5, v7
	v_add_u32_e32 v4, v7, v4
	v_lshrrev_b32_e32 v5, s6, v4
	v_mul_lo_u32 v4, v5, s4
	v_sub_u32_e32 v7, v7, v4
	v_mul_lo_u32 v4, v7, s8
	v_mul_lo_u32 v24, v7, s9
	;; [unrolled: 1-line block ×3, first 2 shown]
	s_cbranch_scc1 .LBB77_269
; %bb.268:
	s_load_dwordx4 s[4:7], s[12:13], 0x10
	s_load_dwordx4 s[8:11], s[12:13], 0xd0
	s_waitcnt lgkmcnt(0)
	v_mul_hi_u32 v7, s5, v5
	v_add_u32_e32 v7, v5, v7
	v_lshrrev_b32_e32 v7, s6, v7
	v_mul_lo_u32 v7, v7, s4
	v_sub_u32_e32 v7, v5, v7
	v_mad_u64_u32 v[4:5], s[2:3], v7, s8, v[4:5]
	v_mad_u64_u32 v[24:25], s[2:3], v7, s9, v[24:25]
	;; [unrolled: 1-line block ×3, first 2 shown]
.LBB77_269:
	s_and_b64 vcc, exec, s[0:1]
	v_add_u32_e32 v5, 0x280, v21
	s_cbranch_vccnz .LBB77_275
; %bb.270:
	s_cmp_lg_u32 s33, 0
	s_cbranch_scc0 .LBB77_276
; %bb.271:
	s_min_u32 s4, s40, 15
	s_add_i32 s2, s4, 1
	s_and_b32 s5, s2, 30
	s_add_u32 s2, s12, 0xffffffe8
	s_addc_u32 s3, s13, -1
	v_mov_b32_e32 v25, 0
	v_mov_b32_e32 v27, 0
	;; [unrolled: 1-line block ×4, first 2 shown]
.LBB77_272:                             ; =>This Inner Loop Header: Depth=1
	s_load_dwordx4 s[8:11], s[2:3], 0x1c
	s_load_dwordx2 s[6:7], s[2:3], 0x2c
	s_load_dwordx2 s[14:15], s[2:3], 0xec
	s_load_dwordx4 s[16:19], s[2:3], 0xdc
	s_add_u32 s2, s2, 24
	s_waitcnt lgkmcnt(0)
	v_mul_hi_u32 v10, s9, v7
	s_addc_u32 s3, s3, 0
	s_add_i32 s5, s5, -2
	s_cmp_lg_u32 s5, 0
	v_add_u32_e32 v10, v7, v10
	v_lshrrev_b32_e32 v10, s10, v10
	v_mul_lo_u32 v13, v10, s8
	v_mul_hi_u32 v15, s6, v10
	v_sub_u32_e32 v13, v7, v13
	v_add_u32_e32 v7, v10, v15
	v_lshrrev_b32_e32 v7, s7, v7
	v_mul_lo_u32 v20, v7, s11
	v_mul_lo_u32 v15, v13, s16
	;; [unrolled: 1-line block ×4, first 2 shown]
	v_sub_u32_e32 v10, v10, v20
	v_mul_lo_u32 v20, v10, s19
	v_mul_lo_u32 v23, v10, s14
	;; [unrolled: 1-line block ×3, first 2 shown]
	v_add3_u32 v12, v15, v12, v20
	v_add3_u32 v27, v18, v27, v23
	;; [unrolled: 1-line block ×3, first 2 shown]
	s_cbranch_scc1 .LBB77_272
; %bb.273:
	s_bitcmp1_b32 s4, 0
	s_cselect_b64 s[4:5], -1, 0
	s_and_b64 vcc, exec, s[4:5]
	s_cbranch_vccnz .LBB77_277
; %bb.274:
	s_load_dwordx2 s[4:5], s[2:3], 0x1c
	s_load_dword s8, s[2:3], 0x24
	s_load_dwordx2 s[6:7], s[2:3], 0xdc
	s_waitcnt lgkmcnt(0)
	v_mul_hi_u32 v10, s5, v7
	v_add_u32_e32 v10, v7, v10
	v_lshrrev_b32_e32 v10, s8, v10
	v_mul_lo_u32 v10, v10, s4
	s_load_dword s4, s[2:3], 0xe4
	v_sub_u32_e32 v7, v7, v10
	v_mad_u64_u32 v[12:13], s[2:3], v7, s6, v[12:13]
	v_mad_u64_u32 v[27:28], s[2:3], v7, s7, v[27:28]
	s_waitcnt lgkmcnt(0)
	v_mad_u64_u32 v[25:26], s[2:3], v7, s4, v[25:26]
	s_cbranch_execz .LBB77_278
	s_branch .LBB77_280
.LBB77_275:
                                        ; implicit-def: $vgpr12
                                        ; implicit-def: $vgpr27
                                        ; implicit-def: $vgpr25
	s_branch .LBB77_278
.LBB77_276:
	v_mov_b32_e32 v12, 0
	v_mov_b32_e32 v27, 0
	;; [unrolled: 1-line block ×3, first 2 shown]
.LBB77_277:
	s_cbranch_execnz .LBB77_280
.LBB77_278:
	s_load_dwordx4 s[4:7], s[12:13], 0x4
	s_load_dwordx4 s[8:11], s[12:13], 0xc4
	s_cmp_lt_u32 s33, 2
	s_waitcnt lgkmcnt(0)
	v_mul_hi_u32 v7, s5, v5
	v_add_u32_e32 v7, v5, v7
	v_lshrrev_b32_e32 v7, s6, v7
	v_mul_lo_u32 v10, v7, s4
	v_sub_u32_e32 v5, v5, v10
	v_mul_lo_u32 v12, v5, s8
	v_mul_lo_u32 v27, v5, s9
	;; [unrolled: 1-line block ×3, first 2 shown]
	s_cbranch_scc1 .LBB77_280
; %bb.279:
	s_load_dwordx4 s[4:7], s[12:13], 0x10
	s_load_dwordx4 s[8:11], s[12:13], 0xd0
	s_waitcnt lgkmcnt(0)
	v_mul_hi_u32 v5, s5, v7
	v_add_u32_e32 v5, v7, v5
	v_lshrrev_b32_e32 v5, s6, v5
	v_mul_lo_u32 v5, v5, s4
	v_sub_u32_e32 v5, v7, v5
	v_mad_u64_u32 v[12:13], s[2:3], v5, s8, v[12:13]
	v_mad_u64_u32 v[27:28], s[2:3], v5, s9, v[27:28]
	;; [unrolled: 1-line block ×3, first 2 shown]
.LBB77_280:
	s_and_b64 vcc, exec, s[0:1]
	v_add_u32_e32 v5, 0x300, v21
	s_cbranch_vccnz .LBB77_286
; %bb.281:
	s_cmp_lg_u32 s33, 0
	s_cbranch_scc0 .LBB77_287
; %bb.282:
	s_min_u32 s4, s40, 15
	s_add_i32 s2, s4, 1
	s_and_b32 s5, s2, 30
	s_add_u32 s2, s12, 0xffffffe8
	s_addc_u32 s3, s13, -1
	v_mov_b32_e32 v30, 0
	v_mov_b32_e32 v32, 0
	;; [unrolled: 1-line block ×4, first 2 shown]
.LBB77_283:                             ; =>This Inner Loop Header: Depth=1
	s_load_dwordx4 s[8:11], s[2:3], 0x1c
	s_load_dwordx2 s[6:7], s[2:3], 0x2c
	s_load_dwordx2 s[14:15], s[2:3], 0xec
	s_load_dwordx4 s[16:19], s[2:3], 0xdc
	s_add_u32 s2, s2, 24
	s_waitcnt lgkmcnt(0)
	v_mul_hi_u32 v10, s9, v7
	s_addc_u32 s3, s3, 0
	s_add_i32 s5, s5, -2
	s_cmp_lg_u32 s5, 0
	v_add_u32_e32 v10, v7, v10
	v_lshrrev_b32_e32 v10, s10, v10
	v_mul_lo_u32 v13, v10, s8
	v_mul_hi_u32 v15, s6, v10
	v_sub_u32_e32 v13, v7, v13
	v_add_u32_e32 v7, v10, v15
	v_lshrrev_b32_e32 v7, s7, v7
	v_mul_lo_u32 v21, v7, s11
	v_mul_lo_u32 v15, v13, s16
	v_mul_lo_u32 v18, v13, s17
	v_mul_lo_u32 v13, v13, s18
	v_sub_u32_e32 v10, v10, v21
	v_mul_lo_u32 v21, v10, s19
	v_mul_lo_u32 v23, v10, s14
	;; [unrolled: 1-line block ×3, first 2 shown]
	v_add3_u32 v20, v15, v20, v21
	v_add3_u32 v32, v18, v32, v23
	;; [unrolled: 1-line block ×3, first 2 shown]
	s_cbranch_scc1 .LBB77_283
; %bb.284:
	s_bitcmp1_b32 s4, 0
	s_cselect_b64 s[4:5], -1, 0
	s_and_b64 vcc, exec, s[4:5]
	s_cbranch_vccnz .LBB77_288
; %bb.285:
	s_load_dwordx2 s[4:5], s[2:3], 0x1c
	s_load_dword s8, s[2:3], 0x24
	s_load_dwordx2 s[6:7], s[2:3], 0xdc
	s_waitcnt lgkmcnt(0)
	v_mul_hi_u32 v10, s5, v7
	v_add_u32_e32 v10, v7, v10
	v_lshrrev_b32_e32 v10, s8, v10
	v_mul_lo_u32 v10, v10, s4
	s_load_dword s4, s[2:3], 0xe4
	v_sub_u32_e32 v7, v7, v10
	v_mad_u64_u32 v[20:21], s[2:3], v7, s6, v[20:21]
	v_mad_u64_u32 v[32:33], s[2:3], v7, s7, v[32:33]
	s_waitcnt lgkmcnt(0)
	v_mad_u64_u32 v[30:31], s[2:3], v7, s4, v[30:31]
	s_cbranch_execz .LBB77_289
	s_branch .LBB77_291
.LBB77_286:
                                        ; implicit-def: $vgpr20
                                        ; implicit-def: $vgpr32
                                        ; implicit-def: $vgpr30
	s_branch .LBB77_289
.LBB77_287:
	v_mov_b32_e32 v20, 0
	v_mov_b32_e32 v32, 0
	;; [unrolled: 1-line block ×3, first 2 shown]
.LBB77_288:
	s_cbranch_execnz .LBB77_291
.LBB77_289:
	s_load_dwordx4 s[4:7], s[12:13], 0x4
	s_load_dwordx4 s[8:11], s[12:13], 0xc4
	s_cmp_lt_u32 s33, 2
	s_waitcnt lgkmcnt(0)
	v_mul_hi_u32 v7, s5, v5
	v_add_u32_e32 v7, v5, v7
	v_lshrrev_b32_e32 v7, s6, v7
	v_mul_lo_u32 v10, v7, s4
	v_sub_u32_e32 v5, v5, v10
	v_mul_lo_u32 v20, v5, s8
	v_mul_lo_u32 v32, v5, s9
	v_mul_lo_u32 v30, v5, s10
	s_cbranch_scc1 .LBB77_291
; %bb.290:
	s_load_dwordx4 s[4:7], s[12:13], 0x10
	s_load_dwordx4 s[8:11], s[12:13], 0xd0
	s_waitcnt lgkmcnt(0)
	v_mul_hi_u32 v5, s5, v7
	v_add_u32_e32 v5, v7, v5
	v_lshrrev_b32_e32 v5, s6, v5
	v_mul_lo_u32 v5, v5, s4
	v_sub_u32_e32 v5, v7, v5
	v_mad_u64_u32 v[20:21], s[2:3], v5, s8, v[20:21]
	v_mad_u64_u32 v[32:33], s[2:3], v5, s9, v[32:33]
	v_mad_u64_u32 v[30:31], s[2:3], v5, s10, v[30:31]
.LBB77_291:
	s_and_b64 vcc, exec, s[0:1]
	s_cbranch_vccnz .LBB77_297
; %bb.292:
	s_cmp_lg_u32 s33, 0
	s_cbranch_scc0 .LBB77_298
; %bb.293:
	s_min_u32 s2, s40, 15
	s_add_i32 s0, s2, 1
	s_and_b32 s3, s0, 30
	s_add_u32 s0, s12, 0xffffffe8
	s_addc_u32 s1, s13, -1
	v_mov_b32_e32 v35, 0
	v_mov_b32_e32 v33, 0
	;; [unrolled: 1-line block ×4, first 2 shown]
.LBB77_294:                             ; =>This Inner Loop Header: Depth=1
	s_load_dwordx4 s[4:7], s[0:1], 0x1c
	s_load_dwordx2 s[14:15], s[0:1], 0x2c
	s_load_dwordx2 s[16:17], s[0:1], 0xec
	s_load_dwordx4 s[8:11], s[0:1], 0xdc
	s_add_u32 s0, s0, 24
	s_waitcnt lgkmcnt(0)
	v_mul_hi_u32 v7, s5, v5
	s_addc_u32 s1, s1, 0
	s_add_i32 s3, s3, -2
	s_cmp_lg_u32 s3, 0
	v_add_u32_e32 v7, v5, v7
	v_lshrrev_b32_e32 v7, s6, v7
	v_mul_lo_u32 v10, v7, s4
	v_mul_hi_u32 v13, s14, v7
	v_sub_u32_e32 v10, v5, v10
	v_add_u32_e32 v5, v7, v13
	v_lshrrev_b32_e32 v5, s15, v5
	v_mul_lo_u32 v18, v5, s7
	v_mul_lo_u32 v13, v10, s8
	;; [unrolled: 1-line block ×4, first 2 shown]
	v_sub_u32_e32 v7, v7, v18
	v_mul_lo_u32 v18, v7, s11
	v_mul_lo_u32 v21, v7, s16
	;; [unrolled: 1-line block ×3, first 2 shown]
	v_add3_u32 v28, v13, v28, v18
	v_add3_u32 v33, v15, v33, v21
	;; [unrolled: 1-line block ×3, first 2 shown]
	s_cbranch_scc1 .LBB77_294
; %bb.295:
	s_bitcmp1_b32 s2, 0
	s_cselect_b64 s[2:3], -1, 0
	s_and_b64 vcc, exec, s[2:3]
	s_cbranch_vccnz .LBB77_299
; %bb.296:
	s_load_dwordx2 s[2:3], s[0:1], 0x1c
	s_load_dword s6, s[0:1], 0x24
	s_load_dwordx2 s[4:5], s[0:1], 0xdc
	s_waitcnt lgkmcnt(0)
	v_mul_hi_u32 v7, s3, v5
	v_add_u32_e32 v7, v5, v7
	v_lshrrev_b32_e32 v7, s6, v7
	v_mul_lo_u32 v7, v7, s2
	s_load_dword s2, s[0:1], 0xe4
	v_sub_u32_e32 v5, v5, v7
	v_mad_u64_u32 v[28:29], s[0:1], v5, s4, v[28:29]
	v_mad_u64_u32 v[33:34], s[0:1], v5, s5, v[33:34]
	s_waitcnt lgkmcnt(0)
	v_mad_u64_u32 v[35:36], s[0:1], v5, s2, v[35:36]
	s_cbranch_execz .LBB77_300
	s_branch .LBB77_302
.LBB77_297:
                                        ; implicit-def: $vgpr28
                                        ; implicit-def: $vgpr33
                                        ; implicit-def: $vgpr35
	s_branch .LBB77_300
.LBB77_298:
	v_mov_b32_e32 v28, 0
	v_mov_b32_e32 v33, 0
	;; [unrolled: 1-line block ×3, first 2 shown]
.LBB77_299:
	s_cbranch_execnz .LBB77_302
.LBB77_300:
	s_load_dwordx4 s[0:3], s[12:13], 0x4
	s_load_dwordx4 s[4:7], s[12:13], 0xc4
	s_cmp_lt_u32 s33, 2
	s_waitcnt lgkmcnt(0)
	v_mul_hi_u32 v5, s1, v37
	v_add_u32_e32 v5, v37, v5
	v_lshrrev_b32_e32 v5, s2, v5
	v_mul_lo_u32 v7, v5, s0
	v_sub_u32_e32 v7, v37, v7
	v_mul_lo_u32 v28, v7, s4
	v_mul_lo_u32 v33, v7, s5
	;; [unrolled: 1-line block ×3, first 2 shown]
	s_cbranch_scc1 .LBB77_302
; %bb.301:
	s_load_dwordx4 s[0:3], s[12:13], 0x10
	s_load_dwordx4 s[4:7], s[12:13], 0xd0
	s_waitcnt lgkmcnt(0)
	v_mul_hi_u32 v7, s1, v5
	v_add_u32_e32 v7, v5, v7
	v_lshrrev_b32_e32 v7, s2, v7
	v_mul_lo_u32 v7, v7, s0
	v_sub_u32_e32 v5, v5, v7
	v_mad_u64_u32 v[28:29], s[0:1], v5, s4, v[28:29]
	v_mad_u64_u32 v[33:34], s[0:1], v5, s5, v[33:34]
	;; [unrolled: 1-line block ×3, first 2 shown]
.LBB77_302:
	s_load_dwordx4 s[0:3], s[12:13], 0x188
	s_load_dwordx2 s[6:7], s[12:13], 0x198
	s_load_dword s26, s[12:13], 0x1a0
	s_mov_b64 s[8:9], 0
	s_waitcnt lgkmcnt(0)
	global_load_ushort v5, v8, s[2:3]
	global_load_ushort v7, v6, s[6:7]
	s_cmp_lt_i32 s26, 1
	s_cbranch_scc1 .LBB77_306
; %bb.303:
	s_cmp_gt_i32 s26, 1
	s_cbranch_scc0 .LBB77_307
; %bb.304:
	s_cmp_eq_u32 s26, 2
	s_cbranch_scc0 .LBB77_308
; %bb.305:
	s_waitcnt vmcnt(0)
	v_cmp_le_i16_e64 s[4:5], v5, v7
	s_mov_b64 s[10:11], 0
	s_branch .LBB77_309
.LBB77_306:
                                        ; implicit-def: $sgpr4_sgpr5
	s_mov_b64 s[10:11], 0
	s_cbranch_execnz .LBB77_312
	s_branch .LBB77_313
.LBB77_307:
	s_mov_b64 s[10:11], 0
                                        ; implicit-def: $sgpr4_sgpr5
	s_cbranch_execnz .LBB77_310
	s_branch .LBB77_311
.LBB77_308:
	s_mov_b64 s[10:11], -1
                                        ; implicit-def: $sgpr4_sgpr5
.LBB77_309:
	s_branch .LBB77_311
.LBB77_310:
	s_waitcnt vmcnt(0)
	v_cmp_gt_i16_e32 vcc, v5, v7
	s_andn2_b64 s[4:5], s[4:5], exec
	s_and_b64 s[12:13], vcc, exec
	s_or_b64 s[4:5], s[4:5], s[12:13]
.LBB77_311:
	s_branch .LBB77_313
.LBB77_312:
	s_cmp_lg_u32 s26, 0
	s_mov_b64 s[8:9], -1
	s_cselect_b64 s[10:11], -1, 0
.LBB77_313:
	s_andn2_b64 vcc, exec, s[10:11]
	s_cbranch_vccz .LBB77_320
; %bb.314:
	s_andn2_b64 vcc, exec, s[8:9]
	s_cbranch_vccnz .LBB77_316
.LBB77_315:
	s_waitcnt vmcnt(0)
	v_cmp_ge_i16_e32 vcc, v5, v7
	s_andn2_b64 s[4:5], s[4:5], exec
	s_and_b64 s[8:9], vcc, exec
	s_or_b64 s[4:5], s[4:5], s[8:9]
.LBB77_316:
	global_load_ushort v5, v11, s[2:3]
	global_load_ushort v6, v9, s[6:7]
	s_cmp_lt_i32 s26, 1
	s_mov_b64 s[10:11], 0
	s_cbranch_scc1 .LBB77_321
; %bb.317:
	s_cmp_gt_i32 s26, 1
	s_cbranch_scc0 .LBB77_322
; %bb.318:
	s_cmp_eq_u32 s26, 2
	s_cbranch_scc0 .LBB77_323
; %bb.319:
	s_waitcnt vmcnt(0)
	v_cmp_le_i16_e64 s[8:9], v5, v6
	s_mov_b64 s[12:13], 0
	s_branch .LBB77_324
.LBB77_320:
	s_waitcnt vmcnt(0)
	v_cmp_lt_i16_e32 vcc, v5, v7
	s_andn2_b64 s[4:5], s[4:5], exec
	s_and_b64 s[10:11], vcc, exec
	s_or_b64 s[4:5], s[4:5], s[10:11]
	s_cbranch_execz .LBB77_315
	s_branch .LBB77_316
.LBB77_321:
                                        ; implicit-def: $sgpr8_sgpr9
	s_mov_b64 s[12:13], 0
	s_cbranch_execnz .LBB77_327
	s_branch .LBB77_328
.LBB77_322:
	s_mov_b64 s[12:13], 0
                                        ; implicit-def: $sgpr8_sgpr9
	s_cbranch_execnz .LBB77_325
	s_branch .LBB77_326
.LBB77_323:
	s_mov_b64 s[12:13], -1
                                        ; implicit-def: $sgpr8_sgpr9
.LBB77_324:
	s_branch .LBB77_326
.LBB77_325:
	s_waitcnt vmcnt(0)
	v_cmp_gt_i16_e32 vcc, v5, v6
	s_andn2_b64 s[8:9], s[8:9], exec
	s_and_b64 s[14:15], vcc, exec
	s_or_b64 s[8:9], s[8:9], s[14:15]
.LBB77_326:
	s_branch .LBB77_328
.LBB77_327:
	s_cmp_lg_u32 s26, 0
	s_mov_b64 s[10:11], -1
	s_cselect_b64 s[12:13], -1, 0
.LBB77_328:
	s_andn2_b64 vcc, exec, s[12:13]
	s_cbranch_vccz .LBB77_335
; %bb.329:
	s_andn2_b64 vcc, exec, s[10:11]
	s_cbranch_vccnz .LBB77_331
.LBB77_330:
	s_waitcnt vmcnt(0)
	v_cmp_ge_i16_e32 vcc, v5, v6
	s_andn2_b64 s[8:9], s[8:9], exec
	s_and_b64 s[10:11], vcc, exec
	s_or_b64 s[8:9], s[8:9], s[10:11]
.LBB77_331:
	global_load_ushort v5, v16, s[2:3]
	global_load_ushort v6, v14, s[6:7]
	s_cmp_lt_i32 s26, 1
	s_mov_b64 s[12:13], 0
	s_cbranch_scc1 .LBB77_336
; %bb.332:
	s_cmp_gt_i32 s26, 1
	s_cbranch_scc0 .LBB77_337
; %bb.333:
	s_cmp_eq_u32 s26, 2
	s_cbranch_scc0 .LBB77_338
; %bb.334:
	s_waitcnt vmcnt(0)
	v_cmp_le_i16_e64 s[10:11], v5, v6
	s_mov_b64 s[14:15], 0
	s_branch .LBB77_339
.LBB77_335:
	s_waitcnt vmcnt(0)
	v_cmp_lt_i16_e32 vcc, v5, v6
	s_andn2_b64 s[8:9], s[8:9], exec
	s_and_b64 s[12:13], vcc, exec
	s_or_b64 s[8:9], s[8:9], s[12:13]
	s_cbranch_execz .LBB77_330
	s_branch .LBB77_331
.LBB77_336:
                                        ; implicit-def: $sgpr10_sgpr11
	s_mov_b64 s[14:15], 0
	s_cbranch_execnz .LBB77_342
	s_branch .LBB77_343
.LBB77_337:
	s_mov_b64 s[14:15], 0
                                        ; implicit-def: $sgpr10_sgpr11
	s_cbranch_execnz .LBB77_340
	s_branch .LBB77_341
.LBB77_338:
	s_mov_b64 s[14:15], -1
                                        ; implicit-def: $sgpr10_sgpr11
.LBB77_339:
	s_branch .LBB77_341
.LBB77_340:
	s_waitcnt vmcnt(0)
	v_cmp_gt_i16_e32 vcc, v5, v6
	s_andn2_b64 s[10:11], s[10:11], exec
	s_and_b64 s[16:17], vcc, exec
	s_or_b64 s[10:11], s[10:11], s[16:17]
.LBB77_341:
	s_branch .LBB77_343
.LBB77_342:
	s_cmp_lg_u32 s26, 0
	s_mov_b64 s[12:13], -1
	s_cselect_b64 s[14:15], -1, 0
.LBB77_343:
	s_andn2_b64 vcc, exec, s[14:15]
	s_cbranch_vccz .LBB77_350
; %bb.344:
	s_andn2_b64 vcc, exec, s[12:13]
	s_cbranch_vccnz .LBB77_346
.LBB77_345:
	s_waitcnt vmcnt(0)
	v_cmp_ge_i16_e32 vcc, v5, v6
	s_andn2_b64 s[10:11], s[10:11], exec
	s_and_b64 s[12:13], vcc, exec
	s_or_b64 s[10:11], s[10:11], s[12:13]
.LBB77_346:
	global_load_ushort v5, v19, s[2:3]
	global_load_ushort v6, v17, s[6:7]
	s_cmp_lt_i32 s26, 1
	s_mov_b64 s[14:15], 0
	s_cbranch_scc1 .LBB77_351
; %bb.347:
	s_cmp_gt_i32 s26, 1
	s_cbranch_scc0 .LBB77_352
; %bb.348:
	s_cmp_eq_u32 s26, 2
	s_cbranch_scc0 .LBB77_353
; %bb.349:
	s_waitcnt vmcnt(0)
	v_cmp_le_i16_e64 s[12:13], v5, v6
	s_mov_b64 s[16:17], 0
	s_branch .LBB77_354
.LBB77_350:
	s_waitcnt vmcnt(0)
	v_cmp_lt_i16_e32 vcc, v5, v6
	s_andn2_b64 s[10:11], s[10:11], exec
	s_and_b64 s[14:15], vcc, exec
	s_or_b64 s[10:11], s[10:11], s[14:15]
	s_cbranch_execz .LBB77_345
	s_branch .LBB77_346
.LBB77_351:
                                        ; implicit-def: $sgpr12_sgpr13
	s_mov_b64 s[16:17], 0
	s_cbranch_execnz .LBB77_357
	s_branch .LBB77_358
.LBB77_352:
	s_mov_b64 s[16:17], 0
                                        ; implicit-def: $sgpr12_sgpr13
	s_cbranch_execnz .LBB77_355
	s_branch .LBB77_356
.LBB77_353:
	s_mov_b64 s[16:17], -1
                                        ; implicit-def: $sgpr12_sgpr13
.LBB77_354:
	s_branch .LBB77_356
.LBB77_355:
	s_waitcnt vmcnt(0)
	v_cmp_gt_i16_e32 vcc, v5, v6
	s_andn2_b64 s[12:13], s[12:13], exec
	s_and_b64 s[18:19], vcc, exec
	s_or_b64 s[12:13], s[12:13], s[18:19]
.LBB77_356:
	s_branch .LBB77_358
.LBB77_357:
	s_cmp_lg_u32 s26, 0
	s_mov_b64 s[14:15], -1
	s_cselect_b64 s[16:17], -1, 0
.LBB77_358:
	s_andn2_b64 vcc, exec, s[16:17]
	s_cbranch_vccz .LBB77_365
; %bb.359:
	s_andn2_b64 vcc, exec, s[14:15]
	s_cbranch_vccnz .LBB77_361
.LBB77_360:
	s_waitcnt vmcnt(0)
	v_cmp_ge_i16_e32 vcc, v5, v6
	s_andn2_b64 s[12:13], s[12:13], exec
	s_and_b64 s[14:15], vcc, exec
	s_or_b64 s[12:13], s[12:13], s[14:15]
.LBB77_361:
	global_load_ushort v5, v24, s[2:3]
	global_load_ushort v6, v22, s[6:7]
	s_cmp_lt_i32 s26, 1
	s_mov_b64 s[16:17], 0
	s_cbranch_scc1 .LBB77_366
; %bb.362:
	s_cmp_gt_i32 s26, 1
	s_cbranch_scc0 .LBB77_367
; %bb.363:
	s_cmp_eq_u32 s26, 2
	s_cbranch_scc0 .LBB77_368
; %bb.364:
	s_waitcnt vmcnt(0)
	v_cmp_le_i16_e64 s[14:15], v5, v6
	s_mov_b64 s[18:19], 0
	s_branch .LBB77_369
.LBB77_365:
	s_waitcnt vmcnt(0)
	v_cmp_lt_i16_e32 vcc, v5, v6
	s_andn2_b64 s[12:13], s[12:13], exec
	s_and_b64 s[16:17], vcc, exec
	s_or_b64 s[12:13], s[12:13], s[16:17]
	s_cbranch_execz .LBB77_360
	s_branch .LBB77_361
.LBB77_366:
                                        ; implicit-def: $sgpr14_sgpr15
	s_mov_b64 s[18:19], 0
	s_cbranch_execnz .LBB77_372
	s_branch .LBB77_373
.LBB77_367:
	s_mov_b64 s[18:19], 0
                                        ; implicit-def: $sgpr14_sgpr15
	s_cbranch_execnz .LBB77_370
	s_branch .LBB77_371
.LBB77_368:
	s_mov_b64 s[18:19], -1
                                        ; implicit-def: $sgpr14_sgpr15
.LBB77_369:
	s_branch .LBB77_371
.LBB77_370:
	s_waitcnt vmcnt(0)
	v_cmp_gt_i16_e32 vcc, v5, v6
	s_andn2_b64 s[14:15], s[14:15], exec
	s_and_b64 s[20:21], vcc, exec
	s_or_b64 s[14:15], s[14:15], s[20:21]
.LBB77_371:
	s_branch .LBB77_373
.LBB77_372:
	s_cmp_lg_u32 s26, 0
	s_mov_b64 s[16:17], -1
	s_cselect_b64 s[18:19], -1, 0
.LBB77_373:
	s_andn2_b64 vcc, exec, s[18:19]
	s_cbranch_vccz .LBB77_380
; %bb.374:
	s_andn2_b64 vcc, exec, s[16:17]
	s_cbranch_vccnz .LBB77_376
.LBB77_375:
	s_waitcnt vmcnt(0)
	v_cmp_ge_i16_e32 vcc, v5, v6
	s_andn2_b64 s[14:15], s[14:15], exec
	s_and_b64 s[16:17], vcc, exec
	s_or_b64 s[14:15], s[14:15], s[16:17]
.LBB77_376:
	global_load_ushort v5, v27, s[2:3]
	global_load_ushort v6, v25, s[6:7]
	s_cmp_lt_i32 s26, 1
	s_mov_b64 s[18:19], 0
	s_cbranch_scc1 .LBB77_381
; %bb.377:
	s_cmp_gt_i32 s26, 1
	s_cbranch_scc0 .LBB77_382
; %bb.378:
	s_cmp_eq_u32 s26, 2
	s_cbranch_scc0 .LBB77_383
; %bb.379:
	s_waitcnt vmcnt(0)
	v_cmp_le_i16_e64 s[16:17], v5, v6
	s_mov_b64 s[20:21], 0
	s_branch .LBB77_384
.LBB77_380:
	s_waitcnt vmcnt(0)
	v_cmp_lt_i16_e32 vcc, v5, v6
	s_andn2_b64 s[14:15], s[14:15], exec
	s_and_b64 s[18:19], vcc, exec
	s_or_b64 s[14:15], s[14:15], s[18:19]
	s_cbranch_execz .LBB77_375
	s_branch .LBB77_376
.LBB77_381:
                                        ; implicit-def: $sgpr16_sgpr17
	s_mov_b64 s[20:21], 0
	s_cbranch_execnz .LBB77_387
	s_branch .LBB77_388
.LBB77_382:
	s_mov_b64 s[20:21], 0
                                        ; implicit-def: $sgpr16_sgpr17
	s_cbranch_execnz .LBB77_385
	s_branch .LBB77_386
.LBB77_383:
	s_mov_b64 s[20:21], -1
                                        ; implicit-def: $sgpr16_sgpr17
.LBB77_384:
	s_branch .LBB77_386
.LBB77_385:
	s_waitcnt vmcnt(0)
	v_cmp_gt_i16_e32 vcc, v5, v6
	s_andn2_b64 s[16:17], s[16:17], exec
	s_and_b64 s[22:23], vcc, exec
	s_or_b64 s[16:17], s[16:17], s[22:23]
.LBB77_386:
	s_branch .LBB77_388
.LBB77_387:
	s_cmp_lg_u32 s26, 0
	s_mov_b64 s[18:19], -1
	s_cselect_b64 s[20:21], -1, 0
.LBB77_388:
	s_andn2_b64 vcc, exec, s[20:21]
	s_cbranch_vccz .LBB77_395
; %bb.389:
	s_andn2_b64 vcc, exec, s[18:19]
	s_cbranch_vccnz .LBB77_391
.LBB77_390:
	s_waitcnt vmcnt(0)
	v_cmp_ge_i16_e32 vcc, v5, v6
	s_andn2_b64 s[16:17], s[16:17], exec
	s_and_b64 s[18:19], vcc, exec
	s_or_b64 s[16:17], s[16:17], s[18:19]
.LBB77_391:
	global_load_ushort v5, v32, s[2:3]
	global_load_ushort v6, v30, s[6:7]
	s_cmp_lt_i32 s26, 1
	s_mov_b64 s[20:21], 0
	s_cbranch_scc1 .LBB77_396
; %bb.392:
	s_cmp_gt_i32 s26, 1
	s_cbranch_scc0 .LBB77_397
; %bb.393:
	s_cmp_eq_u32 s26, 2
	s_cbranch_scc0 .LBB77_398
; %bb.394:
	s_waitcnt vmcnt(0)
	v_cmp_le_i16_e64 s[18:19], v5, v6
	s_mov_b64 s[22:23], 0
	s_branch .LBB77_399
.LBB77_395:
	s_waitcnt vmcnt(0)
	v_cmp_lt_i16_e32 vcc, v5, v6
	s_andn2_b64 s[16:17], s[16:17], exec
	s_and_b64 s[20:21], vcc, exec
	s_or_b64 s[16:17], s[16:17], s[20:21]
	s_cbranch_execz .LBB77_390
	s_branch .LBB77_391
.LBB77_396:
                                        ; implicit-def: $sgpr18_sgpr19
	s_mov_b64 s[22:23], 0
	s_cbranch_execnz .LBB77_402
	s_branch .LBB77_403
.LBB77_397:
	s_mov_b64 s[22:23], 0
                                        ; implicit-def: $sgpr18_sgpr19
	s_cbranch_execnz .LBB77_400
	s_branch .LBB77_401
.LBB77_398:
	s_mov_b64 s[22:23], -1
                                        ; implicit-def: $sgpr18_sgpr19
.LBB77_399:
	s_branch .LBB77_401
.LBB77_400:
	s_waitcnt vmcnt(0)
	v_cmp_gt_i16_e32 vcc, v5, v6
	s_andn2_b64 s[18:19], s[18:19], exec
	s_and_b64 s[24:25], vcc, exec
	s_or_b64 s[18:19], s[18:19], s[24:25]
.LBB77_401:
	s_branch .LBB77_403
.LBB77_402:
	s_cmp_lg_u32 s26, 0
	s_mov_b64 s[20:21], -1
	s_cselect_b64 s[22:23], -1, 0
.LBB77_403:
	s_andn2_b64 vcc, exec, s[22:23]
	s_cbranch_vccz .LBB77_410
; %bb.404:
	s_andn2_b64 vcc, exec, s[20:21]
	s_cbranch_vccnz .LBB77_406
.LBB77_405:
	s_waitcnt vmcnt(0)
	v_cmp_ge_i16_e32 vcc, v5, v6
	s_andn2_b64 s[18:19], s[18:19], exec
	s_and_b64 s[20:21], vcc, exec
	s_or_b64 s[18:19], s[18:19], s[20:21]
.LBB77_406:
	global_load_ushort v5, v33, s[2:3]
	global_load_ushort v6, v35, s[6:7]
	s_cmp_lt_i32 s26, 1
	s_mov_b64 s[6:7], 0
	s_cbranch_scc1 .LBB77_411
; %bb.407:
	s_cmp_gt_i32 s26, 1
	s_cbranch_scc0 .LBB77_412
; %bb.408:
	s_cmp_eq_u32 s26, 2
	s_cbranch_scc0 .LBB77_413
; %bb.409:
	s_waitcnt vmcnt(0)
	v_cmp_le_i16_e64 s[2:3], v5, v6
	s_mov_b64 s[20:21], 0
	s_branch .LBB77_414
.LBB77_410:
	s_waitcnt vmcnt(0)
	v_cmp_lt_i16_e32 vcc, v5, v6
	s_andn2_b64 s[18:19], s[18:19], exec
	s_and_b64 s[22:23], vcc, exec
	s_or_b64 s[18:19], s[18:19], s[22:23]
	s_cbranch_execz .LBB77_405
	s_branch .LBB77_406
.LBB77_411:
                                        ; implicit-def: $sgpr2_sgpr3
	s_mov_b64 s[20:21], 0
	s_cbranch_execnz .LBB77_417
	s_branch .LBB77_418
.LBB77_412:
	s_mov_b64 s[20:21], 0
                                        ; implicit-def: $sgpr2_sgpr3
	s_cbranch_execnz .LBB77_415
	s_branch .LBB77_416
.LBB77_413:
	s_mov_b64 s[20:21], -1
                                        ; implicit-def: $sgpr2_sgpr3
.LBB77_414:
	s_branch .LBB77_416
.LBB77_415:
	s_waitcnt vmcnt(0)
	v_cmp_gt_i16_e32 vcc, v5, v6
	s_andn2_b64 s[2:3], s[2:3], exec
	s_and_b64 s[22:23], vcc, exec
	s_or_b64 s[2:3], s[2:3], s[22:23]
.LBB77_416:
	s_branch .LBB77_418
.LBB77_417:
	s_cmp_lg_u32 s26, 0
	s_mov_b64 s[6:7], -1
	s_cselect_b64 s[20:21], -1, 0
.LBB77_418:
	s_andn2_b64 vcc, exec, s[20:21]
	s_cbranch_vccz .LBB77_422
; %bb.419:
	s_andn2_b64 vcc, exec, s[6:7]
	s_cbranch_vccnz .LBB77_421
.LBB77_420:
	s_waitcnt vmcnt(0)
	v_cmp_ge_i16_e32 vcc, v5, v6
	s_andn2_b64 s[2:3], s[2:3], exec
	s_and_b64 s[6:7], vcc, exec
	s_or_b64 s[2:3], s[2:3], s[6:7]
.LBB77_421:
	v_cndmask_b32_e64 v11, 0, 1, s[4:5]
	s_waitcnt vmcnt(1)
	v_cndmask_b32_e64 v5, 0, 1, s[18:19]
	s_waitcnt vmcnt(0)
	v_cndmask_b32_e64 v6, 0, 1, s[16:17]
	v_cndmask_b32_e64 v7, 0, 1, s[14:15]
	;; [unrolled: 1-line block ×6, first 2 shown]
	global_store_byte v0, v11, s[0:1]
	global_store_byte v1, v10, s[0:1]
	;; [unrolled: 1-line block ×8, first 2 shown]
	s_endpgm
.LBB77_422:
	s_waitcnt vmcnt(0)
	v_cmp_lt_i16_e32 vcc, v5, v6
	s_andn2_b64 s[2:3], s[2:3], exec
	s_and_b64 s[20:21], vcc, exec
	s_or_b64 s[2:3], s[2:3], s[20:21]
	s_cbranch_execz .LBB77_420
	s_branch .LBB77_421
.LBB77_423:
	s_mov_b64 s[36:37], -1
                                        ; implicit-def: $sgpr34_sgpr35
	s_branch .LBB77_54
.LBB77_424:
	s_mov_b64 s[36:37], -1
                                        ; implicit-def: $sgpr34_sgpr35
	s_branch .LBB77_79
.LBB77_425:
	s_mov_b64 s[36:37], -1
                                        ; implicit-def: $sgpr34_sgpr35
	s_branch .LBB77_104
.LBB77_426:
	s_mov_b64 s[36:37], -1
                                        ; implicit-def: $sgpr34_sgpr35
	s_branch .LBB77_129
.LBB77_427:
	s_mov_b64 s[36:37], -1
                                        ; implicit-def: $sgpr34_sgpr35
	s_branch .LBB77_154
.LBB77_428:
	s_mov_b64 s[36:37], -1
                                        ; implicit-def: $sgpr34_sgpr35
	s_branch .LBB77_179
.LBB77_429:
	s_mov_b64 s[6:7], -1
                                        ; implicit-def: $sgpr4_sgpr5
	s_branch .LBB77_204
	.section	.rodata,"a",@progbits
	.p2align	6, 0x0
	.amdhsa_kernel _ZN2at6native32elementwise_kernel_manual_unrollILi128ELi8EZNS0_22gpu_kernel_impl_nocastINS0_12_GLOBAL__N_114CompareFunctorIsEEEEvRNS_18TensorIteratorBaseERKT_EUlibE_EEviT1_
		.amdhsa_group_segment_fixed_size 0
		.amdhsa_private_segment_fixed_size 0
		.amdhsa_kernarg_size 432
		.amdhsa_user_sgpr_count 6
		.amdhsa_user_sgpr_private_segment_buffer 1
		.amdhsa_user_sgpr_dispatch_ptr 0
		.amdhsa_user_sgpr_queue_ptr 0
		.amdhsa_user_sgpr_kernarg_segment_ptr 1
		.amdhsa_user_sgpr_dispatch_id 0
		.amdhsa_user_sgpr_flat_scratch_init 0
		.amdhsa_user_sgpr_private_segment_size 0
		.amdhsa_uses_dynamic_stack 0
		.amdhsa_system_sgpr_private_segment_wavefront_offset 0
		.amdhsa_system_sgpr_workgroup_id_x 1
		.amdhsa_system_sgpr_workgroup_id_y 0
		.amdhsa_system_sgpr_workgroup_id_z 0
		.amdhsa_system_sgpr_workgroup_info 0
		.amdhsa_system_vgpr_workitem_id 0
		.amdhsa_next_free_vgpr 38
		.amdhsa_next_free_sgpr 52
		.amdhsa_reserve_vcc 1
		.amdhsa_reserve_flat_scratch 0
		.amdhsa_float_round_mode_32 0
		.amdhsa_float_round_mode_16_64 0
		.amdhsa_float_denorm_mode_32 3
		.amdhsa_float_denorm_mode_16_64 3
		.amdhsa_dx10_clamp 1
		.amdhsa_ieee_mode 1
		.amdhsa_fp16_overflow 0
		.amdhsa_exception_fp_ieee_invalid_op 0
		.amdhsa_exception_fp_denorm_src 0
		.amdhsa_exception_fp_ieee_div_zero 0
		.amdhsa_exception_fp_ieee_overflow 0
		.amdhsa_exception_fp_ieee_underflow 0
		.amdhsa_exception_fp_ieee_inexact 0
		.amdhsa_exception_int_div_zero 0
	.end_amdhsa_kernel
	.section	.text._ZN2at6native32elementwise_kernel_manual_unrollILi128ELi8EZNS0_22gpu_kernel_impl_nocastINS0_12_GLOBAL__N_114CompareFunctorIsEEEEvRNS_18TensorIteratorBaseERKT_EUlibE_EEviT1_,"axG",@progbits,_ZN2at6native32elementwise_kernel_manual_unrollILi128ELi8EZNS0_22gpu_kernel_impl_nocastINS0_12_GLOBAL__N_114CompareFunctorIsEEEEvRNS_18TensorIteratorBaseERKT_EUlibE_EEviT1_,comdat
.Lfunc_end77:
	.size	_ZN2at6native32elementwise_kernel_manual_unrollILi128ELi8EZNS0_22gpu_kernel_impl_nocastINS0_12_GLOBAL__N_114CompareFunctorIsEEEEvRNS_18TensorIteratorBaseERKT_EUlibE_EEviT1_, .Lfunc_end77-_ZN2at6native32elementwise_kernel_manual_unrollILi128ELi8EZNS0_22gpu_kernel_impl_nocastINS0_12_GLOBAL__N_114CompareFunctorIsEEEEvRNS_18TensorIteratorBaseERKT_EUlibE_EEviT1_
                                        ; -- End function
	.set _ZN2at6native32elementwise_kernel_manual_unrollILi128ELi8EZNS0_22gpu_kernel_impl_nocastINS0_12_GLOBAL__N_114CompareFunctorIsEEEEvRNS_18TensorIteratorBaseERKT_EUlibE_EEviT1_.num_vgpr, 38
	.set _ZN2at6native32elementwise_kernel_manual_unrollILi128ELi8EZNS0_22gpu_kernel_impl_nocastINS0_12_GLOBAL__N_114CompareFunctorIsEEEEvRNS_18TensorIteratorBaseERKT_EUlibE_EEviT1_.num_agpr, 0
	.set _ZN2at6native32elementwise_kernel_manual_unrollILi128ELi8EZNS0_22gpu_kernel_impl_nocastINS0_12_GLOBAL__N_114CompareFunctorIsEEEEvRNS_18TensorIteratorBaseERKT_EUlibE_EEviT1_.numbered_sgpr, 52
	.set _ZN2at6native32elementwise_kernel_manual_unrollILi128ELi8EZNS0_22gpu_kernel_impl_nocastINS0_12_GLOBAL__N_114CompareFunctorIsEEEEvRNS_18TensorIteratorBaseERKT_EUlibE_EEviT1_.num_named_barrier, 0
	.set _ZN2at6native32elementwise_kernel_manual_unrollILi128ELi8EZNS0_22gpu_kernel_impl_nocastINS0_12_GLOBAL__N_114CompareFunctorIsEEEEvRNS_18TensorIteratorBaseERKT_EUlibE_EEviT1_.private_seg_size, 0
	.set _ZN2at6native32elementwise_kernel_manual_unrollILi128ELi8EZNS0_22gpu_kernel_impl_nocastINS0_12_GLOBAL__N_114CompareFunctorIsEEEEvRNS_18TensorIteratorBaseERKT_EUlibE_EEviT1_.uses_vcc, 1
	.set _ZN2at6native32elementwise_kernel_manual_unrollILi128ELi8EZNS0_22gpu_kernel_impl_nocastINS0_12_GLOBAL__N_114CompareFunctorIsEEEEvRNS_18TensorIteratorBaseERKT_EUlibE_EEviT1_.uses_flat_scratch, 0
	.set _ZN2at6native32elementwise_kernel_manual_unrollILi128ELi8EZNS0_22gpu_kernel_impl_nocastINS0_12_GLOBAL__N_114CompareFunctorIsEEEEvRNS_18TensorIteratorBaseERKT_EUlibE_EEviT1_.has_dyn_sized_stack, 0
	.set _ZN2at6native32elementwise_kernel_manual_unrollILi128ELi8EZNS0_22gpu_kernel_impl_nocastINS0_12_GLOBAL__N_114CompareFunctorIsEEEEvRNS_18TensorIteratorBaseERKT_EUlibE_EEviT1_.has_recursion, 0
	.set _ZN2at6native32elementwise_kernel_manual_unrollILi128ELi8EZNS0_22gpu_kernel_impl_nocastINS0_12_GLOBAL__N_114CompareFunctorIsEEEEvRNS_18TensorIteratorBaseERKT_EUlibE_EEviT1_.has_indirect_call, 0
	.section	.AMDGPU.csdata,"",@progbits
; Kernel info:
; codeLenInByte = 12132
; TotalNumSgprs: 56
; NumVgprs: 38
; ScratchSize: 0
; MemoryBound: 0
; FloatMode: 240
; IeeeMode: 1
; LDSByteSize: 0 bytes/workgroup (compile time only)
; SGPRBlocks: 6
; VGPRBlocks: 9
; NumSGPRsForWavesPerEU: 56
; NumVGPRsForWavesPerEU: 38
; Occupancy: 6
; WaveLimiterHint : 1
; COMPUTE_PGM_RSRC2:SCRATCH_EN: 0
; COMPUTE_PGM_RSRC2:USER_SGPR: 6
; COMPUTE_PGM_RSRC2:TRAP_HANDLER: 0
; COMPUTE_PGM_RSRC2:TGID_X_EN: 1
; COMPUTE_PGM_RSRC2:TGID_Y_EN: 0
; COMPUTE_PGM_RSRC2:TGID_Z_EN: 0
; COMPUTE_PGM_RSRC2:TIDIG_COMP_CNT: 0
	.section	.text._ZN2at6native32elementwise_kernel_manual_unrollILi128ELi4EZNS0_15gpu_kernel_implINS0_12_GLOBAL__N_114CompareFunctorIsEEEEvRNS_18TensorIteratorBaseERKT_EUlibE_EEviT1_,"axG",@progbits,_ZN2at6native32elementwise_kernel_manual_unrollILi128ELi4EZNS0_15gpu_kernel_implINS0_12_GLOBAL__N_114CompareFunctorIsEEEEvRNS_18TensorIteratorBaseERKT_EUlibE_EEviT1_,comdat
	.globl	_ZN2at6native32elementwise_kernel_manual_unrollILi128ELi4EZNS0_15gpu_kernel_implINS0_12_GLOBAL__N_114CompareFunctorIsEEEEvRNS_18TensorIteratorBaseERKT_EUlibE_EEviT1_ ; -- Begin function _ZN2at6native32elementwise_kernel_manual_unrollILi128ELi4EZNS0_15gpu_kernel_implINS0_12_GLOBAL__N_114CompareFunctorIsEEEEvRNS_18TensorIteratorBaseERKT_EUlibE_EEviT1_
	.p2align	8
	.type	_ZN2at6native32elementwise_kernel_manual_unrollILi128ELi4EZNS0_15gpu_kernel_implINS0_12_GLOBAL__N_114CompareFunctorIsEEEEvRNS_18TensorIteratorBaseERKT_EUlibE_EEviT1_,@function
_ZN2at6native32elementwise_kernel_manual_unrollILi128ELi4EZNS0_15gpu_kernel_implINS0_12_GLOBAL__N_114CompareFunctorIsEEEEvRNS_18TensorIteratorBaseERKT_EUlibE_EEviT1_: ; @_ZN2at6native32elementwise_kernel_manual_unrollILi128ELi4EZNS0_15gpu_kernel_implINS0_12_GLOBAL__N_114CompareFunctorIsEEEEvRNS_18TensorIteratorBaseERKT_EUlibE_EEviT1_
; %bb.0:
	s_load_dword s33, s[4:5], 0x30
	s_load_dword s48, s[4:5], 0x0
	s_load_dwordx4 s[8:11], s[4:5], 0x8
	s_load_dwordx2 s[2:3], s[4:5], 0x18
	s_load_dwordx4 s[12:15], s[4:5], 0x20
	v_lshl_or_b32 v5, s6, 9, v0
	v_or_b32_e32 v0, 0x180, v5
	s_waitcnt lgkmcnt(0)
	s_lshr_b32 s55, s33, 8
	s_lshr_b32 s54, s33, 16
	v_cmp_le_i32_e32 vcc, s48, v0
	s_mov_b64 s[4:5], 0
	s_mov_b64 s[16:17], 0
	s_and_saveexec_b64 s[0:1], vcc
	s_xor_b64 s[6:7], exec, s[0:1]
	s_cbranch_execz .LBB78_1578
; %bb.1:
	v_cmp_gt_i32_e32 vcc, s48, v5
	s_mov_b64 s[0:1], -1
	s_mov_b64 s[26:27], 0
	s_mov_b64 s[20:21], 0
	;; [unrolled: 1-line block ×3, first 2 shown]
	s_and_saveexec_b64 s[22:23], vcc
	s_cbranch_execz .LBB78_391
; %bb.2:
	v_mul_lo_u32 v0, v5, s13
	v_mov_b32_e32 v1, s11
	s_and_b32 s18, s55, 0xff
	s_cmp_lt_i32 s18, 11
	v_ashrrev_i32_e32 v3, 31, v0
	v_add_co_u32_e32 v2, vcc, s10, v0
	v_addc_co_u32_e32 v3, vcc, v1, v3, vcc
	s_cbranch_scc1 .LBB78_9
; %bb.3:
	s_and_b32 s19, 0xffff, s18
	s_cmp_gt_i32 s19, 25
	s_cbranch_scc0 .LBB78_18
; %bb.4:
	s_cmp_gt_i32 s19, 28
	s_cbranch_scc0 .LBB78_25
; %bb.5:
	;; [unrolled: 3-line block ×4, first 2 shown]
	s_cmp_eq_u32 s19, 46
	s_cbranch_scc0 .LBB78_53
; %bb.8:
	global_load_dword v0, v[2:3], off
	s_waitcnt vmcnt(0)
	v_lshlrev_b32_e32 v0, 16, v0
	v_cvt_i32_f32_e32 v0, v0
	s_branch .LBB78_55
.LBB78_9:
                                        ; implicit-def: $vgpr0
	s_mov_b64 s[0:1], 0
	s_cbranch_execnz .LBB78_117
.LBB78_10:
	s_andn2_b64 vcc, exec, s[0:1]
	s_cbranch_vccnz .LBB78_164
.LBB78_11:
	s_waitcnt vmcnt(0)
	v_mul_lo_u32 v1, v5, s14
	v_mov_b32_e32 v2, s3
	s_and_b32 s24, s54, 0xff
	s_cmp_lt_i32 s24, 11
	v_ashrrev_i32_e32 v3, 31, v1
	v_add_co_u32_e32 v1, vcc, s2, v1
	v_addc_co_u32_e32 v2, vcc, v2, v3, vcc
	s_cbranch_scc1 .LBB78_19
; %bb.12:
	s_and_b32 s25, 0xffff, s24
	s_cmp_gt_i32 s25, 25
	s_cbranch_scc0 .LBB78_26
; %bb.13:
	s_cmp_gt_i32 s25, 28
	s_cbranch_scc0 .LBB78_31
; %bb.14:
	;; [unrolled: 3-line block ×4, first 2 shown]
	s_cmp_eq_u32 s25, 46
	s_mov_b64 s[16:17], 0
	s_cbranch_scc0 .LBB78_165
; %bb.17:
	global_load_dword v3, v[1:2], off
	s_mov_b64 s[0:1], -1
	s_mov_b64 s[18:19], 0
	s_waitcnt vmcnt(0)
	v_lshlrev_b32_e32 v3, 16, v3
	v_cvt_i32_f32_e32 v3, v3
	s_branch .LBB78_167
.LBB78_18:
	s_mov_b64 s[0:1], 0
                                        ; implicit-def: $vgpr0
	s_cbranch_execnz .LBB78_84
	s_branch .LBB78_116
.LBB78_19:
	s_mov_b64 s[18:19], 0
                                        ; implicit-def: $vgpr3
	s_mov_b64 s[0:1], 0
	s_cbranch_execnz .LBB78_340
.LBB78_20:
	s_andn2_b64 vcc, exec, s[0:1]
	s_cbranch_vccnz .LBB78_388
.LBB78_21:
	s_cmp_lt_i32 s15, 1
	s_mov_b64 s[0:1], 0
	s_cbranch_scc1 .LBB78_27
; %bb.22:
	s_cmp_gt_i32 s15, 1
	s_cbranch_scc0 .LBB78_32
; %bb.23:
	s_cmp_eq_u32 s15, 2
	s_cbranch_scc0 .LBB78_35
; %bb.24:
	s_waitcnt vmcnt(0)
	v_cmp_le_i16_e64 s[16:17], v0, v3
	s_mov_b64 s[24:25], 0
	s_branch .LBB78_36
.LBB78_25:
	s_mov_b64 s[16:17], -1
	s_mov_b64 s[0:1], 0
                                        ; implicit-def: $vgpr0
	s_branch .LBB78_67
.LBB78_26:
	s_mov_b64 s[16:17], -1
	s_mov_b64 s[18:19], 0
	s_mov_b64 s[0:1], 0
                                        ; implicit-def: $vgpr3
	s_branch .LBB78_306
.LBB78_27:
                                        ; implicit-def: $sgpr16_sgpr17
	s_mov_b64 s[24:25], 0
	s_cbranch_execnz .LBB78_40
.LBB78_28:
	s_andn2_b64 vcc, exec, s[24:25]
	s_cbranch_vccnz .LBB78_41
.LBB78_29:
	s_waitcnt vmcnt(0)
	v_cmp_lt_i16_e32 vcc, v0, v3
	s_andn2_b64 s[16:17], s[16:17], exec
	s_and_b64 s[24:25], vcc, exec
	s_or_b64 s[16:17], s[16:17], s[24:25]
	s_cbranch_execz .LBB78_42
	s_branch .LBB78_43
.LBB78_30:
	s_mov_b64 s[16:17], -1
	s_mov_b64 s[0:1], 0
                                        ; implicit-def: $vgpr0
	s_branch .LBB78_62
.LBB78_31:
	s_mov_b64 s[16:17], -1
	s_mov_b64 s[18:19], 0
	s_mov_b64 s[0:1], 0
                                        ; implicit-def: $vgpr3
	s_branch .LBB78_289
.LBB78_32:
	s_mov_b64 s[28:29], -1
	s_mov_b64 s[24:25], 0
                                        ; implicit-def: $sgpr16_sgpr17
	s_branch .LBB78_37
.LBB78_33:
	s_mov_b64 s[16:17], -1
	s_branch .LBB78_54
.LBB78_34:
	s_mov_b64 s[16:17], -1
	s_mov_b64 s[18:19], 0
	s_mov_b64 s[0:1], 0
                                        ; implicit-def: $vgpr3
	s_branch .LBB78_284
.LBB78_35:
	s_mov_b64 s[24:25], -1
                                        ; implicit-def: $sgpr16_sgpr17
.LBB78_36:
	s_mov_b64 s[28:29], 0
.LBB78_37:
	s_and_b64 vcc, exec, s[28:29]
	s_cbranch_vccz .LBB78_39
; %bb.38:
	s_waitcnt vmcnt(0)
	v_cmp_gt_i16_e32 vcc, v0, v3
	s_andn2_b64 s[16:17], s[16:17], exec
	s_and_b64 s[28:29], vcc, exec
	s_or_b64 s[16:17], s[16:17], s[28:29]
.LBB78_39:
	s_branch .LBB78_28
.LBB78_40:
	s_cmp_lg_u32 s15, 0
	s_mov_b64 s[0:1], -1
	s_cselect_b64 s[24:25], -1, 0
	s_andn2_b64 vcc, exec, s[24:25]
	s_cbranch_vccz .LBB78_29
.LBB78_41:
	s_andn2_b64 vcc, exec, s[0:1]
	s_cbranch_vccnz .LBB78_43
.LBB78_42:
	s_waitcnt vmcnt(0)
	v_cmp_ge_i16_e32 vcc, v0, v3
	s_andn2_b64 s[0:1], s[16:17], exec
	s_and_b64 s[16:17], vcc, exec
	s_or_b64 s[16:17], s[0:1], s[16:17]
.LBB78_43:
	v_mul_lo_u32 v0, v5, s12
	v_mov_b32_e32 v1, s9
	s_and_b32 s34, s33, 0xff
	s_cmp_lt_i32 s34, 11
	v_ashrrev_i32_e32 v2, 31, v0
	v_add_co_u32_e32 v0, vcc, s8, v0
	v_addc_co_u32_e32 v1, vcc, v1, v2, vcc
	s_cbranch_scc1 .LBB78_50
; %bb.44:
	s_and_b32 s35, 0xffff, s34
	s_cmp_gt_i32 s35, 25
	s_cbranch_scc0 .LBB78_51
; %bb.45:
	s_cmp_gt_i32 s35, 28
	s_cbranch_scc0 .LBB78_52
; %bb.46:
	;; [unrolled: 3-line block ×4, first 2 shown]
	s_mov_b64 s[28:29], 0
	s_mov_b64 s[0:1], -1
	s_cmp_eq_u32 s35, 46
	s_mov_b64 s[24:25], 0
	s_cbranch_scc0 .LBB78_171
; %bb.49:
	v_cndmask_b32_e64 v2, 0, 1.0, s[16:17]
	s_waitcnt vmcnt(0)
	v_bfe_u32 v3, v2, 16, 1
	s_movk_i32 s0, 0x7fff
	v_add3_u32 v2, v2, v3, s0
	v_lshrrev_b32_e32 v2, 16, v2
	global_store_dword v[0:1], v2, off
	s_mov_b64 s[24:25], -1
	s_mov_b64 s[0:1], 0
	s_branch .LBB78_171
.LBB78_50:
	s_mov_b64 s[28:29], -1
	s_mov_b64 s[0:1], 0
	s_mov_b64 s[24:25], 0
	s_branch .LBB78_240
.LBB78_51:
	s_mov_b64 s[28:29], -1
	s_mov_b64 s[0:1], 0
	s_mov_b64 s[24:25], 0
	s_branch .LBB78_198
.LBB78_52:
	s_mov_b64 s[28:29], -1
	s_mov_b64 s[0:1], 0
	s_mov_b64 s[24:25], 0
	s_branch .LBB78_181
.LBB78_53:
	s_mov_b64 s[20:21], -1
.LBB78_54:
	s_mov_b64 s[0:1], 0
                                        ; implicit-def: $vgpr0
.LBB78_55:
	s_and_b64 vcc, exec, s[16:17]
	s_cbranch_vccz .LBB78_61
; %bb.56:
	s_cmp_eq_u32 s19, 44
	s_cbranch_scc0 .LBB78_60
; %bb.57:
	global_load_ubyte v0, v[2:3], off
	s_mov_b64 s[0:1], -1
	s_mov_b64 s[20:21], 0
	s_waitcnt vmcnt(0)
	v_lshlrev_b32_e32 v1, 23, v0
	v_cvt_i32_f32_e32 v1, v1
	v_cmp_ne_u32_e32 vcc, 0, v0
	v_cndmask_b32_e32 v0, 0, v1, vcc
	s_branch .LBB78_61
.LBB78_58:
	s_mov_b64 s[16:17], -1
	s_mov_b64 s[18:19], 0
	s_branch .LBB78_166
.LBB78_59:
	s_mov_b64 s[28:29], -1
	s_mov_b64 s[0:1], 0
	s_mov_b64 s[24:25], 0
	s_branch .LBB78_177
.LBB78_60:
	s_mov_b64 s[20:21], -1
                                        ; implicit-def: $vgpr0
.LBB78_61:
	s_mov_b64 s[16:17], 0
.LBB78_62:
	s_and_b64 vcc, exec, s[16:17]
	s_cbranch_vccz .LBB78_66
; %bb.63:
	s_cmp_eq_u32 s19, 29
	s_cbranch_scc0 .LBB78_65
; %bb.64:
	global_load_dwordx2 v[0:1], v[2:3], off
	s_mov_b64 s[0:1], -1
	s_mov_b64 s[20:21], 0
	s_branch .LBB78_66
.LBB78_65:
	s_mov_b64 s[20:21], -1
                                        ; implicit-def: $vgpr0
.LBB78_66:
	s_mov_b64 s[16:17], 0
.LBB78_67:
	s_and_b64 vcc, exec, s[16:17]
	s_cbranch_vccz .LBB78_83
; %bb.68:
	s_cmp_lt_i32 s19, 27
	s_cbranch_scc1 .LBB78_71
; %bb.69:
	s_cmp_gt_i32 s19, 27
	s_cbranch_scc0 .LBB78_72
; %bb.70:
	global_load_dword v0, v[2:3], off
	s_mov_b64 s[0:1], 0
	s_branch .LBB78_73
.LBB78_71:
	s_mov_b64 s[0:1], -1
                                        ; implicit-def: $vgpr0
	s_branch .LBB78_76
.LBB78_72:
	s_mov_b64 s[0:1], -1
                                        ; implicit-def: $vgpr0
.LBB78_73:
	s_andn2_b64 vcc, exec, s[0:1]
	s_cbranch_vccnz .LBB78_75
; %bb.74:
	global_load_ushort v0, v[2:3], off
.LBB78_75:
	s_mov_b64 s[0:1], 0
.LBB78_76:
	s_andn2_b64 vcc, exec, s[0:1]
	s_cbranch_vccnz .LBB78_82
; %bb.77:
	global_load_ubyte v1, v[2:3], off
	s_movk_i32 s0, 0x7f
	s_mov_b64 s[16:17], 0
	s_waitcnt vmcnt(0)
	v_cmp_lt_i16_e32 vcc, s0, v1
	s_and_saveexec_b64 s[0:1], vcc
	s_xor_b64 s[0:1], exec, s[0:1]
	s_cbranch_execz .LBB78_93
; %bb.78:
	s_movk_i32 s16, 0x80
	v_cmp_ne_u16_e32 vcc, s16, v1
	s_and_b64 s[16:17], vcc, exec
	s_andn2_saveexec_b64 s[0:1], s[0:1]
	s_cbranch_execnz .LBB78_94
.LBB78_79:
	s_or_b64 exec, exec, s[0:1]
	v_mov_b32_e32 v0, 0
	s_and_saveexec_b64 s[0:1], s[16:17]
	s_cbranch_execz .LBB78_81
.LBB78_80:
	v_lshlrev_b32_e32 v0, 24, v1
	v_and_b32_e32 v1, 0xffff, v1
	v_and_b32_e32 v4, 7, v1
	v_ffbh_u32_e32 v7, v4
	v_min_u32_e32 v7, 32, v7
	v_subrev_u32_e32 v8, 28, v7
	v_bfe_u32 v6, v1, 3, 4
	v_lshlrev_b32_e32 v1, v8, v1
	v_sub_u32_e32 v7, 29, v7
	v_and_b32_e32 v1, 7, v1
	v_cmp_eq_u32_e32 vcc, 0, v6
	v_cndmask_b32_e32 v6, v6, v7, vcc
	v_cndmask_b32_e32 v1, v4, v1, vcc
	v_mov_b32_e32 v4, 0x3b800000
	v_lshlrev_b32_e32 v1, 20, v1
	v_and_b32_e32 v0, 0x80000000, v0
	v_lshl_add_u32 v4, v6, 23, v4
	v_or3_b32 v0, v0, v4, v1
	v_cvt_i32_f32_e32 v0, v0
.LBB78_81:
	s_or_b64 exec, exec, s[0:1]
.LBB78_82:
	s_mov_b64 s[0:1], -1
.LBB78_83:
	s_branch .LBB78_116
.LBB78_84:
	s_cmp_gt_i32 s19, 22
	s_cbranch_scc0 .LBB78_92
; %bb.85:
	s_cmp_lt_i32 s19, 24
	s_cbranch_scc1 .LBB78_95
; %bb.86:
	s_cmp_gt_i32 s19, 24
	s_cbranch_scc0 .LBB78_96
; %bb.87:
	global_load_ubyte v1, v[2:3], off
	s_movk_i32 s0, 0x7f
	s_mov_b64 s[16:17], 0
	s_waitcnt vmcnt(0)
	v_cmp_lt_i16_e32 vcc, s0, v1
	s_and_saveexec_b64 s[0:1], vcc
	s_xor_b64 s[0:1], exec, s[0:1]
	s_cbranch_execz .LBB78_108
; %bb.88:
	s_movk_i32 s16, 0x80
	v_cmp_ne_u16_e32 vcc, s16, v1
	s_and_b64 s[16:17], vcc, exec
	s_andn2_saveexec_b64 s[0:1], s[0:1]
	s_cbranch_execnz .LBB78_109
.LBB78_89:
	s_or_b64 exec, exec, s[0:1]
	v_mov_b32_e32 v0, 0
	s_and_saveexec_b64 s[0:1], s[16:17]
	s_cbranch_execz .LBB78_91
.LBB78_90:
	v_lshlrev_b32_e32 v0, 24, v1
	v_and_b32_e32 v1, 0xffff, v1
	v_and_b32_e32 v4, 3, v1
	v_ffbh_u32_e32 v7, v4
	v_min_u32_e32 v7, 32, v7
	v_subrev_u32_e32 v8, 29, v7
	v_bfe_u32 v6, v1, 2, 5
	v_lshlrev_b32_e32 v1, v8, v1
	v_sub_u32_e32 v7, 30, v7
	v_and_b32_e32 v1, 3, v1
	v_cmp_eq_u32_e32 vcc, 0, v6
	v_cndmask_b32_e32 v6, v6, v7, vcc
	v_cndmask_b32_e32 v1, v4, v1, vcc
	v_mov_b32_e32 v4, 0x37800000
	v_lshlrev_b32_e32 v1, 21, v1
	v_and_b32_e32 v0, 0x80000000, v0
	v_lshl_add_u32 v4, v6, 23, v4
	v_or3_b32 v0, v0, v4, v1
	v_cvt_i32_f32_e32 v0, v0
.LBB78_91:
	s_or_b64 exec, exec, s[0:1]
	s_mov_b64 s[0:1], 0
	s_branch .LBB78_97
.LBB78_92:
	s_mov_b64 s[16:17], -1
                                        ; implicit-def: $vgpr0
	s_branch .LBB78_103
.LBB78_93:
	s_andn2_saveexec_b64 s[0:1], s[0:1]
	s_cbranch_execz .LBB78_79
.LBB78_94:
	v_cmp_ne_u16_e32 vcc, 0, v1
	s_andn2_b64 s[16:17], s[16:17], exec
	s_and_b64 s[24:25], vcc, exec
	s_or_b64 s[16:17], s[16:17], s[24:25]
	s_or_b64 exec, exec, s[0:1]
	v_mov_b32_e32 v0, 0
	s_and_saveexec_b64 s[0:1], s[16:17]
	s_cbranch_execnz .LBB78_80
	s_branch .LBB78_81
.LBB78_95:
	s_mov_b64 s[0:1], -1
                                        ; implicit-def: $vgpr0
	s_branch .LBB78_100
.LBB78_96:
	s_mov_b64 s[0:1], -1
                                        ; implicit-def: $vgpr0
.LBB78_97:
	s_and_b64 vcc, exec, s[0:1]
	s_cbranch_vccz .LBB78_99
; %bb.98:
	global_load_ubyte v0, v[2:3], off
	s_mov_b32 s0, 0x7f800000
	s_waitcnt vmcnt(0)
	v_lshlrev_b32_e32 v0, 24, v0
	v_and_b32_e32 v1, 0x7f000000, v0
	v_ffbh_u32_e32 v4, v1
	v_min_u32_e32 v4, 32, v4
	v_sub_u32_e64 v4, v4, 4 clamp
	v_lshlrev_b32_e32 v7, v4, v1
	v_lshlrev_b32_e32 v4, 23, v4
	v_lshrrev_b32_e32 v7, 4, v7
	v_add_u32_e32 v6, 0x1000000, v1
	v_sub_u32_e32 v4, v7, v4
	v_ashrrev_i32_e32 v6, 8, v6
	v_add_u32_e32 v4, 0x3c000000, v4
	v_and_or_b32 v4, v6, s0, v4
	v_cmp_ne_u32_e32 vcc, 0, v1
	v_cndmask_b32_e32 v1, 0, v4, vcc
	s_brev_b32 s0, 1
	v_and_or_b32 v0, v0, s0, v1
	v_cvt_i32_f32_e32 v0, v0
.LBB78_99:
	s_mov_b64 s[0:1], 0
.LBB78_100:
	s_andn2_b64 vcc, exec, s[0:1]
	s_cbranch_vccnz .LBB78_102
; %bb.101:
	global_load_ubyte v0, v[2:3], off
	s_movk_i32 s0, 0x7f00
	s_brev_b32 s1, 16
	s_waitcnt vmcnt(0)
	v_lshlrev_b16_e32 v1, 8, v0
	v_lshlrev_b32_e32 v0, 25, v0
	v_lshrrev_b32_e32 v4, 4, v0
	v_and_or_b32 v6, v1, s0, 0.5
	v_or_b32_e32 v4, 0x70000000, v4
	v_add_f32_e32 v6, -0.5, v6
	v_mul_f32_e32 v4, 0x7800000, v4
	v_cmp_gt_u32_e32 vcc, s1, v0
	v_bfe_i32 v1, v1, 0, 16
	v_cndmask_b32_e32 v0, v4, v6, vcc
	s_brev_b32 s0, 1
	v_and_or_b32 v0, v1, s0, v0
	v_cvt_i32_f32_e32 v0, v0
.LBB78_102:
	s_mov_b64 s[16:17], 0
	s_mov_b64 s[0:1], -1
.LBB78_103:
	s_andn2_b64 vcc, exec, s[16:17]
	s_cbranch_vccnz .LBB78_116
; %bb.104:
	s_cmp_gt_i32 s19, 14
	s_cbranch_scc0 .LBB78_107
; %bb.105:
	s_cmp_eq_u32 s19, 15
	s_cbranch_scc0 .LBB78_110
; %bb.106:
	global_load_ushort v0, v[2:3], off
	s_mov_b64 s[0:1], -1
	s_mov_b64 s[20:21], 0
	s_waitcnt vmcnt(0)
	v_lshlrev_b32_e32 v0, 16, v0
	v_cvt_i32_f32_e32 v0, v0
	s_branch .LBB78_111
.LBB78_107:
	s_mov_b64 s[16:17], -1
                                        ; implicit-def: $vgpr0
	s_branch .LBB78_112
.LBB78_108:
	s_andn2_saveexec_b64 s[0:1], s[0:1]
	s_cbranch_execz .LBB78_89
.LBB78_109:
	v_cmp_ne_u16_e32 vcc, 0, v1
	s_andn2_b64 s[16:17], s[16:17], exec
	s_and_b64 s[24:25], vcc, exec
	s_or_b64 s[16:17], s[16:17], s[24:25]
	s_or_b64 exec, exec, s[0:1]
	v_mov_b32_e32 v0, 0
	s_and_saveexec_b64 s[0:1], s[16:17]
	s_cbranch_execnz .LBB78_90
	s_branch .LBB78_91
.LBB78_110:
	s_mov_b64 s[20:21], -1
                                        ; implicit-def: $vgpr0
.LBB78_111:
	s_mov_b64 s[16:17], 0
.LBB78_112:
	s_and_b64 vcc, exec, s[16:17]
	s_cbranch_vccz .LBB78_116
; %bb.113:
	s_cmp_eq_u32 s19, 11
	s_cbranch_scc0 .LBB78_115
; %bb.114:
	global_load_ubyte v0, v[2:3], off
	s_mov_b64 s[0:1], -1
	s_mov_b64 s[20:21], 0
	s_waitcnt vmcnt(0)
	v_cmp_ne_u16_e32 vcc, 0, v0
	v_cndmask_b32_e64 v0, 0, 1, vcc
	s_branch .LBB78_116
.LBB78_115:
	s_mov_b64 s[20:21], -1
                                        ; implicit-def: $vgpr0
.LBB78_116:
	s_branch .LBB78_10
.LBB78_117:
	s_and_b32 s16, 0xffff, s18
	s_cmp_lt_i32 s16, 5
	s_cbranch_scc1 .LBB78_122
; %bb.118:
	s_cmp_lt_i32 s16, 8
	s_cbranch_scc1 .LBB78_123
; %bb.119:
	;; [unrolled: 3-line block ×3, first 2 shown]
	s_cmp_gt_i32 s16, 9
	s_cbranch_scc0 .LBB78_125
; %bb.121:
	global_load_dwordx2 v[0:1], v[2:3], off
	s_mov_b64 s[0:1], 0
	s_waitcnt vmcnt(0)
	v_cvt_i32_f64_e32 v0, v[0:1]
	s_branch .LBB78_126
.LBB78_122:
                                        ; implicit-def: $vgpr0
	s_branch .LBB78_144
.LBB78_123:
	s_mov_b64 s[0:1], -1
                                        ; implicit-def: $vgpr0
	s_branch .LBB78_132
.LBB78_124:
	s_mov_b64 s[0:1], -1
                                        ; implicit-def: $vgpr0
	s_branch .LBB78_129
.LBB78_125:
	s_mov_b64 s[0:1], -1
                                        ; implicit-def: $vgpr0
.LBB78_126:
	s_andn2_b64 vcc, exec, s[0:1]
	s_cbranch_vccnz .LBB78_128
; %bb.127:
	global_load_dword v0, v[2:3], off
	s_waitcnt vmcnt(0)
	v_cvt_i32_f32_e32 v0, v0
.LBB78_128:
	s_mov_b64 s[0:1], 0
.LBB78_129:
	s_andn2_b64 vcc, exec, s[0:1]
	s_cbranch_vccnz .LBB78_131
; %bb.130:
	global_load_dword v0, v[2:3], off
	s_waitcnt vmcnt(0)
	v_cvt_i16_f16_e32 v0, v0
.LBB78_131:
	s_mov_b64 s[0:1], 0
.LBB78_132:
	s_andn2_b64 vcc, exec, s[0:1]
	s_cbranch_vccnz .LBB78_143
; %bb.133:
	s_cmp_lt_i32 s16, 6
	s_cbranch_scc1 .LBB78_136
; %bb.134:
	s_cmp_gt_i32 s16, 6
	s_cbranch_scc0 .LBB78_137
; %bb.135:
	global_load_dwordx2 v[0:1], v[2:3], off
	s_mov_b64 s[0:1], 0
	s_waitcnt vmcnt(0)
	v_cvt_i32_f64_e32 v0, v[0:1]
	s_branch .LBB78_138
.LBB78_136:
	s_mov_b64 s[0:1], -1
                                        ; implicit-def: $vgpr0
	s_branch .LBB78_141
.LBB78_137:
	s_mov_b64 s[0:1], -1
                                        ; implicit-def: $vgpr0
.LBB78_138:
	s_andn2_b64 vcc, exec, s[0:1]
	s_cbranch_vccnz .LBB78_140
; %bb.139:
	global_load_dword v0, v[2:3], off
	s_waitcnt vmcnt(0)
	v_cvt_i32_f32_e32 v0, v0
.LBB78_140:
	s_mov_b64 s[0:1], 0
.LBB78_141:
	s_andn2_b64 vcc, exec, s[0:1]
	s_cbranch_vccnz .LBB78_143
; %bb.142:
	global_load_ushort v0, v[2:3], off
	s_waitcnt vmcnt(0)
	v_cvt_i16_f16_e32 v0, v0
.LBB78_143:
	s_cbranch_execnz .LBB78_163
.LBB78_144:
	s_cmp_lt_i32 s16, 2
	s_cbranch_scc1 .LBB78_148
; %bb.145:
	s_cmp_lt_i32 s16, 3
	s_cbranch_scc1 .LBB78_149
; %bb.146:
	s_cmp_gt_i32 s16, 3
	s_cbranch_scc0 .LBB78_150
; %bb.147:
	global_load_dwordx2 v[0:1], v[2:3], off
	s_mov_b64 s[0:1], 0
	s_branch .LBB78_151
.LBB78_148:
	s_mov_b64 s[0:1], -1
                                        ; implicit-def: $vgpr0
	s_branch .LBB78_157
.LBB78_149:
	s_mov_b64 s[0:1], -1
                                        ; implicit-def: $vgpr0
	s_branch .LBB78_154
.LBB78_150:
	s_mov_b64 s[0:1], -1
                                        ; implicit-def: $vgpr0
.LBB78_151:
	s_andn2_b64 vcc, exec, s[0:1]
	s_cbranch_vccnz .LBB78_153
; %bb.152:
	global_load_dword v0, v[2:3], off
.LBB78_153:
	s_mov_b64 s[0:1], 0
.LBB78_154:
	s_andn2_b64 vcc, exec, s[0:1]
	s_cbranch_vccnz .LBB78_156
; %bb.155:
	global_load_ushort v0, v[2:3], off
.LBB78_156:
	s_mov_b64 s[0:1], 0
.LBB78_157:
	s_andn2_b64 vcc, exec, s[0:1]
	s_cbranch_vccnz .LBB78_163
; %bb.158:
	s_cmp_gt_i32 s16, 0
	s_cbranch_scc0 .LBB78_160
; %bb.159:
	global_load_sbyte v0, v[2:3], off
	s_mov_b64 s[0:1], 0
	s_branch .LBB78_161
.LBB78_160:
	s_mov_b64 s[0:1], -1
                                        ; implicit-def: $vgpr0
.LBB78_161:
	s_andn2_b64 vcc, exec, s[0:1]
	s_cbranch_vccnz .LBB78_163
; %bb.162:
	global_load_ubyte v0, v[2:3], off
.LBB78_163:
	s_branch .LBB78_11
.LBB78_164:
	s_mov_b64 s[0:1], 0
	s_mov_b64 s[18:19], 0
	s_branch .LBB78_389
.LBB78_165:
	s_mov_b64 s[18:19], -1
.LBB78_166:
	s_mov_b64 s[0:1], 0
                                        ; implicit-def: $vgpr3
.LBB78_167:
	s_and_b64 vcc, exec, s[16:17]
	s_cbranch_vccz .LBB78_283
; %bb.168:
	s_cmp_eq_u32 s25, 44
	s_cbranch_scc0 .LBB78_282
; %bb.169:
	global_load_ubyte v3, v[1:2], off
	s_mov_b64 s[0:1], -1
	s_mov_b64 s[18:19], 0
	s_waitcnt vmcnt(0)
	v_lshlrev_b32_e32 v4, 23, v3
	v_cvt_i32_f32_e32 v4, v4
	v_cmp_ne_u32_e32 vcc, 0, v3
	v_cndmask_b32_e32 v3, 0, v4, vcc
	s_branch .LBB78_283
.LBB78_170:
	s_mov_b64 s[28:29], -1
	s_mov_b64 s[0:1], 0
	s_mov_b64 s[24:25], 0
.LBB78_171:
	s_and_b64 vcc, exec, s[28:29]
	s_cbranch_vccz .LBB78_176
; %bb.172:
	s_cmp_eq_u32 s35, 44
	s_mov_b64 s[0:1], -1
	s_cbranch_scc0 .LBB78_176
; %bb.173:
	s_waitcnt vmcnt(0)
	v_cndmask_b32_e64 v3, 0, 1.0, s[16:17]
	v_lshrrev_b32_e32 v2, 23, v3
	s_movk_i32 s0, 0xff
	v_cmp_ne_u32_e32 vcc, s0, v2
	v_mov_b32_e32 v4, 0xff
	s_and_saveexec_b64 s[24:25], vcc
; %bb.174:
	s_mov_b32 s0, 0x3fffff
	v_and_b32_e32 v4, 0x400000, v3
	v_and_or_b32 v3, v3, s0, v2
	v_cmp_ne_u32_e32 vcc, 0, v4
	v_cmp_ne_u32_e64 s[0:1], 0, v3
	s_and_b64 s[0:1], vcc, s[0:1]
	v_cndmask_b32_e64 v3, 0, 1, s[0:1]
	v_add_u32_e32 v4, v2, v3
; %bb.175:
	s_or_b64 exec, exec, s[24:25]
	s_mov_b64 s[24:25], -1
	s_mov_b64 s[0:1], 0
	global_store_byte v[0:1], v4, off
.LBB78_176:
	s_mov_b64 s[28:29], 0
.LBB78_177:
	s_and_b64 vcc, exec, s[28:29]
	s_cbranch_vccz .LBB78_180
; %bb.178:
	s_cmp_eq_u32 s35, 29
	s_mov_b64 s[0:1], -1
	s_cbranch_scc0 .LBB78_180
; %bb.179:
	s_mov_b32 s0, 0
	v_cndmask_b32_e64 v2, 0, 1, s[16:17]
	s_waitcnt vmcnt(0)
	v_mov_b32_e32 v3, s0
	global_store_dwordx2 v[0:1], v[2:3], off
	s_mov_b64 s[24:25], -1
	s_mov_b64 s[0:1], 0
.LBB78_180:
	s_mov_b64 s[28:29], 0
.LBB78_181:
	s_and_b64 vcc, exec, s[28:29]
	s_cbranch_vccz .LBB78_197
; %bb.182:
	s_cmp_lt_i32 s35, 27
	s_mov_b64 s[24:25], -1
	s_cbranch_scc1 .LBB78_188
; %bb.183:
	s_cmp_gt_i32 s35, 27
	s_cbranch_scc0 .LBB78_185
; %bb.184:
	v_cndmask_b32_e64 v2, 0, 1, s[16:17]
	s_mov_b64 s[24:25], 0
	global_store_dword v[0:1], v2, off
.LBB78_185:
	s_andn2_b64 vcc, exec, s[24:25]
	s_cbranch_vccnz .LBB78_187
; %bb.186:
	v_cndmask_b32_e64 v2, 0, 1, s[16:17]
	global_store_short v[0:1], v2, off
.LBB78_187:
	s_mov_b64 s[24:25], 0
.LBB78_188:
	s_andn2_b64 vcc, exec, s[24:25]
	s_cbranch_vccnz .LBB78_196
; %bb.189:
	s_waitcnt vmcnt(0)
	v_cndmask_b32_e64 v3, 0, 1.0, s[16:17]
	s_mov_b32 s24, 0x43800000
	v_cmp_gt_u32_e32 vcc, s24, v3
	v_mov_b32_e32 v4, 0x80
	s_and_saveexec_b64 s[24:25], vcc
	s_cbranch_execz .LBB78_195
; %bb.190:
	s_mov_b32 s28, 0x3bffffff
	v_cmp_lt_u32_e32 vcc, s28, v3
	s_mov_b64 s[28:29], 0
                                        ; implicit-def: $vgpr2
	s_and_saveexec_b64 s[30:31], vcc
	s_xor_b64 s[30:31], exec, s[30:31]
	s_cbranch_execz .LBB78_420
; %bb.191:
	v_bfe_u32 v2, v3, 20, 1
	s_mov_b32 s36, 0x487ffff
	v_add3_u32 v2, v3, v2, s36
	s_mov_b64 s[28:29], exec
	v_lshrrev_b32_e32 v2, 20, v2
                                        ; implicit-def: $vgpr3
	s_andn2_saveexec_b64 s[30:31], s[30:31]
	s_cbranch_execnz .LBB78_421
.LBB78_192:
	s_or_b64 exec, exec, s[30:31]
	v_mov_b32_e32 v4, 0
	s_and_saveexec_b64 s[30:31], s[28:29]
.LBB78_193:
	v_mov_b32_e32 v4, v2
.LBB78_194:
	s_or_b64 exec, exec, s[30:31]
.LBB78_195:
	s_or_b64 exec, exec, s[24:25]
	global_store_byte v[0:1], v4, off
.LBB78_196:
	s_mov_b64 s[24:25], -1
.LBB78_197:
	s_mov_b64 s[28:29], 0
.LBB78_198:
	s_and_b64 vcc, exec, s[28:29]
	s_cbranch_vccz .LBB78_239
; %bb.199:
	s_cmp_gt_i32 s35, 22
	s_mov_b64 s[28:29], -1
	s_cbranch_scc0 .LBB78_231
; %bb.200:
	s_cmp_lt_i32 s35, 24
	s_mov_b64 s[24:25], -1
	s_cbranch_scc1 .LBB78_220
; %bb.201:
	s_cmp_gt_i32 s35, 24
	s_cbranch_scc0 .LBB78_209
; %bb.202:
	s_waitcnt vmcnt(0)
	v_cndmask_b32_e64 v3, 0, 1.0, s[16:17]
	s_mov_b32 s24, 0x47800000
	v_cmp_gt_u32_e32 vcc, s24, v3
	v_mov_b32_e32 v4, 0x80
	s_and_saveexec_b64 s[24:25], vcc
	s_cbranch_execz .LBB78_208
; %bb.203:
	s_mov_b32 s28, 0x37ffffff
	v_cmp_lt_u32_e32 vcc, s28, v3
	s_mov_b64 s[28:29], 0
                                        ; implicit-def: $vgpr2
	s_and_saveexec_b64 s[30:31], vcc
	s_xor_b64 s[30:31], exec, s[30:31]
	s_cbranch_execz .LBB78_535
; %bb.204:
	v_bfe_u32 v2, v3, 21, 1
	s_mov_b32 s36, 0x88fffff
	v_add3_u32 v2, v3, v2, s36
	s_mov_b64 s[28:29], exec
	v_lshrrev_b32_e32 v2, 21, v2
                                        ; implicit-def: $vgpr3
	s_andn2_saveexec_b64 s[30:31], s[30:31]
	s_cbranch_execnz .LBB78_536
.LBB78_205:
	s_or_b64 exec, exec, s[30:31]
	v_mov_b32_e32 v4, 0
	s_and_saveexec_b64 s[30:31], s[28:29]
.LBB78_206:
	v_mov_b32_e32 v4, v2
.LBB78_207:
	s_or_b64 exec, exec, s[30:31]
.LBB78_208:
	s_or_b64 exec, exec, s[24:25]
	s_mov_b64 s[24:25], 0
	global_store_byte v[0:1], v4, off
.LBB78_209:
	s_and_b64 vcc, exec, s[24:25]
	s_cbranch_vccz .LBB78_219
; %bb.210:
	v_cndmask_b32_e64 v2, 0, 1.0, s[16:17]
	s_mov_b32 s24, 0x43f00000
	v_cmp_gt_u32_e32 vcc, s24, v2
                                        ; implicit-def: $vgpr3
	s_and_saveexec_b64 s[24:25], vcc
	s_xor_b64 s[24:25], exec, s[24:25]
	s_cbranch_execz .LBB78_216
; %bb.211:
	s_mov_b32 s28, 0x3c7fffff
	v_cmp_lt_u32_e32 vcc, s28, v2
                                        ; implicit-def: $vgpr3
	s_and_saveexec_b64 s[28:29], vcc
	s_xor_b64 s[28:29], exec, s[28:29]
	s_cbranch_execz .LBB78_213
; %bb.212:
	s_waitcnt vmcnt(0)
	v_bfe_u32 v3, v2, 20, 1
	s_mov_b32 s30, 0x407ffff
	v_add3_u32 v2, v2, v3, s30
	v_lshrrev_b32_e32 v3, 20, v2
	v_and_b32_e32 v2, 0xff00000, v2
	s_mov_b32 s30, 0x7f00000
	v_mov_b32_e32 v4, 0x7e
	v_cmp_ne_u32_e32 vcc, s30, v2
	v_cndmask_b32_e32 v3, v4, v3, vcc
                                        ; implicit-def: $vgpr2
.LBB78_213:
	s_andn2_saveexec_b64 s[28:29], s[28:29]
	s_cbranch_execz .LBB78_215
; %bb.214:
	s_waitcnt vmcnt(0)
	v_add_f32_e32 v3, 0x46800000, v2
.LBB78_215:
	s_or_b64 exec, exec, s[28:29]
                                        ; implicit-def: $vgpr2
.LBB78_216:
	s_andn2_saveexec_b64 s[24:25], s[24:25]
	s_cbranch_execz .LBB78_218
; %bb.217:
	s_mov_b32 s28, 0x7f800000
	s_waitcnt vmcnt(0)
	v_mov_b32_e32 v3, 0x7e
	v_mov_b32_e32 v4, 0x7f
	v_cmp_lt_u32_e32 vcc, s28, v2
	v_cndmask_b32_e32 v3, v3, v4, vcc
.LBB78_218:
	s_or_b64 exec, exec, s[24:25]
	s_waitcnt vmcnt(0)
	global_store_byte v[0:1], v3, off
.LBB78_219:
	s_mov_b64 s[24:25], 0
.LBB78_220:
	s_andn2_b64 vcc, exec, s[24:25]
	s_cbranch_vccnz .LBB78_230
; %bb.221:
	v_cndmask_b32_e64 v2, 0, 1.0, s[16:17]
	s_mov_b32 s24, 0x47800000
	v_cmp_gt_u32_e32 vcc, s24, v2
                                        ; implicit-def: $vgpr3
	s_and_saveexec_b64 s[24:25], vcc
	s_xor_b64 s[24:25], exec, s[24:25]
	s_cbranch_execz .LBB78_227
; %bb.222:
	s_mov_b32 s28, 0x387fffff
	v_cmp_lt_u32_e32 vcc, s28, v2
                                        ; implicit-def: $vgpr3
	s_and_saveexec_b64 s[28:29], vcc
	s_xor_b64 s[28:29], exec, s[28:29]
	s_cbranch_execz .LBB78_224
; %bb.223:
	s_waitcnt vmcnt(0)
	v_bfe_u32 v3, v2, 21, 1
	s_mov_b32 s30, 0x80fffff
	v_add3_u32 v2, v2, v3, s30
	v_lshrrev_b32_e32 v3, 21, v2
                                        ; implicit-def: $vgpr2
.LBB78_224:
	s_andn2_saveexec_b64 s[28:29], s[28:29]
	s_cbranch_execz .LBB78_226
; %bb.225:
	s_waitcnt vmcnt(0)
	v_add_f32_e32 v3, 0x43000000, v2
.LBB78_226:
	s_or_b64 exec, exec, s[28:29]
                                        ; implicit-def: $vgpr2
.LBB78_227:
	s_andn2_saveexec_b64 s[24:25], s[24:25]
	s_cbranch_execz .LBB78_229
; %bb.228:
	s_mov_b32 s28, 0x7f800000
	s_waitcnt vmcnt(0)
	v_mov_b32_e32 v3, 0x7c
	v_mov_b32_e32 v4, 0x7f
	v_cmp_lt_u32_e32 vcc, s28, v2
	v_cndmask_b32_e32 v3, v3, v4, vcc
.LBB78_229:
	s_or_b64 exec, exec, s[24:25]
	s_waitcnt vmcnt(0)
	global_store_byte v[0:1], v3, off
.LBB78_230:
	s_mov_b64 s[28:29], 0
	s_mov_b64 s[24:25], -1
.LBB78_231:
	s_andn2_b64 vcc, exec, s[28:29]
	s_cbranch_vccnz .LBB78_239
; %bb.232:
	s_cmp_gt_i32 s35, 14
	s_mov_b64 s[28:29], -1
	s_cbranch_scc0 .LBB78_236
; %bb.233:
	s_cmp_eq_u32 s35, 15
	s_mov_b64 s[0:1], -1
	s_cbranch_scc0 .LBB78_235
; %bb.234:
	v_cndmask_b32_e64 v2, 0, 1.0, s[16:17]
	s_waitcnt vmcnt(0)
	v_bfe_u32 v3, v2, 16, 1
	s_movk_i32 s0, 0x7fff
	v_add3_u32 v2, v2, v3, s0
	global_store_short_d16_hi v[0:1], v2, off
	s_mov_b64 s[24:25], -1
	s_mov_b64 s[0:1], 0
.LBB78_235:
	s_mov_b64 s[28:29], 0
.LBB78_236:
	s_and_b64 vcc, exec, s[28:29]
	s_cbranch_vccz .LBB78_239
; %bb.237:
	s_cmp_eq_u32 s35, 11
	s_mov_b64 s[0:1], -1
	s_cbranch_scc0 .LBB78_239
; %bb.238:
	v_cndmask_b32_e64 v2, 0, 1, s[16:17]
	s_mov_b64 s[24:25], -1
	s_mov_b64 s[0:1], 0
	global_store_byte v[0:1], v2, off
.LBB78_239:
	s_mov_b64 s[28:29], 0
.LBB78_240:
	s_and_b64 vcc, exec, s[28:29]
	s_cbranch_vccz .LBB78_279
; %bb.241:
	s_and_b32 s28, 0xffff, s34
	s_cmp_lt_i32 s28, 5
	s_mov_b64 s[24:25], -1
	s_cbranch_scc1 .LBB78_262
; %bb.242:
	s_cmp_lt_i32 s28, 8
	s_cbranch_scc1 .LBB78_252
; %bb.243:
	s_cmp_lt_i32 s28, 9
	s_cbranch_scc1 .LBB78_249
; %bb.244:
	s_cmp_gt_i32 s28, 9
	s_cbranch_scc0 .LBB78_246
; %bb.245:
	v_cndmask_b32_e64 v2, 0, 1, s[16:17]
	v_cvt_f64_u32_e32 v[6:7], v2
	v_mov_b32_e32 v8, 0
	v_mov_b32_e32 v9, v8
	s_mov_b64 s[24:25], 0
	global_store_dwordx4 v[0:1], v[6:9], off
.LBB78_246:
	s_andn2_b64 vcc, exec, s[24:25]
	s_cbranch_vccnz .LBB78_248
; %bb.247:
	v_cndmask_b32_e64 v2, 0, 1.0, s[16:17]
	s_waitcnt vmcnt(0)
	v_mov_b32_e32 v3, 0
	global_store_dwordx2 v[0:1], v[2:3], off
.LBB78_248:
	s_mov_b64 s[24:25], 0
.LBB78_249:
	s_andn2_b64 vcc, exec, s[24:25]
	s_cbranch_vccnz .LBB78_251
; %bb.250:
	v_cndmask_b32_e64 v2, 0, 1.0, s[16:17]
	v_cvt_f16_f32_e32 v2, v2
	global_store_dword v[0:1], v2, off
.LBB78_251:
	s_mov_b64 s[24:25], 0
.LBB78_252:
	s_andn2_b64 vcc, exec, s[24:25]
	s_cbranch_vccnz .LBB78_261
; %bb.253:
	s_cmp_lt_i32 s28, 6
	s_mov_b64 s[24:25], -1
	s_cbranch_scc1 .LBB78_259
; %bb.254:
	s_cmp_gt_i32 s28, 6
	s_cbranch_scc0 .LBB78_256
; %bb.255:
	v_cndmask_b32_e64 v2, 0, 1, s[16:17]
	s_waitcnt vmcnt(0)
	v_cvt_f64_u32_e32 v[2:3], v2
	s_mov_b64 s[24:25], 0
	global_store_dwordx2 v[0:1], v[2:3], off
.LBB78_256:
	s_andn2_b64 vcc, exec, s[24:25]
	s_cbranch_vccnz .LBB78_258
; %bb.257:
	v_cndmask_b32_e64 v2, 0, 1.0, s[16:17]
	global_store_dword v[0:1], v2, off
.LBB78_258:
	s_mov_b64 s[24:25], 0
.LBB78_259:
	s_andn2_b64 vcc, exec, s[24:25]
	s_cbranch_vccnz .LBB78_261
; %bb.260:
	v_cndmask_b32_e64 v2, 0, 1.0, s[16:17]
	v_cvt_f16_f32_e32 v2, v2
	global_store_short v[0:1], v2, off
.LBB78_261:
	s_mov_b64 s[24:25], 0
.LBB78_262:
	s_andn2_b64 vcc, exec, s[24:25]
	s_cbranch_vccnz .LBB78_278
; %bb.263:
	s_cmp_lt_i32 s28, 2
	s_mov_b64 s[24:25], -1
	s_cbranch_scc1 .LBB78_273
; %bb.264:
	s_cmp_lt_i32 s28, 3
	s_cbranch_scc1 .LBB78_270
; %bb.265:
	s_cmp_gt_i32 s28, 3
	s_cbranch_scc0 .LBB78_267
; %bb.266:
	s_mov_b32 s24, 0
	v_cndmask_b32_e64 v2, 0, 1, s[16:17]
	s_waitcnt vmcnt(0)
	v_mov_b32_e32 v3, s24
	global_store_dwordx2 v[0:1], v[2:3], off
	s_mov_b64 s[24:25], 0
.LBB78_267:
	s_andn2_b64 vcc, exec, s[24:25]
	s_cbranch_vccnz .LBB78_269
; %bb.268:
	v_cndmask_b32_e64 v2, 0, 1, s[16:17]
	global_store_dword v[0:1], v2, off
.LBB78_269:
	s_mov_b64 s[24:25], 0
.LBB78_270:
	s_andn2_b64 vcc, exec, s[24:25]
	s_cbranch_vccnz .LBB78_272
; %bb.271:
	v_cndmask_b32_e64 v2, 0, 1, s[16:17]
	global_store_short v[0:1], v2, off
.LBB78_272:
	s_mov_b64 s[24:25], 0
.LBB78_273:
	s_andn2_b64 vcc, exec, s[24:25]
	s_cbranch_vccnz .LBB78_278
; %bb.274:
	s_mov_b64 s[24:25], -1
	s_cmp_gt_i32 s28, 0
	v_cndmask_b32_e64 v2, 0, 1, s[16:17]
	s_cbranch_scc0 .LBB78_276
; %bb.275:
	global_store_byte v[0:1], v2, off
	s_mov_b64 s[24:25], 0
.LBB78_276:
	s_andn2_b64 vcc, exec, s[24:25]
	s_cbranch_vccnz .LBB78_278
; %bb.277:
	global_store_byte v[0:1], v2, off
.LBB78_278:
	s_mov_b64 s[24:25], -1
.LBB78_279:
	s_andn2_b64 vcc, exec, s[24:25]
	s_cbranch_vccnz .LBB78_281
; %bb.280:
	v_add_u32_e32 v5, 0x80, v5
	s_mov_b64 s[24:25], -1
	s_branch .LBB78_390
.LBB78_281:
	s_mov_b64 s[24:25], 0
                                        ; implicit-def: $vgpr5
	s_branch .LBB78_390
.LBB78_282:
	s_mov_b64 s[18:19], -1
                                        ; implicit-def: $vgpr3
.LBB78_283:
	s_mov_b64 s[16:17], 0
.LBB78_284:
	s_and_b64 vcc, exec, s[16:17]
	s_cbranch_vccz .LBB78_288
; %bb.285:
	s_cmp_eq_u32 s25, 29
	s_cbranch_scc0 .LBB78_287
; %bb.286:
	global_load_dwordx2 v[3:4], v[1:2], off
	s_mov_b64 s[0:1], -1
	s_mov_b64 s[18:19], 0
	s_branch .LBB78_288
.LBB78_287:
	s_mov_b64 s[18:19], -1
                                        ; implicit-def: $vgpr3
.LBB78_288:
	s_mov_b64 s[16:17], 0
.LBB78_289:
	s_and_b64 vcc, exec, s[16:17]
	s_cbranch_vccz .LBB78_305
; %bb.290:
	s_cmp_lt_i32 s25, 27
	s_cbranch_scc1 .LBB78_293
; %bb.291:
	s_cmp_gt_i32 s25, 27
	s_cbranch_scc0 .LBB78_294
; %bb.292:
	global_load_dword v3, v[1:2], off
	s_mov_b64 s[0:1], 0
	s_branch .LBB78_295
.LBB78_293:
	s_mov_b64 s[0:1], -1
                                        ; implicit-def: $vgpr3
	s_branch .LBB78_298
.LBB78_294:
	s_mov_b64 s[0:1], -1
                                        ; implicit-def: $vgpr3
.LBB78_295:
	s_andn2_b64 vcc, exec, s[0:1]
	s_cbranch_vccnz .LBB78_297
; %bb.296:
	global_load_ushort v3, v[1:2], off
.LBB78_297:
	s_mov_b64 s[0:1], 0
.LBB78_298:
	s_andn2_b64 vcc, exec, s[0:1]
	s_cbranch_vccnz .LBB78_304
; %bb.299:
	global_load_ubyte v4, v[1:2], off
	s_movk_i32 s0, 0x7f
	s_mov_b64 s[16:17], 0
	s_waitcnt vmcnt(0)
	v_cmp_lt_i16_e32 vcc, s0, v4
	s_and_saveexec_b64 s[0:1], vcc
	s_xor_b64 s[0:1], exec, s[0:1]
	s_cbranch_execz .LBB78_316
; %bb.300:
	s_movk_i32 s16, 0x80
	v_cmp_ne_u16_e32 vcc, s16, v4
	s_and_b64 s[16:17], vcc, exec
	s_andn2_saveexec_b64 s[0:1], s[0:1]
	s_cbranch_execnz .LBB78_317
.LBB78_301:
	s_or_b64 exec, exec, s[0:1]
	v_mov_b32_e32 v3, 0
	s_and_saveexec_b64 s[0:1], s[16:17]
	s_cbranch_execz .LBB78_303
.LBB78_302:
	v_lshlrev_b32_e32 v3, 24, v4
	v_and_b32_e32 v4, 0xffff, v4
	v_and_b32_e32 v6, 7, v4
	v_ffbh_u32_e32 v8, v6
	v_min_u32_e32 v8, 32, v8
	v_subrev_u32_e32 v9, 28, v8
	v_bfe_u32 v7, v4, 3, 4
	v_lshlrev_b32_e32 v4, v9, v4
	v_sub_u32_e32 v8, 29, v8
	v_and_b32_e32 v4, 7, v4
	v_cmp_eq_u32_e32 vcc, 0, v7
	v_cndmask_b32_e32 v7, v7, v8, vcc
	v_cndmask_b32_e32 v4, v6, v4, vcc
	v_mov_b32_e32 v6, 0x3b800000
	v_lshlrev_b32_e32 v4, 20, v4
	v_and_b32_e32 v3, 0x80000000, v3
	v_lshl_add_u32 v6, v7, 23, v6
	v_or3_b32 v3, v3, v6, v4
	v_cvt_i32_f32_e32 v3, v3
.LBB78_303:
	s_or_b64 exec, exec, s[0:1]
.LBB78_304:
	s_mov_b64 s[0:1], -1
.LBB78_305:
	s_mov_b64 s[16:17], 0
.LBB78_306:
	s_and_b64 vcc, exec, s[16:17]
	s_cbranch_vccz .LBB78_339
; %bb.307:
	s_cmp_gt_i32 s25, 22
	s_cbranch_scc0 .LBB78_315
; %bb.308:
	s_cmp_lt_i32 s25, 24
	s_cbranch_scc1 .LBB78_318
; %bb.309:
	s_cmp_gt_i32 s25, 24
	s_cbranch_scc0 .LBB78_319
; %bb.310:
	global_load_ubyte v4, v[1:2], off
	s_movk_i32 s0, 0x7f
	s_mov_b64 s[16:17], 0
	s_waitcnt vmcnt(0)
	v_cmp_lt_i16_e32 vcc, s0, v4
	s_and_saveexec_b64 s[0:1], vcc
	s_xor_b64 s[0:1], exec, s[0:1]
	s_cbranch_execz .LBB78_331
; %bb.311:
	s_movk_i32 s16, 0x80
	v_cmp_ne_u16_e32 vcc, s16, v4
	s_and_b64 s[16:17], vcc, exec
	s_andn2_saveexec_b64 s[0:1], s[0:1]
	s_cbranch_execnz .LBB78_332
.LBB78_312:
	s_or_b64 exec, exec, s[0:1]
	v_mov_b32_e32 v3, 0
	s_and_saveexec_b64 s[0:1], s[16:17]
	s_cbranch_execz .LBB78_314
.LBB78_313:
	v_lshlrev_b32_e32 v3, 24, v4
	v_and_b32_e32 v4, 0xffff, v4
	v_and_b32_e32 v6, 3, v4
	v_ffbh_u32_e32 v8, v6
	v_min_u32_e32 v8, 32, v8
	v_subrev_u32_e32 v9, 29, v8
	v_bfe_u32 v7, v4, 2, 5
	v_lshlrev_b32_e32 v4, v9, v4
	v_sub_u32_e32 v8, 30, v8
	v_and_b32_e32 v4, 3, v4
	v_cmp_eq_u32_e32 vcc, 0, v7
	v_cndmask_b32_e32 v7, v7, v8, vcc
	v_cndmask_b32_e32 v4, v6, v4, vcc
	v_mov_b32_e32 v6, 0x37800000
	v_lshlrev_b32_e32 v4, 21, v4
	v_and_b32_e32 v3, 0x80000000, v3
	v_lshl_add_u32 v6, v7, 23, v6
	v_or3_b32 v3, v3, v6, v4
	v_cvt_i32_f32_e32 v3, v3
.LBB78_314:
	s_or_b64 exec, exec, s[0:1]
	s_mov_b64 s[0:1], 0
	s_branch .LBB78_320
.LBB78_315:
	s_mov_b64 s[16:17], -1
                                        ; implicit-def: $vgpr3
	s_branch .LBB78_326
.LBB78_316:
	s_andn2_saveexec_b64 s[0:1], s[0:1]
	s_cbranch_execz .LBB78_301
.LBB78_317:
	v_cmp_ne_u16_e32 vcc, 0, v4
	s_andn2_b64 s[16:17], s[16:17], exec
	s_and_b64 s[28:29], vcc, exec
	s_or_b64 s[16:17], s[16:17], s[28:29]
	s_or_b64 exec, exec, s[0:1]
	v_mov_b32_e32 v3, 0
	s_and_saveexec_b64 s[0:1], s[16:17]
	s_cbranch_execnz .LBB78_302
	s_branch .LBB78_303
.LBB78_318:
	s_mov_b64 s[0:1], -1
                                        ; implicit-def: $vgpr3
	s_branch .LBB78_323
.LBB78_319:
	s_mov_b64 s[0:1], -1
                                        ; implicit-def: $vgpr3
.LBB78_320:
	s_and_b64 vcc, exec, s[0:1]
	s_cbranch_vccz .LBB78_322
; %bb.321:
	global_load_ubyte v3, v[1:2], off
	s_mov_b32 s0, 0x7f800000
	s_waitcnt vmcnt(0)
	v_lshlrev_b32_e32 v3, 24, v3
	v_and_b32_e32 v4, 0x7f000000, v3
	v_ffbh_u32_e32 v6, v4
	v_min_u32_e32 v6, 32, v6
	v_sub_u32_e64 v6, v6, 4 clamp
	v_lshlrev_b32_e32 v8, v6, v4
	v_lshlrev_b32_e32 v6, 23, v6
	v_lshrrev_b32_e32 v8, 4, v8
	v_add_u32_e32 v7, 0x1000000, v4
	v_sub_u32_e32 v6, v8, v6
	v_ashrrev_i32_e32 v7, 8, v7
	v_add_u32_e32 v6, 0x3c000000, v6
	v_and_or_b32 v6, v7, s0, v6
	v_cmp_ne_u32_e32 vcc, 0, v4
	v_cndmask_b32_e32 v4, 0, v6, vcc
	s_brev_b32 s0, 1
	v_and_or_b32 v3, v3, s0, v4
	v_cvt_i32_f32_e32 v3, v3
.LBB78_322:
	s_mov_b64 s[0:1], 0
.LBB78_323:
	s_andn2_b64 vcc, exec, s[0:1]
	s_cbranch_vccnz .LBB78_325
; %bb.324:
	global_load_ubyte v3, v[1:2], off
	s_movk_i32 s0, 0x7f00
	s_brev_b32 s1, 16
	s_waitcnt vmcnt(0)
	v_lshlrev_b16_e32 v4, 8, v3
	v_lshlrev_b32_e32 v3, 25, v3
	v_lshrrev_b32_e32 v6, 4, v3
	v_and_or_b32 v7, v4, s0, 0.5
	v_or_b32_e32 v6, 0x70000000, v6
	v_add_f32_e32 v7, -0.5, v7
	v_mul_f32_e32 v6, 0x7800000, v6
	v_cmp_gt_u32_e32 vcc, s1, v3
	v_bfe_i32 v4, v4, 0, 16
	v_cndmask_b32_e32 v3, v6, v7, vcc
	s_brev_b32 s0, 1
	v_and_or_b32 v3, v4, s0, v3
	v_cvt_i32_f32_e32 v3, v3
.LBB78_325:
	s_mov_b64 s[16:17], 0
	s_mov_b64 s[0:1], -1
.LBB78_326:
	s_andn2_b64 vcc, exec, s[16:17]
	s_cbranch_vccnz .LBB78_339
; %bb.327:
	s_cmp_gt_i32 s25, 14
	s_cbranch_scc0 .LBB78_330
; %bb.328:
	s_cmp_eq_u32 s25, 15
	s_cbranch_scc0 .LBB78_333
; %bb.329:
	global_load_ushort v3, v[1:2], off
	s_mov_b64 s[0:1], -1
	s_mov_b64 s[18:19], 0
	s_waitcnt vmcnt(0)
	v_lshlrev_b32_e32 v3, 16, v3
	v_cvt_i32_f32_e32 v3, v3
	s_branch .LBB78_334
.LBB78_330:
	s_mov_b64 s[16:17], -1
                                        ; implicit-def: $vgpr3
	s_branch .LBB78_335
.LBB78_331:
	s_andn2_saveexec_b64 s[0:1], s[0:1]
	s_cbranch_execz .LBB78_312
.LBB78_332:
	v_cmp_ne_u16_e32 vcc, 0, v4
	s_andn2_b64 s[16:17], s[16:17], exec
	s_and_b64 s[28:29], vcc, exec
	s_or_b64 s[16:17], s[16:17], s[28:29]
	s_or_b64 exec, exec, s[0:1]
	v_mov_b32_e32 v3, 0
	s_and_saveexec_b64 s[0:1], s[16:17]
	s_cbranch_execnz .LBB78_313
	s_branch .LBB78_314
.LBB78_333:
	s_mov_b64 s[18:19], -1
                                        ; implicit-def: $vgpr3
.LBB78_334:
	s_mov_b64 s[16:17], 0
.LBB78_335:
	s_and_b64 vcc, exec, s[16:17]
	s_cbranch_vccz .LBB78_339
; %bb.336:
	s_cmp_eq_u32 s25, 11
	s_cbranch_scc0 .LBB78_338
; %bb.337:
	global_load_ubyte v3, v[1:2], off
	s_mov_b64 s[0:1], -1
	s_mov_b64 s[18:19], 0
	s_waitcnt vmcnt(0)
	v_cmp_ne_u16_e32 vcc, 0, v3
	v_cndmask_b32_e64 v3, 0, 1, vcc
	s_branch .LBB78_339
.LBB78_338:
	s_mov_b64 s[18:19], -1
                                        ; implicit-def: $vgpr3
.LBB78_339:
	s_branch .LBB78_20
.LBB78_340:
	s_and_b32 s16, 0xffff, s24
	s_cmp_lt_i32 s16, 5
	s_cbranch_scc1 .LBB78_345
; %bb.341:
	s_cmp_lt_i32 s16, 8
	s_cbranch_scc1 .LBB78_346
; %bb.342:
	;; [unrolled: 3-line block ×3, first 2 shown]
	s_cmp_gt_i32 s16, 9
	s_cbranch_scc0 .LBB78_348
; %bb.344:
	global_load_dwordx2 v[3:4], v[1:2], off
	s_mov_b64 s[0:1], 0
	s_waitcnt vmcnt(0)
	v_cvt_i32_f64_e32 v3, v[3:4]
	s_branch .LBB78_349
.LBB78_345:
	s_mov_b64 s[0:1], -1
                                        ; implicit-def: $vgpr3
	s_branch .LBB78_367
.LBB78_346:
	s_mov_b64 s[0:1], -1
                                        ; implicit-def: $vgpr3
	s_branch .LBB78_355
.LBB78_347:
	s_mov_b64 s[0:1], -1
                                        ; implicit-def: $vgpr3
	s_branch .LBB78_352
.LBB78_348:
	s_mov_b64 s[0:1], -1
                                        ; implicit-def: $vgpr3
.LBB78_349:
	s_andn2_b64 vcc, exec, s[0:1]
	s_cbranch_vccnz .LBB78_351
; %bb.350:
	global_load_dword v3, v[1:2], off
	s_waitcnt vmcnt(0)
	v_cvt_i32_f32_e32 v3, v3
.LBB78_351:
	s_mov_b64 s[0:1], 0
.LBB78_352:
	s_andn2_b64 vcc, exec, s[0:1]
	s_cbranch_vccnz .LBB78_354
; %bb.353:
	global_load_dword v3, v[1:2], off
	s_waitcnt vmcnt(0)
	v_cvt_i16_f16_e32 v3, v3
.LBB78_354:
	s_mov_b64 s[0:1], 0
.LBB78_355:
	s_andn2_b64 vcc, exec, s[0:1]
	s_cbranch_vccnz .LBB78_366
; %bb.356:
	s_cmp_lt_i32 s16, 6
	s_cbranch_scc1 .LBB78_359
; %bb.357:
	s_cmp_gt_i32 s16, 6
	s_cbranch_scc0 .LBB78_360
; %bb.358:
	global_load_dwordx2 v[3:4], v[1:2], off
	s_mov_b64 s[0:1], 0
	s_waitcnt vmcnt(0)
	v_cvt_i32_f64_e32 v3, v[3:4]
	s_branch .LBB78_361
.LBB78_359:
	s_mov_b64 s[0:1], -1
                                        ; implicit-def: $vgpr3
	s_branch .LBB78_364
.LBB78_360:
	s_mov_b64 s[0:1], -1
                                        ; implicit-def: $vgpr3
.LBB78_361:
	s_andn2_b64 vcc, exec, s[0:1]
	s_cbranch_vccnz .LBB78_363
; %bb.362:
	global_load_dword v3, v[1:2], off
	s_waitcnt vmcnt(0)
	v_cvt_i32_f32_e32 v3, v3
.LBB78_363:
	s_mov_b64 s[0:1], 0
.LBB78_364:
	s_andn2_b64 vcc, exec, s[0:1]
	s_cbranch_vccnz .LBB78_366
; %bb.365:
	global_load_ushort v3, v[1:2], off
	s_waitcnt vmcnt(0)
	v_cvt_i16_f16_e32 v3, v3
.LBB78_366:
	s_mov_b64 s[0:1], 0
.LBB78_367:
	s_andn2_b64 vcc, exec, s[0:1]
	s_cbranch_vccnz .LBB78_387
; %bb.368:
	s_cmp_lt_i32 s16, 2
	s_cbranch_scc1 .LBB78_372
; %bb.369:
	s_cmp_lt_i32 s16, 3
	s_cbranch_scc1 .LBB78_373
; %bb.370:
	s_cmp_gt_i32 s16, 3
	s_cbranch_scc0 .LBB78_374
; %bb.371:
	global_load_dwordx2 v[3:4], v[1:2], off
	s_mov_b64 s[0:1], 0
	s_branch .LBB78_375
.LBB78_372:
	s_mov_b64 s[0:1], -1
                                        ; implicit-def: $vgpr3
	s_branch .LBB78_381
.LBB78_373:
	s_mov_b64 s[0:1], -1
                                        ; implicit-def: $vgpr3
	s_branch .LBB78_378
.LBB78_374:
	s_mov_b64 s[0:1], -1
                                        ; implicit-def: $vgpr3
.LBB78_375:
	s_andn2_b64 vcc, exec, s[0:1]
	s_cbranch_vccnz .LBB78_377
; %bb.376:
	global_load_dword v3, v[1:2], off
.LBB78_377:
	s_mov_b64 s[0:1], 0
.LBB78_378:
	s_andn2_b64 vcc, exec, s[0:1]
	s_cbranch_vccnz .LBB78_380
; %bb.379:
	global_load_ushort v3, v[1:2], off
.LBB78_380:
	s_mov_b64 s[0:1], 0
.LBB78_381:
	s_andn2_b64 vcc, exec, s[0:1]
	s_cbranch_vccnz .LBB78_387
; %bb.382:
	s_cmp_gt_i32 s16, 0
	s_cbranch_scc0 .LBB78_384
; %bb.383:
	global_load_sbyte v3, v[1:2], off
	s_mov_b64 s[0:1], 0
	s_branch .LBB78_385
.LBB78_384:
	s_mov_b64 s[0:1], -1
                                        ; implicit-def: $vgpr3
.LBB78_385:
	s_andn2_b64 vcc, exec, s[0:1]
	s_cbranch_vccnz .LBB78_387
; %bb.386:
	global_load_ubyte v3, v[1:2], off
.LBB78_387:
	s_branch .LBB78_21
.LBB78_388:
	s_mov_b64 s[0:1], 0
.LBB78_389:
                                        ; implicit-def: $vgpr5
	s_mov_b64 s[24:25], 0
.LBB78_390:
	s_and_b64 s[16:17], s[0:1], exec
	s_and_b64 s[18:19], s[18:19], exec
	;; [unrolled: 1-line block ×3, first 2 shown]
	s_orn2_b64 s[0:1], s[24:25], exec
.LBB78_391:
	s_or_b64 exec, exec, s[22:23]
	s_mov_b64 s[30:31], 0
	s_mov_b64 s[28:29], 0
                                        ; implicit-def: $sgpr56
                                        ; implicit-def: $vgpr2_vgpr3
                                        ; implicit-def: $vgpr0
	s_and_saveexec_b64 s[22:23], s[0:1]
	s_cbranch_execz .LBB78_400
; %bb.392:
	v_cmp_gt_i32_e32 vcc, s48, v5
	s_mov_b64 s[0:1], -1
	s_mov_b64 s[24:25], s[20:21]
	s_mov_b64 s[26:27], s[18:19]
	;; [unrolled: 1-line block ×3, first 2 shown]
	s_and_saveexec_b64 s[30:31], vcc
	s_cbranch_execz .LBB78_790
; %bb.393:
	s_waitcnt vmcnt(0)
	v_mul_lo_u32 v0, v5, s13
	v_mov_b32_e32 v1, s11
	s_and_b32 s28, s55, 0xff
	s_cmp_lt_i32 s28, 11
	v_ashrrev_i32_e32 v3, 31, v0
	v_add_co_u32_e32 v2, vcc, s10, v0
	v_addc_co_u32_e32 v3, vcc, v1, v3, vcc
	s_cbranch_scc1 .LBB78_403
; %bb.394:
	s_and_b32 s29, 0xffff, s28
	s_cmp_gt_i32 s29, 25
	s_cbranch_scc0 .LBB78_412
; %bb.395:
	s_cmp_gt_i32 s29, 28
	s_cbranch_scc0 .LBB78_414
; %bb.396:
	;; [unrolled: 3-line block ×4, first 2 shown]
	s_cmp_eq_u32 s29, 46
	s_mov_b64 s[26:27], 0
	s_cbranch_scc0 .LBB78_422
; %bb.399:
	global_load_dword v0, v[2:3], off
	s_mov_b64 s[24:25], 0
	s_waitcnt vmcnt(0)
	v_lshlrev_b32_e32 v0, 16, v0
	v_cvt_i32_f32_e32 v0, v0
	s_branch .LBB78_423
.LBB78_400:
	s_or_b64 exec, exec, s[22:23]
	s_mov_b64 s[22:23], 0
	s_and_saveexec_b64 s[0:1], s[20:21]
	s_cbranch_execnz .LBB78_1270
.LBB78_401:
	s_or_b64 exec, exec, s[0:1]
	s_and_saveexec_b64 s[0:1], s[26:27]
	s_xor_b64 s[0:1], exec, s[0:1]
	s_cbranch_execz .LBB78_1271
.LBB78_402:
	s_waitcnt vmcnt(0)
	global_load_ubyte v0, v[2:3], off
	s_or_b64 s[28:29], s[28:29], exec
	s_waitcnt vmcnt(0)
	v_cmp_ne_u16_e32 vcc, 0, v0
	v_cndmask_b32_e64 v0, 0, 1, vcc
	s_or_b64 exec, exec, s[0:1]
	s_and_saveexec_b64 s[0:1], s[30:31]
	s_cbranch_execz .LBB78_1317
	s_branch .LBB78_1272
.LBB78_403:
	s_mov_b64 s[0:1], 0
                                        ; implicit-def: $vgpr0
	s_mov_b64 s[24:25], s[20:21]
	s_cbranch_execnz .LBB78_485
.LBB78_404:
	s_andn2_b64 vcc, exec, s[0:1]
	s_cbranch_vccnz .LBB78_533
.LBB78_405:
	s_waitcnt vmcnt(0)
	v_mul_lo_u32 v1, v5, s14
	v_mov_b32_e32 v2, s3
	s_and_b32 s34, s54, 0xff
	s_cmp_lt_i32 s34, 11
	v_ashrrev_i32_e32 v3, 31, v1
	v_add_co_u32_e32 v1, vcc, s2, v1
	v_addc_co_u32_e32 v2, vcc, v2, v3, vcc
	s_cbranch_scc1 .LBB78_413
; %bb.406:
	s_and_b32 s35, 0xffff, s34
	s_cmp_gt_i32 s35, 25
	s_cbranch_scc0 .LBB78_415
; %bb.407:
	s_cmp_gt_i32 s35, 28
	s_cbranch_scc0 .LBB78_417
; %bb.408:
	;; [unrolled: 3-line block ×4, first 2 shown]
	s_cmp_eq_u32 s35, 46
	s_mov_b64 s[28:29], 0
	s_cbranch_scc0 .LBB78_537
; %bb.411:
	global_load_dword v3, v[1:2], off
	s_mov_b64 s[0:1], -1
	s_mov_b64 s[26:27], 0
	s_waitcnt vmcnt(0)
	v_lshlrev_b32_e32 v3, 16, v3
	v_cvt_i32_f32_e32 v3, v3
	s_branch .LBB78_538
.LBB78_412:
	s_mov_b64 s[26:27], -1
	s_mov_b64 s[0:1], 0
	s_mov_b64 s[24:25], s[20:21]
                                        ; implicit-def: $vgpr0
	s_branch .LBB78_451
.LBB78_413:
	s_mov_b64 s[28:29], -1
	s_mov_b64 s[0:1], 0
                                        ; implicit-def: $vgpr3
	s_mov_b64 s[26:27], s[18:19]
	s_branch .LBB78_599
.LBB78_414:
	s_mov_b64 s[26:27], -1
	s_mov_b64 s[0:1], 0
	s_mov_b64 s[24:25], s[20:21]
                                        ; implicit-def: $vgpr0
	s_branch .LBB78_434
.LBB78_415:
	s_mov_b64 s[28:29], -1
	s_mov_b64 s[0:1], 0
	s_mov_b64 s[26:27], s[18:19]
                                        ; implicit-def: $vgpr3
	s_branch .LBB78_565
.LBB78_416:
	s_mov_b64 s[26:27], -1
	s_mov_b64 s[0:1], 0
	s_mov_b64 s[24:25], s[20:21]
                                        ; implicit-def: $vgpr0
	s_branch .LBB78_429
.LBB78_417:
	s_mov_b64 s[28:29], -1
	s_mov_b64 s[0:1], 0
	s_mov_b64 s[26:27], s[18:19]
                                        ; implicit-def: $vgpr3
	s_branch .LBB78_548
.LBB78_418:
	s_mov_b64 s[26:27], -1
	s_mov_b64 s[0:1], 0
	s_mov_b64 s[24:25], s[20:21]
                                        ; implicit-def: $vgpr0
	s_branch .LBB78_423
.LBB78_419:
	s_mov_b64 s[28:29], -1
	s_mov_b64 s[0:1], 0
	s_mov_b64 s[26:27], s[18:19]
                                        ; implicit-def: $vgpr3
	s_branch .LBB78_543
.LBB78_420:
	s_andn2_saveexec_b64 s[30:31], s[30:31]
	s_cbranch_execz .LBB78_192
.LBB78_421:
	v_add_f32_e32 v2, 0x46000000, v3
	v_and_b32_e32 v2, 0xff, v2
	v_cmp_ne_u32_e32 vcc, 0, v2
	s_andn2_b64 s[28:29], s[28:29], exec
	s_and_b64 s[36:37], vcc, exec
	s_or_b64 s[28:29], s[28:29], s[36:37]
	s_or_b64 exec, exec, s[30:31]
	v_mov_b32_e32 v4, 0
	s_and_saveexec_b64 s[30:31], s[28:29]
	s_cbranch_execnz .LBB78_193
	s_branch .LBB78_194
.LBB78_422:
	s_mov_b64 s[24:25], -1
                                        ; implicit-def: $vgpr0
	s_mov_b64 s[0:1], 0
.LBB78_423:
	s_and_b64 vcc, exec, s[26:27]
	s_cbranch_vccz .LBB78_428
; %bb.424:
	s_cmp_eq_u32 s29, 44
	s_cbranch_scc0 .LBB78_427
; %bb.425:
	global_load_ubyte v0, v[2:3], off
	s_mov_b64 s[0:1], -1
	s_mov_b64 s[24:25], 0
	s_waitcnt vmcnt(0)
	v_lshlrev_b32_e32 v1, 23, v0
	v_cvt_i32_f32_e32 v1, v1
	v_cmp_ne_u32_e32 vcc, 0, v0
	v_cndmask_b32_e32 v0, 0, v1, vcc
	s_branch .LBB78_428
.LBB78_426:
	s_mov_b64 s[28:29], -1
	s_mov_b64 s[0:1], 0
	s_mov_b64 s[26:27], s[18:19]
                                        ; implicit-def: $vgpr3
	s_branch .LBB78_538
.LBB78_427:
	s_mov_b64 s[24:25], -1
                                        ; implicit-def: $vgpr0
.LBB78_428:
	s_mov_b64 s[26:27], 0
.LBB78_429:
	s_and_b64 vcc, exec, s[26:27]
	s_cbranch_vccz .LBB78_433
; %bb.430:
	s_cmp_eq_u32 s29, 29
	s_cbranch_scc0 .LBB78_432
; %bb.431:
	global_load_dwordx2 v[0:1], v[2:3], off
	s_mov_b64 s[0:1], -1
	s_mov_b64 s[24:25], 0
	s_branch .LBB78_433
.LBB78_432:
	s_mov_b64 s[24:25], -1
                                        ; implicit-def: $vgpr0
.LBB78_433:
	s_mov_b64 s[26:27], 0
.LBB78_434:
	s_and_b64 vcc, exec, s[26:27]
	s_cbranch_vccz .LBB78_450
; %bb.435:
	s_cmp_lt_i32 s29, 27
	s_cbranch_scc1 .LBB78_438
; %bb.436:
	s_cmp_gt_i32 s29, 27
	s_cbranch_scc0 .LBB78_439
; %bb.437:
	global_load_dword v0, v[2:3], off
	s_mov_b64 s[0:1], 0
	s_branch .LBB78_440
.LBB78_438:
	s_mov_b64 s[0:1], -1
                                        ; implicit-def: $vgpr0
	s_branch .LBB78_443
.LBB78_439:
	s_mov_b64 s[0:1], -1
                                        ; implicit-def: $vgpr0
.LBB78_440:
	s_andn2_b64 vcc, exec, s[0:1]
	s_cbranch_vccnz .LBB78_442
; %bb.441:
	global_load_ushort v0, v[2:3], off
.LBB78_442:
	s_mov_b64 s[0:1], 0
.LBB78_443:
	s_andn2_b64 vcc, exec, s[0:1]
	s_cbranch_vccnz .LBB78_449
; %bb.444:
	global_load_ubyte v1, v[2:3], off
	s_movk_i32 s0, 0x7f
	s_mov_b64 s[26:27], 0
	s_waitcnt vmcnt(0)
	v_cmp_lt_i16_e32 vcc, s0, v1
	s_and_saveexec_b64 s[0:1], vcc
	s_xor_b64 s[0:1], exec, s[0:1]
	s_cbranch_execz .LBB78_461
; %bb.445:
	s_movk_i32 s26, 0x80
	v_cmp_ne_u16_e32 vcc, s26, v1
	s_and_b64 s[26:27], vcc, exec
	s_andn2_saveexec_b64 s[0:1], s[0:1]
	s_cbranch_execnz .LBB78_462
.LBB78_446:
	s_or_b64 exec, exec, s[0:1]
	v_mov_b32_e32 v0, 0
	s_and_saveexec_b64 s[0:1], s[26:27]
	s_cbranch_execz .LBB78_448
.LBB78_447:
	v_lshlrev_b32_e32 v0, 24, v1
	v_and_b32_e32 v1, 0xffff, v1
	v_and_b32_e32 v4, 7, v1
	v_ffbh_u32_e32 v7, v4
	v_min_u32_e32 v7, 32, v7
	v_subrev_u32_e32 v8, 28, v7
	v_bfe_u32 v6, v1, 3, 4
	v_lshlrev_b32_e32 v1, v8, v1
	v_sub_u32_e32 v7, 29, v7
	v_and_b32_e32 v1, 7, v1
	v_cmp_eq_u32_e32 vcc, 0, v6
	v_cndmask_b32_e32 v6, v6, v7, vcc
	v_cndmask_b32_e32 v1, v4, v1, vcc
	v_mov_b32_e32 v4, 0x3b800000
	v_lshlrev_b32_e32 v1, 20, v1
	v_and_b32_e32 v0, 0x80000000, v0
	v_lshl_add_u32 v4, v6, 23, v4
	v_or3_b32 v0, v0, v4, v1
	v_cvt_i32_f32_e32 v0, v0
.LBB78_448:
	s_or_b64 exec, exec, s[0:1]
.LBB78_449:
	s_mov_b64 s[0:1], -1
.LBB78_450:
	s_mov_b64 s[26:27], 0
.LBB78_451:
	s_and_b64 vcc, exec, s[26:27]
	s_cbranch_vccz .LBB78_484
; %bb.452:
	s_cmp_gt_i32 s29, 22
	s_cbranch_scc0 .LBB78_460
; %bb.453:
	s_cmp_lt_i32 s29, 24
	s_cbranch_scc1 .LBB78_463
; %bb.454:
	s_cmp_gt_i32 s29, 24
	s_cbranch_scc0 .LBB78_464
; %bb.455:
	global_load_ubyte v1, v[2:3], off
	s_movk_i32 s0, 0x7f
	s_mov_b64 s[26:27], 0
	s_waitcnt vmcnt(0)
	v_cmp_lt_i16_e32 vcc, s0, v1
	s_and_saveexec_b64 s[0:1], vcc
	s_xor_b64 s[0:1], exec, s[0:1]
	s_cbranch_execz .LBB78_476
; %bb.456:
	s_movk_i32 s26, 0x80
	v_cmp_ne_u16_e32 vcc, s26, v1
	s_and_b64 s[26:27], vcc, exec
	s_andn2_saveexec_b64 s[0:1], s[0:1]
	s_cbranch_execnz .LBB78_477
.LBB78_457:
	s_or_b64 exec, exec, s[0:1]
	v_mov_b32_e32 v0, 0
	s_and_saveexec_b64 s[0:1], s[26:27]
	s_cbranch_execz .LBB78_459
.LBB78_458:
	v_lshlrev_b32_e32 v0, 24, v1
	v_and_b32_e32 v1, 0xffff, v1
	v_and_b32_e32 v4, 3, v1
	v_ffbh_u32_e32 v7, v4
	v_min_u32_e32 v7, 32, v7
	v_subrev_u32_e32 v8, 29, v7
	v_bfe_u32 v6, v1, 2, 5
	v_lshlrev_b32_e32 v1, v8, v1
	v_sub_u32_e32 v7, 30, v7
	v_and_b32_e32 v1, 3, v1
	v_cmp_eq_u32_e32 vcc, 0, v6
	v_cndmask_b32_e32 v6, v6, v7, vcc
	v_cndmask_b32_e32 v1, v4, v1, vcc
	v_mov_b32_e32 v4, 0x37800000
	v_lshlrev_b32_e32 v1, 21, v1
	v_and_b32_e32 v0, 0x80000000, v0
	v_lshl_add_u32 v4, v6, 23, v4
	v_or3_b32 v0, v0, v4, v1
	v_cvt_i32_f32_e32 v0, v0
.LBB78_459:
	s_or_b64 exec, exec, s[0:1]
	s_mov_b64 s[0:1], 0
	s_branch .LBB78_465
.LBB78_460:
	s_mov_b64 s[26:27], -1
                                        ; implicit-def: $vgpr0
	s_branch .LBB78_471
.LBB78_461:
	s_andn2_saveexec_b64 s[0:1], s[0:1]
	s_cbranch_execz .LBB78_446
.LBB78_462:
	v_cmp_ne_u16_e32 vcc, 0, v1
	s_andn2_b64 s[26:27], s[26:27], exec
	s_and_b64 s[34:35], vcc, exec
	s_or_b64 s[26:27], s[26:27], s[34:35]
	s_or_b64 exec, exec, s[0:1]
	v_mov_b32_e32 v0, 0
	s_and_saveexec_b64 s[0:1], s[26:27]
	s_cbranch_execnz .LBB78_447
	s_branch .LBB78_448
.LBB78_463:
	s_mov_b64 s[0:1], -1
                                        ; implicit-def: $vgpr0
	s_branch .LBB78_468
.LBB78_464:
	s_mov_b64 s[0:1], -1
                                        ; implicit-def: $vgpr0
.LBB78_465:
	s_and_b64 vcc, exec, s[0:1]
	s_cbranch_vccz .LBB78_467
; %bb.466:
	global_load_ubyte v0, v[2:3], off
	s_mov_b32 s0, 0x7f800000
	s_waitcnt vmcnt(0)
	v_lshlrev_b32_e32 v0, 24, v0
	v_and_b32_e32 v1, 0x7f000000, v0
	v_ffbh_u32_e32 v4, v1
	v_min_u32_e32 v4, 32, v4
	v_sub_u32_e64 v4, v4, 4 clamp
	v_lshlrev_b32_e32 v7, v4, v1
	v_lshlrev_b32_e32 v4, 23, v4
	v_lshrrev_b32_e32 v7, 4, v7
	v_add_u32_e32 v6, 0x1000000, v1
	v_sub_u32_e32 v4, v7, v4
	v_ashrrev_i32_e32 v6, 8, v6
	v_add_u32_e32 v4, 0x3c000000, v4
	v_and_or_b32 v4, v6, s0, v4
	v_cmp_ne_u32_e32 vcc, 0, v1
	v_cndmask_b32_e32 v1, 0, v4, vcc
	s_brev_b32 s0, 1
	v_and_or_b32 v0, v0, s0, v1
	v_cvt_i32_f32_e32 v0, v0
.LBB78_467:
	s_mov_b64 s[0:1], 0
.LBB78_468:
	s_andn2_b64 vcc, exec, s[0:1]
	s_cbranch_vccnz .LBB78_470
; %bb.469:
	global_load_ubyte v0, v[2:3], off
	s_movk_i32 s0, 0x7f00
	s_brev_b32 s1, 16
	s_waitcnt vmcnt(0)
	v_lshlrev_b16_e32 v1, 8, v0
	v_lshlrev_b32_e32 v0, 25, v0
	v_lshrrev_b32_e32 v4, 4, v0
	v_and_or_b32 v6, v1, s0, 0.5
	v_or_b32_e32 v4, 0x70000000, v4
	v_add_f32_e32 v6, -0.5, v6
	v_mul_f32_e32 v4, 0x7800000, v4
	v_cmp_gt_u32_e32 vcc, s1, v0
	v_bfe_i32 v1, v1, 0, 16
	v_cndmask_b32_e32 v0, v4, v6, vcc
	s_brev_b32 s0, 1
	v_and_or_b32 v0, v1, s0, v0
	v_cvt_i32_f32_e32 v0, v0
.LBB78_470:
	s_mov_b64 s[26:27], 0
	s_mov_b64 s[0:1], -1
.LBB78_471:
	s_andn2_b64 vcc, exec, s[26:27]
	s_cbranch_vccnz .LBB78_484
; %bb.472:
	s_cmp_gt_i32 s29, 14
	s_cbranch_scc0 .LBB78_475
; %bb.473:
	s_cmp_eq_u32 s29, 15
	s_cbranch_scc0 .LBB78_478
; %bb.474:
	global_load_ushort v0, v[2:3], off
	s_mov_b64 s[0:1], -1
	s_mov_b64 s[24:25], 0
	s_waitcnt vmcnt(0)
	v_lshlrev_b32_e32 v0, 16, v0
	v_cvt_i32_f32_e32 v0, v0
	s_branch .LBB78_479
.LBB78_475:
	s_mov_b64 s[26:27], -1
                                        ; implicit-def: $vgpr0
	s_branch .LBB78_480
.LBB78_476:
	s_andn2_saveexec_b64 s[0:1], s[0:1]
	s_cbranch_execz .LBB78_457
.LBB78_477:
	v_cmp_ne_u16_e32 vcc, 0, v1
	s_andn2_b64 s[26:27], s[26:27], exec
	s_and_b64 s[34:35], vcc, exec
	s_or_b64 s[26:27], s[26:27], s[34:35]
	s_or_b64 exec, exec, s[0:1]
	v_mov_b32_e32 v0, 0
	s_and_saveexec_b64 s[0:1], s[26:27]
	s_cbranch_execnz .LBB78_458
	s_branch .LBB78_459
.LBB78_478:
	s_mov_b64 s[24:25], -1
                                        ; implicit-def: $vgpr0
.LBB78_479:
	s_mov_b64 s[26:27], 0
.LBB78_480:
	s_and_b64 vcc, exec, s[26:27]
	s_cbranch_vccz .LBB78_484
; %bb.481:
	s_cmp_eq_u32 s29, 11
	s_cbranch_scc0 .LBB78_483
; %bb.482:
	global_load_ubyte v0, v[2:3], off
	s_mov_b64 s[0:1], -1
	s_mov_b64 s[24:25], 0
	s_waitcnt vmcnt(0)
	v_cmp_ne_u16_e32 vcc, 0, v0
	v_cndmask_b32_e64 v0, 0, 1, vcc
	s_branch .LBB78_484
.LBB78_483:
	s_mov_b64 s[24:25], -1
                                        ; implicit-def: $vgpr0
.LBB78_484:
	s_branch .LBB78_404
.LBB78_485:
	s_and_b32 s26, 0xffff, s28
	s_cmp_lt_i32 s26, 5
	s_cbranch_scc1 .LBB78_490
; %bb.486:
	s_cmp_lt_i32 s26, 8
	s_cbranch_scc1 .LBB78_491
; %bb.487:
	;; [unrolled: 3-line block ×3, first 2 shown]
	s_cmp_gt_i32 s26, 9
	s_cbranch_scc0 .LBB78_493
; %bb.489:
	global_load_dwordx2 v[0:1], v[2:3], off
	s_mov_b64 s[0:1], 0
	s_waitcnt vmcnt(0)
	v_cvt_i32_f64_e32 v0, v[0:1]
	s_branch .LBB78_494
.LBB78_490:
	s_mov_b64 s[0:1], -1
                                        ; implicit-def: $vgpr0
	s_branch .LBB78_512
.LBB78_491:
	s_mov_b64 s[0:1], -1
                                        ; implicit-def: $vgpr0
	s_branch .LBB78_500
.LBB78_492:
	s_mov_b64 s[0:1], -1
                                        ; implicit-def: $vgpr0
	s_branch .LBB78_497
.LBB78_493:
	s_mov_b64 s[0:1], -1
                                        ; implicit-def: $vgpr0
.LBB78_494:
	s_andn2_b64 vcc, exec, s[0:1]
	s_cbranch_vccnz .LBB78_496
; %bb.495:
	global_load_dword v0, v[2:3], off
	s_waitcnt vmcnt(0)
	v_cvt_i32_f32_e32 v0, v0
.LBB78_496:
	s_mov_b64 s[0:1], 0
.LBB78_497:
	s_andn2_b64 vcc, exec, s[0:1]
	s_cbranch_vccnz .LBB78_499
; %bb.498:
	global_load_dword v0, v[2:3], off
	s_waitcnt vmcnt(0)
	v_cvt_i16_f16_e32 v0, v0
.LBB78_499:
	s_mov_b64 s[0:1], 0
.LBB78_500:
	s_andn2_b64 vcc, exec, s[0:1]
	s_cbranch_vccnz .LBB78_511
; %bb.501:
	s_cmp_lt_i32 s26, 6
	s_cbranch_scc1 .LBB78_504
; %bb.502:
	s_cmp_gt_i32 s26, 6
	s_cbranch_scc0 .LBB78_505
; %bb.503:
	global_load_dwordx2 v[0:1], v[2:3], off
	s_mov_b64 s[0:1], 0
	s_waitcnt vmcnt(0)
	v_cvt_i32_f64_e32 v0, v[0:1]
	s_branch .LBB78_506
.LBB78_504:
	s_mov_b64 s[0:1], -1
                                        ; implicit-def: $vgpr0
	s_branch .LBB78_509
.LBB78_505:
	s_mov_b64 s[0:1], -1
                                        ; implicit-def: $vgpr0
.LBB78_506:
	s_andn2_b64 vcc, exec, s[0:1]
	s_cbranch_vccnz .LBB78_508
; %bb.507:
	global_load_dword v0, v[2:3], off
	s_waitcnt vmcnt(0)
	v_cvt_i32_f32_e32 v0, v0
.LBB78_508:
	s_mov_b64 s[0:1], 0
.LBB78_509:
	s_andn2_b64 vcc, exec, s[0:1]
	s_cbranch_vccnz .LBB78_511
; %bb.510:
	global_load_ushort v0, v[2:3], off
	s_waitcnt vmcnt(0)
	v_cvt_i16_f16_e32 v0, v0
.LBB78_511:
	s_mov_b64 s[0:1], 0
.LBB78_512:
	s_andn2_b64 vcc, exec, s[0:1]
	s_cbranch_vccnz .LBB78_532
; %bb.513:
	s_cmp_lt_i32 s26, 2
	s_cbranch_scc1 .LBB78_517
; %bb.514:
	s_cmp_lt_i32 s26, 3
	s_cbranch_scc1 .LBB78_518
; %bb.515:
	s_cmp_gt_i32 s26, 3
	s_cbranch_scc0 .LBB78_519
; %bb.516:
	global_load_dwordx2 v[0:1], v[2:3], off
	s_mov_b64 s[0:1], 0
	s_branch .LBB78_520
.LBB78_517:
	s_mov_b64 s[0:1], -1
                                        ; implicit-def: $vgpr0
	s_branch .LBB78_526
.LBB78_518:
	s_mov_b64 s[0:1], -1
                                        ; implicit-def: $vgpr0
	s_branch .LBB78_523
.LBB78_519:
	s_mov_b64 s[0:1], -1
                                        ; implicit-def: $vgpr0
.LBB78_520:
	s_andn2_b64 vcc, exec, s[0:1]
	s_cbranch_vccnz .LBB78_522
; %bb.521:
	global_load_dword v0, v[2:3], off
.LBB78_522:
	s_mov_b64 s[0:1], 0
.LBB78_523:
	s_andn2_b64 vcc, exec, s[0:1]
	s_cbranch_vccnz .LBB78_525
; %bb.524:
	global_load_ushort v0, v[2:3], off
.LBB78_525:
	s_mov_b64 s[0:1], 0
.LBB78_526:
	s_andn2_b64 vcc, exec, s[0:1]
	s_cbranch_vccnz .LBB78_532
; %bb.527:
	s_cmp_gt_i32 s26, 0
	s_cbranch_scc0 .LBB78_529
; %bb.528:
	global_load_sbyte v0, v[2:3], off
	s_mov_b64 s[0:1], 0
	s_branch .LBB78_530
.LBB78_529:
	s_mov_b64 s[0:1], -1
                                        ; implicit-def: $vgpr0
.LBB78_530:
	s_andn2_b64 vcc, exec, s[0:1]
	s_cbranch_vccnz .LBB78_532
; %bb.531:
	global_load_ubyte v0, v[2:3], off
.LBB78_532:
	s_branch .LBB78_405
.LBB78_533:
	s_mov_b64 s[34:35], 0
	s_mov_b64 s[0:1], s[16:17]
	;; [unrolled: 1-line block ×3, first 2 shown]
.LBB78_534:
                                        ; implicit-def: $vgpr5
	s_branch .LBB78_789
.LBB78_535:
	s_andn2_saveexec_b64 s[30:31], s[30:31]
	s_cbranch_execz .LBB78_205
.LBB78_536:
	v_add_f32_e32 v2, 0x42800000, v3
	v_and_b32_e32 v2, 0xff, v2
	v_cmp_ne_u32_e32 vcc, 0, v2
	s_andn2_b64 s[28:29], s[28:29], exec
	s_and_b64 s[36:37], vcc, exec
	s_or_b64 s[28:29], s[28:29], s[36:37]
	s_or_b64 exec, exec, s[30:31]
	v_mov_b32_e32 v4, 0
	s_and_saveexec_b64 s[30:31], s[28:29]
	s_cbranch_execnz .LBB78_206
	s_branch .LBB78_207
.LBB78_537:
	s_mov_b64 s[26:27], -1
                                        ; implicit-def: $vgpr3
	s_mov_b64 s[0:1], 0
.LBB78_538:
	s_and_b64 vcc, exec, s[28:29]
	s_cbranch_vccz .LBB78_542
; %bb.539:
	s_cmp_eq_u32 s35, 44
	s_cbranch_scc0 .LBB78_541
; %bb.540:
	global_load_ubyte v3, v[1:2], off
	s_mov_b64 s[0:1], -1
	s_mov_b64 s[26:27], 0
	s_waitcnt vmcnt(0)
	v_lshlrev_b32_e32 v4, 23, v3
	v_cvt_i32_f32_e32 v4, v4
	v_cmp_ne_u32_e32 vcc, 0, v3
	v_cndmask_b32_e32 v3, 0, v4, vcc
	s_branch .LBB78_542
.LBB78_541:
	s_mov_b64 s[26:27], -1
                                        ; implicit-def: $vgpr3
.LBB78_542:
	s_mov_b64 s[28:29], 0
.LBB78_543:
	s_and_b64 vcc, exec, s[28:29]
	s_cbranch_vccz .LBB78_547
; %bb.544:
	s_cmp_eq_u32 s35, 29
	s_cbranch_scc0 .LBB78_546
; %bb.545:
	global_load_dwordx2 v[3:4], v[1:2], off
	s_mov_b64 s[0:1], -1
	s_mov_b64 s[26:27], 0
	s_branch .LBB78_547
.LBB78_546:
	s_mov_b64 s[26:27], -1
                                        ; implicit-def: $vgpr3
.LBB78_547:
	s_mov_b64 s[28:29], 0
.LBB78_548:
	s_and_b64 vcc, exec, s[28:29]
	s_cbranch_vccz .LBB78_564
; %bb.549:
	s_cmp_lt_i32 s35, 27
	s_cbranch_scc1 .LBB78_552
; %bb.550:
	s_cmp_gt_i32 s35, 27
	s_cbranch_scc0 .LBB78_553
; %bb.551:
	global_load_dword v3, v[1:2], off
	s_mov_b64 s[0:1], 0
	s_branch .LBB78_554
.LBB78_552:
	s_mov_b64 s[0:1], -1
                                        ; implicit-def: $vgpr3
	s_branch .LBB78_557
.LBB78_553:
	s_mov_b64 s[0:1], -1
                                        ; implicit-def: $vgpr3
.LBB78_554:
	s_andn2_b64 vcc, exec, s[0:1]
	s_cbranch_vccnz .LBB78_556
; %bb.555:
	global_load_ushort v3, v[1:2], off
.LBB78_556:
	s_mov_b64 s[0:1], 0
.LBB78_557:
	s_andn2_b64 vcc, exec, s[0:1]
	s_cbranch_vccnz .LBB78_563
; %bb.558:
	global_load_ubyte v4, v[1:2], off
	s_movk_i32 s0, 0x7f
	s_mov_b64 s[28:29], 0
	s_waitcnt vmcnt(0)
	v_cmp_lt_i16_e32 vcc, s0, v4
	s_and_saveexec_b64 s[0:1], vcc
	s_xor_b64 s[0:1], exec, s[0:1]
	s_cbranch_execz .LBB78_575
; %bb.559:
	s_movk_i32 s28, 0x80
	v_cmp_ne_u16_e32 vcc, s28, v4
	s_and_b64 s[28:29], vcc, exec
	s_andn2_saveexec_b64 s[0:1], s[0:1]
	s_cbranch_execnz .LBB78_576
.LBB78_560:
	s_or_b64 exec, exec, s[0:1]
	v_mov_b32_e32 v3, 0
	s_and_saveexec_b64 s[0:1], s[28:29]
	s_cbranch_execz .LBB78_562
.LBB78_561:
	v_lshlrev_b32_e32 v3, 24, v4
	v_and_b32_e32 v4, 0xffff, v4
	v_and_b32_e32 v6, 7, v4
	v_ffbh_u32_e32 v8, v6
	v_min_u32_e32 v8, 32, v8
	v_subrev_u32_e32 v9, 28, v8
	v_bfe_u32 v7, v4, 3, 4
	v_lshlrev_b32_e32 v4, v9, v4
	v_sub_u32_e32 v8, 29, v8
	v_and_b32_e32 v4, 7, v4
	v_cmp_eq_u32_e32 vcc, 0, v7
	v_cndmask_b32_e32 v7, v7, v8, vcc
	v_cndmask_b32_e32 v4, v6, v4, vcc
	v_mov_b32_e32 v6, 0x3b800000
	v_lshlrev_b32_e32 v4, 20, v4
	v_and_b32_e32 v3, 0x80000000, v3
	v_lshl_add_u32 v6, v7, 23, v6
	v_or3_b32 v3, v3, v6, v4
	v_cvt_i32_f32_e32 v3, v3
.LBB78_562:
	s_or_b64 exec, exec, s[0:1]
.LBB78_563:
	s_mov_b64 s[0:1], -1
.LBB78_564:
	s_mov_b64 s[28:29], 0
.LBB78_565:
	s_and_b64 vcc, exec, s[28:29]
	s_cbranch_vccz .LBB78_598
; %bb.566:
	s_cmp_gt_i32 s35, 22
	s_cbranch_scc0 .LBB78_574
; %bb.567:
	s_cmp_lt_i32 s35, 24
	s_cbranch_scc1 .LBB78_577
; %bb.568:
	s_cmp_gt_i32 s35, 24
	s_cbranch_scc0 .LBB78_578
; %bb.569:
	global_load_ubyte v4, v[1:2], off
	s_movk_i32 s0, 0x7f
	s_mov_b64 s[28:29], 0
	s_waitcnt vmcnt(0)
	v_cmp_lt_i16_e32 vcc, s0, v4
	s_and_saveexec_b64 s[0:1], vcc
	s_xor_b64 s[0:1], exec, s[0:1]
	s_cbranch_execz .LBB78_590
; %bb.570:
	s_movk_i32 s28, 0x80
	v_cmp_ne_u16_e32 vcc, s28, v4
	s_and_b64 s[28:29], vcc, exec
	s_andn2_saveexec_b64 s[0:1], s[0:1]
	s_cbranch_execnz .LBB78_591
.LBB78_571:
	s_or_b64 exec, exec, s[0:1]
	v_mov_b32_e32 v3, 0
	s_and_saveexec_b64 s[0:1], s[28:29]
	s_cbranch_execz .LBB78_573
.LBB78_572:
	v_lshlrev_b32_e32 v3, 24, v4
	v_and_b32_e32 v4, 0xffff, v4
	v_and_b32_e32 v6, 3, v4
	v_ffbh_u32_e32 v8, v6
	v_min_u32_e32 v8, 32, v8
	v_subrev_u32_e32 v9, 29, v8
	v_bfe_u32 v7, v4, 2, 5
	v_lshlrev_b32_e32 v4, v9, v4
	v_sub_u32_e32 v8, 30, v8
	v_and_b32_e32 v4, 3, v4
	v_cmp_eq_u32_e32 vcc, 0, v7
	v_cndmask_b32_e32 v7, v7, v8, vcc
	v_cndmask_b32_e32 v4, v6, v4, vcc
	v_mov_b32_e32 v6, 0x37800000
	v_lshlrev_b32_e32 v4, 21, v4
	v_and_b32_e32 v3, 0x80000000, v3
	v_lshl_add_u32 v6, v7, 23, v6
	v_or3_b32 v3, v3, v6, v4
	v_cvt_i32_f32_e32 v3, v3
.LBB78_573:
	s_or_b64 exec, exec, s[0:1]
	s_mov_b64 s[0:1], 0
	s_branch .LBB78_579
.LBB78_574:
	s_mov_b64 s[28:29], -1
                                        ; implicit-def: $vgpr3
	s_branch .LBB78_585
.LBB78_575:
	s_andn2_saveexec_b64 s[0:1], s[0:1]
	s_cbranch_execz .LBB78_560
.LBB78_576:
	v_cmp_ne_u16_e32 vcc, 0, v4
	s_andn2_b64 s[28:29], s[28:29], exec
	s_and_b64 s[36:37], vcc, exec
	s_or_b64 s[28:29], s[28:29], s[36:37]
	s_or_b64 exec, exec, s[0:1]
	v_mov_b32_e32 v3, 0
	s_and_saveexec_b64 s[0:1], s[28:29]
	s_cbranch_execnz .LBB78_561
	s_branch .LBB78_562
.LBB78_577:
	s_mov_b64 s[0:1], -1
                                        ; implicit-def: $vgpr3
	s_branch .LBB78_582
.LBB78_578:
	s_mov_b64 s[0:1], -1
                                        ; implicit-def: $vgpr3
.LBB78_579:
	s_and_b64 vcc, exec, s[0:1]
	s_cbranch_vccz .LBB78_581
; %bb.580:
	global_load_ubyte v3, v[1:2], off
	s_mov_b32 s0, 0x7f800000
	s_waitcnt vmcnt(0)
	v_lshlrev_b32_e32 v3, 24, v3
	v_and_b32_e32 v4, 0x7f000000, v3
	v_ffbh_u32_e32 v6, v4
	v_min_u32_e32 v6, 32, v6
	v_sub_u32_e64 v6, v6, 4 clamp
	v_lshlrev_b32_e32 v8, v6, v4
	v_lshlrev_b32_e32 v6, 23, v6
	v_lshrrev_b32_e32 v8, 4, v8
	v_add_u32_e32 v7, 0x1000000, v4
	v_sub_u32_e32 v6, v8, v6
	v_ashrrev_i32_e32 v7, 8, v7
	v_add_u32_e32 v6, 0x3c000000, v6
	v_and_or_b32 v6, v7, s0, v6
	v_cmp_ne_u32_e32 vcc, 0, v4
	v_cndmask_b32_e32 v4, 0, v6, vcc
	s_brev_b32 s0, 1
	v_and_or_b32 v3, v3, s0, v4
	v_cvt_i32_f32_e32 v3, v3
.LBB78_581:
	s_mov_b64 s[0:1], 0
.LBB78_582:
	s_andn2_b64 vcc, exec, s[0:1]
	s_cbranch_vccnz .LBB78_584
; %bb.583:
	global_load_ubyte v3, v[1:2], off
	s_movk_i32 s0, 0x7f00
	s_brev_b32 s1, 16
	s_waitcnt vmcnt(0)
	v_lshlrev_b16_e32 v4, 8, v3
	v_lshlrev_b32_e32 v3, 25, v3
	v_lshrrev_b32_e32 v6, 4, v3
	v_and_or_b32 v7, v4, s0, 0.5
	v_or_b32_e32 v6, 0x70000000, v6
	v_add_f32_e32 v7, -0.5, v7
	v_mul_f32_e32 v6, 0x7800000, v6
	v_cmp_gt_u32_e32 vcc, s1, v3
	v_bfe_i32 v4, v4, 0, 16
	v_cndmask_b32_e32 v3, v6, v7, vcc
	s_brev_b32 s0, 1
	v_and_or_b32 v3, v4, s0, v3
	v_cvt_i32_f32_e32 v3, v3
.LBB78_584:
	s_mov_b64 s[28:29], 0
	s_mov_b64 s[0:1], -1
.LBB78_585:
	s_andn2_b64 vcc, exec, s[28:29]
	s_cbranch_vccnz .LBB78_598
; %bb.586:
	s_cmp_gt_i32 s35, 14
	s_cbranch_scc0 .LBB78_589
; %bb.587:
	s_cmp_eq_u32 s35, 15
	s_cbranch_scc0 .LBB78_592
; %bb.588:
	global_load_ushort v3, v[1:2], off
	s_mov_b64 s[0:1], -1
	s_mov_b64 s[26:27], 0
	s_waitcnt vmcnt(0)
	v_lshlrev_b32_e32 v3, 16, v3
	v_cvt_i32_f32_e32 v3, v3
	s_branch .LBB78_593
.LBB78_589:
	s_mov_b64 s[28:29], -1
                                        ; implicit-def: $vgpr3
	s_branch .LBB78_594
.LBB78_590:
	s_andn2_saveexec_b64 s[0:1], s[0:1]
	s_cbranch_execz .LBB78_571
.LBB78_591:
	v_cmp_ne_u16_e32 vcc, 0, v4
	s_andn2_b64 s[28:29], s[28:29], exec
	s_and_b64 s[36:37], vcc, exec
	s_or_b64 s[28:29], s[28:29], s[36:37]
	s_or_b64 exec, exec, s[0:1]
	v_mov_b32_e32 v3, 0
	s_and_saveexec_b64 s[0:1], s[28:29]
	s_cbranch_execnz .LBB78_572
	s_branch .LBB78_573
.LBB78_592:
	s_mov_b64 s[26:27], -1
                                        ; implicit-def: $vgpr3
.LBB78_593:
	s_mov_b64 s[28:29], 0
.LBB78_594:
	s_and_b64 vcc, exec, s[28:29]
	s_cbranch_vccz .LBB78_598
; %bb.595:
	s_cmp_eq_u32 s35, 11
	s_cbranch_scc0 .LBB78_597
; %bb.596:
	global_load_ubyte v3, v[1:2], off
	s_mov_b64 s[0:1], -1
	s_mov_b64 s[26:27], 0
	s_waitcnt vmcnt(0)
	v_cmp_ne_u16_e32 vcc, 0, v3
	v_cndmask_b32_e64 v3, 0, 1, vcc
	s_branch .LBB78_598
.LBB78_597:
	s_mov_b64 s[26:27], -1
                                        ; implicit-def: $vgpr3
.LBB78_598:
	s_mov_b64 s[28:29], 0
.LBB78_599:
	s_and_b64 vcc, exec, s[28:29]
	s_cbranch_vccz .LBB78_648
; %bb.600:
	s_and_b32 s28, 0xffff, s34
	s_cmp_lt_i32 s28, 5
	s_cbranch_scc1 .LBB78_605
; %bb.601:
	s_cmp_lt_i32 s28, 8
	s_cbranch_scc1 .LBB78_606
; %bb.602:
	;; [unrolled: 3-line block ×3, first 2 shown]
	s_cmp_gt_i32 s28, 9
	s_cbranch_scc0 .LBB78_608
; %bb.604:
	global_load_dwordx2 v[3:4], v[1:2], off
	s_mov_b64 s[0:1], 0
	s_waitcnt vmcnt(0)
	v_cvt_i32_f64_e32 v3, v[3:4]
	s_branch .LBB78_609
.LBB78_605:
	s_mov_b64 s[0:1], -1
                                        ; implicit-def: $vgpr3
	s_branch .LBB78_627
.LBB78_606:
	s_mov_b64 s[0:1], -1
                                        ; implicit-def: $vgpr3
	s_branch .LBB78_615
.LBB78_607:
	s_mov_b64 s[0:1], -1
                                        ; implicit-def: $vgpr3
	s_branch .LBB78_612
.LBB78_608:
	s_mov_b64 s[0:1], -1
                                        ; implicit-def: $vgpr3
.LBB78_609:
	s_andn2_b64 vcc, exec, s[0:1]
	s_cbranch_vccnz .LBB78_611
; %bb.610:
	global_load_dword v3, v[1:2], off
	s_waitcnt vmcnt(0)
	v_cvt_i32_f32_e32 v3, v3
.LBB78_611:
	s_mov_b64 s[0:1], 0
.LBB78_612:
	s_andn2_b64 vcc, exec, s[0:1]
	s_cbranch_vccnz .LBB78_614
; %bb.613:
	global_load_dword v3, v[1:2], off
	s_waitcnt vmcnt(0)
	v_cvt_i16_f16_e32 v3, v3
.LBB78_614:
	s_mov_b64 s[0:1], 0
.LBB78_615:
	s_andn2_b64 vcc, exec, s[0:1]
	s_cbranch_vccnz .LBB78_626
; %bb.616:
	s_cmp_lt_i32 s28, 6
	s_cbranch_scc1 .LBB78_619
; %bb.617:
	s_cmp_gt_i32 s28, 6
	s_cbranch_scc0 .LBB78_620
; %bb.618:
	global_load_dwordx2 v[3:4], v[1:2], off
	s_mov_b64 s[0:1], 0
	s_waitcnt vmcnt(0)
	v_cvt_i32_f64_e32 v3, v[3:4]
	s_branch .LBB78_621
.LBB78_619:
	s_mov_b64 s[0:1], -1
                                        ; implicit-def: $vgpr3
	s_branch .LBB78_624
.LBB78_620:
	s_mov_b64 s[0:1], -1
                                        ; implicit-def: $vgpr3
.LBB78_621:
	s_andn2_b64 vcc, exec, s[0:1]
	s_cbranch_vccnz .LBB78_623
; %bb.622:
	global_load_dword v3, v[1:2], off
	s_waitcnt vmcnt(0)
	v_cvt_i32_f32_e32 v3, v3
.LBB78_623:
	s_mov_b64 s[0:1], 0
.LBB78_624:
	s_andn2_b64 vcc, exec, s[0:1]
	s_cbranch_vccnz .LBB78_626
; %bb.625:
	global_load_ushort v3, v[1:2], off
	s_waitcnt vmcnt(0)
	v_cvt_i16_f16_e32 v3, v3
.LBB78_626:
	s_mov_b64 s[0:1], 0
.LBB78_627:
	s_andn2_b64 vcc, exec, s[0:1]
	s_cbranch_vccnz .LBB78_647
; %bb.628:
	s_cmp_lt_i32 s28, 2
	s_cbranch_scc1 .LBB78_632
; %bb.629:
	s_cmp_lt_i32 s28, 3
	s_cbranch_scc1 .LBB78_633
; %bb.630:
	s_cmp_gt_i32 s28, 3
	s_cbranch_scc0 .LBB78_634
; %bb.631:
	global_load_dwordx2 v[3:4], v[1:2], off
	s_mov_b64 s[0:1], 0
	s_branch .LBB78_635
.LBB78_632:
	s_mov_b64 s[0:1], -1
                                        ; implicit-def: $vgpr3
	s_branch .LBB78_641
.LBB78_633:
	s_mov_b64 s[0:1], -1
                                        ; implicit-def: $vgpr3
	s_branch .LBB78_638
.LBB78_634:
	s_mov_b64 s[0:1], -1
                                        ; implicit-def: $vgpr3
.LBB78_635:
	s_andn2_b64 vcc, exec, s[0:1]
	s_cbranch_vccnz .LBB78_637
; %bb.636:
	global_load_dword v3, v[1:2], off
.LBB78_637:
	s_mov_b64 s[0:1], 0
.LBB78_638:
	s_andn2_b64 vcc, exec, s[0:1]
	s_cbranch_vccnz .LBB78_640
; %bb.639:
	global_load_ushort v3, v[1:2], off
.LBB78_640:
	s_mov_b64 s[0:1], 0
.LBB78_641:
	s_andn2_b64 vcc, exec, s[0:1]
	s_cbranch_vccnz .LBB78_647
; %bb.642:
	s_cmp_gt_i32 s28, 0
	s_cbranch_scc0 .LBB78_644
; %bb.643:
	global_load_sbyte v3, v[1:2], off
	s_mov_b64 s[0:1], 0
	s_branch .LBB78_645
.LBB78_644:
	s_mov_b64 s[0:1], -1
                                        ; implicit-def: $vgpr3
.LBB78_645:
	s_andn2_b64 vcc, exec, s[0:1]
	s_cbranch_vccnz .LBB78_647
; %bb.646:
	global_load_ubyte v3, v[1:2], off
.LBB78_647:
	s_mov_b64 s[0:1], -1
.LBB78_648:
	s_andn2_b64 vcc, exec, s[0:1]
	s_cbranch_vccnz .LBB78_653
; %bb.649:
	s_cmp_lt_i32 s15, 1
	s_mov_b64 s[0:1], 0
	s_cbranch_scc1 .LBB78_654
; %bb.650:
	s_cmp_gt_i32 s15, 1
	s_cbranch_scc0 .LBB78_655
; %bb.651:
	s_cmp_eq_u32 s15, 2
	s_cbranch_scc0 .LBB78_656
; %bb.652:
	s_waitcnt vmcnt(0)
	v_cmp_le_i16_e64 s[28:29], v0, v3
	s_mov_b64 s[34:35], 0
	s_branch .LBB78_657
.LBB78_653:
	s_mov_b64 s[34:35], 0
                                        ; implicit-def: $vgpr5
	s_mov_b64 s[0:1], s[16:17]
	s_branch .LBB78_789
.LBB78_654:
	s_mov_b64 s[36:37], -1
                                        ; implicit-def: $sgpr28_sgpr29
	s_mov_b64 s[34:35], 0
	s_branch .LBB78_661
.LBB78_655:
	s_mov_b64 s[36:37], -1
	s_mov_b64 s[34:35], 0
                                        ; implicit-def: $sgpr28_sgpr29
	s_branch .LBB78_658
.LBB78_656:
	s_mov_b64 s[34:35], -1
                                        ; implicit-def: $sgpr28_sgpr29
.LBB78_657:
	s_mov_b64 s[36:37], 0
.LBB78_658:
	s_and_b64 vcc, exec, s[36:37]
	s_cbranch_vccz .LBB78_660
; %bb.659:
	s_waitcnt vmcnt(0)
	v_cmp_gt_i16_e32 vcc, v0, v3
	s_andn2_b64 s[28:29], s[28:29], exec
	s_and_b64 s[36:37], vcc, exec
	s_or_b64 s[28:29], s[28:29], s[36:37]
.LBB78_660:
	s_mov_b64 s[36:37], 0
.LBB78_661:
	s_and_b64 vcc, exec, s[36:37]
	s_cbranch_vccz .LBB78_672
; %bb.662:
	s_cmp_lg_u32 s15, 0
	s_mov_b64 s[0:1], -1
	s_cselect_b64 s[34:35], -1, 0
	s_andn2_b64 vcc, exec, s[34:35]
	s_cbranch_vccz .LBB78_673
.LBB78_663:
	s_andn2_b64 vcc, exec, s[0:1]
	s_cbranch_vccnz .LBB78_665
.LBB78_664:
	s_waitcnt vmcnt(0)
	v_cmp_ge_i16_e32 vcc, v0, v3
	s_andn2_b64 s[0:1], s[28:29], exec
	s_and_b64 s[28:29], vcc, exec
	s_or_b64 s[28:29], s[0:1], s[28:29]
.LBB78_665:
	v_mul_lo_u32 v0, v5, s12
	v_mov_b32_e32 v1, s9
	s_and_b32 s40, s33, 0xff
	s_cmp_lt_i32 s40, 11
	v_ashrrev_i32_e32 v2, 31, v0
	v_add_co_u32_e32 v0, vcc, s8, v0
	v_addc_co_u32_e32 v1, vcc, v1, v2, vcc
	s_cbranch_scc1 .LBB78_674
; %bb.666:
	s_and_b32 s41, 0xffff, s40
	s_cmp_gt_i32 s41, 25
	s_cbranch_scc0 .LBB78_675
; %bb.667:
	s_cmp_gt_i32 s41, 28
	s_cbranch_scc0 .LBB78_676
; %bb.668:
	;; [unrolled: 3-line block ×4, first 2 shown]
	s_mov_b64 s[36:37], 0
	s_mov_b64 s[0:1], -1
	s_cmp_eq_u32 s41, 46
	s_mov_b64 s[34:35], 0
	s_cbranch_scc0 .LBB78_679
; %bb.671:
	v_cndmask_b32_e64 v2, 0, 1.0, s[28:29]
	s_waitcnt vmcnt(0)
	v_bfe_u32 v3, v2, 16, 1
	s_movk_i32 s0, 0x7fff
	v_add3_u32 v2, v2, v3, s0
	v_lshrrev_b32_e32 v2, 16, v2
	global_store_dword v[0:1], v2, off
	s_mov_b64 s[34:35], -1
	s_mov_b64 s[0:1], 0
	s_branch .LBB78_679
.LBB78_672:
	s_andn2_b64 vcc, exec, s[34:35]
	s_cbranch_vccnz .LBB78_663
.LBB78_673:
	s_waitcnt vmcnt(0)
	v_cmp_lt_i16_e32 vcc, v0, v3
	s_andn2_b64 s[28:29], s[28:29], exec
	s_and_b64 s[34:35], vcc, exec
	s_or_b64 s[28:29], s[28:29], s[34:35]
	s_cbranch_execz .LBB78_664
	s_branch .LBB78_665
.LBB78_674:
	s_mov_b64 s[36:37], -1
	s_mov_b64 s[34:35], 0
	s_mov_b64 s[0:1], s[16:17]
	s_branch .LBB78_748
.LBB78_675:
	s_mov_b64 s[36:37], -1
	s_mov_b64 s[34:35], 0
	s_mov_b64 s[0:1], s[16:17]
	s_branch .LBB78_706
.LBB78_676:
	s_mov_b64 s[36:37], -1
	s_mov_b64 s[34:35], 0
	s_mov_b64 s[0:1], s[16:17]
	s_branch .LBB78_689
.LBB78_677:
	s_mov_b64 s[36:37], -1
	s_mov_b64 s[34:35], 0
	s_mov_b64 s[0:1], s[16:17]
	s_branch .LBB78_685
.LBB78_678:
	s_mov_b64 s[36:37], -1
	s_mov_b64 s[34:35], 0
	s_mov_b64 s[0:1], s[16:17]
.LBB78_679:
	s_and_b64 vcc, exec, s[36:37]
	s_cbranch_vccz .LBB78_684
; %bb.680:
	s_cmp_eq_u32 s41, 44
	s_mov_b64 s[0:1], -1
	s_cbranch_scc0 .LBB78_684
; %bb.681:
	s_waitcnt vmcnt(0)
	v_cndmask_b32_e64 v3, 0, 1.0, s[28:29]
	v_lshrrev_b32_e32 v2, 23, v3
	s_movk_i32 s0, 0xff
	v_cmp_ne_u32_e32 vcc, s0, v2
	v_mov_b32_e32 v4, 0xff
	s_and_saveexec_b64 s[34:35], vcc
; %bb.682:
	s_mov_b32 s0, 0x3fffff
	v_and_b32_e32 v4, 0x400000, v3
	v_and_or_b32 v3, v3, s0, v2
	v_cmp_ne_u32_e32 vcc, 0, v4
	v_cmp_ne_u32_e64 s[0:1], 0, v3
	s_and_b64 s[0:1], vcc, s[0:1]
	v_cndmask_b32_e64 v3, 0, 1, s[0:1]
	v_add_u32_e32 v4, v2, v3
; %bb.683:
	s_or_b64 exec, exec, s[34:35]
	s_mov_b64 s[34:35], -1
	s_mov_b64 s[0:1], 0
	global_store_byte v[0:1], v4, off
.LBB78_684:
	s_mov_b64 s[36:37], 0
.LBB78_685:
	s_and_b64 vcc, exec, s[36:37]
	s_cbranch_vccz .LBB78_688
; %bb.686:
	s_cmp_eq_u32 s41, 29
	s_mov_b64 s[0:1], -1
	s_cbranch_scc0 .LBB78_688
; %bb.687:
	s_mov_b32 s0, 0
	v_cndmask_b32_e64 v2, 0, 1, s[28:29]
	s_waitcnt vmcnt(0)
	v_mov_b32_e32 v3, s0
	global_store_dwordx2 v[0:1], v[2:3], off
	s_mov_b64 s[34:35], -1
	s_mov_b64 s[0:1], 0
.LBB78_688:
	s_mov_b64 s[36:37], 0
.LBB78_689:
	s_and_b64 vcc, exec, s[36:37]
	s_cbranch_vccz .LBB78_705
; %bb.690:
	s_cmp_lt_i32 s41, 27
	s_mov_b64 s[34:35], -1
	s_cbranch_scc1 .LBB78_696
; %bb.691:
	s_cmp_gt_i32 s41, 27
	s_cbranch_scc0 .LBB78_693
; %bb.692:
	v_cndmask_b32_e64 v2, 0, 1, s[28:29]
	s_mov_b64 s[34:35], 0
	global_store_dword v[0:1], v2, off
.LBB78_693:
	s_andn2_b64 vcc, exec, s[34:35]
	s_cbranch_vccnz .LBB78_695
; %bb.694:
	v_cndmask_b32_e64 v2, 0, 1, s[28:29]
	global_store_short v[0:1], v2, off
.LBB78_695:
	s_mov_b64 s[34:35], 0
.LBB78_696:
	s_andn2_b64 vcc, exec, s[34:35]
	s_cbranch_vccnz .LBB78_704
; %bb.697:
	s_waitcnt vmcnt(0)
	v_cndmask_b32_e64 v3, 0, 1.0, s[28:29]
	s_mov_b32 s34, 0x43800000
	v_cmp_gt_u32_e32 vcc, s34, v3
	v_mov_b32_e32 v4, 0x80
	s_and_saveexec_b64 s[34:35], vcc
	s_cbranch_execz .LBB78_703
; %bb.698:
	s_mov_b32 s36, 0x3bffffff
	v_cmp_lt_u32_e32 vcc, s36, v3
	s_mov_b64 s[36:37], 0
                                        ; implicit-def: $vgpr2
	s_and_saveexec_b64 s[38:39], vcc
	s_xor_b64 s[38:39], exec, s[38:39]
	s_cbranch_execz .LBB78_805
; %bb.699:
	v_bfe_u32 v2, v3, 20, 1
	s_mov_b32 s42, 0x487ffff
	v_add3_u32 v2, v3, v2, s42
	s_mov_b64 s[36:37], exec
	v_lshrrev_b32_e32 v2, 20, v2
                                        ; implicit-def: $vgpr3
	s_andn2_saveexec_b64 s[38:39], s[38:39]
	s_cbranch_execnz .LBB78_806
.LBB78_700:
	s_or_b64 exec, exec, s[38:39]
	v_mov_b32_e32 v4, 0
	s_and_saveexec_b64 s[38:39], s[36:37]
.LBB78_701:
	v_mov_b32_e32 v4, v2
.LBB78_702:
	s_or_b64 exec, exec, s[38:39]
.LBB78_703:
	s_or_b64 exec, exec, s[34:35]
	global_store_byte v[0:1], v4, off
.LBB78_704:
	s_mov_b64 s[34:35], -1
.LBB78_705:
	s_mov_b64 s[36:37], 0
.LBB78_706:
	s_and_b64 vcc, exec, s[36:37]
	s_cbranch_vccz .LBB78_747
; %bb.707:
	s_cmp_gt_i32 s41, 22
	s_mov_b64 s[36:37], -1
	s_cbranch_scc0 .LBB78_739
; %bb.708:
	s_cmp_lt_i32 s41, 24
	s_mov_b64 s[34:35], -1
	s_cbranch_scc1 .LBB78_728
; %bb.709:
	s_cmp_gt_i32 s41, 24
	s_cbranch_scc0 .LBB78_717
; %bb.710:
	s_waitcnt vmcnt(0)
	v_cndmask_b32_e64 v3, 0, 1.0, s[28:29]
	s_mov_b32 s34, 0x47800000
	v_cmp_gt_u32_e32 vcc, s34, v3
	v_mov_b32_e32 v4, 0x80
	s_and_saveexec_b64 s[34:35], vcc
	s_cbranch_execz .LBB78_716
; %bb.711:
	s_mov_b32 s36, 0x37ffffff
	v_cmp_lt_u32_e32 vcc, s36, v3
	s_mov_b64 s[36:37], 0
                                        ; implicit-def: $vgpr2
	s_and_saveexec_b64 s[38:39], vcc
	s_xor_b64 s[38:39], exec, s[38:39]
	s_cbranch_execz .LBB78_933
; %bb.712:
	v_bfe_u32 v2, v3, 21, 1
	s_mov_b32 s42, 0x88fffff
	v_add3_u32 v2, v3, v2, s42
	s_mov_b64 s[36:37], exec
	v_lshrrev_b32_e32 v2, 21, v2
                                        ; implicit-def: $vgpr3
	s_andn2_saveexec_b64 s[38:39], s[38:39]
	s_cbranch_execnz .LBB78_934
.LBB78_713:
	s_or_b64 exec, exec, s[38:39]
	v_mov_b32_e32 v4, 0
	s_and_saveexec_b64 s[38:39], s[36:37]
.LBB78_714:
	v_mov_b32_e32 v4, v2
.LBB78_715:
	s_or_b64 exec, exec, s[38:39]
.LBB78_716:
	s_or_b64 exec, exec, s[34:35]
	s_mov_b64 s[34:35], 0
	global_store_byte v[0:1], v4, off
.LBB78_717:
	s_and_b64 vcc, exec, s[34:35]
	s_cbranch_vccz .LBB78_727
; %bb.718:
	v_cndmask_b32_e64 v2, 0, 1.0, s[28:29]
	s_mov_b32 s34, 0x43f00000
	v_cmp_gt_u32_e32 vcc, s34, v2
                                        ; implicit-def: $vgpr3
	s_and_saveexec_b64 s[34:35], vcc
	s_xor_b64 s[34:35], exec, s[34:35]
	s_cbranch_execz .LBB78_724
; %bb.719:
	s_mov_b32 s36, 0x3c7fffff
	v_cmp_lt_u32_e32 vcc, s36, v2
                                        ; implicit-def: $vgpr3
	s_and_saveexec_b64 s[36:37], vcc
	s_xor_b64 s[36:37], exec, s[36:37]
	s_cbranch_execz .LBB78_721
; %bb.720:
	s_waitcnt vmcnt(0)
	v_bfe_u32 v3, v2, 20, 1
	s_mov_b32 s38, 0x407ffff
	v_add3_u32 v2, v2, v3, s38
	v_lshrrev_b32_e32 v3, 20, v2
	v_and_b32_e32 v2, 0xff00000, v2
	s_mov_b32 s38, 0x7f00000
	v_mov_b32_e32 v4, 0x7e
	v_cmp_ne_u32_e32 vcc, s38, v2
	v_cndmask_b32_e32 v3, v4, v3, vcc
                                        ; implicit-def: $vgpr2
.LBB78_721:
	s_andn2_saveexec_b64 s[36:37], s[36:37]
	s_cbranch_execz .LBB78_723
; %bb.722:
	s_waitcnt vmcnt(0)
	v_add_f32_e32 v3, 0x46800000, v2
.LBB78_723:
	s_or_b64 exec, exec, s[36:37]
                                        ; implicit-def: $vgpr2
.LBB78_724:
	s_andn2_saveexec_b64 s[34:35], s[34:35]
	s_cbranch_execz .LBB78_726
; %bb.725:
	s_mov_b32 s36, 0x7f800000
	s_waitcnt vmcnt(0)
	v_mov_b32_e32 v3, 0x7e
	v_mov_b32_e32 v4, 0x7f
	v_cmp_lt_u32_e32 vcc, s36, v2
	v_cndmask_b32_e32 v3, v3, v4, vcc
.LBB78_726:
	s_or_b64 exec, exec, s[34:35]
	s_waitcnt vmcnt(0)
	global_store_byte v[0:1], v3, off
.LBB78_727:
	s_mov_b64 s[34:35], 0
.LBB78_728:
	s_andn2_b64 vcc, exec, s[34:35]
	s_cbranch_vccnz .LBB78_738
; %bb.729:
	v_cndmask_b32_e64 v2, 0, 1.0, s[28:29]
	s_mov_b32 s34, 0x47800000
	v_cmp_gt_u32_e32 vcc, s34, v2
                                        ; implicit-def: $vgpr3
	s_and_saveexec_b64 s[34:35], vcc
	s_xor_b64 s[34:35], exec, s[34:35]
	s_cbranch_execz .LBB78_735
; %bb.730:
	s_mov_b32 s36, 0x387fffff
	v_cmp_lt_u32_e32 vcc, s36, v2
                                        ; implicit-def: $vgpr3
	s_and_saveexec_b64 s[36:37], vcc
	s_xor_b64 s[36:37], exec, s[36:37]
	s_cbranch_execz .LBB78_732
; %bb.731:
	s_waitcnt vmcnt(0)
	v_bfe_u32 v3, v2, 21, 1
	s_mov_b32 s38, 0x80fffff
	v_add3_u32 v2, v2, v3, s38
	v_lshrrev_b32_e32 v3, 21, v2
                                        ; implicit-def: $vgpr2
.LBB78_732:
	s_andn2_saveexec_b64 s[36:37], s[36:37]
	s_cbranch_execz .LBB78_734
; %bb.733:
	s_waitcnt vmcnt(0)
	v_add_f32_e32 v3, 0x43000000, v2
.LBB78_734:
	s_or_b64 exec, exec, s[36:37]
                                        ; implicit-def: $vgpr2
.LBB78_735:
	s_andn2_saveexec_b64 s[34:35], s[34:35]
	s_cbranch_execz .LBB78_737
; %bb.736:
	s_mov_b32 s36, 0x7f800000
	s_waitcnt vmcnt(0)
	v_mov_b32_e32 v3, 0x7c
	v_mov_b32_e32 v4, 0x7f
	v_cmp_lt_u32_e32 vcc, s36, v2
	v_cndmask_b32_e32 v3, v3, v4, vcc
.LBB78_737:
	s_or_b64 exec, exec, s[34:35]
	s_waitcnt vmcnt(0)
	global_store_byte v[0:1], v3, off
.LBB78_738:
	s_mov_b64 s[36:37], 0
	s_mov_b64 s[34:35], -1
.LBB78_739:
	s_andn2_b64 vcc, exec, s[36:37]
	s_cbranch_vccnz .LBB78_747
; %bb.740:
	s_cmp_gt_i32 s41, 14
	s_mov_b64 s[36:37], -1
	s_cbranch_scc0 .LBB78_744
; %bb.741:
	s_cmp_eq_u32 s41, 15
	s_mov_b64 s[0:1], -1
	s_cbranch_scc0 .LBB78_743
; %bb.742:
	v_cndmask_b32_e64 v2, 0, 1.0, s[28:29]
	s_waitcnt vmcnt(0)
	v_bfe_u32 v3, v2, 16, 1
	s_movk_i32 s0, 0x7fff
	v_add3_u32 v2, v2, v3, s0
	global_store_short_d16_hi v[0:1], v2, off
	s_mov_b64 s[34:35], -1
	s_mov_b64 s[0:1], 0
.LBB78_743:
	s_mov_b64 s[36:37], 0
.LBB78_744:
	s_and_b64 vcc, exec, s[36:37]
	s_cbranch_vccz .LBB78_747
; %bb.745:
	s_cmp_eq_u32 s41, 11
	s_mov_b64 s[0:1], -1
	s_cbranch_scc0 .LBB78_747
; %bb.746:
	v_cndmask_b32_e64 v2, 0, 1, s[28:29]
	s_mov_b64 s[34:35], -1
	s_mov_b64 s[0:1], 0
	global_store_byte v[0:1], v2, off
.LBB78_747:
	s_mov_b64 s[36:37], 0
.LBB78_748:
	s_and_b64 vcc, exec, s[36:37]
	s_cbranch_vccz .LBB78_787
; %bb.749:
	s_and_b32 s36, 0xffff, s40
	s_cmp_lt_i32 s36, 5
	s_mov_b64 s[34:35], -1
	s_cbranch_scc1 .LBB78_770
; %bb.750:
	s_cmp_lt_i32 s36, 8
	s_cbranch_scc1 .LBB78_760
; %bb.751:
	s_cmp_lt_i32 s36, 9
	s_cbranch_scc1 .LBB78_757
; %bb.752:
	s_cmp_gt_i32 s36, 9
	s_cbranch_scc0 .LBB78_754
; %bb.753:
	v_cndmask_b32_e64 v2, 0, 1, s[28:29]
	v_cvt_f64_u32_e32 v[6:7], v2
	v_mov_b32_e32 v8, 0
	v_mov_b32_e32 v9, v8
	s_mov_b64 s[34:35], 0
	global_store_dwordx4 v[0:1], v[6:9], off
.LBB78_754:
	s_andn2_b64 vcc, exec, s[34:35]
	s_cbranch_vccnz .LBB78_756
; %bb.755:
	v_cndmask_b32_e64 v2, 0, 1.0, s[28:29]
	s_waitcnt vmcnt(0)
	v_mov_b32_e32 v3, 0
	global_store_dwordx2 v[0:1], v[2:3], off
.LBB78_756:
	s_mov_b64 s[34:35], 0
.LBB78_757:
	s_andn2_b64 vcc, exec, s[34:35]
	s_cbranch_vccnz .LBB78_759
; %bb.758:
	v_cndmask_b32_e64 v2, 0, 1.0, s[28:29]
	v_cvt_f16_f32_e32 v2, v2
	global_store_dword v[0:1], v2, off
.LBB78_759:
	s_mov_b64 s[34:35], 0
.LBB78_760:
	s_andn2_b64 vcc, exec, s[34:35]
	s_cbranch_vccnz .LBB78_769
; %bb.761:
	s_cmp_lt_i32 s36, 6
	s_mov_b64 s[34:35], -1
	s_cbranch_scc1 .LBB78_767
; %bb.762:
	s_cmp_gt_i32 s36, 6
	s_cbranch_scc0 .LBB78_764
; %bb.763:
	v_cndmask_b32_e64 v2, 0, 1, s[28:29]
	s_waitcnt vmcnt(0)
	v_cvt_f64_u32_e32 v[2:3], v2
	s_mov_b64 s[34:35], 0
	global_store_dwordx2 v[0:1], v[2:3], off
.LBB78_764:
	s_andn2_b64 vcc, exec, s[34:35]
	s_cbranch_vccnz .LBB78_766
; %bb.765:
	v_cndmask_b32_e64 v2, 0, 1.0, s[28:29]
	global_store_dword v[0:1], v2, off
.LBB78_766:
	s_mov_b64 s[34:35], 0
.LBB78_767:
	s_andn2_b64 vcc, exec, s[34:35]
	s_cbranch_vccnz .LBB78_769
; %bb.768:
	v_cndmask_b32_e64 v2, 0, 1.0, s[28:29]
	v_cvt_f16_f32_e32 v2, v2
	global_store_short v[0:1], v2, off
.LBB78_769:
	s_mov_b64 s[34:35], 0
.LBB78_770:
	s_andn2_b64 vcc, exec, s[34:35]
	s_cbranch_vccnz .LBB78_786
; %bb.771:
	s_cmp_lt_i32 s36, 2
	s_mov_b64 s[34:35], -1
	s_cbranch_scc1 .LBB78_781
; %bb.772:
	s_cmp_lt_i32 s36, 3
	s_cbranch_scc1 .LBB78_778
; %bb.773:
	s_cmp_gt_i32 s36, 3
	s_cbranch_scc0 .LBB78_775
; %bb.774:
	s_mov_b32 s34, 0
	v_cndmask_b32_e64 v2, 0, 1, s[28:29]
	s_waitcnt vmcnt(0)
	v_mov_b32_e32 v3, s34
	s_mov_b64 s[34:35], 0
	global_store_dwordx2 v[0:1], v[2:3], off
.LBB78_775:
	s_andn2_b64 vcc, exec, s[34:35]
	s_cbranch_vccnz .LBB78_777
; %bb.776:
	v_cndmask_b32_e64 v2, 0, 1, s[28:29]
	global_store_dword v[0:1], v2, off
.LBB78_777:
	s_mov_b64 s[34:35], 0
.LBB78_778:
	s_andn2_b64 vcc, exec, s[34:35]
	s_cbranch_vccnz .LBB78_780
; %bb.779:
	v_cndmask_b32_e64 v2, 0, 1, s[28:29]
	global_store_short v[0:1], v2, off
.LBB78_780:
	s_mov_b64 s[34:35], 0
.LBB78_781:
	s_andn2_b64 vcc, exec, s[34:35]
	s_cbranch_vccnz .LBB78_786
; %bb.782:
	s_mov_b64 s[34:35], -1
	s_cmp_gt_i32 s36, 0
	v_cndmask_b32_e64 v2, 0, 1, s[28:29]
	s_cbranch_scc0 .LBB78_784
; %bb.783:
	s_mov_b64 s[34:35], 0
	global_store_byte v[0:1], v2, off
.LBB78_784:
	s_andn2_b64 vcc, exec, s[34:35]
	s_cbranch_vccnz .LBB78_786
; %bb.785:
	global_store_byte v[0:1], v2, off
.LBB78_786:
	s_mov_b64 s[34:35], -1
.LBB78_787:
	s_andn2_b64 vcc, exec, s[34:35]
	s_cbranch_vccnz .LBB78_800
; %bb.788:
	v_add_u32_e32 v5, 0x80, v5
	s_mov_b64 s[34:35], -1
.LBB78_789:
	s_andn2_b64 s[28:29], s[16:17], exec
	s_and_b64 s[0:1], s[0:1], exec
	s_or_b64 s[28:29], s[28:29], s[0:1]
	s_andn2_b64 s[0:1], s[18:19], exec
	s_and_b64 s[26:27], s[26:27], exec
	s_or_b64 s[26:27], s[0:1], s[26:27]
	;; [unrolled: 3-line block ×3, first 2 shown]
	s_orn2_b64 s[0:1], s[34:35], exec
.LBB78_790:
	s_or_b64 exec, exec, s[30:31]
	s_mov_b64 s[34:35], 0
	s_mov_b64 s[36:37], 0
	;; [unrolled: 1-line block ×3, first 2 shown]
                                        ; implicit-def: $sgpr56
                                        ; implicit-def: $vgpr2_vgpr3
                                        ; implicit-def: $vgpr0
	s_and_saveexec_b64 s[30:31], s[0:1]
	s_cbranch_execz .LBB78_1269
; %bb.791:
	v_cmp_gt_i32_e32 vcc, s48, v5
	s_mov_b64 s[46:47], -1
	s_mov_b64 s[0:1], s[24:25]
	s_mov_b64 s[38:39], s[26:27]
	;; [unrolled: 1-line block ×3, first 2 shown]
	s_and_saveexec_b64 s[34:35], vcc
	s_cbranch_execz .LBB78_1188
; %bb.792:
	s_waitcnt vmcnt(0)
	v_mul_lo_u32 v0, v5, s13
	v_mov_b32_e32 v1, s11
	s_and_b32 s40, s55, 0xff
	s_cmp_lt_i32 s40, 11
	v_ashrrev_i32_e32 v3, 31, v0
	v_add_co_u32_e32 v2, vcc, s10, v0
	v_addc_co_u32_e32 v3, vcc, v1, v3, vcc
	s_cbranch_scc1 .LBB78_799
; %bb.793:
	s_and_b32 s41, 0xffff, s40
	s_cmp_gt_i32 s41, 25
	s_cbranch_scc0 .LBB78_801
; %bb.794:
	s_cmp_gt_i32 s41, 28
	s_cbranch_scc0 .LBB78_802
; %bb.795:
	;; [unrolled: 3-line block ×4, first 2 shown]
	s_cmp_eq_u32 s41, 46
	s_mov_b64 s[38:39], 0
	s_cbranch_scc0 .LBB78_807
; %bb.798:
	global_load_dword v0, v[2:3], off
	s_mov_b64 s[0:1], -1
	s_waitcnt vmcnt(0)
	v_lshlrev_b32_e32 v0, 16, v0
	v_cvt_i32_f32_e32 v0, v0
	s_branch .LBB78_808
.LBB78_799:
	s_mov_b64 s[38:39], -1
	s_mov_b64 s[0:1], 0
                                        ; implicit-def: $vgpr0
	s_mov_b64 s[36:37], s[24:25]
	s_branch .LBB78_869
.LBB78_800:
	s_mov_b64 s[34:35], 0
	s_branch .LBB78_534
.LBB78_801:
	s_mov_b64 s[38:39], -1
	s_mov_b64 s[0:1], 0
	s_mov_b64 s[36:37], s[24:25]
                                        ; implicit-def: $vgpr0
	s_branch .LBB78_835
.LBB78_802:
	s_mov_b64 s[38:39], -1
	s_mov_b64 s[0:1], 0
	s_mov_b64 s[36:37], s[24:25]
                                        ; implicit-def: $vgpr0
	s_branch .LBB78_818
.LBB78_803:
	s_mov_b64 s[38:39], -1
	s_mov_b64 s[0:1], 0
	s_mov_b64 s[36:37], s[24:25]
                                        ; implicit-def: $vgpr0
	s_branch .LBB78_813
.LBB78_804:
	s_mov_b64 s[38:39], -1
	s_mov_b64 s[0:1], 0
	s_mov_b64 s[36:37], s[24:25]
                                        ; implicit-def: $vgpr0
	s_branch .LBB78_808
.LBB78_805:
	s_andn2_saveexec_b64 s[38:39], s[38:39]
	s_cbranch_execz .LBB78_700
.LBB78_806:
	v_add_f32_e32 v2, 0x46000000, v3
	v_and_b32_e32 v2, 0xff, v2
	v_cmp_ne_u32_e32 vcc, 0, v2
	s_andn2_b64 s[36:37], s[36:37], exec
	s_and_b64 s[42:43], vcc, exec
	s_or_b64 s[36:37], s[36:37], s[42:43]
	s_or_b64 exec, exec, s[38:39]
	v_mov_b32_e32 v4, 0
	s_and_saveexec_b64 s[38:39], s[36:37]
	s_cbranch_execnz .LBB78_701
	s_branch .LBB78_702
.LBB78_807:
	s_mov_b64 s[36:37], -1
                                        ; implicit-def: $vgpr0
	s_mov_b64 s[0:1], 0
.LBB78_808:
	s_and_b64 vcc, exec, s[38:39]
	s_cbranch_vccz .LBB78_812
; %bb.809:
	s_cmp_eq_u32 s41, 44
	s_cbranch_scc0 .LBB78_811
; %bb.810:
	global_load_ubyte v0, v[2:3], off
	s_mov_b64 s[0:1], -1
	s_mov_b64 s[36:37], 0
	s_waitcnt vmcnt(0)
	v_lshlrev_b32_e32 v1, 23, v0
	v_cvt_i32_f32_e32 v1, v1
	v_cmp_ne_u32_e32 vcc, 0, v0
	v_cndmask_b32_e32 v0, 0, v1, vcc
	s_branch .LBB78_812
.LBB78_811:
	s_mov_b64 s[36:37], -1
                                        ; implicit-def: $vgpr0
.LBB78_812:
	s_mov_b64 s[38:39], 0
.LBB78_813:
	s_and_b64 vcc, exec, s[38:39]
	s_cbranch_vccz .LBB78_817
; %bb.814:
	s_cmp_eq_u32 s41, 29
	s_cbranch_scc0 .LBB78_816
; %bb.815:
	global_load_dwordx2 v[0:1], v[2:3], off
	s_mov_b64 s[0:1], -1
	s_mov_b64 s[36:37], 0
	s_branch .LBB78_817
.LBB78_816:
	s_mov_b64 s[36:37], -1
                                        ; implicit-def: $vgpr0
.LBB78_817:
	s_mov_b64 s[38:39], 0
.LBB78_818:
	s_and_b64 vcc, exec, s[38:39]
	s_cbranch_vccz .LBB78_834
; %bb.819:
	s_cmp_lt_i32 s41, 27
	s_cbranch_scc1 .LBB78_822
; %bb.820:
	s_cmp_gt_i32 s41, 27
	s_cbranch_scc0 .LBB78_823
; %bb.821:
	global_load_dword v0, v[2:3], off
	s_mov_b64 s[0:1], 0
	s_branch .LBB78_824
.LBB78_822:
	s_mov_b64 s[0:1], -1
                                        ; implicit-def: $vgpr0
	s_branch .LBB78_827
.LBB78_823:
	s_mov_b64 s[0:1], -1
                                        ; implicit-def: $vgpr0
.LBB78_824:
	s_andn2_b64 vcc, exec, s[0:1]
	s_cbranch_vccnz .LBB78_826
; %bb.825:
	global_load_ushort v0, v[2:3], off
.LBB78_826:
	s_mov_b64 s[0:1], 0
.LBB78_827:
	s_andn2_b64 vcc, exec, s[0:1]
	s_cbranch_vccnz .LBB78_833
; %bb.828:
	global_load_ubyte v1, v[2:3], off
	s_movk_i32 s0, 0x7f
	s_mov_b64 s[38:39], 0
	s_waitcnt vmcnt(0)
	v_cmp_lt_i16_e32 vcc, s0, v1
	s_and_saveexec_b64 s[0:1], vcc
	s_xor_b64 s[0:1], exec, s[0:1]
	s_cbranch_execz .LBB78_845
; %bb.829:
	s_movk_i32 s38, 0x80
	v_cmp_ne_u16_e32 vcc, s38, v1
	s_and_b64 s[38:39], vcc, exec
	s_andn2_saveexec_b64 s[0:1], s[0:1]
	s_cbranch_execnz .LBB78_846
.LBB78_830:
	s_or_b64 exec, exec, s[0:1]
	v_mov_b32_e32 v0, 0
	s_and_saveexec_b64 s[0:1], s[38:39]
	s_cbranch_execz .LBB78_832
.LBB78_831:
	v_lshlrev_b32_e32 v0, 24, v1
	v_and_b32_e32 v1, 0xffff, v1
	v_and_b32_e32 v4, 7, v1
	v_ffbh_u32_e32 v7, v4
	v_min_u32_e32 v7, 32, v7
	v_subrev_u32_e32 v8, 28, v7
	v_bfe_u32 v6, v1, 3, 4
	v_lshlrev_b32_e32 v1, v8, v1
	v_sub_u32_e32 v7, 29, v7
	v_and_b32_e32 v1, 7, v1
	v_cmp_eq_u32_e32 vcc, 0, v6
	v_cndmask_b32_e32 v6, v6, v7, vcc
	v_cndmask_b32_e32 v1, v4, v1, vcc
	v_mov_b32_e32 v4, 0x3b800000
	v_lshlrev_b32_e32 v1, 20, v1
	v_and_b32_e32 v0, 0x80000000, v0
	v_lshl_add_u32 v4, v6, 23, v4
	v_or3_b32 v0, v0, v4, v1
	v_cvt_i32_f32_e32 v0, v0
.LBB78_832:
	s_or_b64 exec, exec, s[0:1]
.LBB78_833:
	s_mov_b64 s[0:1], -1
.LBB78_834:
	s_mov_b64 s[38:39], 0
.LBB78_835:
	s_and_b64 vcc, exec, s[38:39]
	s_cbranch_vccz .LBB78_868
; %bb.836:
	s_cmp_gt_i32 s41, 22
	s_cbranch_scc0 .LBB78_844
; %bb.837:
	s_cmp_lt_i32 s41, 24
	s_cbranch_scc1 .LBB78_847
; %bb.838:
	s_cmp_gt_i32 s41, 24
	s_cbranch_scc0 .LBB78_848
; %bb.839:
	global_load_ubyte v1, v[2:3], off
	s_movk_i32 s0, 0x7f
	s_mov_b64 s[38:39], 0
	s_waitcnt vmcnt(0)
	v_cmp_lt_i16_e32 vcc, s0, v1
	s_and_saveexec_b64 s[0:1], vcc
	s_xor_b64 s[0:1], exec, s[0:1]
	s_cbranch_execz .LBB78_860
; %bb.840:
	s_movk_i32 s38, 0x80
	v_cmp_ne_u16_e32 vcc, s38, v1
	s_and_b64 s[38:39], vcc, exec
	s_andn2_saveexec_b64 s[0:1], s[0:1]
	s_cbranch_execnz .LBB78_861
.LBB78_841:
	s_or_b64 exec, exec, s[0:1]
	v_mov_b32_e32 v0, 0
	s_and_saveexec_b64 s[0:1], s[38:39]
	s_cbranch_execz .LBB78_843
.LBB78_842:
	v_lshlrev_b32_e32 v0, 24, v1
	v_and_b32_e32 v1, 0xffff, v1
	v_and_b32_e32 v4, 3, v1
	v_ffbh_u32_e32 v7, v4
	v_min_u32_e32 v7, 32, v7
	v_subrev_u32_e32 v8, 29, v7
	v_bfe_u32 v6, v1, 2, 5
	v_lshlrev_b32_e32 v1, v8, v1
	v_sub_u32_e32 v7, 30, v7
	v_and_b32_e32 v1, 3, v1
	v_cmp_eq_u32_e32 vcc, 0, v6
	v_cndmask_b32_e32 v6, v6, v7, vcc
	v_cndmask_b32_e32 v1, v4, v1, vcc
	v_mov_b32_e32 v4, 0x37800000
	v_lshlrev_b32_e32 v1, 21, v1
	v_and_b32_e32 v0, 0x80000000, v0
	v_lshl_add_u32 v4, v6, 23, v4
	v_or3_b32 v0, v0, v4, v1
	v_cvt_i32_f32_e32 v0, v0
.LBB78_843:
	s_or_b64 exec, exec, s[0:1]
	s_mov_b64 s[0:1], 0
	s_branch .LBB78_849
.LBB78_844:
	s_mov_b64 s[38:39], -1
                                        ; implicit-def: $vgpr0
	s_branch .LBB78_855
.LBB78_845:
	s_andn2_saveexec_b64 s[0:1], s[0:1]
	s_cbranch_execz .LBB78_830
.LBB78_846:
	v_cmp_ne_u16_e32 vcc, 0, v1
	s_andn2_b64 s[38:39], s[38:39], exec
	s_and_b64 s[42:43], vcc, exec
	s_or_b64 s[38:39], s[38:39], s[42:43]
	s_or_b64 exec, exec, s[0:1]
	v_mov_b32_e32 v0, 0
	s_and_saveexec_b64 s[0:1], s[38:39]
	s_cbranch_execnz .LBB78_831
	s_branch .LBB78_832
.LBB78_847:
	s_mov_b64 s[0:1], -1
                                        ; implicit-def: $vgpr0
	s_branch .LBB78_852
.LBB78_848:
	s_mov_b64 s[0:1], -1
                                        ; implicit-def: $vgpr0
.LBB78_849:
	s_and_b64 vcc, exec, s[0:1]
	s_cbranch_vccz .LBB78_851
; %bb.850:
	global_load_ubyte v0, v[2:3], off
	s_mov_b32 s0, 0x7f800000
	s_waitcnt vmcnt(0)
	v_lshlrev_b32_e32 v0, 24, v0
	v_and_b32_e32 v1, 0x7f000000, v0
	v_ffbh_u32_e32 v4, v1
	v_min_u32_e32 v4, 32, v4
	v_sub_u32_e64 v4, v4, 4 clamp
	v_lshlrev_b32_e32 v7, v4, v1
	v_lshlrev_b32_e32 v4, 23, v4
	v_lshrrev_b32_e32 v7, 4, v7
	v_add_u32_e32 v6, 0x1000000, v1
	v_sub_u32_e32 v4, v7, v4
	v_ashrrev_i32_e32 v6, 8, v6
	v_add_u32_e32 v4, 0x3c000000, v4
	v_and_or_b32 v4, v6, s0, v4
	v_cmp_ne_u32_e32 vcc, 0, v1
	v_cndmask_b32_e32 v1, 0, v4, vcc
	s_brev_b32 s0, 1
	v_and_or_b32 v0, v0, s0, v1
	v_cvt_i32_f32_e32 v0, v0
.LBB78_851:
	s_mov_b64 s[0:1], 0
.LBB78_852:
	s_andn2_b64 vcc, exec, s[0:1]
	s_cbranch_vccnz .LBB78_854
; %bb.853:
	global_load_ubyte v0, v[2:3], off
	s_movk_i32 s0, 0x7f00
	s_brev_b32 s1, 16
	s_waitcnt vmcnt(0)
	v_lshlrev_b16_e32 v1, 8, v0
	v_lshlrev_b32_e32 v0, 25, v0
	v_lshrrev_b32_e32 v4, 4, v0
	v_and_or_b32 v6, v1, s0, 0.5
	v_or_b32_e32 v4, 0x70000000, v4
	v_add_f32_e32 v6, -0.5, v6
	v_mul_f32_e32 v4, 0x7800000, v4
	v_cmp_gt_u32_e32 vcc, s1, v0
	v_bfe_i32 v1, v1, 0, 16
	v_cndmask_b32_e32 v0, v4, v6, vcc
	s_brev_b32 s0, 1
	v_and_or_b32 v0, v1, s0, v0
	v_cvt_i32_f32_e32 v0, v0
.LBB78_854:
	s_mov_b64 s[38:39], 0
	s_mov_b64 s[0:1], -1
.LBB78_855:
	s_andn2_b64 vcc, exec, s[38:39]
	s_cbranch_vccnz .LBB78_868
; %bb.856:
	s_cmp_gt_i32 s41, 14
	s_cbranch_scc0 .LBB78_859
; %bb.857:
	s_cmp_eq_u32 s41, 15
	s_cbranch_scc0 .LBB78_862
; %bb.858:
	global_load_ushort v0, v[2:3], off
	s_mov_b64 s[0:1], -1
	s_mov_b64 s[36:37], 0
	s_waitcnt vmcnt(0)
	v_lshlrev_b32_e32 v0, 16, v0
	v_cvt_i32_f32_e32 v0, v0
	s_branch .LBB78_863
.LBB78_859:
	s_mov_b64 s[38:39], -1
                                        ; implicit-def: $vgpr0
	s_branch .LBB78_864
.LBB78_860:
	s_andn2_saveexec_b64 s[0:1], s[0:1]
	s_cbranch_execz .LBB78_841
.LBB78_861:
	v_cmp_ne_u16_e32 vcc, 0, v1
	s_andn2_b64 s[38:39], s[38:39], exec
	s_and_b64 s[42:43], vcc, exec
	s_or_b64 s[38:39], s[38:39], s[42:43]
	s_or_b64 exec, exec, s[0:1]
	v_mov_b32_e32 v0, 0
	s_and_saveexec_b64 s[0:1], s[38:39]
	s_cbranch_execnz .LBB78_842
	s_branch .LBB78_843
.LBB78_862:
	s_mov_b64 s[36:37], -1
                                        ; implicit-def: $vgpr0
.LBB78_863:
	s_mov_b64 s[38:39], 0
.LBB78_864:
	s_and_b64 vcc, exec, s[38:39]
	s_cbranch_vccz .LBB78_868
; %bb.865:
	s_cmp_eq_u32 s41, 11
	s_cbranch_scc0 .LBB78_867
; %bb.866:
	global_load_ubyte v0, v[2:3], off
	s_mov_b64 s[0:1], -1
	s_mov_b64 s[36:37], 0
	s_waitcnt vmcnt(0)
	v_cmp_ne_u16_e32 vcc, 0, v0
	v_cndmask_b32_e64 v0, 0, 1, vcc
	s_branch .LBB78_868
.LBB78_867:
	s_mov_b64 s[36:37], -1
                                        ; implicit-def: $vgpr0
.LBB78_868:
	s_mov_b64 s[38:39], 0
.LBB78_869:
	s_and_b64 vcc, exec, s[38:39]
	s_cbranch_vccz .LBB78_918
; %bb.870:
	s_and_b32 s38, 0xffff, s40
	s_cmp_lt_i32 s38, 5
	s_cbranch_scc1 .LBB78_875
; %bb.871:
	s_cmp_lt_i32 s38, 8
	s_cbranch_scc1 .LBB78_876
; %bb.872:
	;; [unrolled: 3-line block ×3, first 2 shown]
	s_cmp_gt_i32 s38, 9
	s_cbranch_scc0 .LBB78_878
; %bb.874:
	global_load_dwordx2 v[0:1], v[2:3], off
	s_mov_b64 s[0:1], 0
	s_waitcnt vmcnt(0)
	v_cvt_i32_f64_e32 v0, v[0:1]
	s_branch .LBB78_879
.LBB78_875:
	s_mov_b64 s[0:1], -1
                                        ; implicit-def: $vgpr0
	s_branch .LBB78_897
.LBB78_876:
	s_mov_b64 s[0:1], -1
                                        ; implicit-def: $vgpr0
	s_branch .LBB78_885
.LBB78_877:
	s_mov_b64 s[0:1], -1
                                        ; implicit-def: $vgpr0
	s_branch .LBB78_882
.LBB78_878:
	s_mov_b64 s[0:1], -1
                                        ; implicit-def: $vgpr0
.LBB78_879:
	s_andn2_b64 vcc, exec, s[0:1]
	s_cbranch_vccnz .LBB78_881
; %bb.880:
	global_load_dword v0, v[2:3], off
	s_waitcnt vmcnt(0)
	v_cvt_i32_f32_e32 v0, v0
.LBB78_881:
	s_mov_b64 s[0:1], 0
.LBB78_882:
	s_andn2_b64 vcc, exec, s[0:1]
	s_cbranch_vccnz .LBB78_884
; %bb.883:
	global_load_dword v0, v[2:3], off
	s_waitcnt vmcnt(0)
	v_cvt_i16_f16_e32 v0, v0
.LBB78_884:
	s_mov_b64 s[0:1], 0
.LBB78_885:
	s_andn2_b64 vcc, exec, s[0:1]
	s_cbranch_vccnz .LBB78_896
; %bb.886:
	s_cmp_lt_i32 s38, 6
	s_cbranch_scc1 .LBB78_889
; %bb.887:
	s_cmp_gt_i32 s38, 6
	s_cbranch_scc0 .LBB78_890
; %bb.888:
	global_load_dwordx2 v[0:1], v[2:3], off
	s_mov_b64 s[0:1], 0
	s_waitcnt vmcnt(0)
	v_cvt_i32_f64_e32 v0, v[0:1]
	s_branch .LBB78_891
.LBB78_889:
	s_mov_b64 s[0:1], -1
                                        ; implicit-def: $vgpr0
	s_branch .LBB78_894
.LBB78_890:
	s_mov_b64 s[0:1], -1
                                        ; implicit-def: $vgpr0
.LBB78_891:
	s_andn2_b64 vcc, exec, s[0:1]
	s_cbranch_vccnz .LBB78_893
; %bb.892:
	global_load_dword v0, v[2:3], off
	s_waitcnt vmcnt(0)
	v_cvt_i32_f32_e32 v0, v0
.LBB78_893:
	s_mov_b64 s[0:1], 0
.LBB78_894:
	s_andn2_b64 vcc, exec, s[0:1]
	s_cbranch_vccnz .LBB78_896
; %bb.895:
	global_load_ushort v0, v[2:3], off
	s_waitcnt vmcnt(0)
	v_cvt_i16_f16_e32 v0, v0
.LBB78_896:
	s_mov_b64 s[0:1], 0
.LBB78_897:
	s_andn2_b64 vcc, exec, s[0:1]
	s_cbranch_vccnz .LBB78_917
; %bb.898:
	s_cmp_lt_i32 s38, 2
	s_cbranch_scc1 .LBB78_902
; %bb.899:
	s_cmp_lt_i32 s38, 3
	s_cbranch_scc1 .LBB78_903
; %bb.900:
	s_cmp_gt_i32 s38, 3
	s_cbranch_scc0 .LBB78_904
; %bb.901:
	global_load_dwordx2 v[0:1], v[2:3], off
	s_mov_b64 s[0:1], 0
	s_branch .LBB78_905
.LBB78_902:
	s_mov_b64 s[0:1], -1
                                        ; implicit-def: $vgpr0
	s_branch .LBB78_911
.LBB78_903:
	s_mov_b64 s[0:1], -1
                                        ; implicit-def: $vgpr0
	s_branch .LBB78_908
.LBB78_904:
	s_mov_b64 s[0:1], -1
                                        ; implicit-def: $vgpr0
.LBB78_905:
	s_andn2_b64 vcc, exec, s[0:1]
	s_cbranch_vccnz .LBB78_907
; %bb.906:
	global_load_dword v0, v[2:3], off
.LBB78_907:
	s_mov_b64 s[0:1], 0
.LBB78_908:
	s_andn2_b64 vcc, exec, s[0:1]
	s_cbranch_vccnz .LBB78_910
; %bb.909:
	global_load_ushort v0, v[2:3], off
.LBB78_910:
	s_mov_b64 s[0:1], 0
.LBB78_911:
	s_andn2_b64 vcc, exec, s[0:1]
	s_cbranch_vccnz .LBB78_917
; %bb.912:
	s_cmp_gt_i32 s38, 0
	s_cbranch_scc0 .LBB78_914
; %bb.913:
	global_load_sbyte v0, v[2:3], off
	s_mov_b64 s[0:1], 0
	s_branch .LBB78_915
.LBB78_914:
	s_mov_b64 s[0:1], -1
                                        ; implicit-def: $vgpr0
.LBB78_915:
	s_andn2_b64 vcc, exec, s[0:1]
	s_cbranch_vccnz .LBB78_917
; %bb.916:
	global_load_ubyte v0, v[2:3], off
.LBB78_917:
	s_mov_b64 s[0:1], -1
.LBB78_918:
	s_andn2_b64 vcc, exec, s[0:1]
	s_cbranch_vccnz .LBB78_926
; %bb.919:
	s_waitcnt vmcnt(0)
	v_mul_lo_u32 v1, v5, s14
	v_mov_b32_e32 v2, s3
	s_and_b32 s42, s54, 0xff
	s_cmp_lt_i32 s42, 11
	v_ashrrev_i32_e32 v3, 31, v1
	v_add_co_u32_e32 v1, vcc, s2, v1
	v_addc_co_u32_e32 v2, vcc, v2, v3, vcc
	s_cbranch_scc1 .LBB78_928
; %bb.920:
	s_and_b32 s43, 0xffff, s42
	s_cmp_gt_i32 s43, 25
	s_cbranch_scc0 .LBB78_929
; %bb.921:
	s_cmp_gt_i32 s43, 28
	s_cbranch_scc0 .LBB78_930
; %bb.922:
	;; [unrolled: 3-line block ×4, first 2 shown]
	s_cmp_eq_u32 s43, 46
	s_mov_b64 s[40:41], 0
	s_cbranch_scc0 .LBB78_935
; %bb.925:
	global_load_dword v3, v[1:2], off
	s_mov_b64 s[0:1], -1
	s_mov_b64 s[38:39], 0
	s_waitcnt vmcnt(0)
	v_lshlrev_b32_e32 v3, 16, v3
	v_cvt_i32_f32_e32 v3, v3
	s_branch .LBB78_936
.LBB78_926:
	s_mov_b64 s[42:43], 0
	s_mov_b64 s[0:1], s[28:29]
	;; [unrolled: 1-line block ×3, first 2 shown]
.LBB78_927:
                                        ; implicit-def: $vgpr5
	s_branch .LBB78_1187
.LBB78_928:
	s_mov_b64 s[40:41], -1
	s_mov_b64 s[0:1], 0
                                        ; implicit-def: $vgpr3
	s_mov_b64 s[38:39], s[26:27]
	s_branch .LBB78_997
.LBB78_929:
	s_mov_b64 s[40:41], -1
	s_mov_b64 s[0:1], 0
	s_mov_b64 s[38:39], s[26:27]
                                        ; implicit-def: $vgpr3
	s_branch .LBB78_963
.LBB78_930:
	s_mov_b64 s[40:41], -1
	s_mov_b64 s[0:1], 0
	s_mov_b64 s[38:39], s[26:27]
                                        ; implicit-def: $vgpr3
	s_branch .LBB78_946
.LBB78_931:
	s_mov_b64 s[40:41], -1
	s_mov_b64 s[0:1], 0
	s_mov_b64 s[38:39], s[26:27]
                                        ; implicit-def: $vgpr3
	s_branch .LBB78_941
.LBB78_932:
	s_mov_b64 s[40:41], -1
	s_mov_b64 s[0:1], 0
	s_mov_b64 s[38:39], s[26:27]
                                        ; implicit-def: $vgpr3
	s_branch .LBB78_936
.LBB78_933:
	s_andn2_saveexec_b64 s[38:39], s[38:39]
	s_cbranch_execz .LBB78_713
.LBB78_934:
	v_add_f32_e32 v2, 0x42800000, v3
	v_and_b32_e32 v2, 0xff, v2
	v_cmp_ne_u32_e32 vcc, 0, v2
	s_andn2_b64 s[36:37], s[36:37], exec
	s_and_b64 s[42:43], vcc, exec
	s_or_b64 s[36:37], s[36:37], s[42:43]
	s_or_b64 exec, exec, s[38:39]
	v_mov_b32_e32 v4, 0
	s_and_saveexec_b64 s[38:39], s[36:37]
	s_cbranch_execnz .LBB78_714
	s_branch .LBB78_715
.LBB78_935:
	s_mov_b64 s[38:39], -1
                                        ; implicit-def: $vgpr3
	s_mov_b64 s[0:1], 0
.LBB78_936:
	s_and_b64 vcc, exec, s[40:41]
	s_cbranch_vccz .LBB78_940
; %bb.937:
	s_cmp_eq_u32 s43, 44
	s_cbranch_scc0 .LBB78_939
; %bb.938:
	global_load_ubyte v3, v[1:2], off
	s_mov_b64 s[0:1], -1
	s_mov_b64 s[38:39], 0
	s_waitcnt vmcnt(0)
	v_lshlrev_b32_e32 v4, 23, v3
	v_cvt_i32_f32_e32 v4, v4
	v_cmp_ne_u32_e32 vcc, 0, v3
	v_cndmask_b32_e32 v3, 0, v4, vcc
	s_branch .LBB78_940
.LBB78_939:
	s_mov_b64 s[38:39], -1
                                        ; implicit-def: $vgpr3
.LBB78_940:
	s_mov_b64 s[40:41], 0
.LBB78_941:
	s_and_b64 vcc, exec, s[40:41]
	s_cbranch_vccz .LBB78_945
; %bb.942:
	s_cmp_eq_u32 s43, 29
	s_cbranch_scc0 .LBB78_944
; %bb.943:
	global_load_dwordx2 v[3:4], v[1:2], off
	s_mov_b64 s[0:1], -1
	s_mov_b64 s[38:39], 0
	s_branch .LBB78_945
.LBB78_944:
	s_mov_b64 s[38:39], -1
                                        ; implicit-def: $vgpr3
.LBB78_945:
	s_mov_b64 s[40:41], 0
.LBB78_946:
	s_and_b64 vcc, exec, s[40:41]
	s_cbranch_vccz .LBB78_962
; %bb.947:
	s_cmp_lt_i32 s43, 27
	s_cbranch_scc1 .LBB78_950
; %bb.948:
	s_cmp_gt_i32 s43, 27
	s_cbranch_scc0 .LBB78_951
; %bb.949:
	global_load_dword v3, v[1:2], off
	s_mov_b64 s[0:1], 0
	s_branch .LBB78_952
.LBB78_950:
	s_mov_b64 s[0:1], -1
                                        ; implicit-def: $vgpr3
	s_branch .LBB78_955
.LBB78_951:
	s_mov_b64 s[0:1], -1
                                        ; implicit-def: $vgpr3
.LBB78_952:
	s_andn2_b64 vcc, exec, s[0:1]
	s_cbranch_vccnz .LBB78_954
; %bb.953:
	global_load_ushort v3, v[1:2], off
.LBB78_954:
	s_mov_b64 s[0:1], 0
.LBB78_955:
	s_andn2_b64 vcc, exec, s[0:1]
	s_cbranch_vccnz .LBB78_961
; %bb.956:
	global_load_ubyte v4, v[1:2], off
	s_movk_i32 s0, 0x7f
	s_mov_b64 s[40:41], 0
	s_waitcnt vmcnt(0)
	v_cmp_lt_i16_e32 vcc, s0, v4
	s_and_saveexec_b64 s[0:1], vcc
	s_xor_b64 s[0:1], exec, s[0:1]
	s_cbranch_execz .LBB78_973
; %bb.957:
	s_movk_i32 s40, 0x80
	v_cmp_ne_u16_e32 vcc, s40, v4
	s_and_b64 s[40:41], vcc, exec
	s_andn2_saveexec_b64 s[0:1], s[0:1]
	s_cbranch_execnz .LBB78_974
.LBB78_958:
	s_or_b64 exec, exec, s[0:1]
	v_mov_b32_e32 v3, 0
	s_and_saveexec_b64 s[0:1], s[40:41]
	s_cbranch_execz .LBB78_960
.LBB78_959:
	v_lshlrev_b32_e32 v3, 24, v4
	v_and_b32_e32 v4, 0xffff, v4
	v_and_b32_e32 v6, 7, v4
	v_ffbh_u32_e32 v8, v6
	v_min_u32_e32 v8, 32, v8
	v_subrev_u32_e32 v9, 28, v8
	v_bfe_u32 v7, v4, 3, 4
	v_lshlrev_b32_e32 v4, v9, v4
	v_sub_u32_e32 v8, 29, v8
	v_and_b32_e32 v4, 7, v4
	v_cmp_eq_u32_e32 vcc, 0, v7
	v_cndmask_b32_e32 v7, v7, v8, vcc
	v_cndmask_b32_e32 v4, v6, v4, vcc
	v_mov_b32_e32 v6, 0x3b800000
	v_lshlrev_b32_e32 v4, 20, v4
	v_and_b32_e32 v3, 0x80000000, v3
	v_lshl_add_u32 v6, v7, 23, v6
	v_or3_b32 v3, v3, v6, v4
	v_cvt_i32_f32_e32 v3, v3
.LBB78_960:
	s_or_b64 exec, exec, s[0:1]
.LBB78_961:
	s_mov_b64 s[0:1], -1
.LBB78_962:
	s_mov_b64 s[40:41], 0
.LBB78_963:
	s_and_b64 vcc, exec, s[40:41]
	s_cbranch_vccz .LBB78_996
; %bb.964:
	s_cmp_gt_i32 s43, 22
	s_cbranch_scc0 .LBB78_972
; %bb.965:
	s_cmp_lt_i32 s43, 24
	s_cbranch_scc1 .LBB78_975
; %bb.966:
	s_cmp_gt_i32 s43, 24
	s_cbranch_scc0 .LBB78_976
; %bb.967:
	global_load_ubyte v4, v[1:2], off
	s_movk_i32 s0, 0x7f
	s_mov_b64 s[40:41], 0
	s_waitcnt vmcnt(0)
	v_cmp_lt_i16_e32 vcc, s0, v4
	s_and_saveexec_b64 s[0:1], vcc
	s_xor_b64 s[0:1], exec, s[0:1]
	s_cbranch_execz .LBB78_988
; %bb.968:
	s_movk_i32 s40, 0x80
	v_cmp_ne_u16_e32 vcc, s40, v4
	s_and_b64 s[40:41], vcc, exec
	s_andn2_saveexec_b64 s[0:1], s[0:1]
	s_cbranch_execnz .LBB78_989
.LBB78_969:
	s_or_b64 exec, exec, s[0:1]
	v_mov_b32_e32 v3, 0
	s_and_saveexec_b64 s[0:1], s[40:41]
	s_cbranch_execz .LBB78_971
.LBB78_970:
	v_lshlrev_b32_e32 v3, 24, v4
	v_and_b32_e32 v4, 0xffff, v4
	v_and_b32_e32 v6, 3, v4
	v_ffbh_u32_e32 v8, v6
	v_min_u32_e32 v8, 32, v8
	v_subrev_u32_e32 v9, 29, v8
	v_bfe_u32 v7, v4, 2, 5
	v_lshlrev_b32_e32 v4, v9, v4
	v_sub_u32_e32 v8, 30, v8
	v_and_b32_e32 v4, 3, v4
	v_cmp_eq_u32_e32 vcc, 0, v7
	v_cndmask_b32_e32 v7, v7, v8, vcc
	v_cndmask_b32_e32 v4, v6, v4, vcc
	v_mov_b32_e32 v6, 0x37800000
	v_lshlrev_b32_e32 v4, 21, v4
	v_and_b32_e32 v3, 0x80000000, v3
	v_lshl_add_u32 v6, v7, 23, v6
	v_or3_b32 v3, v3, v6, v4
	v_cvt_i32_f32_e32 v3, v3
.LBB78_971:
	s_or_b64 exec, exec, s[0:1]
	s_mov_b64 s[0:1], 0
	s_branch .LBB78_977
.LBB78_972:
	s_mov_b64 s[40:41], -1
                                        ; implicit-def: $vgpr3
	s_branch .LBB78_983
.LBB78_973:
	s_andn2_saveexec_b64 s[0:1], s[0:1]
	s_cbranch_execz .LBB78_958
.LBB78_974:
	v_cmp_ne_u16_e32 vcc, 0, v4
	s_andn2_b64 s[40:41], s[40:41], exec
	s_and_b64 s[44:45], vcc, exec
	s_or_b64 s[40:41], s[40:41], s[44:45]
	s_or_b64 exec, exec, s[0:1]
	v_mov_b32_e32 v3, 0
	s_and_saveexec_b64 s[0:1], s[40:41]
	s_cbranch_execnz .LBB78_959
	s_branch .LBB78_960
.LBB78_975:
	s_mov_b64 s[0:1], -1
                                        ; implicit-def: $vgpr3
	s_branch .LBB78_980
.LBB78_976:
	s_mov_b64 s[0:1], -1
                                        ; implicit-def: $vgpr3
.LBB78_977:
	s_and_b64 vcc, exec, s[0:1]
	s_cbranch_vccz .LBB78_979
; %bb.978:
	global_load_ubyte v3, v[1:2], off
	s_mov_b32 s0, 0x7f800000
	s_waitcnt vmcnt(0)
	v_lshlrev_b32_e32 v3, 24, v3
	v_and_b32_e32 v4, 0x7f000000, v3
	v_ffbh_u32_e32 v6, v4
	v_min_u32_e32 v6, 32, v6
	v_sub_u32_e64 v6, v6, 4 clamp
	v_lshlrev_b32_e32 v8, v6, v4
	v_lshlrev_b32_e32 v6, 23, v6
	v_lshrrev_b32_e32 v8, 4, v8
	v_add_u32_e32 v7, 0x1000000, v4
	v_sub_u32_e32 v6, v8, v6
	v_ashrrev_i32_e32 v7, 8, v7
	v_add_u32_e32 v6, 0x3c000000, v6
	v_and_or_b32 v6, v7, s0, v6
	v_cmp_ne_u32_e32 vcc, 0, v4
	v_cndmask_b32_e32 v4, 0, v6, vcc
	s_brev_b32 s0, 1
	v_and_or_b32 v3, v3, s0, v4
	v_cvt_i32_f32_e32 v3, v3
.LBB78_979:
	s_mov_b64 s[0:1], 0
.LBB78_980:
	s_andn2_b64 vcc, exec, s[0:1]
	s_cbranch_vccnz .LBB78_982
; %bb.981:
	global_load_ubyte v3, v[1:2], off
	s_movk_i32 s0, 0x7f00
	s_brev_b32 s1, 16
	s_waitcnt vmcnt(0)
	v_lshlrev_b16_e32 v4, 8, v3
	v_lshlrev_b32_e32 v3, 25, v3
	v_lshrrev_b32_e32 v6, 4, v3
	v_and_or_b32 v7, v4, s0, 0.5
	v_or_b32_e32 v6, 0x70000000, v6
	v_add_f32_e32 v7, -0.5, v7
	v_mul_f32_e32 v6, 0x7800000, v6
	v_cmp_gt_u32_e32 vcc, s1, v3
	v_bfe_i32 v4, v4, 0, 16
	v_cndmask_b32_e32 v3, v6, v7, vcc
	s_brev_b32 s0, 1
	v_and_or_b32 v3, v4, s0, v3
	v_cvt_i32_f32_e32 v3, v3
.LBB78_982:
	s_mov_b64 s[40:41], 0
	s_mov_b64 s[0:1], -1
.LBB78_983:
	s_andn2_b64 vcc, exec, s[40:41]
	s_cbranch_vccnz .LBB78_996
; %bb.984:
	s_cmp_gt_i32 s43, 14
	s_cbranch_scc0 .LBB78_987
; %bb.985:
	s_cmp_eq_u32 s43, 15
	s_cbranch_scc0 .LBB78_990
; %bb.986:
	global_load_ushort v3, v[1:2], off
	s_mov_b64 s[0:1], -1
	s_mov_b64 s[38:39], 0
	s_waitcnt vmcnt(0)
	v_lshlrev_b32_e32 v3, 16, v3
	v_cvt_i32_f32_e32 v3, v3
	s_branch .LBB78_991
.LBB78_987:
	s_mov_b64 s[40:41], -1
                                        ; implicit-def: $vgpr3
	s_branch .LBB78_992
.LBB78_988:
	s_andn2_saveexec_b64 s[0:1], s[0:1]
	s_cbranch_execz .LBB78_969
.LBB78_989:
	v_cmp_ne_u16_e32 vcc, 0, v4
	s_andn2_b64 s[40:41], s[40:41], exec
	s_and_b64 s[44:45], vcc, exec
	s_or_b64 s[40:41], s[40:41], s[44:45]
	s_or_b64 exec, exec, s[0:1]
	v_mov_b32_e32 v3, 0
	s_and_saveexec_b64 s[0:1], s[40:41]
	s_cbranch_execnz .LBB78_970
	s_branch .LBB78_971
.LBB78_990:
	s_mov_b64 s[38:39], -1
                                        ; implicit-def: $vgpr3
.LBB78_991:
	s_mov_b64 s[40:41], 0
.LBB78_992:
	s_and_b64 vcc, exec, s[40:41]
	s_cbranch_vccz .LBB78_996
; %bb.993:
	s_cmp_eq_u32 s43, 11
	s_cbranch_scc0 .LBB78_995
; %bb.994:
	global_load_ubyte v3, v[1:2], off
	s_mov_b64 s[0:1], -1
	s_mov_b64 s[38:39], 0
	s_waitcnt vmcnt(0)
	v_cmp_ne_u16_e32 vcc, 0, v3
	v_cndmask_b32_e64 v3, 0, 1, vcc
	s_branch .LBB78_996
.LBB78_995:
	s_mov_b64 s[38:39], -1
                                        ; implicit-def: $vgpr3
.LBB78_996:
	s_mov_b64 s[40:41], 0
.LBB78_997:
	s_and_b64 vcc, exec, s[40:41]
	s_cbranch_vccz .LBB78_1046
; %bb.998:
	s_and_b32 s40, 0xffff, s42
	s_cmp_lt_i32 s40, 5
	s_cbranch_scc1 .LBB78_1003
; %bb.999:
	s_cmp_lt_i32 s40, 8
	s_cbranch_scc1 .LBB78_1004
; %bb.1000:
	;; [unrolled: 3-line block ×3, first 2 shown]
	s_cmp_gt_i32 s40, 9
	s_cbranch_scc0 .LBB78_1006
; %bb.1002:
	global_load_dwordx2 v[3:4], v[1:2], off
	s_mov_b64 s[0:1], 0
	s_waitcnt vmcnt(0)
	v_cvt_i32_f64_e32 v3, v[3:4]
	s_branch .LBB78_1007
.LBB78_1003:
	s_mov_b64 s[0:1], -1
                                        ; implicit-def: $vgpr3
	s_branch .LBB78_1025
.LBB78_1004:
	s_mov_b64 s[0:1], -1
                                        ; implicit-def: $vgpr3
	s_branch .LBB78_1013
.LBB78_1005:
	s_mov_b64 s[0:1], -1
                                        ; implicit-def: $vgpr3
	s_branch .LBB78_1010
.LBB78_1006:
	s_mov_b64 s[0:1], -1
                                        ; implicit-def: $vgpr3
.LBB78_1007:
	s_andn2_b64 vcc, exec, s[0:1]
	s_cbranch_vccnz .LBB78_1009
; %bb.1008:
	global_load_dword v3, v[1:2], off
	s_waitcnt vmcnt(0)
	v_cvt_i32_f32_e32 v3, v3
.LBB78_1009:
	s_mov_b64 s[0:1], 0
.LBB78_1010:
	s_andn2_b64 vcc, exec, s[0:1]
	s_cbranch_vccnz .LBB78_1012
; %bb.1011:
	global_load_dword v3, v[1:2], off
	s_waitcnt vmcnt(0)
	v_cvt_i16_f16_e32 v3, v3
.LBB78_1012:
	s_mov_b64 s[0:1], 0
.LBB78_1013:
	s_andn2_b64 vcc, exec, s[0:1]
	s_cbranch_vccnz .LBB78_1024
; %bb.1014:
	s_cmp_lt_i32 s40, 6
	s_cbranch_scc1 .LBB78_1017
; %bb.1015:
	s_cmp_gt_i32 s40, 6
	s_cbranch_scc0 .LBB78_1018
; %bb.1016:
	global_load_dwordx2 v[3:4], v[1:2], off
	s_mov_b64 s[0:1], 0
	s_waitcnt vmcnt(0)
	v_cvt_i32_f64_e32 v3, v[3:4]
	s_branch .LBB78_1019
.LBB78_1017:
	s_mov_b64 s[0:1], -1
                                        ; implicit-def: $vgpr3
	s_branch .LBB78_1022
.LBB78_1018:
	s_mov_b64 s[0:1], -1
                                        ; implicit-def: $vgpr3
.LBB78_1019:
	s_andn2_b64 vcc, exec, s[0:1]
	s_cbranch_vccnz .LBB78_1021
; %bb.1020:
	global_load_dword v3, v[1:2], off
	s_waitcnt vmcnt(0)
	v_cvt_i32_f32_e32 v3, v3
.LBB78_1021:
	s_mov_b64 s[0:1], 0
.LBB78_1022:
	s_andn2_b64 vcc, exec, s[0:1]
	s_cbranch_vccnz .LBB78_1024
; %bb.1023:
	global_load_ushort v3, v[1:2], off
	s_waitcnt vmcnt(0)
	v_cvt_i16_f16_e32 v3, v3
.LBB78_1024:
	s_mov_b64 s[0:1], 0
.LBB78_1025:
	s_andn2_b64 vcc, exec, s[0:1]
	s_cbranch_vccnz .LBB78_1045
; %bb.1026:
	s_cmp_lt_i32 s40, 2
	s_cbranch_scc1 .LBB78_1030
; %bb.1027:
	s_cmp_lt_i32 s40, 3
	s_cbranch_scc1 .LBB78_1031
; %bb.1028:
	s_cmp_gt_i32 s40, 3
	s_cbranch_scc0 .LBB78_1032
; %bb.1029:
	global_load_dwordx2 v[3:4], v[1:2], off
	s_mov_b64 s[0:1], 0
	s_branch .LBB78_1033
.LBB78_1030:
	s_mov_b64 s[0:1], -1
                                        ; implicit-def: $vgpr3
	s_branch .LBB78_1039
.LBB78_1031:
	s_mov_b64 s[0:1], -1
                                        ; implicit-def: $vgpr3
	s_branch .LBB78_1036
.LBB78_1032:
	s_mov_b64 s[0:1], -1
                                        ; implicit-def: $vgpr3
.LBB78_1033:
	s_andn2_b64 vcc, exec, s[0:1]
	s_cbranch_vccnz .LBB78_1035
; %bb.1034:
	global_load_dword v3, v[1:2], off
.LBB78_1035:
	s_mov_b64 s[0:1], 0
.LBB78_1036:
	s_andn2_b64 vcc, exec, s[0:1]
	s_cbranch_vccnz .LBB78_1038
; %bb.1037:
	global_load_ushort v3, v[1:2], off
.LBB78_1038:
	s_mov_b64 s[0:1], 0
.LBB78_1039:
	s_andn2_b64 vcc, exec, s[0:1]
	s_cbranch_vccnz .LBB78_1045
; %bb.1040:
	s_cmp_gt_i32 s40, 0
	s_cbranch_scc0 .LBB78_1042
; %bb.1041:
	global_load_sbyte v3, v[1:2], off
	s_mov_b64 s[0:1], 0
	s_branch .LBB78_1043
.LBB78_1042:
	s_mov_b64 s[0:1], -1
                                        ; implicit-def: $vgpr3
.LBB78_1043:
	s_andn2_b64 vcc, exec, s[0:1]
	s_cbranch_vccnz .LBB78_1045
; %bb.1044:
	global_load_ubyte v3, v[1:2], off
.LBB78_1045:
	s_mov_b64 s[0:1], -1
.LBB78_1046:
	s_andn2_b64 vcc, exec, s[0:1]
	s_cbranch_vccnz .LBB78_1051
; %bb.1047:
	s_cmp_lt_i32 s15, 1
	s_mov_b64 s[0:1], 0
	s_cbranch_scc1 .LBB78_1052
; %bb.1048:
	s_cmp_gt_i32 s15, 1
	s_cbranch_scc0 .LBB78_1053
; %bb.1049:
	s_cmp_eq_u32 s15, 2
	s_cbranch_scc0 .LBB78_1054
; %bb.1050:
	s_waitcnt vmcnt(0)
	v_cmp_le_i16_e64 s[40:41], v0, v3
	s_mov_b64 s[42:43], 0
	s_branch .LBB78_1055
.LBB78_1051:
	s_mov_b64 s[42:43], 0
                                        ; implicit-def: $vgpr5
	s_mov_b64 s[0:1], s[28:29]
	s_branch .LBB78_1187
.LBB78_1052:
	s_mov_b64 s[44:45], -1
                                        ; implicit-def: $sgpr40_sgpr41
	s_mov_b64 s[42:43], 0
	s_branch .LBB78_1059
.LBB78_1053:
	s_mov_b64 s[44:45], -1
	s_mov_b64 s[42:43], 0
                                        ; implicit-def: $sgpr40_sgpr41
	s_branch .LBB78_1056
.LBB78_1054:
	s_mov_b64 s[42:43], -1
                                        ; implicit-def: $sgpr40_sgpr41
.LBB78_1055:
	s_mov_b64 s[44:45], 0
.LBB78_1056:
	s_and_b64 vcc, exec, s[44:45]
	s_cbranch_vccz .LBB78_1058
; %bb.1057:
	s_waitcnt vmcnt(0)
	v_cmp_gt_i16_e32 vcc, v0, v3
	s_andn2_b64 s[40:41], s[40:41], exec
	s_and_b64 s[44:45], vcc, exec
	s_or_b64 s[40:41], s[40:41], s[44:45]
.LBB78_1058:
	s_mov_b64 s[44:45], 0
.LBB78_1059:
	s_and_b64 vcc, exec, s[44:45]
	s_cbranch_vccz .LBB78_1070
; %bb.1060:
	s_cmp_lg_u32 s15, 0
	s_mov_b64 s[0:1], -1
	s_cselect_b64 s[42:43], -1, 0
	s_andn2_b64 vcc, exec, s[42:43]
	s_cbranch_vccz .LBB78_1071
.LBB78_1061:
	s_andn2_b64 vcc, exec, s[0:1]
	s_cbranch_vccnz .LBB78_1063
.LBB78_1062:
	s_waitcnt vmcnt(0)
	v_cmp_ge_i16_e32 vcc, v0, v3
	s_andn2_b64 s[0:1], s[40:41], exec
	s_and_b64 s[40:41], vcc, exec
	s_or_b64 s[40:41], s[0:1], s[40:41]
.LBB78_1063:
	v_mul_lo_u32 v0, v5, s12
	v_mov_b32_e32 v1, s9
	s_and_b32 s49, s33, 0xff
	s_cmp_lt_i32 s49, 11
	v_ashrrev_i32_e32 v2, 31, v0
	v_add_co_u32_e32 v0, vcc, s8, v0
	v_addc_co_u32_e32 v1, vcc, v1, v2, vcc
	s_cbranch_scc1 .LBB78_1072
; %bb.1064:
	s_and_b32 s50, 0xffff, s49
	s_cmp_gt_i32 s50, 25
	s_cbranch_scc0 .LBB78_1073
; %bb.1065:
	s_cmp_gt_i32 s50, 28
	s_cbranch_scc0 .LBB78_1074
; %bb.1066:
	;; [unrolled: 3-line block ×4, first 2 shown]
	s_mov_b64 s[44:45], 0
	s_mov_b64 s[0:1], -1
	s_cmp_eq_u32 s50, 46
	s_mov_b64 s[42:43], 0
	s_cbranch_scc0 .LBB78_1077
; %bb.1069:
	v_cndmask_b32_e64 v2, 0, 1.0, s[40:41]
	s_waitcnt vmcnt(0)
	v_bfe_u32 v3, v2, 16, 1
	s_movk_i32 s0, 0x7fff
	v_add3_u32 v2, v2, v3, s0
	v_lshrrev_b32_e32 v2, 16, v2
	global_store_dword v[0:1], v2, off
	s_mov_b64 s[42:43], -1
	s_mov_b64 s[0:1], 0
	s_branch .LBB78_1077
.LBB78_1070:
	s_andn2_b64 vcc, exec, s[42:43]
	s_cbranch_vccnz .LBB78_1061
.LBB78_1071:
	s_waitcnt vmcnt(0)
	v_cmp_lt_i16_e32 vcc, v0, v3
	s_andn2_b64 s[40:41], s[40:41], exec
	s_and_b64 s[42:43], vcc, exec
	s_or_b64 s[40:41], s[40:41], s[42:43]
	s_cbranch_execz .LBB78_1062
	s_branch .LBB78_1063
.LBB78_1072:
	s_mov_b64 s[44:45], -1
	s_mov_b64 s[42:43], 0
	s_mov_b64 s[0:1], s[28:29]
	s_branch .LBB78_1146
.LBB78_1073:
	s_mov_b64 s[44:45], -1
	s_mov_b64 s[42:43], 0
	s_mov_b64 s[0:1], s[28:29]
	s_branch .LBB78_1104
.LBB78_1074:
	s_mov_b64 s[44:45], -1
	s_mov_b64 s[42:43], 0
	s_mov_b64 s[0:1], s[28:29]
	s_branch .LBB78_1087
.LBB78_1075:
	s_mov_b64 s[44:45], -1
	s_mov_b64 s[42:43], 0
	s_mov_b64 s[0:1], s[28:29]
	s_branch .LBB78_1083
.LBB78_1076:
	s_mov_b64 s[44:45], -1
	s_mov_b64 s[42:43], 0
	s_mov_b64 s[0:1], s[28:29]
.LBB78_1077:
	s_and_b64 vcc, exec, s[44:45]
	s_cbranch_vccz .LBB78_1082
; %bb.1078:
	s_cmp_eq_u32 s50, 44
	s_mov_b64 s[0:1], -1
	s_cbranch_scc0 .LBB78_1082
; %bb.1079:
	s_waitcnt vmcnt(0)
	v_cndmask_b32_e64 v3, 0, 1.0, s[40:41]
	v_lshrrev_b32_e32 v2, 23, v3
	s_movk_i32 s0, 0xff
	v_cmp_ne_u32_e32 vcc, s0, v2
	v_mov_b32_e32 v4, 0xff
	s_and_saveexec_b64 s[42:43], vcc
; %bb.1080:
	s_mov_b32 s0, 0x3fffff
	v_and_b32_e32 v4, 0x400000, v3
	v_and_or_b32 v3, v3, s0, v2
	v_cmp_ne_u32_e32 vcc, 0, v4
	v_cmp_ne_u32_e64 s[0:1], 0, v3
	s_and_b64 s[0:1], vcc, s[0:1]
	v_cndmask_b32_e64 v3, 0, 1, s[0:1]
	v_add_u32_e32 v4, v2, v3
; %bb.1081:
	s_or_b64 exec, exec, s[42:43]
	s_mov_b64 s[42:43], -1
	s_mov_b64 s[0:1], 0
	global_store_byte v[0:1], v4, off
.LBB78_1082:
	s_mov_b64 s[44:45], 0
.LBB78_1083:
	s_and_b64 vcc, exec, s[44:45]
	s_cbranch_vccz .LBB78_1086
; %bb.1084:
	s_cmp_eq_u32 s50, 29
	s_mov_b64 s[0:1], -1
	s_cbranch_scc0 .LBB78_1086
; %bb.1085:
	s_mov_b32 s0, 0
	v_cndmask_b32_e64 v2, 0, 1, s[40:41]
	s_waitcnt vmcnt(0)
	v_mov_b32_e32 v3, s0
	global_store_dwordx2 v[0:1], v[2:3], off
	s_mov_b64 s[42:43], -1
	s_mov_b64 s[0:1], 0
.LBB78_1086:
	s_mov_b64 s[44:45], 0
.LBB78_1087:
	s_and_b64 vcc, exec, s[44:45]
	s_cbranch_vccz .LBB78_1103
; %bb.1088:
	s_cmp_lt_i32 s50, 27
	s_mov_b64 s[42:43], -1
	s_cbranch_scc1 .LBB78_1094
; %bb.1089:
	s_cmp_gt_i32 s50, 27
	s_cbranch_scc0 .LBB78_1091
; %bb.1090:
	v_cndmask_b32_e64 v2, 0, 1, s[40:41]
	s_mov_b64 s[42:43], 0
	global_store_dword v[0:1], v2, off
.LBB78_1091:
	s_andn2_b64 vcc, exec, s[42:43]
	s_cbranch_vccnz .LBB78_1093
; %bb.1092:
	v_cndmask_b32_e64 v2, 0, 1, s[40:41]
	global_store_short v[0:1], v2, off
.LBB78_1093:
	s_mov_b64 s[42:43], 0
.LBB78_1094:
	s_andn2_b64 vcc, exec, s[42:43]
	s_cbranch_vccnz .LBB78_1102
; %bb.1095:
	s_waitcnt vmcnt(0)
	v_cndmask_b32_e64 v3, 0, 1.0, s[40:41]
	s_mov_b32 s42, 0x43800000
	v_cmp_gt_u32_e32 vcc, s42, v3
	v_mov_b32_e32 v4, 0x80
	s_and_saveexec_b64 s[42:43], vcc
	s_cbranch_execz .LBB78_1101
; %bb.1096:
	s_mov_b32 s44, 0x3bffffff
	v_cmp_lt_u32_e32 vcc, s44, v3
	s_mov_b64 s[44:45], 0
                                        ; implicit-def: $vgpr2
	s_and_saveexec_b64 s[46:47], vcc
	s_xor_b64 s[46:47], exec, s[46:47]
	s_cbranch_execz .LBB78_1203
; %bb.1097:
	v_bfe_u32 v2, v3, 20, 1
	s_mov_b32 s51, 0x487ffff
	v_add3_u32 v2, v3, v2, s51
	s_mov_b64 s[44:45], exec
	v_lshrrev_b32_e32 v2, 20, v2
                                        ; implicit-def: $vgpr3
	s_andn2_saveexec_b64 s[46:47], s[46:47]
	s_cbranch_execnz .LBB78_1204
.LBB78_1098:
	s_or_b64 exec, exec, s[46:47]
	v_mov_b32_e32 v4, 0
	s_and_saveexec_b64 s[46:47], s[44:45]
.LBB78_1099:
	v_mov_b32_e32 v4, v2
.LBB78_1100:
	s_or_b64 exec, exec, s[46:47]
.LBB78_1101:
	s_or_b64 exec, exec, s[42:43]
	global_store_byte v[0:1], v4, off
.LBB78_1102:
	s_mov_b64 s[42:43], -1
.LBB78_1103:
	s_mov_b64 s[44:45], 0
.LBB78_1104:
	s_and_b64 vcc, exec, s[44:45]
	s_cbranch_vccz .LBB78_1145
; %bb.1105:
	s_cmp_gt_i32 s50, 22
	s_mov_b64 s[44:45], -1
	s_cbranch_scc0 .LBB78_1137
; %bb.1106:
	s_cmp_lt_i32 s50, 24
	s_mov_b64 s[42:43], -1
	s_cbranch_scc1 .LBB78_1126
; %bb.1107:
	s_cmp_gt_i32 s50, 24
	s_cbranch_scc0 .LBB78_1115
; %bb.1108:
	s_waitcnt vmcnt(0)
	v_cndmask_b32_e64 v3, 0, 1.0, s[40:41]
	s_mov_b32 s42, 0x47800000
	v_cmp_gt_u32_e32 vcc, s42, v3
	v_mov_b32_e32 v4, 0x80
	s_and_saveexec_b64 s[42:43], vcc
	s_cbranch_execz .LBB78_1114
; %bb.1109:
	s_mov_b32 s44, 0x37ffffff
	v_cmp_lt_u32_e32 vcc, s44, v3
	s_mov_b64 s[44:45], 0
                                        ; implicit-def: $vgpr2
	s_and_saveexec_b64 s[46:47], vcc
	s_xor_b64 s[46:47], exec, s[46:47]
	s_cbranch_execz .LBB78_2246
; %bb.1110:
	v_bfe_u32 v2, v3, 21, 1
	s_mov_b32 s51, 0x88fffff
	v_add3_u32 v2, v3, v2, s51
	s_mov_b64 s[44:45], exec
	v_lshrrev_b32_e32 v2, 21, v2
                                        ; implicit-def: $vgpr3
	s_andn2_saveexec_b64 s[46:47], s[46:47]
	s_cbranch_execnz .LBB78_2247
.LBB78_1111:
	s_or_b64 exec, exec, s[46:47]
	v_mov_b32_e32 v4, 0
	s_and_saveexec_b64 s[46:47], s[44:45]
.LBB78_1112:
	v_mov_b32_e32 v4, v2
.LBB78_1113:
	s_or_b64 exec, exec, s[46:47]
.LBB78_1114:
	s_or_b64 exec, exec, s[42:43]
	s_mov_b64 s[42:43], 0
	global_store_byte v[0:1], v4, off
.LBB78_1115:
	s_and_b64 vcc, exec, s[42:43]
	s_cbranch_vccz .LBB78_1125
; %bb.1116:
	v_cndmask_b32_e64 v2, 0, 1.0, s[40:41]
	s_mov_b32 s42, 0x43f00000
	v_cmp_gt_u32_e32 vcc, s42, v2
                                        ; implicit-def: $vgpr3
	s_and_saveexec_b64 s[42:43], vcc
	s_xor_b64 s[42:43], exec, s[42:43]
	s_cbranch_execz .LBB78_1122
; %bb.1117:
	s_mov_b32 s44, 0x3c7fffff
	v_cmp_lt_u32_e32 vcc, s44, v2
                                        ; implicit-def: $vgpr3
	s_and_saveexec_b64 s[44:45], vcc
	s_xor_b64 s[44:45], exec, s[44:45]
	s_cbranch_execz .LBB78_1119
; %bb.1118:
	s_waitcnt vmcnt(0)
	v_bfe_u32 v3, v2, 20, 1
	s_mov_b32 s46, 0x407ffff
	v_add3_u32 v2, v2, v3, s46
	v_lshrrev_b32_e32 v3, 20, v2
	v_and_b32_e32 v2, 0xff00000, v2
	s_mov_b32 s46, 0x7f00000
	v_mov_b32_e32 v4, 0x7e
	v_cmp_ne_u32_e32 vcc, s46, v2
	v_cndmask_b32_e32 v3, v4, v3, vcc
                                        ; implicit-def: $vgpr2
.LBB78_1119:
	s_andn2_saveexec_b64 s[44:45], s[44:45]
	s_cbranch_execz .LBB78_1121
; %bb.1120:
	s_waitcnt vmcnt(0)
	v_add_f32_e32 v3, 0x46800000, v2
.LBB78_1121:
	s_or_b64 exec, exec, s[44:45]
                                        ; implicit-def: $vgpr2
.LBB78_1122:
	s_andn2_saveexec_b64 s[42:43], s[42:43]
	s_cbranch_execz .LBB78_1124
; %bb.1123:
	s_mov_b32 s44, 0x7f800000
	s_waitcnt vmcnt(0)
	v_mov_b32_e32 v3, 0x7e
	v_mov_b32_e32 v4, 0x7f
	v_cmp_lt_u32_e32 vcc, s44, v2
	v_cndmask_b32_e32 v3, v3, v4, vcc
.LBB78_1124:
	s_or_b64 exec, exec, s[42:43]
	s_waitcnt vmcnt(0)
	global_store_byte v[0:1], v3, off
.LBB78_1125:
	s_mov_b64 s[42:43], 0
.LBB78_1126:
	s_andn2_b64 vcc, exec, s[42:43]
	s_cbranch_vccnz .LBB78_1136
; %bb.1127:
	v_cndmask_b32_e64 v2, 0, 1.0, s[40:41]
	s_mov_b32 s42, 0x47800000
	v_cmp_gt_u32_e32 vcc, s42, v2
                                        ; implicit-def: $vgpr3
	s_and_saveexec_b64 s[42:43], vcc
	s_xor_b64 s[42:43], exec, s[42:43]
	s_cbranch_execz .LBB78_1133
; %bb.1128:
	s_mov_b32 s44, 0x387fffff
	v_cmp_lt_u32_e32 vcc, s44, v2
                                        ; implicit-def: $vgpr3
	s_and_saveexec_b64 s[44:45], vcc
	s_xor_b64 s[44:45], exec, s[44:45]
	s_cbranch_execz .LBB78_1130
; %bb.1129:
	s_waitcnt vmcnt(0)
	v_bfe_u32 v3, v2, 21, 1
	s_mov_b32 s46, 0x80fffff
	v_add3_u32 v2, v2, v3, s46
	v_lshrrev_b32_e32 v3, 21, v2
                                        ; implicit-def: $vgpr2
.LBB78_1130:
	s_andn2_saveexec_b64 s[44:45], s[44:45]
	s_cbranch_execz .LBB78_1132
; %bb.1131:
	s_waitcnt vmcnt(0)
	v_add_f32_e32 v3, 0x43000000, v2
.LBB78_1132:
	s_or_b64 exec, exec, s[44:45]
                                        ; implicit-def: $vgpr2
.LBB78_1133:
	s_andn2_saveexec_b64 s[42:43], s[42:43]
	s_cbranch_execz .LBB78_1135
; %bb.1134:
	s_mov_b32 s44, 0x7f800000
	s_waitcnt vmcnt(0)
	v_mov_b32_e32 v3, 0x7c
	v_mov_b32_e32 v4, 0x7f
	v_cmp_lt_u32_e32 vcc, s44, v2
	v_cndmask_b32_e32 v3, v3, v4, vcc
.LBB78_1135:
	s_or_b64 exec, exec, s[42:43]
	s_waitcnt vmcnt(0)
	global_store_byte v[0:1], v3, off
.LBB78_1136:
	s_mov_b64 s[44:45], 0
	s_mov_b64 s[42:43], -1
.LBB78_1137:
	s_andn2_b64 vcc, exec, s[44:45]
	s_cbranch_vccnz .LBB78_1145
; %bb.1138:
	s_cmp_gt_i32 s50, 14
	s_mov_b64 s[44:45], -1
	s_cbranch_scc0 .LBB78_1142
; %bb.1139:
	s_cmp_eq_u32 s50, 15
	s_mov_b64 s[0:1], -1
	s_cbranch_scc0 .LBB78_1141
; %bb.1140:
	v_cndmask_b32_e64 v2, 0, 1.0, s[40:41]
	s_waitcnt vmcnt(0)
	v_bfe_u32 v3, v2, 16, 1
	s_movk_i32 s0, 0x7fff
	v_add3_u32 v2, v2, v3, s0
	global_store_short_d16_hi v[0:1], v2, off
	s_mov_b64 s[42:43], -1
	s_mov_b64 s[0:1], 0
.LBB78_1141:
	s_mov_b64 s[44:45], 0
.LBB78_1142:
	s_and_b64 vcc, exec, s[44:45]
	s_cbranch_vccz .LBB78_1145
; %bb.1143:
	s_cmp_eq_u32 s50, 11
	s_mov_b64 s[0:1], -1
	s_cbranch_scc0 .LBB78_1145
; %bb.1144:
	v_cndmask_b32_e64 v2, 0, 1, s[40:41]
	s_mov_b64 s[42:43], -1
	s_mov_b64 s[0:1], 0
	global_store_byte v[0:1], v2, off
.LBB78_1145:
	s_mov_b64 s[44:45], 0
.LBB78_1146:
	s_and_b64 vcc, exec, s[44:45]
	s_cbranch_vccz .LBB78_1185
; %bb.1147:
	s_and_b32 s44, 0xffff, s49
	s_cmp_lt_i32 s44, 5
	s_mov_b64 s[42:43], -1
	s_cbranch_scc1 .LBB78_1168
; %bb.1148:
	s_cmp_lt_i32 s44, 8
	s_cbranch_scc1 .LBB78_1158
; %bb.1149:
	s_cmp_lt_i32 s44, 9
	s_cbranch_scc1 .LBB78_1155
; %bb.1150:
	s_cmp_gt_i32 s44, 9
	s_cbranch_scc0 .LBB78_1152
; %bb.1151:
	v_cndmask_b32_e64 v2, 0, 1, s[40:41]
	v_cvt_f64_u32_e32 v[6:7], v2
	v_mov_b32_e32 v8, 0
	v_mov_b32_e32 v9, v8
	s_mov_b64 s[42:43], 0
	global_store_dwordx4 v[0:1], v[6:9], off
.LBB78_1152:
	s_andn2_b64 vcc, exec, s[42:43]
	s_cbranch_vccnz .LBB78_1154
; %bb.1153:
	v_cndmask_b32_e64 v2, 0, 1.0, s[40:41]
	s_waitcnt vmcnt(0)
	v_mov_b32_e32 v3, 0
	global_store_dwordx2 v[0:1], v[2:3], off
.LBB78_1154:
	s_mov_b64 s[42:43], 0
.LBB78_1155:
	s_andn2_b64 vcc, exec, s[42:43]
	s_cbranch_vccnz .LBB78_1157
; %bb.1156:
	v_cndmask_b32_e64 v2, 0, 1.0, s[40:41]
	v_cvt_f16_f32_e32 v2, v2
	global_store_dword v[0:1], v2, off
.LBB78_1157:
	s_mov_b64 s[42:43], 0
.LBB78_1158:
	s_andn2_b64 vcc, exec, s[42:43]
	s_cbranch_vccnz .LBB78_1167
; %bb.1159:
	s_cmp_lt_i32 s44, 6
	s_mov_b64 s[42:43], -1
	s_cbranch_scc1 .LBB78_1165
; %bb.1160:
	s_cmp_gt_i32 s44, 6
	s_cbranch_scc0 .LBB78_1162
; %bb.1161:
	v_cndmask_b32_e64 v2, 0, 1, s[40:41]
	s_waitcnt vmcnt(0)
	v_cvt_f64_u32_e32 v[2:3], v2
	s_mov_b64 s[42:43], 0
	global_store_dwordx2 v[0:1], v[2:3], off
.LBB78_1162:
	s_andn2_b64 vcc, exec, s[42:43]
	s_cbranch_vccnz .LBB78_1164
; %bb.1163:
	v_cndmask_b32_e64 v2, 0, 1.0, s[40:41]
	global_store_dword v[0:1], v2, off
.LBB78_1164:
	s_mov_b64 s[42:43], 0
.LBB78_1165:
	s_andn2_b64 vcc, exec, s[42:43]
	s_cbranch_vccnz .LBB78_1167
; %bb.1166:
	v_cndmask_b32_e64 v2, 0, 1.0, s[40:41]
	v_cvt_f16_f32_e32 v2, v2
	global_store_short v[0:1], v2, off
.LBB78_1167:
	s_mov_b64 s[42:43], 0
.LBB78_1168:
	s_andn2_b64 vcc, exec, s[42:43]
	s_cbranch_vccnz .LBB78_1184
; %bb.1169:
	s_cmp_lt_i32 s44, 2
	s_mov_b64 s[42:43], -1
	s_cbranch_scc1 .LBB78_1179
; %bb.1170:
	s_cmp_lt_i32 s44, 3
	s_cbranch_scc1 .LBB78_1176
; %bb.1171:
	s_cmp_gt_i32 s44, 3
	s_cbranch_scc0 .LBB78_1173
; %bb.1172:
	s_mov_b32 s42, 0
	v_cndmask_b32_e64 v2, 0, 1, s[40:41]
	s_waitcnt vmcnt(0)
	v_mov_b32_e32 v3, s42
	s_mov_b64 s[42:43], 0
	global_store_dwordx2 v[0:1], v[2:3], off
.LBB78_1173:
	s_andn2_b64 vcc, exec, s[42:43]
	s_cbranch_vccnz .LBB78_1175
; %bb.1174:
	v_cndmask_b32_e64 v2, 0, 1, s[40:41]
	global_store_dword v[0:1], v2, off
.LBB78_1175:
	s_mov_b64 s[42:43], 0
.LBB78_1176:
	s_andn2_b64 vcc, exec, s[42:43]
	s_cbranch_vccnz .LBB78_1178
; %bb.1177:
	v_cndmask_b32_e64 v2, 0, 1, s[40:41]
	global_store_short v[0:1], v2, off
.LBB78_1178:
	s_mov_b64 s[42:43], 0
.LBB78_1179:
	s_andn2_b64 vcc, exec, s[42:43]
	s_cbranch_vccnz .LBB78_1184
; %bb.1180:
	s_mov_b64 s[42:43], -1
	s_cmp_gt_i32 s44, 0
	v_cndmask_b32_e64 v2, 0, 1, s[40:41]
	s_cbranch_scc0 .LBB78_1182
; %bb.1181:
	s_mov_b64 s[42:43], 0
	global_store_byte v[0:1], v2, off
.LBB78_1182:
	s_andn2_b64 vcc, exec, s[42:43]
	s_cbranch_vccnz .LBB78_1184
; %bb.1183:
	global_store_byte v[0:1], v2, off
.LBB78_1184:
	s_mov_b64 s[42:43], -1
.LBB78_1185:
	s_andn2_b64 vcc, exec, s[42:43]
	s_cbranch_vccnz .LBB78_1198
; %bb.1186:
	v_add_u32_e32 v5, 0x80, v5
	s_mov_b64 s[42:43], -1
.LBB78_1187:
	s_andn2_b64 s[40:41], s[28:29], exec
	s_and_b64 s[0:1], s[0:1], exec
	s_or_b64 s[40:41], s[40:41], s[0:1]
	s_andn2_b64 s[0:1], s[26:27], exec
	s_and_b64 s[38:39], s[38:39], exec
	s_or_b64 s[38:39], s[0:1], s[38:39]
	;; [unrolled: 3-line block ×3, first 2 shown]
	s_orn2_b64 s[46:47], s[42:43], exec
.LBB78_1188:
	s_or_b64 exec, exec, s[34:35]
	s_mov_b64 s[42:43], 0
	s_mov_b64 s[36:37], 0
	;; [unrolled: 1-line block ×3, first 2 shown]
                                        ; implicit-def: $sgpr56
                                        ; implicit-def: $vgpr2_vgpr3
                                        ; implicit-def: $vgpr0
	s_and_saveexec_b64 s[34:35], s[46:47]
	s_cbranch_execz .LBB78_1268
; %bb.1189:
	v_cmp_gt_i32_e32 vcc, s48, v5
	s_mov_b64 s[46:47], 0
	s_mov_b64 s[48:49], s[0:1]
	;; [unrolled: 1-line block ×4, first 2 shown]
                                        ; implicit-def: $sgpr56
                                        ; implicit-def: $vgpr2_vgpr3
                                        ; implicit-def: $vgpr0
	s_and_saveexec_b64 s[36:37], vcc
	s_cbranch_execz .LBB78_1267
; %bb.1190:
	s_waitcnt vmcnt(0)
	v_mul_lo_u32 v0, v5, s13
	v_mov_b32_e32 v1, s11
	s_and_b32 s56, s55, 0xff
	s_cmp_lt_i32 s56, 11
	v_ashrrev_i32_e32 v3, 31, v0
	v_add_co_u32_e32 v2, vcc, s10, v0
	v_addc_co_u32_e32 v3, vcc, v1, v3, vcc
	s_cbranch_scc1 .LBB78_1197
; %bb.1191:
	s_and_b32 s50, 0xffff, s56
	s_cmp_gt_i32 s50, 25
	s_cbranch_scc0 .LBB78_1199
; %bb.1192:
	s_cmp_gt_i32 s50, 28
	s_cbranch_scc0 .LBB78_1200
; %bb.1193:
	;; [unrolled: 3-line block ×4, first 2 shown]
	s_cmp_eq_u32 s50, 46
	s_mov_b64 s[48:49], 0
	s_cbranch_scc0 .LBB78_1205
; %bb.1196:
	global_load_dword v0, v[2:3], off
	s_mov_b64 s[46:47], -1
	s_waitcnt vmcnt(0)
	v_lshlrev_b32_e32 v0, 16, v0
	v_cvt_i32_f32_e32 v0, v0
	s_branch .LBB78_1207
.LBB78_1197:
	s_mov_b64 s[48:49], -1
                                        ; implicit-def: $vgpr0
	s_mov_b64 s[42:43], s[0:1]
	s_branch .LBB78_1266
.LBB78_1198:
	s_mov_b64 s[42:43], 0
	s_branch .LBB78_927
.LBB78_1199:
	s_mov_b64 s[48:49], -1
	s_mov_b64 s[42:43], s[0:1]
                                        ; implicit-def: $vgpr0
	s_branch .LBB78_1234
.LBB78_1200:
	s_mov_b64 s[48:49], -1
	s_mov_b64 s[42:43], s[0:1]
                                        ; implicit-def: $vgpr0
	s_branch .LBB78_1217
.LBB78_1201:
	s_mov_b64 s[48:49], -1
	s_mov_b64 s[42:43], s[0:1]
                                        ; implicit-def: $vgpr0
	s_branch .LBB78_1212
.LBB78_1202:
	s_mov_b64 s[48:49], -1
	s_mov_b64 s[42:43], s[0:1]
	s_branch .LBB78_1206
.LBB78_1203:
	s_andn2_saveexec_b64 s[46:47], s[46:47]
	s_cbranch_execz .LBB78_1098
.LBB78_1204:
	v_add_f32_e32 v2, 0x46000000, v3
	v_and_b32_e32 v2, 0xff, v2
	v_cmp_ne_u32_e32 vcc, 0, v2
	s_andn2_b64 s[44:45], s[44:45], exec
	s_and_b64 s[52:53], vcc, exec
	s_or_b64 s[44:45], s[44:45], s[52:53]
	s_or_b64 exec, exec, s[46:47]
	v_mov_b32_e32 v4, 0
	s_and_saveexec_b64 s[46:47], s[44:45]
	s_cbranch_execnz .LBB78_1099
	s_branch .LBB78_1100
.LBB78_1205:
	s_mov_b64 s[42:43], -1
.LBB78_1206:
                                        ; implicit-def: $vgpr0
.LBB78_1207:
	s_and_b64 vcc, exec, s[48:49]
	s_cbranch_vccz .LBB78_1211
; %bb.1208:
	s_cmp_eq_u32 s50, 44
	s_cbranch_scc0 .LBB78_1210
; %bb.1209:
	global_load_ubyte v0, v[2:3], off
	s_mov_b64 s[42:43], 0
	s_mov_b64 s[46:47], -1
	s_waitcnt vmcnt(0)
	v_lshlrev_b32_e32 v1, 23, v0
	v_cvt_i32_f32_e32 v1, v1
	v_cmp_ne_u32_e32 vcc, 0, v0
	v_cndmask_b32_e32 v0, 0, v1, vcc
	s_branch .LBB78_1211
.LBB78_1210:
	s_mov_b64 s[42:43], -1
                                        ; implicit-def: $vgpr0
.LBB78_1211:
	s_mov_b64 s[48:49], 0
.LBB78_1212:
	s_and_b64 vcc, exec, s[48:49]
	s_cbranch_vccz .LBB78_1216
; %bb.1213:
	s_cmp_eq_u32 s50, 29
	s_cbranch_scc0 .LBB78_1215
; %bb.1214:
	global_load_dwordx2 v[0:1], v[2:3], off
	s_mov_b64 s[42:43], 0
	s_mov_b64 s[46:47], -1
	s_branch .LBB78_1216
.LBB78_1215:
	s_mov_b64 s[42:43], -1
                                        ; implicit-def: $vgpr0
.LBB78_1216:
	s_mov_b64 s[48:49], 0
.LBB78_1217:
	s_and_b64 vcc, exec, s[48:49]
	s_cbranch_vccz .LBB78_1233
; %bb.1218:
	s_cmp_lt_i32 s50, 27
	s_cbranch_scc1 .LBB78_1221
; %bb.1219:
	s_cmp_gt_i32 s50, 27
	s_cbranch_scc0 .LBB78_1222
; %bb.1220:
	global_load_dword v0, v[2:3], off
	s_mov_b64 s[46:47], 0
	s_branch .LBB78_1223
.LBB78_1221:
	s_mov_b64 s[46:47], -1
                                        ; implicit-def: $vgpr0
	s_branch .LBB78_1226
.LBB78_1222:
	s_mov_b64 s[46:47], -1
                                        ; implicit-def: $vgpr0
.LBB78_1223:
	s_andn2_b64 vcc, exec, s[46:47]
	s_cbranch_vccnz .LBB78_1225
; %bb.1224:
	global_load_ushort v0, v[2:3], off
.LBB78_1225:
	s_mov_b64 s[46:47], 0
.LBB78_1226:
	s_andn2_b64 vcc, exec, s[46:47]
	s_cbranch_vccnz .LBB78_1232
; %bb.1227:
	global_load_ubyte v1, v[2:3], off
	s_movk_i32 s46, 0x7f
	s_mov_b64 s[48:49], 0
	s_waitcnt vmcnt(0)
	v_cmp_lt_i16_e32 vcc, s46, v1
	s_and_saveexec_b64 s[46:47], vcc
	s_xor_b64 s[46:47], exec, s[46:47]
	s_cbranch_execz .LBB78_1244
; %bb.1228:
	s_movk_i32 s48, 0x80
	v_cmp_ne_u16_e32 vcc, s48, v1
	s_and_b64 s[48:49], vcc, exec
	s_andn2_saveexec_b64 s[46:47], s[46:47]
	s_cbranch_execnz .LBB78_1245
.LBB78_1229:
	s_or_b64 exec, exec, s[46:47]
	v_mov_b32_e32 v0, 0
	s_and_saveexec_b64 s[46:47], s[48:49]
	s_cbranch_execz .LBB78_1231
.LBB78_1230:
	v_lshlrev_b32_e32 v0, 24, v1
	v_and_b32_e32 v1, 0xffff, v1
	v_and_b32_e32 v4, 7, v1
	v_ffbh_u32_e32 v7, v4
	v_min_u32_e32 v7, 32, v7
	v_subrev_u32_e32 v8, 28, v7
	v_bfe_u32 v6, v1, 3, 4
	v_lshlrev_b32_e32 v1, v8, v1
	v_sub_u32_e32 v7, 29, v7
	v_and_b32_e32 v1, 7, v1
	v_cmp_eq_u32_e32 vcc, 0, v6
	v_cndmask_b32_e32 v6, v6, v7, vcc
	v_cndmask_b32_e32 v1, v4, v1, vcc
	v_mov_b32_e32 v4, 0x3b800000
	v_lshlrev_b32_e32 v1, 20, v1
	v_and_b32_e32 v0, 0x80000000, v0
	v_lshl_add_u32 v4, v6, 23, v4
	v_or3_b32 v0, v0, v4, v1
	v_cvt_i32_f32_e32 v0, v0
.LBB78_1231:
	s_or_b64 exec, exec, s[46:47]
.LBB78_1232:
	s_mov_b64 s[46:47], -1
.LBB78_1233:
	s_mov_b64 s[48:49], 0
.LBB78_1234:
	s_and_b64 vcc, exec, s[48:49]
	s_cbranch_vccz .LBB78_1265
; %bb.1235:
	s_cmp_gt_i32 s50, 22
	s_cbranch_scc0 .LBB78_1243
; %bb.1236:
	s_cmp_lt_i32 s50, 24
	s_cbranch_scc1 .LBB78_1246
; %bb.1237:
	s_cmp_gt_i32 s50, 24
	s_cbranch_scc0 .LBB78_1247
; %bb.1238:
	global_load_ubyte v1, v[2:3], off
	s_movk_i32 s44, 0x7f
	s_mov_b64 s[46:47], 0
	s_waitcnt vmcnt(0)
	v_cmp_lt_i16_e32 vcc, s44, v1
	s_and_saveexec_b64 s[44:45], vcc
	s_xor_b64 s[44:45], exec, s[44:45]
	s_cbranch_execz .LBB78_1259
; %bb.1239:
	s_movk_i32 s46, 0x80
	v_cmp_ne_u16_e32 vcc, s46, v1
	s_and_b64 s[46:47], vcc, exec
	s_andn2_saveexec_b64 s[44:45], s[44:45]
	s_cbranch_execnz .LBB78_1260
.LBB78_1240:
	s_or_b64 exec, exec, s[44:45]
	v_mov_b32_e32 v0, 0
	s_and_saveexec_b64 s[44:45], s[46:47]
	s_cbranch_execz .LBB78_1242
.LBB78_1241:
	v_lshlrev_b32_e32 v0, 24, v1
	v_and_b32_e32 v1, 0xffff, v1
	v_and_b32_e32 v4, 3, v1
	v_ffbh_u32_e32 v7, v4
	v_min_u32_e32 v7, 32, v7
	v_subrev_u32_e32 v8, 29, v7
	v_bfe_u32 v6, v1, 2, 5
	v_lshlrev_b32_e32 v1, v8, v1
	v_sub_u32_e32 v7, 30, v7
	v_and_b32_e32 v1, 3, v1
	v_cmp_eq_u32_e32 vcc, 0, v6
	v_cndmask_b32_e32 v6, v6, v7, vcc
	v_cndmask_b32_e32 v1, v4, v1, vcc
	v_mov_b32_e32 v4, 0x37800000
	v_lshlrev_b32_e32 v1, 21, v1
	v_and_b32_e32 v0, 0x80000000, v0
	v_lshl_add_u32 v4, v6, 23, v4
	v_or3_b32 v0, v0, v4, v1
	v_cvt_i32_f32_e32 v0, v0
.LBB78_1242:
	s_or_b64 exec, exec, s[44:45]
	s_mov_b64 s[44:45], 0
	s_branch .LBB78_1248
.LBB78_1243:
	s_mov_b64 s[44:45], -1
                                        ; implicit-def: $vgpr0
	s_branch .LBB78_1254
.LBB78_1244:
	s_andn2_saveexec_b64 s[46:47], s[46:47]
	s_cbranch_execz .LBB78_1229
.LBB78_1245:
	v_cmp_ne_u16_e32 vcc, 0, v1
	s_andn2_b64 s[48:49], s[48:49], exec
	s_and_b64 s[52:53], vcc, exec
	s_or_b64 s[48:49], s[48:49], s[52:53]
	s_or_b64 exec, exec, s[46:47]
	v_mov_b32_e32 v0, 0
	s_and_saveexec_b64 s[46:47], s[48:49]
	s_cbranch_execnz .LBB78_1230
	s_branch .LBB78_1231
.LBB78_1246:
	s_mov_b64 s[44:45], -1
                                        ; implicit-def: $vgpr0
	s_branch .LBB78_1251
.LBB78_1247:
	s_mov_b64 s[44:45], -1
                                        ; implicit-def: $vgpr0
.LBB78_1248:
	s_and_b64 vcc, exec, s[44:45]
	s_cbranch_vccz .LBB78_1250
; %bb.1249:
	global_load_ubyte v0, v[2:3], off
	s_mov_b32 s44, 0x7f800000
	s_waitcnt vmcnt(0)
	v_lshlrev_b32_e32 v0, 24, v0
	v_and_b32_e32 v1, 0x7f000000, v0
	v_ffbh_u32_e32 v4, v1
	v_min_u32_e32 v4, 32, v4
	v_sub_u32_e64 v4, v4, 4 clamp
	v_lshlrev_b32_e32 v7, v4, v1
	v_lshlrev_b32_e32 v4, 23, v4
	v_lshrrev_b32_e32 v7, 4, v7
	v_add_u32_e32 v6, 0x1000000, v1
	v_sub_u32_e32 v4, v7, v4
	v_ashrrev_i32_e32 v6, 8, v6
	v_add_u32_e32 v4, 0x3c000000, v4
	v_and_or_b32 v4, v6, s44, v4
	v_cmp_ne_u32_e32 vcc, 0, v1
	v_cndmask_b32_e32 v1, 0, v4, vcc
	s_brev_b32 s44, 1
	v_and_or_b32 v0, v0, s44, v1
	v_cvt_i32_f32_e32 v0, v0
.LBB78_1250:
	s_mov_b64 s[44:45], 0
.LBB78_1251:
	s_andn2_b64 vcc, exec, s[44:45]
	s_cbranch_vccnz .LBB78_1253
; %bb.1252:
	global_load_ubyte v0, v[2:3], off
	s_movk_i32 s44, 0x7f00
	s_brev_b32 s45, 16
	s_waitcnt vmcnt(0)
	v_lshlrev_b16_e32 v1, 8, v0
	v_lshlrev_b32_e32 v0, 25, v0
	v_lshrrev_b32_e32 v4, 4, v0
	v_and_or_b32 v6, v1, s44, 0.5
	v_or_b32_e32 v4, 0x70000000, v4
	v_add_f32_e32 v6, -0.5, v6
	v_mul_f32_e32 v4, 0x7800000, v4
	v_cmp_gt_u32_e32 vcc, s45, v0
	v_bfe_i32 v1, v1, 0, 16
	v_cndmask_b32_e32 v0, v4, v6, vcc
	s_brev_b32 s44, 1
	v_and_or_b32 v0, v1, s44, v0
	v_cvt_i32_f32_e32 v0, v0
.LBB78_1253:
	s_mov_b64 s[44:45], 0
	s_mov_b64 s[46:47], -1
.LBB78_1254:
	s_andn2_b64 vcc, exec, s[44:45]
	s_mov_b64 s[44:45], 0
	s_cbranch_vccnz .LBB78_1265
; %bb.1255:
	s_cmp_gt_i32 s50, 14
	s_cbranch_scc0 .LBB78_1258
; %bb.1256:
	s_cmp_eq_u32 s50, 15
	s_cbranch_scc0 .LBB78_1261
; %bb.1257:
	global_load_ushort v0, v[2:3], off
	s_mov_b64 s[42:43], 0
	s_mov_b64 s[46:47], -1
	s_waitcnt vmcnt(0)
	v_lshlrev_b32_e32 v0, 16, v0
	v_cvt_i32_f32_e32 v0, v0
	s_branch .LBB78_1262
.LBB78_1258:
	s_mov_b64 s[48:49], -1
                                        ; implicit-def: $vgpr0
	s_branch .LBB78_1263
.LBB78_1259:
	s_andn2_saveexec_b64 s[44:45], s[44:45]
	s_cbranch_execz .LBB78_1240
.LBB78_1260:
	v_cmp_ne_u16_e32 vcc, 0, v1
	s_andn2_b64 s[46:47], s[46:47], exec
	s_and_b64 s[48:49], vcc, exec
	s_or_b64 s[46:47], s[46:47], s[48:49]
	s_or_b64 exec, exec, s[44:45]
	v_mov_b32_e32 v0, 0
	s_and_saveexec_b64 s[44:45], s[46:47]
	s_cbranch_execnz .LBB78_1241
	s_branch .LBB78_1242
.LBB78_1261:
	s_mov_b64 s[42:43], -1
                                        ; implicit-def: $vgpr0
.LBB78_1262:
	s_mov_b64 s[48:49], 0
.LBB78_1263:
	s_and_b64 vcc, exec, s[48:49]
	s_cbranch_vccz .LBB78_1265
; %bb.1264:
	s_cmp_lg_u32 s50, 11
	s_cselect_b64 s[48:49], -1, 0
	s_andn2_b64 s[42:43], s[42:43], exec
	s_and_b64 s[48:49], s[48:49], exec
	s_mov_b64 s[44:45], -1
	s_or_b64 s[42:43], s[42:43], s[48:49]
.LBB78_1265:
	s_mov_b64 s[48:49], 0
.LBB78_1266:
	s_and_b64 s[52:53], s[46:47], exec
	s_and_b64 s[46:47], s[44:45], exec
	s_andn2_b64 s[44:45], s[0:1], exec
	s_and_b64 s[42:43], s[42:43], exec
	s_and_b64 s[50:51], s[48:49], exec
	s_or_b64 s[48:49], s[44:45], s[42:43]
.LBB78_1267:
	s_or_b64 exec, exec, s[36:37]
	s_and_b64 s[42:43], s[46:47], exec
	s_andn2_b64 s[0:1], s[0:1], exec
	s_and_b64 s[46:47], s[48:49], exec
	s_and_b64 s[44:45], s[52:53], exec
	;; [unrolled: 1-line block ×3, first 2 shown]
	s_or_b64 s[0:1], s[0:1], s[46:47]
.LBB78_1268:
	s_or_b64 exec, exec, s[34:35]
	s_andn2_b64 s[28:29], s[28:29], exec
	s_and_b64 s[34:35], s[40:41], exec
	s_or_b64 s[28:29], s[28:29], s[34:35]
	s_andn2_b64 s[26:27], s[26:27], exec
	s_and_b64 s[34:35], s[38:39], exec
	s_andn2_b64 s[24:25], s[24:25], exec
	s_and_b64 s[0:1], s[0:1], exec
	s_or_b64 s[26:27], s[26:27], s[34:35]
	s_and_b64 s[38:39], s[44:45], exec
	s_and_b64 s[36:37], s[36:37], exec
	;; [unrolled: 1-line block ×3, first 2 shown]
	s_or_b64 s[24:25], s[24:25], s[0:1]
.LBB78_1269:
	s_or_b64 exec, exec, s[30:31]
	s_andn2_b64 s[0:1], s[16:17], exec
	s_and_b64 s[16:17], s[28:29], exec
	s_or_b64 s[16:17], s[0:1], s[16:17]
	s_andn2_b64 s[0:1], s[18:19], exec
	s_and_b64 s[18:19], s[26:27], exec
	s_or_b64 s[18:19], s[0:1], s[18:19]
	s_andn2_b64 s[0:1], s[20:21], exec
	s_and_b64 s[20:21], s[24:25], exec
	s_and_b64 s[28:29], s[38:39], exec
	;; [unrolled: 1-line block ×4, first 2 shown]
	s_or_b64 s[20:21], s[0:1], s[20:21]
	s_or_b64 exec, exec, s[22:23]
	s_mov_b64 s[22:23], 0
	s_and_saveexec_b64 s[0:1], s[20:21]
	s_cbranch_execz .LBB78_401
.LBB78_1270:
	s_mov_b64 s[22:23], exec
	s_andn2_b64 s[26:27], s[26:27], exec
	s_trap 2
	s_or_b64 exec, exec, s[0:1]
	s_and_saveexec_b64 s[0:1], s[26:27]
	s_xor_b64 s[0:1], exec, s[0:1]
	s_cbranch_execnz .LBB78_402
.LBB78_1271:
	s_or_b64 exec, exec, s[0:1]
	s_and_saveexec_b64 s[0:1], s[30:31]
	s_cbranch_execz .LBB78_1317
.LBB78_1272:
	s_sext_i32_i16 s20, s56
	s_cmp_lt_i32 s20, 5
	s_cbranch_scc1 .LBB78_1277
; %bb.1273:
	s_cmp_lt_i32 s20, 8
	s_cbranch_scc1 .LBB78_1278
; %bb.1274:
	;; [unrolled: 3-line block ×3, first 2 shown]
	s_cmp_gt_i32 s20, 9
	s_cbranch_scc0 .LBB78_1280
; %bb.1276:
	s_waitcnt vmcnt(0)
	global_load_dwordx2 v[0:1], v[2:3], off
	s_mov_b64 s[20:21], 0
	s_waitcnt vmcnt(0)
	v_cvt_i32_f64_e32 v0, v[0:1]
	s_branch .LBB78_1281
.LBB78_1277:
                                        ; implicit-def: $vgpr0
	s_branch .LBB78_1298
.LBB78_1278:
                                        ; implicit-def: $vgpr0
	s_branch .LBB78_1287
.LBB78_1279:
	s_mov_b64 s[20:21], -1
                                        ; implicit-def: $vgpr0
	s_branch .LBB78_1284
.LBB78_1280:
	s_mov_b64 s[20:21], -1
                                        ; implicit-def: $vgpr0
.LBB78_1281:
	s_andn2_b64 vcc, exec, s[20:21]
	s_cbranch_vccnz .LBB78_1283
; %bb.1282:
	s_waitcnt vmcnt(0)
	global_load_dword v0, v[2:3], off
	s_waitcnt vmcnt(0)
	v_cvt_i32_f32_e32 v0, v0
.LBB78_1283:
	s_mov_b64 s[20:21], 0
.LBB78_1284:
	s_andn2_b64 vcc, exec, s[20:21]
	s_cbranch_vccnz .LBB78_1286
; %bb.1285:
	s_waitcnt vmcnt(0)
	global_load_dword v0, v[2:3], off
	s_waitcnt vmcnt(0)
	v_cvt_i16_f16_e32 v0, v0
.LBB78_1286:
	s_cbranch_execnz .LBB78_1297
.LBB78_1287:
	s_sext_i32_i16 s20, s56
	s_cmp_lt_i32 s20, 6
	s_cbranch_scc1 .LBB78_1290
; %bb.1288:
	s_cmp_gt_i32 s20, 6
	s_cbranch_scc0 .LBB78_1291
; %bb.1289:
	s_waitcnt vmcnt(0)
	global_load_dwordx2 v[0:1], v[2:3], off
	s_mov_b64 s[20:21], 0
	s_waitcnt vmcnt(0)
	v_cvt_i32_f64_e32 v0, v[0:1]
	s_branch .LBB78_1292
.LBB78_1290:
	s_mov_b64 s[20:21], -1
                                        ; implicit-def: $vgpr0
	s_branch .LBB78_1295
.LBB78_1291:
	s_mov_b64 s[20:21], -1
                                        ; implicit-def: $vgpr0
.LBB78_1292:
	s_andn2_b64 vcc, exec, s[20:21]
	s_cbranch_vccnz .LBB78_1294
; %bb.1293:
	s_waitcnt vmcnt(0)
	global_load_dword v0, v[2:3], off
	s_waitcnt vmcnt(0)
	v_cvt_i32_f32_e32 v0, v0
.LBB78_1294:
	s_mov_b64 s[20:21], 0
.LBB78_1295:
	s_andn2_b64 vcc, exec, s[20:21]
	s_cbranch_vccnz .LBB78_1297
; %bb.1296:
	s_waitcnt vmcnt(0)
	global_load_ushort v0, v[2:3], off
	s_waitcnt vmcnt(0)
	v_cvt_i16_f16_e32 v0, v0
.LBB78_1297:
	s_cbranch_execnz .LBB78_1316
.LBB78_1298:
	s_sext_i32_i16 s20, s56
	s_cmp_lt_i32 s20, 2
	s_cbranch_scc1 .LBB78_1302
; %bb.1299:
	s_cmp_lt_i32 s20, 3
	s_cbranch_scc1 .LBB78_1303
; %bb.1300:
	s_cmp_gt_i32 s20, 3
	s_cbranch_scc0 .LBB78_1304
; %bb.1301:
	s_waitcnt vmcnt(0)
	global_load_dwordx2 v[0:1], v[2:3], off
	s_mov_b64 s[20:21], 0
	s_branch .LBB78_1305
.LBB78_1302:
                                        ; implicit-def: $vgpr0
	s_branch .LBB78_1311
.LBB78_1303:
	s_mov_b64 s[20:21], -1
                                        ; implicit-def: $vgpr0
	s_branch .LBB78_1308
.LBB78_1304:
	s_mov_b64 s[20:21], -1
                                        ; implicit-def: $vgpr0
.LBB78_1305:
	s_andn2_b64 vcc, exec, s[20:21]
	s_cbranch_vccnz .LBB78_1307
; %bb.1306:
	s_waitcnt vmcnt(0)
	global_load_dword v0, v[2:3], off
.LBB78_1307:
	s_mov_b64 s[20:21], 0
.LBB78_1308:
	s_andn2_b64 vcc, exec, s[20:21]
	s_cbranch_vccnz .LBB78_1310
; %bb.1309:
	s_waitcnt vmcnt(0)
	global_load_ushort v0, v[2:3], off
.LBB78_1310:
	s_cbranch_execnz .LBB78_1316
.LBB78_1311:
	s_sext_i32_i16 s20, s56
	s_cmp_gt_i32 s20, 0
	s_cbranch_scc0 .LBB78_1313
; %bb.1312:
	s_waitcnt vmcnt(0)
	global_load_sbyte v0, v[2:3], off
	s_mov_b64 s[20:21], 0
	s_branch .LBB78_1314
.LBB78_1313:
	s_mov_b64 s[20:21], -1
                                        ; implicit-def: $vgpr0
.LBB78_1314:
	s_andn2_b64 vcc, exec, s[20:21]
	s_cbranch_vccnz .LBB78_1316
; %bb.1315:
	s_waitcnt vmcnt(0)
	global_load_ubyte v0, v[2:3], off
.LBB78_1316:
	s_or_b64 s[28:29], s[28:29], exec
.LBB78_1317:
	s_or_b64 exec, exec, s[0:1]
	s_mov_b64 s[26:27], 0
	s_mov_b64 s[30:31], 0
	;; [unrolled: 1-line block ×3, first 2 shown]
                                        ; implicit-def: $sgpr34
                                        ; implicit-def: $vgpr1_vgpr2
                                        ; implicit-def: $vgpr3
	s_and_saveexec_b64 s[0:1], s[28:29]
	s_cbranch_execz .LBB78_1325
; %bb.1318:
	s_waitcnt vmcnt(0)
	v_mul_lo_u32 v1, v5, s14
	v_mov_b32_e32 v2, s3
	s_and_b32 s34, s54, 0xff
	s_cmp_lt_i32 s34, 11
	v_ashrrev_i32_e32 v3, 31, v1
	v_add_co_u32_e32 v1, vcc, s2, v1
	v_addc_co_u32_e32 v2, vcc, v2, v3, vcc
	s_cbranch_scc1 .LBB78_1328
; %bb.1319:
	s_and_b32 s30, 0xffff, s34
	s_cmp_gt_i32 s30, 25
	s_cbranch_scc0 .LBB78_1329
; %bb.1320:
	s_cmp_gt_i32 s30, 28
	s_cbranch_scc0 .LBB78_1330
; %bb.1321:
	;; [unrolled: 3-line block ×4, first 2 shown]
	s_cmp_eq_u32 s30, 46
	s_mov_b64 s[28:29], 0
	s_cbranch_scc0 .LBB78_1333
; %bb.1324:
	global_load_dword v3, v[1:2], off
	s_mov_b64 s[20:21], 0
	s_mov_b64 s[24:25], -1
	s_waitcnt vmcnt(0)
	v_lshlrev_b32_e32 v3, 16, v3
	v_cvt_i32_f32_e32 v3, v3
	s_branch .LBB78_1335
.LBB78_1325:
	s_or_b64 exec, exec, s[0:1]
	s_and_saveexec_b64 s[0:1], s[18:19]
	s_cbranch_execnz .LBB78_1394
.LBB78_1326:
	s_or_b64 exec, exec, s[0:1]
	s_and_saveexec_b64 s[0:1], s[26:27]
	s_xor_b64 s[0:1], exec, s[0:1]
	s_cbranch_execz .LBB78_1395
.LBB78_1327:
	s_waitcnt vmcnt(0)
	global_load_ubyte v3, v[1:2], off
	s_or_b64 s[24:25], s[24:25], exec
	s_waitcnt vmcnt(0)
	v_cmp_ne_u16_e32 vcc, 0, v3
	v_cndmask_b32_e64 v3, 0, 1, vcc
	s_or_b64 exec, exec, s[0:1]
	s_and_saveexec_b64 s[0:1], s[30:31]
	s_cbranch_execz .LBB78_1441
	s_branch .LBB78_1396
.LBB78_1328:
	s_mov_b64 s[28:29], -1
                                        ; implicit-def: $vgpr3
	s_mov_b64 s[20:21], s[18:19]
	s_branch .LBB78_1393
.LBB78_1329:
	s_mov_b64 s[20:21], s[18:19]
                                        ; implicit-def: $vgpr3
	s_cbranch_execnz .LBB78_1362
	s_branch .LBB78_1392
.LBB78_1330:
	s_mov_b64 s[28:29], -1
	s_mov_b64 s[20:21], s[18:19]
                                        ; implicit-def: $vgpr3
	s_branch .LBB78_1345
.LBB78_1331:
	s_mov_b64 s[28:29], -1
	s_mov_b64 s[20:21], s[18:19]
                                        ; implicit-def: $vgpr3
	s_branch .LBB78_1340
.LBB78_1332:
	s_mov_b64 s[28:29], -1
	s_mov_b64 s[20:21], s[18:19]
	s_branch .LBB78_1334
.LBB78_1333:
	s_mov_b64 s[20:21], -1
.LBB78_1334:
                                        ; implicit-def: $vgpr3
.LBB78_1335:
	s_and_b64 vcc, exec, s[28:29]
	s_cbranch_vccz .LBB78_1339
; %bb.1336:
	s_cmp_eq_u32 s30, 44
	s_cbranch_scc0 .LBB78_1338
; %bb.1337:
	global_load_ubyte v3, v[1:2], off
	s_mov_b64 s[20:21], 0
	s_mov_b64 s[24:25], -1
	s_waitcnt vmcnt(0)
	v_lshlrev_b32_e32 v4, 23, v3
	v_cvt_i32_f32_e32 v4, v4
	v_cmp_ne_u32_e32 vcc, 0, v3
	v_cndmask_b32_e32 v3, 0, v4, vcc
	s_branch .LBB78_1339
.LBB78_1338:
	s_mov_b64 s[20:21], -1
                                        ; implicit-def: $vgpr3
.LBB78_1339:
	s_mov_b64 s[28:29], 0
.LBB78_1340:
	s_and_b64 vcc, exec, s[28:29]
	s_cbranch_vccz .LBB78_1344
; %bb.1341:
	s_cmp_eq_u32 s30, 29
	s_cbranch_scc0 .LBB78_1343
; %bb.1342:
	global_load_dwordx2 v[3:4], v[1:2], off
	s_mov_b64 s[20:21], 0
	s_mov_b64 s[24:25], -1
	s_branch .LBB78_1344
.LBB78_1343:
	s_mov_b64 s[20:21], -1
                                        ; implicit-def: $vgpr3
.LBB78_1344:
	s_mov_b64 s[28:29], 0
.LBB78_1345:
	s_and_b64 vcc, exec, s[28:29]
	s_cbranch_vccz .LBB78_1361
; %bb.1346:
	s_cmp_lt_i32 s30, 27
	s_cbranch_scc1 .LBB78_1349
; %bb.1347:
	s_cmp_gt_i32 s30, 27
	s_cbranch_scc0 .LBB78_1350
; %bb.1348:
	global_load_dword v3, v[1:2], off
	s_mov_b64 s[24:25], 0
	s_branch .LBB78_1351
.LBB78_1349:
	s_mov_b64 s[24:25], -1
                                        ; implicit-def: $vgpr3
	s_branch .LBB78_1354
.LBB78_1350:
	s_mov_b64 s[24:25], -1
                                        ; implicit-def: $vgpr3
.LBB78_1351:
	s_andn2_b64 vcc, exec, s[24:25]
	s_cbranch_vccnz .LBB78_1353
; %bb.1352:
	global_load_ushort v3, v[1:2], off
.LBB78_1353:
	s_mov_b64 s[24:25], 0
.LBB78_1354:
	s_andn2_b64 vcc, exec, s[24:25]
	s_cbranch_vccnz .LBB78_1360
; %bb.1355:
	global_load_ubyte v4, v[1:2], off
	s_movk_i32 s24, 0x7f
	s_mov_b64 s[28:29], 0
	s_waitcnt vmcnt(0)
	v_cmp_lt_i16_e32 vcc, s24, v4
	s_and_saveexec_b64 s[24:25], vcc
	s_xor_b64 s[24:25], exec, s[24:25]
	s_cbranch_execz .LBB78_1371
; %bb.1356:
	s_movk_i32 s28, 0x80
	v_cmp_ne_u16_e32 vcc, s28, v4
	s_and_b64 s[28:29], vcc, exec
	s_andn2_saveexec_b64 s[24:25], s[24:25]
	s_cbranch_execnz .LBB78_1372
.LBB78_1357:
	s_or_b64 exec, exec, s[24:25]
	v_mov_b32_e32 v3, 0
	s_and_saveexec_b64 s[24:25], s[28:29]
	s_cbranch_execz .LBB78_1359
.LBB78_1358:
	v_lshlrev_b32_e32 v3, 24, v4
	v_and_b32_e32 v4, 0xffff, v4
	v_and_b32_e32 v6, 7, v4
	v_ffbh_u32_e32 v8, v6
	v_min_u32_e32 v8, 32, v8
	v_subrev_u32_e32 v9, 28, v8
	v_bfe_u32 v7, v4, 3, 4
	v_lshlrev_b32_e32 v4, v9, v4
	v_sub_u32_e32 v8, 29, v8
	v_and_b32_e32 v4, 7, v4
	v_cmp_eq_u32_e32 vcc, 0, v7
	v_cndmask_b32_e32 v7, v7, v8, vcc
	v_cndmask_b32_e32 v4, v6, v4, vcc
	v_mov_b32_e32 v6, 0x3b800000
	v_lshlrev_b32_e32 v4, 20, v4
	v_and_b32_e32 v3, 0x80000000, v3
	v_lshl_add_u32 v6, v7, 23, v6
	v_or3_b32 v3, v3, v6, v4
	v_cvt_i32_f32_e32 v3, v3
.LBB78_1359:
	s_or_b64 exec, exec, s[24:25]
.LBB78_1360:
	s_mov_b64 s[24:25], -1
.LBB78_1361:
	s_branch .LBB78_1392
.LBB78_1362:
	s_cmp_gt_i32 s30, 22
	s_cbranch_scc0 .LBB78_1370
; %bb.1363:
	s_cmp_lt_i32 s30, 24
	s_cbranch_scc1 .LBB78_1373
; %bb.1364:
	s_cmp_gt_i32 s30, 24
	s_cbranch_scc0 .LBB78_1374
; %bb.1365:
	global_load_ubyte v4, v[1:2], off
	s_movk_i32 s24, 0x7f
	s_waitcnt vmcnt(0)
	v_cmp_lt_i16_e32 vcc, s24, v4
	s_and_saveexec_b64 s[24:25], vcc
	s_xor_b64 s[24:25], exec, s[24:25]
	s_cbranch_execz .LBB78_1386
; %bb.1366:
	s_movk_i32 s26, 0x80
	v_cmp_ne_u16_e32 vcc, s26, v4
	s_and_b64 s[26:27], vcc, exec
	s_andn2_saveexec_b64 s[24:25], s[24:25]
	s_cbranch_execnz .LBB78_1387
.LBB78_1367:
	s_or_b64 exec, exec, s[24:25]
	v_mov_b32_e32 v3, 0
	s_and_saveexec_b64 s[24:25], s[26:27]
	s_cbranch_execz .LBB78_1369
.LBB78_1368:
	v_lshlrev_b32_e32 v3, 24, v4
	v_and_b32_e32 v4, 0xffff, v4
	v_and_b32_e32 v6, 3, v4
	v_ffbh_u32_e32 v8, v6
	v_min_u32_e32 v8, 32, v8
	v_subrev_u32_e32 v9, 29, v8
	v_bfe_u32 v7, v4, 2, 5
	v_lshlrev_b32_e32 v4, v9, v4
	v_sub_u32_e32 v8, 30, v8
	v_and_b32_e32 v4, 3, v4
	v_cmp_eq_u32_e32 vcc, 0, v7
	v_cndmask_b32_e32 v7, v7, v8, vcc
	v_cndmask_b32_e32 v4, v6, v4, vcc
	v_mov_b32_e32 v6, 0x37800000
	v_lshlrev_b32_e32 v4, 21, v4
	v_and_b32_e32 v3, 0x80000000, v3
	v_lshl_add_u32 v6, v7, 23, v6
	v_or3_b32 v3, v3, v6, v4
	v_cvt_i32_f32_e32 v3, v3
.LBB78_1369:
	s_or_b64 exec, exec, s[24:25]
	s_mov_b64 s[24:25], 0
	s_branch .LBB78_1375
.LBB78_1370:
	s_mov_b64 s[26:27], -1
                                        ; implicit-def: $vgpr3
	s_branch .LBB78_1381
.LBB78_1371:
	s_andn2_saveexec_b64 s[24:25], s[24:25]
	s_cbranch_execz .LBB78_1357
.LBB78_1372:
	v_cmp_ne_u16_e32 vcc, 0, v4
	s_andn2_b64 s[28:29], s[28:29], exec
	s_and_b64 s[36:37], vcc, exec
	s_or_b64 s[28:29], s[28:29], s[36:37]
	s_or_b64 exec, exec, s[24:25]
	v_mov_b32_e32 v3, 0
	s_and_saveexec_b64 s[24:25], s[28:29]
	s_cbranch_execnz .LBB78_1358
	s_branch .LBB78_1359
.LBB78_1373:
	s_mov_b64 s[24:25], -1
                                        ; implicit-def: $vgpr3
	s_branch .LBB78_1378
.LBB78_1374:
	s_mov_b64 s[24:25], -1
                                        ; implicit-def: $vgpr3
.LBB78_1375:
	s_and_b64 vcc, exec, s[24:25]
	s_cbranch_vccz .LBB78_1377
; %bb.1376:
	global_load_ubyte v3, v[1:2], off
	s_mov_b32 s24, 0x7f800000
	s_waitcnt vmcnt(0)
	v_lshlrev_b32_e32 v3, 24, v3
	v_and_b32_e32 v4, 0x7f000000, v3
	v_ffbh_u32_e32 v6, v4
	v_min_u32_e32 v6, 32, v6
	v_sub_u32_e64 v6, v6, 4 clamp
	v_lshlrev_b32_e32 v8, v6, v4
	v_lshlrev_b32_e32 v6, 23, v6
	v_lshrrev_b32_e32 v8, 4, v8
	v_add_u32_e32 v7, 0x1000000, v4
	v_sub_u32_e32 v6, v8, v6
	v_ashrrev_i32_e32 v7, 8, v7
	v_add_u32_e32 v6, 0x3c000000, v6
	v_and_or_b32 v6, v7, s24, v6
	v_cmp_ne_u32_e32 vcc, 0, v4
	v_cndmask_b32_e32 v4, 0, v6, vcc
	s_brev_b32 s24, 1
	v_and_or_b32 v3, v3, s24, v4
	v_cvt_i32_f32_e32 v3, v3
.LBB78_1377:
	s_mov_b64 s[24:25], 0
.LBB78_1378:
	s_andn2_b64 vcc, exec, s[24:25]
	s_cbranch_vccnz .LBB78_1380
; %bb.1379:
	global_load_ubyte v3, v[1:2], off
	s_movk_i32 s24, 0x7f00
	s_brev_b32 s25, 16
	s_waitcnt vmcnt(0)
	v_lshlrev_b16_e32 v4, 8, v3
	v_lshlrev_b32_e32 v3, 25, v3
	v_lshrrev_b32_e32 v6, 4, v3
	v_and_or_b32 v7, v4, s24, 0.5
	v_or_b32_e32 v6, 0x70000000, v6
	v_add_f32_e32 v7, -0.5, v7
	v_mul_f32_e32 v6, 0x7800000, v6
	v_cmp_gt_u32_e32 vcc, s25, v3
	v_bfe_i32 v4, v4, 0, 16
	v_cndmask_b32_e32 v3, v6, v7, vcc
	s_brev_b32 s24, 1
	v_and_or_b32 v3, v4, s24, v3
	v_cvt_i32_f32_e32 v3, v3
.LBB78_1380:
	s_mov_b64 s[26:27], 0
	s_mov_b64 s[24:25], -1
.LBB78_1381:
	s_andn2_b64 vcc, exec, s[26:27]
	s_mov_b64 s[26:27], 0
	s_cbranch_vccnz .LBB78_1392
; %bb.1382:
	s_cmp_gt_i32 s30, 14
	s_cbranch_scc0 .LBB78_1385
; %bb.1383:
	s_cmp_eq_u32 s30, 15
	s_cbranch_scc0 .LBB78_1388
; %bb.1384:
	global_load_ushort v3, v[1:2], off
	s_mov_b64 s[20:21], 0
	s_mov_b64 s[24:25], -1
	s_waitcnt vmcnt(0)
	v_lshlrev_b32_e32 v3, 16, v3
	v_cvt_i32_f32_e32 v3, v3
	s_branch .LBB78_1389
.LBB78_1385:
	s_mov_b64 s[28:29], -1
                                        ; implicit-def: $vgpr3
	s_branch .LBB78_1390
.LBB78_1386:
	s_andn2_saveexec_b64 s[24:25], s[24:25]
	s_cbranch_execz .LBB78_1367
.LBB78_1387:
	v_cmp_ne_u16_e32 vcc, 0, v4
	s_andn2_b64 s[26:27], s[26:27], exec
	s_and_b64 s[28:29], vcc, exec
	s_or_b64 s[26:27], s[26:27], s[28:29]
	s_or_b64 exec, exec, s[24:25]
	v_mov_b32_e32 v3, 0
	s_and_saveexec_b64 s[24:25], s[26:27]
	s_cbranch_execnz .LBB78_1368
	s_branch .LBB78_1369
.LBB78_1388:
	s_mov_b64 s[20:21], -1
                                        ; implicit-def: $vgpr3
.LBB78_1389:
	s_mov_b64 s[28:29], 0
.LBB78_1390:
	s_and_b64 vcc, exec, s[28:29]
	s_cbranch_vccz .LBB78_1392
; %bb.1391:
	s_cmp_lg_u32 s30, 11
	s_cselect_b64 s[28:29], -1, 0
	s_andn2_b64 s[20:21], s[20:21], exec
	s_and_b64 s[28:29], s[28:29], exec
	s_mov_b64 s[26:27], -1
	s_or_b64 s[20:21], s[20:21], s[28:29]
.LBB78_1392:
	s_mov_b64 s[28:29], 0
.LBB78_1393:
	s_andn2_b64 s[18:19], s[18:19], exec
	s_and_b64 s[20:21], s[20:21], exec
	s_and_b64 s[24:25], s[24:25], exec
	;; [unrolled: 1-line block ×4, first 2 shown]
	s_or_b64 s[18:19], s[18:19], s[20:21]
	s_or_b64 exec, exec, s[0:1]
	s_and_saveexec_b64 s[0:1], s[18:19]
	s_cbranch_execz .LBB78_1326
.LBB78_1394:
	s_or_b64 s[22:23], s[22:23], exec
	s_andn2_b64 s[26:27], s[26:27], exec
	s_trap 2
	s_or_b64 exec, exec, s[0:1]
	s_and_saveexec_b64 s[0:1], s[26:27]
	s_xor_b64 s[0:1], exec, s[0:1]
	s_cbranch_execnz .LBB78_1327
.LBB78_1395:
	s_or_b64 exec, exec, s[0:1]
	s_and_saveexec_b64 s[0:1], s[30:31]
	s_cbranch_execz .LBB78_1441
.LBB78_1396:
	s_sext_i32_i16 s18, s34
	s_cmp_lt_i32 s18, 5
	s_cbranch_scc1 .LBB78_1401
; %bb.1397:
	s_cmp_lt_i32 s18, 8
	s_cbranch_scc1 .LBB78_1402
; %bb.1398:
	;; [unrolled: 3-line block ×3, first 2 shown]
	s_cmp_gt_i32 s18, 9
	s_cbranch_scc0 .LBB78_1404
; %bb.1400:
	s_waitcnt vmcnt(0)
	global_load_dwordx2 v[3:4], v[1:2], off
	s_mov_b64 s[18:19], 0
	s_waitcnt vmcnt(0)
	v_cvt_i32_f64_e32 v3, v[3:4]
	s_branch .LBB78_1405
.LBB78_1401:
                                        ; implicit-def: $vgpr3
	s_branch .LBB78_1422
.LBB78_1402:
                                        ; implicit-def: $vgpr3
	s_branch .LBB78_1411
.LBB78_1403:
	s_mov_b64 s[18:19], -1
                                        ; implicit-def: $vgpr3
	s_branch .LBB78_1408
.LBB78_1404:
	s_mov_b64 s[18:19], -1
                                        ; implicit-def: $vgpr3
.LBB78_1405:
	s_andn2_b64 vcc, exec, s[18:19]
	s_cbranch_vccnz .LBB78_1407
; %bb.1406:
	s_waitcnt vmcnt(0)
	global_load_dword v3, v[1:2], off
	s_waitcnt vmcnt(0)
	v_cvt_i32_f32_e32 v3, v3
.LBB78_1407:
	s_mov_b64 s[18:19], 0
.LBB78_1408:
	s_andn2_b64 vcc, exec, s[18:19]
	s_cbranch_vccnz .LBB78_1410
; %bb.1409:
	s_waitcnt vmcnt(0)
	global_load_dword v3, v[1:2], off
	s_waitcnt vmcnt(0)
	v_cvt_i16_f16_e32 v3, v3
.LBB78_1410:
	s_cbranch_execnz .LBB78_1421
.LBB78_1411:
	s_sext_i32_i16 s18, s34
	s_cmp_lt_i32 s18, 6
	s_cbranch_scc1 .LBB78_1414
; %bb.1412:
	s_cmp_gt_i32 s18, 6
	s_cbranch_scc0 .LBB78_1415
; %bb.1413:
	s_waitcnt vmcnt(0)
	global_load_dwordx2 v[3:4], v[1:2], off
	s_mov_b64 s[18:19], 0
	s_waitcnt vmcnt(0)
	v_cvt_i32_f64_e32 v3, v[3:4]
	s_branch .LBB78_1416
.LBB78_1414:
	s_mov_b64 s[18:19], -1
                                        ; implicit-def: $vgpr3
	s_branch .LBB78_1419
.LBB78_1415:
	s_mov_b64 s[18:19], -1
                                        ; implicit-def: $vgpr3
.LBB78_1416:
	s_andn2_b64 vcc, exec, s[18:19]
	s_cbranch_vccnz .LBB78_1418
; %bb.1417:
	s_waitcnt vmcnt(0)
	global_load_dword v3, v[1:2], off
	s_waitcnt vmcnt(0)
	v_cvt_i32_f32_e32 v3, v3
.LBB78_1418:
	s_mov_b64 s[18:19], 0
.LBB78_1419:
	s_andn2_b64 vcc, exec, s[18:19]
	s_cbranch_vccnz .LBB78_1421
; %bb.1420:
	s_waitcnt vmcnt(0)
	global_load_ushort v3, v[1:2], off
	s_waitcnt vmcnt(0)
	v_cvt_i16_f16_e32 v3, v3
.LBB78_1421:
	s_cbranch_execnz .LBB78_1440
.LBB78_1422:
	s_sext_i32_i16 s18, s34
	s_cmp_lt_i32 s18, 2
	s_cbranch_scc1 .LBB78_1426
; %bb.1423:
	s_cmp_lt_i32 s18, 3
	s_cbranch_scc1 .LBB78_1427
; %bb.1424:
	s_cmp_gt_i32 s18, 3
	s_cbranch_scc0 .LBB78_1428
; %bb.1425:
	s_waitcnt vmcnt(0)
	global_load_dwordx2 v[3:4], v[1:2], off
	s_mov_b64 s[18:19], 0
	s_branch .LBB78_1429
.LBB78_1426:
                                        ; implicit-def: $vgpr3
	s_branch .LBB78_1435
.LBB78_1427:
	s_mov_b64 s[18:19], -1
                                        ; implicit-def: $vgpr3
	s_branch .LBB78_1432
.LBB78_1428:
	s_mov_b64 s[18:19], -1
                                        ; implicit-def: $vgpr3
.LBB78_1429:
	s_andn2_b64 vcc, exec, s[18:19]
	s_cbranch_vccnz .LBB78_1431
; %bb.1430:
	s_waitcnt vmcnt(0)
	global_load_dword v3, v[1:2], off
.LBB78_1431:
	s_mov_b64 s[18:19], 0
.LBB78_1432:
	s_andn2_b64 vcc, exec, s[18:19]
	s_cbranch_vccnz .LBB78_1434
; %bb.1433:
	s_waitcnt vmcnt(0)
	global_load_ushort v3, v[1:2], off
.LBB78_1434:
	s_cbranch_execnz .LBB78_1440
.LBB78_1435:
	s_sext_i32_i16 s18, s34
	s_cmp_gt_i32 s18, 0
	s_cbranch_scc0 .LBB78_1437
; %bb.1436:
	s_waitcnt vmcnt(0)
	global_load_sbyte v3, v[1:2], off
	s_mov_b64 s[18:19], 0
	s_branch .LBB78_1438
.LBB78_1437:
	s_mov_b64 s[18:19], -1
                                        ; implicit-def: $vgpr3
.LBB78_1438:
	s_andn2_b64 vcc, exec, s[18:19]
	s_cbranch_vccnz .LBB78_1440
; %bb.1439:
	s_waitcnt vmcnt(0)
	global_load_ubyte v3, v[1:2], off
.LBB78_1440:
	s_or_b64 s[24:25], s[24:25], exec
.LBB78_1441:
	s_or_b64 exec, exec, s[0:1]
	s_mov_b64 s[28:29], 0
	s_mov_b64 s[26:27], 0
                                        ; implicit-def: $sgpr18_sgpr19
                                        ; implicit-def: $sgpr34
                                        ; implicit-def: $vgpr1_vgpr2
	s_and_saveexec_b64 s[20:21], s[24:25]
	s_cbranch_execz .LBB78_1446
; %bb.1442:
	s_cmp_lt_i32 s15, 1
	s_mov_b64 s[0:1], 0
	s_cbranch_scc1 .LBB78_1449
; %bb.1443:
	s_cmp_gt_i32 s15, 1
	s_cbranch_scc0 .LBB78_1450
; %bb.1444:
	s_cmp_eq_u32 s15, 2
	s_cbranch_scc0 .LBB78_1451
; %bb.1445:
	s_waitcnt vmcnt(0)
	v_cmp_le_i16_e64 s[18:19], v0, v3
	s_mov_b64 s[24:25], 0
	s_branch .LBB78_1453
.LBB78_1446:
	s_or_b64 exec, exec, s[20:21]
	s_and_saveexec_b64 s[0:1], s[16:17]
	s_cbranch_execnz .LBB78_1538
.LBB78_1447:
	s_or_b64 exec, exec, s[0:1]
	s_and_saveexec_b64 s[0:1], s[28:29]
	s_xor_b64 s[0:1], exec, s[0:1]
	s_cbranch_execz .LBB78_1539
.LBB78_1448:
	s_waitcnt vmcnt(0)
	v_cndmask_b32_e64 v0, 0, 1, s[18:19]
	global_store_byte v[1:2], v0, off
	s_or_b64 exec, exec, s[0:1]
	s_and_saveexec_b64 s[0:1], s[26:27]
	s_xor_b64 s[0:1], exec, s[0:1]
	s_cbranch_execz .LBB78_1577
	s_branch .LBB78_1540
.LBB78_1449:
                                        ; implicit-def: $sgpr18_sgpr19
	s_mov_b64 s[24:25], 0
	s_cbranch_execnz .LBB78_1456
	s_branch .LBB78_1457
.LBB78_1450:
	s_mov_b64 s[26:27], -1
	s_mov_b64 s[24:25], 0
	s_branch .LBB78_1452
.LBB78_1451:
	s_mov_b64 s[24:25], -1
.LBB78_1452:
                                        ; implicit-def: $sgpr18_sgpr19
.LBB78_1453:
	s_and_b64 vcc, exec, s[26:27]
	s_cbranch_vccz .LBB78_1455
; %bb.1454:
	s_waitcnt vmcnt(0)
	v_cmp_gt_i16_e32 vcc, v0, v3
	s_andn2_b64 s[18:19], s[18:19], exec
	s_and_b64 s[26:27], vcc, exec
	s_or_b64 s[18:19], s[18:19], s[26:27]
.LBB78_1455:
	s_branch .LBB78_1457
.LBB78_1456:
	s_cmp_lg_u32 s15, 0
	s_mov_b64 s[0:1], -1
	s_cselect_b64 s[24:25], -1, 0
.LBB78_1457:
	s_andn2_b64 vcc, exec, s[24:25]
	s_cbranch_vccnz .LBB78_1459
; %bb.1458:
	s_waitcnt vmcnt(0)
	v_cmp_lt_i16_e32 vcc, v0, v3
	s_andn2_b64 s[18:19], s[18:19], exec
	s_and_b64 s[24:25], vcc, exec
	s_or_b64 s[18:19], s[18:19], s[24:25]
	s_cbranch_execz .LBB78_1460
	s_branch .LBB78_1461
.LBB78_1459:
	s_andn2_b64 vcc, exec, s[0:1]
	s_cbranch_vccnz .LBB78_1461
.LBB78_1460:
	s_waitcnt vmcnt(0)
	v_cmp_ge_i16_e32 vcc, v0, v3
	s_andn2_b64 s[0:1], s[18:19], exec
	s_and_b64 s[18:19], vcc, exec
	s_or_b64 s[18:19], s[0:1], s[18:19]
.LBB78_1461:
	s_waitcnt vmcnt(0)
	v_mul_lo_u32 v0, v5, s12
	v_mov_b32_e32 v2, s9
	s_and_b32 s34, s33, 0xff
	s_cmp_lt_i32 s34, 11
	v_ashrrev_i32_e32 v3, 31, v0
	v_add_co_u32_e32 v1, vcc, s8, v0
	v_addc_co_u32_e32 v2, vcc, v2, v3, vcc
	s_cbranch_scc1 .LBB78_1535
; %bb.1462:
	s_and_b32 s35, 0xffff, s34
	s_mov_b64 s[26:27], -1
	s_cmp_gt_i32 s35, 25
	s_mov_b64 s[0:1], s[16:17]
	s_cbranch_scc0 .LBB78_1495
; %bb.1463:
	s_mov_b64 s[24:25], -1
	s_cmp_gt_i32 s35, 28
	s_mov_b64 s[0:1], s[16:17]
	s_cbranch_scc0 .LBB78_1479
; %bb.1464:
	s_cmp_gt_i32 s35, 43
	s_mov_b64 s[0:1], s[16:17]
	s_cbranch_scc0 .LBB78_1475
; %bb.1465:
	;; [unrolled: 4-line block ×3, first 2 shown]
	s_cmp_eq_u32 s35, 46
	s_mov_b64 s[0:1], -1
	s_cbranch_scc0 .LBB78_1468
; %bb.1467:
	v_cndmask_b32_e64 v0, 0, 1.0, s[18:19]
	v_bfe_u32 v3, v0, 16, 1
	s_movk_i32 s0, 0x7fff
	v_add3_u32 v0, v0, v3, s0
	v_lshrrev_b32_e32 v0, 16, v0
	global_store_dword v[1:2], v0, off
	s_mov_b64 s[0:1], 0
.LBB78_1468:
	s_mov_b64 s[24:25], 0
.LBB78_1469:
	s_and_b64 vcc, exec, s[24:25]
	s_cbranch_vccz .LBB78_1474
; %bb.1470:
	s_cmp_eq_u32 s35, 44
	s_mov_b64 s[0:1], -1
	s_cbranch_scc0 .LBB78_1474
; %bb.1471:
	v_cndmask_b32_e64 v3, 0, 1.0, s[18:19]
	v_lshrrev_b32_e32 v0, 23, v3
	s_movk_i32 s0, 0xff
	v_cmp_ne_u32_e32 vcc, s0, v0
	v_mov_b32_e32 v4, 0xff
	s_and_saveexec_b64 s[24:25], vcc
; %bb.1472:
	s_mov_b32 s0, 0x3fffff
	v_and_b32_e32 v4, 0x400000, v3
	v_and_or_b32 v3, v3, s0, v0
	v_cmp_ne_u32_e32 vcc, 0, v4
	v_cmp_ne_u32_e64 s[0:1], 0, v3
	s_and_b64 s[0:1], vcc, s[0:1]
	v_cndmask_b32_e64 v3, 0, 1, s[0:1]
	v_add_u32_e32 v4, v0, v3
; %bb.1473:
	s_or_b64 exec, exec, s[24:25]
	s_mov_b64 s[0:1], 0
	global_store_byte v[1:2], v4, off
.LBB78_1474:
	s_mov_b64 s[24:25], 0
.LBB78_1475:
	s_and_b64 vcc, exec, s[24:25]
	s_cbranch_vccz .LBB78_1478
; %bb.1476:
	s_cmp_eq_u32 s35, 29
	s_mov_b64 s[0:1], -1
	s_cbranch_scc0 .LBB78_1478
; %bb.1477:
	s_mov_b32 s0, 0
	v_cndmask_b32_e64 v3, 0, 1, s[18:19]
	v_mov_b32_e32 v4, s0
	global_store_dwordx2 v[1:2], v[3:4], off
	s_mov_b64 s[0:1], 0
.LBB78_1478:
	s_mov_b64 s[24:25], 0
.LBB78_1479:
	s_and_b64 vcc, exec, s[24:25]
	s_cbranch_vccz .LBB78_1494
; %bb.1480:
	s_cmp_lt_i32 s35, 27
	s_mov_b64 s[24:25], -1
	s_cbranch_scc1 .LBB78_1486
; %bb.1481:
	s_cmp_gt_i32 s35, 27
	v_cndmask_b32_e64 v0, 0, 1, s[18:19]
	s_cbranch_scc0 .LBB78_1483
; %bb.1482:
	s_mov_b64 s[24:25], 0
	global_store_dword v[1:2], v0, off
.LBB78_1483:
	s_andn2_b64 vcc, exec, s[24:25]
	s_cbranch_vccnz .LBB78_1485
; %bb.1484:
	global_store_short v[1:2], v0, off
.LBB78_1485:
	s_mov_b64 s[24:25], 0
.LBB78_1486:
	s_andn2_b64 vcc, exec, s[24:25]
	s_cbranch_vccnz .LBB78_1494
; %bb.1487:
	v_cndmask_b32_e64 v3, 0, 1.0, s[18:19]
	s_mov_b32 s24, 0x43800000
	v_cmp_gt_u32_e32 vcc, s24, v3
	v_mov_b32_e32 v4, 0x80
	s_and_saveexec_b64 s[24:25], vcc
	s_cbranch_execz .LBB78_1493
; %bb.1488:
	s_mov_b32 s26, 0x3bffffff
	v_cmp_lt_u32_e32 vcc, s26, v3
	s_mov_b64 s[26:27], 0
                                        ; implicit-def: $vgpr0
	s_and_saveexec_b64 s[28:29], vcc
	s_xor_b64 s[28:29], exec, s[28:29]
	s_cbranch_execz .LBB78_1592
; %bb.1489:
	v_bfe_u32 v0, v3, 20, 1
	s_mov_b32 s30, 0x487ffff
	v_add3_u32 v0, v3, v0, s30
	s_mov_b64 s[26:27], exec
	v_lshrrev_b32_e32 v0, 20, v0
                                        ; implicit-def: $vgpr3
	s_andn2_saveexec_b64 s[28:29], s[28:29]
	s_cbranch_execnz .LBB78_1593
.LBB78_1490:
	s_or_b64 exec, exec, s[28:29]
	v_mov_b32_e32 v4, 0
	s_and_saveexec_b64 s[28:29], s[26:27]
.LBB78_1491:
	v_mov_b32_e32 v4, v0
.LBB78_1492:
	s_or_b64 exec, exec, s[28:29]
.LBB78_1493:
	s_or_b64 exec, exec, s[24:25]
	global_store_byte v[1:2], v4, off
.LBB78_1494:
	s_mov_b64 s[26:27], 0
.LBB78_1495:
	s_mov_b64 s[24:25], 0
	s_and_b64 vcc, exec, s[26:27]
	s_cbranch_vccz .LBB78_1536
; %bb.1496:
	s_cmp_gt_i32 s35, 22
	s_mov_b64 s[26:27], -1
	s_cbranch_scc0 .LBB78_1528
; %bb.1497:
	s_cmp_lt_i32 s35, 24
	s_cbranch_scc1 .LBB78_1517
; %bb.1498:
	s_cmp_gt_i32 s35, 24
	s_cbranch_scc0 .LBB78_1506
; %bb.1499:
	v_cndmask_b32_e64 v3, 0, 1.0, s[18:19]
	s_mov_b32 s26, 0x47800000
	v_cmp_gt_u32_e32 vcc, s26, v3
	v_mov_b32_e32 v4, 0x80
	s_and_saveexec_b64 s[26:27], vcc
	s_cbranch_execz .LBB78_1505
; %bb.1500:
	s_mov_b32 s28, 0x37ffffff
	v_cmp_lt_u32_e32 vcc, s28, v3
	s_mov_b64 s[28:29], 0
                                        ; implicit-def: $vgpr0
	s_and_saveexec_b64 s[30:31], vcc
	s_xor_b64 s[30:31], exec, s[30:31]
	s_cbranch_execz .LBB78_1712
; %bb.1501:
	v_bfe_u32 v0, v3, 21, 1
	s_mov_b32 s36, 0x88fffff
	v_add3_u32 v0, v3, v0, s36
	s_mov_b64 s[28:29], exec
	v_lshrrev_b32_e32 v0, 21, v0
                                        ; implicit-def: $vgpr3
	s_andn2_saveexec_b64 s[30:31], s[30:31]
	s_cbranch_execnz .LBB78_1713
.LBB78_1502:
	s_or_b64 exec, exec, s[30:31]
	v_mov_b32_e32 v4, 0
	s_and_saveexec_b64 s[30:31], s[28:29]
.LBB78_1503:
	v_mov_b32_e32 v4, v0
.LBB78_1504:
	s_or_b64 exec, exec, s[30:31]
.LBB78_1505:
	s_or_b64 exec, exec, s[26:27]
	s_mov_b64 s[26:27], 0
	global_store_byte v[1:2], v4, off
.LBB78_1506:
	s_and_b64 vcc, exec, s[26:27]
	s_cbranch_vccz .LBB78_1516
; %bb.1507:
	v_cndmask_b32_e64 v0, 0, 1.0, s[18:19]
	s_mov_b32 s26, 0x43f00000
	v_cmp_gt_u32_e32 vcc, s26, v0
                                        ; implicit-def: $vgpr3
	s_and_saveexec_b64 s[26:27], vcc
	s_xor_b64 s[26:27], exec, s[26:27]
	s_cbranch_execz .LBB78_1513
; %bb.1508:
	s_mov_b32 s28, 0x3c7fffff
	v_cmp_lt_u32_e32 vcc, s28, v0
                                        ; implicit-def: $vgpr3
	s_and_saveexec_b64 s[28:29], vcc
	s_xor_b64 s[28:29], exec, s[28:29]
; %bb.1509:
	v_bfe_u32 v3, v0, 20, 1
	s_mov_b32 s30, 0x407ffff
	v_add3_u32 v0, v0, v3, s30
	v_lshrrev_b32_e32 v3, 20, v0
	v_and_b32_e32 v0, 0xff00000, v0
	s_mov_b32 s30, 0x7f00000
	v_mov_b32_e32 v4, 0x7e
	v_cmp_ne_u32_e32 vcc, s30, v0
	v_cndmask_b32_e32 v3, v4, v3, vcc
                                        ; implicit-def: $vgpr0
; %bb.1510:
	s_andn2_saveexec_b64 s[28:29], s[28:29]
; %bb.1511:
	v_add_f32_e32 v3, 0x46800000, v0
; %bb.1512:
	s_or_b64 exec, exec, s[28:29]
                                        ; implicit-def: $vgpr0
.LBB78_1513:
	s_andn2_saveexec_b64 s[26:27], s[26:27]
; %bb.1514:
	s_mov_b32 s28, 0x7f800000
	v_mov_b32_e32 v3, 0x7e
	v_mov_b32_e32 v4, 0x7f
	v_cmp_lt_u32_e32 vcc, s28, v0
	v_cndmask_b32_e32 v3, v3, v4, vcc
; %bb.1515:
	s_or_b64 exec, exec, s[26:27]
	global_store_byte v[1:2], v3, off
.LBB78_1516:
	s_mov_b64 s[26:27], 0
.LBB78_1517:
	s_andn2_b64 vcc, exec, s[26:27]
	s_cbranch_vccnz .LBB78_1527
; %bb.1518:
	v_cndmask_b32_e64 v0, 0, 1.0, s[18:19]
	s_mov_b32 s26, 0x47800000
	v_cmp_gt_u32_e32 vcc, s26, v0
                                        ; implicit-def: $vgpr3
	s_and_saveexec_b64 s[26:27], vcc
	s_xor_b64 s[26:27], exec, s[26:27]
	s_cbranch_execz .LBB78_1524
; %bb.1519:
	s_mov_b32 s28, 0x387fffff
	v_cmp_lt_u32_e32 vcc, s28, v0
                                        ; implicit-def: $vgpr3
	s_and_saveexec_b64 s[28:29], vcc
	s_xor_b64 s[28:29], exec, s[28:29]
; %bb.1520:
	v_bfe_u32 v3, v0, 21, 1
	s_mov_b32 s30, 0x80fffff
	v_add3_u32 v0, v0, v3, s30
	v_lshrrev_b32_e32 v3, 21, v0
                                        ; implicit-def: $vgpr0
; %bb.1521:
	s_andn2_saveexec_b64 s[28:29], s[28:29]
; %bb.1522:
	v_add_f32_e32 v3, 0x43000000, v0
; %bb.1523:
	s_or_b64 exec, exec, s[28:29]
                                        ; implicit-def: $vgpr0
.LBB78_1524:
	s_andn2_saveexec_b64 s[26:27], s[26:27]
; %bb.1525:
	s_mov_b32 s28, 0x7f800000
	v_mov_b32_e32 v3, 0x7c
	v_mov_b32_e32 v4, 0x7f
	v_cmp_lt_u32_e32 vcc, s28, v0
	v_cndmask_b32_e32 v3, v3, v4, vcc
; %bb.1526:
	s_or_b64 exec, exec, s[26:27]
	global_store_byte v[1:2], v3, off
.LBB78_1527:
	s_mov_b64 s[26:27], 0
.LBB78_1528:
	s_andn2_b64 vcc, exec, s[26:27]
	s_mov_b64 s[28:29], 0
	s_cbranch_vccnz .LBB78_1537
; %bb.1529:
	s_cmp_gt_i32 s35, 14
	s_mov_b64 s[26:27], -1
	s_cbranch_scc0 .LBB78_1533
; %bb.1530:
	s_cmp_eq_u32 s35, 15
	s_mov_b64 s[0:1], -1
	s_cbranch_scc0 .LBB78_1532
; %bb.1531:
	v_cndmask_b32_e64 v0, 0, 1.0, s[18:19]
	v_bfe_u32 v3, v0, 16, 1
	s_movk_i32 s0, 0x7fff
	v_add3_u32 v0, v0, v3, s0
	global_store_short_d16_hi v[1:2], v0, off
	s_mov_b64 s[0:1], 0
.LBB78_1532:
	s_mov_b64 s[26:27], 0
.LBB78_1533:
	s_and_b64 vcc, exec, s[26:27]
	s_cbranch_vccz .LBB78_1537
; %bb.1534:
	s_cmp_lg_u32 s35, 11
	s_cselect_b64 s[26:27], -1, 0
	s_andn2_b64 s[0:1], s[0:1], exec
	s_and_b64 s[26:27], s[26:27], exec
	s_mov_b64 s[28:29], -1
	s_or_b64 s[0:1], s[0:1], s[26:27]
	s_branch .LBB78_1537
.LBB78_1535:
	s_mov_b64 s[24:25], -1
	s_mov_b64 s[0:1], s[16:17]
	s_branch .LBB78_1537
.LBB78_1536:
	s_mov_b64 s[28:29], 0
.LBB78_1537:
	s_andn2_b64 s[16:17], s[16:17], exec
	s_and_b64 s[0:1], s[0:1], exec
	s_and_b64 s[26:27], s[24:25], exec
	;; [unrolled: 1-line block ×3, first 2 shown]
	s_or_b64 s[16:17], s[16:17], s[0:1]
	s_or_b64 exec, exec, s[20:21]
	s_and_saveexec_b64 s[0:1], s[16:17]
	s_cbranch_execz .LBB78_1447
.LBB78_1538:
	s_or_b64 s[22:23], s[22:23], exec
	s_andn2_b64 s[28:29], s[28:29], exec
	s_trap 2
	s_or_b64 exec, exec, s[0:1]
	s_and_saveexec_b64 s[0:1], s[28:29]
	s_xor_b64 s[0:1], exec, s[0:1]
	s_cbranch_execnz .LBB78_1448
.LBB78_1539:
	s_or_b64 exec, exec, s[0:1]
	s_and_saveexec_b64 s[0:1], s[26:27]
	s_xor_b64 s[0:1], exec, s[0:1]
	s_cbranch_execz .LBB78_1577
.LBB78_1540:
	s_sext_i32_i16 s20, s34
	s_cmp_lt_i32 s20, 5
	s_mov_b64 s[16:17], -1
	s_cbranch_scc1 .LBB78_1561
; %bb.1541:
	s_cmp_lt_i32 s20, 8
	s_cbranch_scc1 .LBB78_1551
; %bb.1542:
	s_cmp_lt_i32 s20, 9
	s_cbranch_scc1 .LBB78_1548
; %bb.1543:
	s_cmp_gt_i32 s20, 9
	s_cbranch_scc0 .LBB78_1545
; %bb.1544:
	s_waitcnt vmcnt(0)
	v_cndmask_b32_e64 v0, 0, 1, s[18:19]
	v_cvt_f64_u32_e32 v[3:4], v0
	v_mov_b32_e32 v5, 0
	v_mov_b32_e32 v6, v5
	s_mov_b64 s[16:17], 0
	global_store_dwordx4 v[1:2], v[3:6], off
.LBB78_1545:
	s_andn2_b64 vcc, exec, s[16:17]
	s_cbranch_vccnz .LBB78_1547
; %bb.1546:
	s_waitcnt vmcnt(0)
	v_cndmask_b32_e64 v3, 0, 1.0, s[18:19]
	v_mov_b32_e32 v4, 0
	global_store_dwordx2 v[1:2], v[3:4], off
.LBB78_1547:
	s_mov_b64 s[16:17], 0
.LBB78_1548:
	s_andn2_b64 vcc, exec, s[16:17]
	s_cbranch_vccnz .LBB78_1550
; %bb.1549:
	s_waitcnt vmcnt(0)
	v_cndmask_b32_e64 v0, 0, 1.0, s[18:19]
	v_cvt_f16_f32_e32 v0, v0
	global_store_dword v[1:2], v0, off
.LBB78_1550:
	s_mov_b64 s[16:17], 0
.LBB78_1551:
	s_andn2_b64 vcc, exec, s[16:17]
	s_cbranch_vccnz .LBB78_1560
; %bb.1552:
	s_sext_i32_i16 s20, s34
	s_cmp_lt_i32 s20, 6
	s_mov_b64 s[16:17], -1
	s_cbranch_scc1 .LBB78_1558
; %bb.1553:
	s_cmp_gt_i32 s20, 6
	s_cbranch_scc0 .LBB78_1555
; %bb.1554:
	s_waitcnt vmcnt(0)
	v_cndmask_b32_e64 v0, 0, 1, s[18:19]
	v_cvt_f64_u32_e32 v[3:4], v0
	s_mov_b64 s[16:17], 0
	global_store_dwordx2 v[1:2], v[3:4], off
.LBB78_1555:
	s_andn2_b64 vcc, exec, s[16:17]
	s_cbranch_vccnz .LBB78_1557
; %bb.1556:
	s_waitcnt vmcnt(0)
	v_cndmask_b32_e64 v0, 0, 1.0, s[18:19]
	global_store_dword v[1:2], v0, off
.LBB78_1557:
	s_mov_b64 s[16:17], 0
.LBB78_1558:
	s_andn2_b64 vcc, exec, s[16:17]
	s_cbranch_vccnz .LBB78_1560
; %bb.1559:
	s_waitcnt vmcnt(0)
	v_cndmask_b32_e64 v0, 0, 1.0, s[18:19]
	v_cvt_f16_f32_e32 v0, v0
	global_store_short v[1:2], v0, off
.LBB78_1560:
	s_mov_b64 s[16:17], 0
.LBB78_1561:
	s_andn2_b64 vcc, exec, s[16:17]
	s_cbranch_vccnz .LBB78_1577
; %bb.1562:
	s_sext_i32_i16 s20, s34
	s_cmp_lt_i32 s20, 2
	s_mov_b64 s[16:17], -1
	s_cbranch_scc1 .LBB78_1572
; %bb.1563:
	s_cmp_lt_i32 s20, 3
	s_cbranch_scc1 .LBB78_1569
; %bb.1564:
	s_cmp_gt_i32 s20, 3
	s_cbranch_scc0 .LBB78_1566
; %bb.1565:
	s_mov_b32 s16, 0
	s_waitcnt vmcnt(0)
	v_cndmask_b32_e64 v3, 0, 1, s[18:19]
	v_mov_b32_e32 v4, s16
	s_mov_b64 s[16:17], 0
	global_store_dwordx2 v[1:2], v[3:4], off
.LBB78_1566:
	s_andn2_b64 vcc, exec, s[16:17]
	s_cbranch_vccnz .LBB78_1568
; %bb.1567:
	s_waitcnt vmcnt(0)
	v_cndmask_b32_e64 v0, 0, 1, s[18:19]
	global_store_dword v[1:2], v0, off
.LBB78_1568:
	s_mov_b64 s[16:17], 0
.LBB78_1569:
	s_andn2_b64 vcc, exec, s[16:17]
	s_cbranch_vccnz .LBB78_1571
; %bb.1570:
	s_waitcnt vmcnt(0)
	v_cndmask_b32_e64 v0, 0, 1, s[18:19]
	global_store_short v[1:2], v0, off
.LBB78_1571:
	s_mov_b64 s[16:17], 0
.LBB78_1572:
	s_andn2_b64 vcc, exec, s[16:17]
	s_cbranch_vccnz .LBB78_1577
; %bb.1573:
	s_sext_i32_i16 s20, s34
	s_mov_b64 s[16:17], -1
	s_cmp_gt_i32 s20, 0
	s_waitcnt vmcnt(0)
	v_cndmask_b32_e64 v0, 0, 1, s[18:19]
	s_cbranch_scc0 .LBB78_1575
; %bb.1574:
	s_mov_b64 s[16:17], 0
	global_store_byte v[1:2], v0, off
.LBB78_1575:
	s_andn2_b64 vcc, exec, s[16:17]
	s_cbranch_vccnz .LBB78_1577
; %bb.1576:
	global_store_byte v[1:2], v0, off
.LBB78_1577:
	s_or_b64 exec, exec, s[0:1]
	s_and_b64 s[16:17], s[22:23], exec
                                        ; implicit-def: $vgpr5
.LBB78_1578:
	s_or_saveexec_b64 s[6:7], s[6:7]
	s_mov_b64 s[0:1], 0
                                        ; implicit-def: $sgpr24_sgpr25
                                        ; implicit-def: $sgpr28
                                        ; implicit-def: $vgpr0_vgpr1
	s_xor_b64 exec, exec, s[6:7]
	s_cbranch_execz .LBB78_2637
; %bb.1579:
	v_mul_lo_u32 v6, s13, v5
	s_waitcnt vmcnt(0)
	v_mov_b32_e32 v0, s11
	s_and_b32 s28, s55, 0xff
	s_cmp_lt_i32 s28, 11
	v_ashrrev_i32_e32 v1, 31, v6
	v_add_co_u32_e32 v2, vcc, s10, v6
	v_addc_co_u32_e32 v3, vcc, v0, v1, vcc
	s_cbranch_scc1 .LBB78_1586
; %bb.1580:
	s_and_b32 s22, 0xffff, s28
	s_cmp_gt_i32 s22, 25
	s_cbranch_scc0 .LBB78_1588
; %bb.1581:
	s_cmp_gt_i32 s22, 28
	s_cbranch_scc0 .LBB78_1589
; %bb.1582:
	;; [unrolled: 3-line block ×4, first 2 shown]
	s_cmp_eq_u32 s22, 46
	s_mov_b64 s[18:19], 0
	s_cbranch_scc0 .LBB78_1594
; %bb.1585:
	global_load_dword v0, v[2:3], off
	s_mov_b64 s[20:21], -1
	s_waitcnt vmcnt(0)
	v_lshlrev_b32_e32 v0, 16, v0
	v_cvt_i32_f32_e32 v0, v0
	s_branch .LBB78_1595
.LBB78_1586:
	s_mov_b64 s[20:21], 0
                                        ; implicit-def: $vgpr0
	s_mov_b64 s[18:19], s[16:17]
	s_cbranch_execnz .LBB78_1653
.LBB78_1587:
	s_andn2_b64 vcc, exec, s[20:21]
	s_cbranch_vccz .LBB78_1698
	s_branch .LBB78_2634
.LBB78_1588:
	s_mov_b64 s[20:21], 0
                                        ; implicit-def: $vgpr0
	s_cbranch_execnz .LBB78_1620
	s_branch .LBB78_1649
.LBB78_1589:
	s_mov_b64 s[20:21], 0
                                        ; implicit-def: $vgpr0
	s_cbranch_execz .LBB78_1619
	s_branch .LBB78_1604
.LBB78_1590:
	s_mov_b64 s[20:21], 0
                                        ; implicit-def: $vgpr0
	s_cbranch_execnz .LBB78_1600
	s_branch .LBB78_1603
.LBB78_1591:
	s_mov_b64 s[18:19], -1
	s_mov_b64 s[20:21], 0
                                        ; implicit-def: $vgpr0
	s_branch .LBB78_1595
.LBB78_1592:
	s_andn2_saveexec_b64 s[28:29], s[28:29]
	s_cbranch_execz .LBB78_1490
.LBB78_1593:
	v_add_f32_e32 v0, 0x46000000, v3
	v_and_b32_e32 v0, 0xff, v0
	v_cmp_ne_u32_e32 vcc, 0, v0
	s_andn2_b64 s[26:27], s[26:27], exec
	s_and_b64 s[30:31], vcc, exec
	s_or_b64 s[26:27], s[26:27], s[30:31]
	s_or_b64 exec, exec, s[28:29]
	v_mov_b32_e32 v4, 0
	s_and_saveexec_b64 s[28:29], s[26:27]
	s_cbranch_execnz .LBB78_1491
	s_branch .LBB78_1492
.LBB78_1594:
	s_mov_b64 s[0:1], -1
                                        ; implicit-def: $vgpr0
	s_mov_b64 s[20:21], 0
.LBB78_1595:
	s_and_b64 vcc, exec, s[18:19]
	s_cbranch_vccz .LBB78_1598
; %bb.1596:
	s_cmp_eq_u32 s22, 44
	s_cbranch_scc0 .LBB78_1599
; %bb.1597:
	global_load_ubyte v0, v[2:3], off
	s_mov_b64 s[0:1], 0
	s_mov_b64 s[20:21], -1
	s_waitcnt vmcnt(0)
	v_lshlrev_b32_e32 v1, 23, v0
	v_cvt_i32_f32_e32 v1, v1
	v_cmp_ne_u32_e32 vcc, 0, v0
	v_cndmask_b32_e32 v0, 0, v1, vcc
.LBB78_1598:
	s_branch .LBB78_1603
.LBB78_1599:
	s_mov_b64 s[0:1], -1
                                        ; implicit-def: $vgpr0
	s_branch .LBB78_1603
.LBB78_1600:
	s_cmp_eq_u32 s22, 29
	s_cbranch_scc0 .LBB78_1602
; %bb.1601:
	global_load_dwordx2 v[0:1], v[2:3], off
	s_mov_b64 s[0:1], 0
	s_mov_b64 s[20:21], -1
	s_branch .LBB78_1603
.LBB78_1602:
	s_mov_b64 s[0:1], -1
                                        ; implicit-def: $vgpr0
.LBB78_1603:
	s_branch .LBB78_1619
.LBB78_1604:
	s_cmp_lt_i32 s22, 27
	s_cbranch_scc1 .LBB78_1607
; %bb.1605:
	s_cmp_gt_i32 s22, 27
	s_cbranch_scc0 .LBB78_1608
; %bb.1606:
	global_load_dword v0, v[2:3], off
	s_mov_b64 s[18:19], 0
	s_branch .LBB78_1609
.LBB78_1607:
	s_mov_b64 s[18:19], -1
                                        ; implicit-def: $vgpr0
	s_branch .LBB78_1612
.LBB78_1608:
	s_mov_b64 s[18:19], -1
                                        ; implicit-def: $vgpr0
.LBB78_1609:
	s_andn2_b64 vcc, exec, s[18:19]
	s_cbranch_vccnz .LBB78_1611
; %bb.1610:
	global_load_ushort v0, v[2:3], off
.LBB78_1611:
	s_mov_b64 s[18:19], 0
.LBB78_1612:
	s_andn2_b64 vcc, exec, s[18:19]
	s_cbranch_vccnz .LBB78_1618
; %bb.1613:
	global_load_ubyte v1, v[2:3], off
	s_movk_i32 s18, 0x7f
	s_mov_b64 s[20:21], 0
	s_waitcnt vmcnt(0)
	v_cmp_lt_i16_e32 vcc, s18, v1
	s_and_saveexec_b64 s[18:19], vcc
	s_xor_b64 s[18:19], exec, s[18:19]
	s_cbranch_execz .LBB78_1629
; %bb.1614:
	s_movk_i32 s20, 0x80
	v_cmp_ne_u16_e32 vcc, s20, v1
	s_and_b64 s[20:21], vcc, exec
	s_andn2_saveexec_b64 s[18:19], s[18:19]
	s_cbranch_execnz .LBB78_1630
.LBB78_1615:
	s_or_b64 exec, exec, s[18:19]
	v_mov_b32_e32 v0, 0
	s_and_saveexec_b64 s[18:19], s[20:21]
	s_cbranch_execz .LBB78_1617
.LBB78_1616:
	v_lshlrev_b32_e32 v0, 24, v1
	v_and_b32_e32 v1, 0xffff, v1
	v_and_b32_e32 v4, 7, v1
	v_ffbh_u32_e32 v8, v4
	v_min_u32_e32 v8, 32, v8
	v_subrev_u32_e32 v9, 28, v8
	v_bfe_u32 v7, v1, 3, 4
	v_lshlrev_b32_e32 v1, v9, v1
	v_sub_u32_e32 v8, 29, v8
	v_and_b32_e32 v1, 7, v1
	v_cmp_eq_u32_e32 vcc, 0, v7
	v_cndmask_b32_e32 v7, v7, v8, vcc
	v_cndmask_b32_e32 v1, v4, v1, vcc
	v_mov_b32_e32 v4, 0x3b800000
	v_lshlrev_b32_e32 v1, 20, v1
	v_and_b32_e32 v0, 0x80000000, v0
	v_lshl_add_u32 v4, v7, 23, v4
	v_or3_b32 v0, v0, v4, v1
	v_cvt_i32_f32_e32 v0, v0
.LBB78_1617:
	s_or_b64 exec, exec, s[18:19]
.LBB78_1618:
	s_mov_b64 s[20:21], -1
.LBB78_1619:
	s_branch .LBB78_1649
.LBB78_1620:
	s_cmp_gt_i32 s22, 22
	s_cbranch_scc0 .LBB78_1628
; %bb.1621:
	s_cmp_lt_i32 s22, 24
	s_cbranch_scc1 .LBB78_1631
; %bb.1622:
	s_cmp_gt_i32 s22, 24
	s_cbranch_scc0 .LBB78_1632
; %bb.1623:
	global_load_ubyte v1, v[2:3], off
	s_movk_i32 s4, 0x7f
	s_mov_b64 s[18:19], 0
	s_waitcnt vmcnt(0)
	v_cmp_lt_i16_e32 vcc, s4, v1
	s_and_saveexec_b64 s[4:5], vcc
	s_xor_b64 s[4:5], exec, s[4:5]
	s_cbranch_execz .LBB78_1643
; %bb.1624:
	s_movk_i32 s18, 0x80
	v_cmp_ne_u16_e32 vcc, s18, v1
	s_and_b64 s[18:19], vcc, exec
	s_andn2_saveexec_b64 s[4:5], s[4:5]
	s_cbranch_execnz .LBB78_1644
.LBB78_1625:
	s_or_b64 exec, exec, s[4:5]
	v_mov_b32_e32 v0, 0
	s_and_saveexec_b64 s[4:5], s[18:19]
	s_cbranch_execz .LBB78_1627
.LBB78_1626:
	v_lshlrev_b32_e32 v0, 24, v1
	v_and_b32_e32 v1, 0xffff, v1
	v_and_b32_e32 v4, 3, v1
	v_ffbh_u32_e32 v8, v4
	v_min_u32_e32 v8, 32, v8
	v_subrev_u32_e32 v9, 29, v8
	v_bfe_u32 v7, v1, 2, 5
	v_lshlrev_b32_e32 v1, v9, v1
	v_sub_u32_e32 v8, 30, v8
	v_and_b32_e32 v1, 3, v1
	v_cmp_eq_u32_e32 vcc, 0, v7
	v_cndmask_b32_e32 v7, v7, v8, vcc
	v_cndmask_b32_e32 v1, v4, v1, vcc
	v_mov_b32_e32 v4, 0x37800000
	v_lshlrev_b32_e32 v1, 21, v1
	v_and_b32_e32 v0, 0x80000000, v0
	v_lshl_add_u32 v4, v7, 23, v4
	v_or3_b32 v0, v0, v4, v1
	v_cvt_i32_f32_e32 v0, v0
.LBB78_1627:
	s_or_b64 exec, exec, s[4:5]
	s_mov_b64 s[4:5], 0
	s_branch .LBB78_1633
.LBB78_1628:
                                        ; implicit-def: $vgpr0
	s_mov_b64 s[4:5], 0
	s_branch .LBB78_1639
.LBB78_1629:
	s_andn2_saveexec_b64 s[18:19], s[18:19]
	s_cbranch_execz .LBB78_1615
.LBB78_1630:
	v_cmp_ne_u16_e32 vcc, 0, v1
	s_andn2_b64 s[20:21], s[20:21], exec
	s_and_b64 s[24:25], vcc, exec
	s_or_b64 s[20:21], s[20:21], s[24:25]
	s_or_b64 exec, exec, s[18:19]
	v_mov_b32_e32 v0, 0
	s_and_saveexec_b64 s[18:19], s[20:21]
	s_cbranch_execnz .LBB78_1616
	s_branch .LBB78_1617
.LBB78_1631:
	s_mov_b64 s[4:5], -1
                                        ; implicit-def: $vgpr0
	s_branch .LBB78_1636
.LBB78_1632:
	s_mov_b64 s[4:5], -1
                                        ; implicit-def: $vgpr0
.LBB78_1633:
	s_and_b64 vcc, exec, s[4:5]
	s_cbranch_vccz .LBB78_1635
; %bb.1634:
	global_load_ubyte v0, v[2:3], off
	s_mov_b32 s4, 0x7f800000
	s_waitcnt vmcnt(0)
	v_lshlrev_b32_e32 v0, 24, v0
	v_and_b32_e32 v1, 0x7f000000, v0
	v_ffbh_u32_e32 v4, v1
	v_min_u32_e32 v4, 32, v4
	v_sub_u32_e64 v4, v4, 4 clamp
	v_lshlrev_b32_e32 v8, v4, v1
	v_lshlrev_b32_e32 v4, 23, v4
	v_lshrrev_b32_e32 v8, 4, v8
	v_add_u32_e32 v7, 0x1000000, v1
	v_sub_u32_e32 v4, v8, v4
	v_ashrrev_i32_e32 v7, 8, v7
	v_add_u32_e32 v4, 0x3c000000, v4
	v_and_or_b32 v4, v7, s4, v4
	v_cmp_ne_u32_e32 vcc, 0, v1
	v_cndmask_b32_e32 v1, 0, v4, vcc
	s_brev_b32 s4, 1
	v_and_or_b32 v0, v0, s4, v1
	v_cvt_i32_f32_e32 v0, v0
.LBB78_1635:
	s_mov_b64 s[4:5], 0
.LBB78_1636:
	s_andn2_b64 vcc, exec, s[4:5]
	s_cbranch_vccnz .LBB78_1638
; %bb.1637:
	global_load_ubyte v0, v[2:3], off
	s_movk_i32 s4, 0x7f00
	s_brev_b32 s5, 16
	s_waitcnt vmcnt(0)
	v_lshlrev_b16_e32 v1, 8, v0
	v_lshlrev_b32_e32 v0, 25, v0
	v_lshrrev_b32_e32 v4, 4, v0
	v_and_or_b32 v7, v1, s4, 0.5
	v_or_b32_e32 v4, 0x70000000, v4
	v_add_f32_e32 v7, -0.5, v7
	v_mul_f32_e32 v4, 0x7800000, v4
	v_cmp_gt_u32_e32 vcc, s5, v0
	v_bfe_i32 v1, v1, 0, 16
	v_cndmask_b32_e32 v0, v4, v7, vcc
	s_brev_b32 s4, 1
	v_and_or_b32 v0, v1, s4, v0
	v_cvt_i32_f32_e32 v0, v0
.LBB78_1638:
	s_mov_b64 s[20:21], -1
	s_mov_b64 s[4:5], 0
	s_cbranch_execnz .LBB78_1649
.LBB78_1639:
	s_cmp_gt_i32 s22, 14
	s_cbranch_scc0 .LBB78_1642
; %bb.1640:
	s_cmp_eq_u32 s22, 15
	s_cbranch_scc0 .LBB78_1645
; %bb.1641:
	global_load_ushort v0, v[2:3], off
	s_mov_b64 s[0:1], 0
	s_mov_b64 s[20:21], -1
	s_waitcnt vmcnt(0)
	v_lshlrev_b32_e32 v0, 16, v0
	v_cvt_i32_f32_e32 v0, v0
	s_branch .LBB78_1646
.LBB78_1642:
	s_mov_b64 s[18:19], -1
                                        ; implicit-def: $vgpr0
	s_branch .LBB78_1647
.LBB78_1643:
	s_andn2_saveexec_b64 s[4:5], s[4:5]
	s_cbranch_execz .LBB78_1625
.LBB78_1644:
	v_cmp_ne_u16_e32 vcc, 0, v1
	s_andn2_b64 s[18:19], s[18:19], exec
	s_and_b64 s[20:21], vcc, exec
	s_or_b64 s[18:19], s[18:19], s[20:21]
	s_or_b64 exec, exec, s[4:5]
	v_mov_b32_e32 v0, 0
	s_and_saveexec_b64 s[4:5], s[18:19]
	s_cbranch_execnz .LBB78_1626
	s_branch .LBB78_1627
.LBB78_1645:
	s_mov_b64 s[0:1], -1
                                        ; implicit-def: $vgpr0
.LBB78_1646:
	s_mov_b64 s[18:19], 0
.LBB78_1647:
	s_and_b64 vcc, exec, s[18:19]
	s_cbranch_vccz .LBB78_1649
; %bb.1648:
	s_cmp_lg_u32 s22, 11
	s_mov_b64 s[4:5], -1
	s_cselect_b64 s[0:1], -1, 0
.LBB78_1649:
	s_and_b64 vcc, exec, s[0:1]
	s_mov_b64 s[18:19], s[16:17]
	s_cbranch_vccnz .LBB78_1710
; %bb.1650:
	s_andn2_b64 vcc, exec, s[4:5]
	s_cbranch_vccnz .LBB78_1652
.LBB78_1651:
	global_load_ubyte v0, v[2:3], off
	s_mov_b64 s[20:21], -1
	s_waitcnt vmcnt(0)
	v_cmp_ne_u16_e32 vcc, 0, v0
	v_cndmask_b32_e64 v0, 0, 1, vcc
.LBB78_1652:
	s_branch .LBB78_1587
.LBB78_1653:
	s_and_b32 s4, 0xffff, s28
	s_cmp_lt_i32 s4, 5
	s_cbranch_scc1 .LBB78_1658
; %bb.1654:
	s_cmp_lt_i32 s4, 8
	s_cbranch_scc1 .LBB78_1659
; %bb.1655:
	;; [unrolled: 3-line block ×3, first 2 shown]
	s_cmp_gt_i32 s4, 9
	s_cbranch_scc0 .LBB78_1661
; %bb.1657:
	global_load_dwordx2 v[0:1], v[2:3], off
	s_mov_b64 s[0:1], 0
	s_waitcnt vmcnt(0)
	v_cvt_i32_f64_e32 v0, v[0:1]
	s_branch .LBB78_1662
.LBB78_1658:
                                        ; implicit-def: $vgpr0
	s_branch .LBB78_1679
.LBB78_1659:
                                        ; implicit-def: $vgpr0
	s_branch .LBB78_1668
.LBB78_1660:
	s_mov_b64 s[0:1], -1
                                        ; implicit-def: $vgpr0
	s_branch .LBB78_1665
.LBB78_1661:
	s_mov_b64 s[0:1], -1
                                        ; implicit-def: $vgpr0
.LBB78_1662:
	s_andn2_b64 vcc, exec, s[0:1]
	s_cbranch_vccnz .LBB78_1664
; %bb.1663:
	global_load_dword v0, v[2:3], off
	s_waitcnt vmcnt(0)
	v_cvt_i32_f32_e32 v0, v0
.LBB78_1664:
	s_mov_b64 s[0:1], 0
.LBB78_1665:
	s_andn2_b64 vcc, exec, s[0:1]
	s_cbranch_vccnz .LBB78_1667
; %bb.1666:
	global_load_dword v0, v[2:3], off
	s_waitcnt vmcnt(0)
	v_cvt_i16_f16_e32 v0, v0
.LBB78_1667:
	s_cbranch_execnz .LBB78_1678
.LBB78_1668:
	s_cmp_lt_i32 s4, 6
	s_cbranch_scc1 .LBB78_1671
; %bb.1669:
	s_cmp_gt_i32 s4, 6
	s_cbranch_scc0 .LBB78_1672
; %bb.1670:
	global_load_dwordx2 v[0:1], v[2:3], off
	s_mov_b64 s[0:1], 0
	s_waitcnt vmcnt(0)
	v_cvt_i32_f64_e32 v0, v[0:1]
	s_branch .LBB78_1673
.LBB78_1671:
	s_mov_b64 s[0:1], -1
                                        ; implicit-def: $vgpr0
	s_branch .LBB78_1676
.LBB78_1672:
	s_mov_b64 s[0:1], -1
                                        ; implicit-def: $vgpr0
.LBB78_1673:
	s_andn2_b64 vcc, exec, s[0:1]
	s_cbranch_vccnz .LBB78_1675
; %bb.1674:
	global_load_dword v0, v[2:3], off
	s_waitcnt vmcnt(0)
	v_cvt_i32_f32_e32 v0, v0
.LBB78_1675:
	s_mov_b64 s[0:1], 0
.LBB78_1676:
	s_andn2_b64 vcc, exec, s[0:1]
	s_cbranch_vccnz .LBB78_1678
; %bb.1677:
	global_load_ushort v0, v[2:3], off
	s_waitcnt vmcnt(0)
	v_cvt_i16_f16_e32 v0, v0
.LBB78_1678:
	s_cbranch_execnz .LBB78_1697
.LBB78_1679:
	s_cmp_lt_i32 s4, 2
	s_cbranch_scc1 .LBB78_1683
; %bb.1680:
	s_cmp_lt_i32 s4, 3
	s_cbranch_scc1 .LBB78_1684
; %bb.1681:
	s_cmp_gt_i32 s4, 3
	s_cbranch_scc0 .LBB78_1685
; %bb.1682:
	global_load_dwordx2 v[0:1], v[2:3], off
	s_mov_b64 s[0:1], 0
	s_branch .LBB78_1686
.LBB78_1683:
                                        ; implicit-def: $vgpr0
	s_branch .LBB78_1692
.LBB78_1684:
	s_mov_b64 s[0:1], -1
                                        ; implicit-def: $vgpr0
	s_branch .LBB78_1689
.LBB78_1685:
	s_mov_b64 s[0:1], -1
                                        ; implicit-def: $vgpr0
.LBB78_1686:
	s_andn2_b64 vcc, exec, s[0:1]
	s_cbranch_vccnz .LBB78_1688
; %bb.1687:
	global_load_dword v0, v[2:3], off
.LBB78_1688:
	s_mov_b64 s[0:1], 0
.LBB78_1689:
	s_andn2_b64 vcc, exec, s[0:1]
	s_cbranch_vccnz .LBB78_1691
; %bb.1690:
	global_load_ushort v0, v[2:3], off
.LBB78_1691:
	s_cbranch_execnz .LBB78_1697
.LBB78_1692:
	s_cmp_gt_i32 s4, 0
	s_cbranch_scc0 .LBB78_1694
; %bb.1693:
	global_load_sbyte v0, v[2:3], off
	s_mov_b64 s[0:1], 0
	s_branch .LBB78_1695
.LBB78_1694:
	s_mov_b64 s[0:1], -1
                                        ; implicit-def: $vgpr0
.LBB78_1695:
	s_andn2_b64 vcc, exec, s[0:1]
	s_cbranch_vccnz .LBB78_1697
; %bb.1696:
	global_load_ubyte v0, v[2:3], off
.LBB78_1697:
.LBB78_1698:
	v_mul_lo_u32 v7, s14, v5
	v_mov_b32_e32 v2, s3
	s_and_b32 s29, s54, 0xff
	s_cmp_lt_i32 s29, 11
	v_ashrrev_i32_e32 v3, 31, v7
	s_waitcnt vmcnt(0)
	v_add_co_u32_e32 v1, vcc, s2, v7
	v_addc_co_u32_e32 v2, vcc, v2, v3, vcc
	s_cbranch_scc1 .LBB78_1705
; %bb.1699:
	s_and_b32 s24, 0xffff, s29
	s_cmp_gt_i32 s24, 25
	s_mov_b64 s[4:5], 0
	s_cbranch_scc0 .LBB78_1707
; %bb.1700:
	s_cmp_gt_i32 s24, 28
	s_cbranch_scc0 .LBB78_1708
; %bb.1701:
	s_cmp_gt_i32 s24, 43
	;; [unrolled: 3-line block ×3, first 2 shown]
	s_cbranch_scc0 .LBB78_1711
; %bb.1703:
	s_cmp_eq_u32 s24, 46
	s_mov_b64 s[22:23], 0
	s_cbranch_scc0 .LBB78_1714
; %bb.1704:
	global_load_dword v3, v[1:2], off
	s_mov_b64 s[0:1], 0
	s_mov_b64 s[20:21], -1
	s_waitcnt vmcnt(0)
	v_lshlrev_b32_e32 v3, 16, v3
	v_cvt_i32_f32_e32 v3, v3
	s_branch .LBB78_1715
.LBB78_1705:
	s_mov_b64 s[20:21], 0
                                        ; implicit-def: $vgpr3
	s_cbranch_execnz .LBB78_1776
.LBB78_1706:
	s_andn2_b64 vcc, exec, s[20:21]
	s_cbranch_vccnz .LBB78_2634
	s_branch .LBB78_1823
.LBB78_1707:
	s_mov_b64 s[20:21], 0
	s_mov_b64 s[0:1], 0
                                        ; implicit-def: $vgpr3
	s_cbranch_execnz .LBB78_1742
	s_branch .LBB78_1772
.LBB78_1708:
	s_mov_b64 s[22:23], -1
	s_mov_b64 s[20:21], 0
	s_mov_b64 s[0:1], 0
                                        ; implicit-def: $vgpr3
	s_branch .LBB78_1725
.LBB78_1709:
	s_mov_b64 s[22:23], -1
	s_mov_b64 s[20:21], 0
	s_mov_b64 s[0:1], 0
                                        ; implicit-def: $vgpr3
	s_branch .LBB78_1720
.LBB78_1710:
	s_or_b64 s[18:19], s[16:17], exec
	s_trap 2
	s_cbranch_execz .LBB78_1651
	s_branch .LBB78_1652
.LBB78_1711:
	s_mov_b64 s[22:23], -1
	s_mov_b64 s[20:21], 0
	s_mov_b64 s[0:1], 0
                                        ; implicit-def: $vgpr3
	s_branch .LBB78_1715
.LBB78_1712:
	s_andn2_saveexec_b64 s[30:31], s[30:31]
	s_cbranch_execz .LBB78_1502
.LBB78_1713:
	v_add_f32_e32 v0, 0x42800000, v3
	v_and_b32_e32 v0, 0xff, v0
	v_cmp_ne_u32_e32 vcc, 0, v0
	s_andn2_b64 s[28:29], s[28:29], exec
	s_and_b64 s[36:37], vcc, exec
	s_or_b64 s[28:29], s[28:29], s[36:37]
	s_or_b64 exec, exec, s[30:31]
	v_mov_b32_e32 v4, 0
	s_and_saveexec_b64 s[30:31], s[28:29]
	s_cbranch_execnz .LBB78_1503
	s_branch .LBB78_1504
.LBB78_1714:
	s_mov_b64 s[0:1], -1
                                        ; implicit-def: $vgpr3
	s_mov_b64 s[20:21], 0
.LBB78_1715:
	s_and_b64 vcc, exec, s[22:23]
	s_cbranch_vccz .LBB78_1719
; %bb.1716:
	s_cmp_eq_u32 s24, 44
	s_cbranch_scc0 .LBB78_1718
; %bb.1717:
	global_load_ubyte v3, v[1:2], off
	s_mov_b64 s[0:1], 0
	s_mov_b64 s[20:21], -1
	s_waitcnt vmcnt(0)
	v_lshlrev_b32_e32 v4, 23, v3
	v_cvt_i32_f32_e32 v4, v4
	v_cmp_ne_u32_e32 vcc, 0, v3
	v_cndmask_b32_e32 v3, 0, v4, vcc
	s_branch .LBB78_1719
.LBB78_1718:
	s_mov_b64 s[0:1], -1
                                        ; implicit-def: $vgpr3
.LBB78_1719:
	s_mov_b64 s[22:23], 0
.LBB78_1720:
	s_and_b64 vcc, exec, s[22:23]
	s_cbranch_vccz .LBB78_1724
; %bb.1721:
	s_cmp_eq_u32 s24, 29
	s_cbranch_scc0 .LBB78_1723
; %bb.1722:
	global_load_dwordx2 v[3:4], v[1:2], off
	s_mov_b64 s[0:1], 0
	s_mov_b64 s[20:21], -1
	s_branch .LBB78_1724
.LBB78_1723:
	s_mov_b64 s[0:1], -1
                                        ; implicit-def: $vgpr3
.LBB78_1724:
	s_mov_b64 s[22:23], 0
.LBB78_1725:
	s_and_b64 vcc, exec, s[22:23]
	s_cbranch_vccz .LBB78_1741
; %bb.1726:
	s_cmp_lt_i32 s24, 27
	s_cbranch_scc1 .LBB78_1729
; %bb.1727:
	s_cmp_gt_i32 s24, 27
	s_cbranch_scc0 .LBB78_1730
; %bb.1728:
	global_load_dword v3, v[1:2], off
	s_mov_b64 s[20:21], 0
	s_branch .LBB78_1731
.LBB78_1729:
	s_mov_b64 s[20:21], -1
                                        ; implicit-def: $vgpr3
	s_branch .LBB78_1734
.LBB78_1730:
	s_mov_b64 s[20:21], -1
                                        ; implicit-def: $vgpr3
.LBB78_1731:
	s_andn2_b64 vcc, exec, s[20:21]
	s_cbranch_vccnz .LBB78_1733
; %bb.1732:
	global_load_ushort v3, v[1:2], off
.LBB78_1733:
	s_mov_b64 s[20:21], 0
.LBB78_1734:
	s_andn2_b64 vcc, exec, s[20:21]
	s_cbranch_vccnz .LBB78_1740
; %bb.1735:
	global_load_ubyte v4, v[1:2], off
	s_movk_i32 s20, 0x7f
	s_mov_b64 s[22:23], 0
	s_waitcnt vmcnt(0)
	v_cmp_lt_i16_e32 vcc, s20, v4
	s_and_saveexec_b64 s[20:21], vcc
	s_xor_b64 s[20:21], exec, s[20:21]
	s_cbranch_execz .LBB78_1751
; %bb.1736:
	s_movk_i32 s22, 0x80
	v_cmp_ne_u16_e32 vcc, s22, v4
	s_and_b64 s[22:23], vcc, exec
	s_andn2_saveexec_b64 s[20:21], s[20:21]
	s_cbranch_execnz .LBB78_1752
.LBB78_1737:
	s_or_b64 exec, exec, s[20:21]
	v_mov_b32_e32 v3, 0
	s_and_saveexec_b64 s[20:21], s[22:23]
	s_cbranch_execz .LBB78_1739
.LBB78_1738:
	v_lshlrev_b32_e32 v3, 24, v4
	v_and_b32_e32 v4, 0xffff, v4
	v_and_b32_e32 v8, 7, v4
	v_ffbh_u32_e32 v10, v8
	v_min_u32_e32 v10, 32, v10
	v_subrev_u32_e32 v11, 28, v10
	v_bfe_u32 v9, v4, 3, 4
	v_lshlrev_b32_e32 v4, v11, v4
	v_sub_u32_e32 v10, 29, v10
	v_and_b32_e32 v4, 7, v4
	v_cmp_eq_u32_e32 vcc, 0, v9
	v_cndmask_b32_e32 v9, v9, v10, vcc
	v_cndmask_b32_e32 v4, v8, v4, vcc
	v_mov_b32_e32 v8, 0x3b800000
	v_lshlrev_b32_e32 v4, 20, v4
	v_and_b32_e32 v3, 0x80000000, v3
	v_lshl_add_u32 v8, v9, 23, v8
	v_or3_b32 v3, v3, v8, v4
	v_cvt_i32_f32_e32 v3, v3
.LBB78_1739:
	s_or_b64 exec, exec, s[20:21]
.LBB78_1740:
	s_mov_b64 s[20:21], -1
.LBB78_1741:
	s_branch .LBB78_1772
.LBB78_1742:
	s_cmp_gt_i32 s24, 22
	s_cbranch_scc0 .LBB78_1750
; %bb.1743:
	s_cmp_lt_i32 s24, 24
	s_cbranch_scc1 .LBB78_1753
; %bb.1744:
	s_cmp_gt_i32 s24, 24
	s_cbranch_scc0 .LBB78_1754
; %bb.1745:
	global_load_ubyte v4, v[1:2], off
	s_movk_i32 s4, 0x7f
	s_mov_b64 s[20:21], 0
	s_waitcnt vmcnt(0)
	v_cmp_lt_i16_e32 vcc, s4, v4
	s_and_saveexec_b64 s[4:5], vcc
	s_xor_b64 s[4:5], exec, s[4:5]
	s_cbranch_execz .LBB78_1766
; %bb.1746:
	s_movk_i32 s20, 0x80
	v_cmp_ne_u16_e32 vcc, s20, v4
	s_and_b64 s[20:21], vcc, exec
	s_andn2_saveexec_b64 s[4:5], s[4:5]
	s_cbranch_execnz .LBB78_1767
.LBB78_1747:
	s_or_b64 exec, exec, s[4:5]
	v_mov_b32_e32 v3, 0
	s_and_saveexec_b64 s[4:5], s[20:21]
	s_cbranch_execz .LBB78_1749
.LBB78_1748:
	v_lshlrev_b32_e32 v3, 24, v4
	v_and_b32_e32 v4, 0xffff, v4
	v_and_b32_e32 v8, 3, v4
	v_ffbh_u32_e32 v10, v8
	v_min_u32_e32 v10, 32, v10
	v_subrev_u32_e32 v11, 29, v10
	v_bfe_u32 v9, v4, 2, 5
	v_lshlrev_b32_e32 v4, v11, v4
	v_sub_u32_e32 v10, 30, v10
	v_and_b32_e32 v4, 3, v4
	v_cmp_eq_u32_e32 vcc, 0, v9
	v_cndmask_b32_e32 v9, v9, v10, vcc
	v_cndmask_b32_e32 v4, v8, v4, vcc
	v_mov_b32_e32 v8, 0x37800000
	v_lshlrev_b32_e32 v4, 21, v4
	v_and_b32_e32 v3, 0x80000000, v3
	v_lshl_add_u32 v8, v9, 23, v8
	v_or3_b32 v3, v3, v8, v4
	v_cvt_i32_f32_e32 v3, v3
.LBB78_1749:
	s_or_b64 exec, exec, s[4:5]
	s_mov_b64 s[4:5], 0
	s_branch .LBB78_1755
.LBB78_1750:
	s_mov_b64 s[4:5], -1
                                        ; implicit-def: $vgpr3
	s_branch .LBB78_1761
.LBB78_1751:
	s_andn2_saveexec_b64 s[20:21], s[20:21]
	s_cbranch_execz .LBB78_1737
.LBB78_1752:
	v_cmp_ne_u16_e32 vcc, 0, v4
	s_andn2_b64 s[22:23], s[22:23], exec
	s_and_b64 s[26:27], vcc, exec
	s_or_b64 s[22:23], s[22:23], s[26:27]
	s_or_b64 exec, exec, s[20:21]
	v_mov_b32_e32 v3, 0
	s_and_saveexec_b64 s[20:21], s[22:23]
	s_cbranch_execnz .LBB78_1738
	s_branch .LBB78_1739
.LBB78_1753:
	s_mov_b64 s[4:5], -1
                                        ; implicit-def: $vgpr3
	s_branch .LBB78_1758
.LBB78_1754:
	s_mov_b64 s[4:5], -1
                                        ; implicit-def: $vgpr3
.LBB78_1755:
	s_and_b64 vcc, exec, s[4:5]
	s_cbranch_vccz .LBB78_1757
; %bb.1756:
	global_load_ubyte v3, v[1:2], off
	s_mov_b32 s4, 0x7f800000
	s_waitcnt vmcnt(0)
	v_lshlrev_b32_e32 v3, 24, v3
	v_and_b32_e32 v4, 0x7f000000, v3
	v_ffbh_u32_e32 v8, v4
	v_min_u32_e32 v8, 32, v8
	v_sub_u32_e64 v8, v8, 4 clamp
	v_lshlrev_b32_e32 v10, v8, v4
	v_lshlrev_b32_e32 v8, 23, v8
	v_lshrrev_b32_e32 v10, 4, v10
	v_add_u32_e32 v9, 0x1000000, v4
	v_sub_u32_e32 v8, v10, v8
	v_ashrrev_i32_e32 v9, 8, v9
	v_add_u32_e32 v8, 0x3c000000, v8
	v_and_or_b32 v8, v9, s4, v8
	v_cmp_ne_u32_e32 vcc, 0, v4
	v_cndmask_b32_e32 v4, 0, v8, vcc
	s_brev_b32 s4, 1
	v_and_or_b32 v3, v3, s4, v4
	v_cvt_i32_f32_e32 v3, v3
.LBB78_1757:
	s_mov_b64 s[4:5], 0
.LBB78_1758:
	s_andn2_b64 vcc, exec, s[4:5]
	s_cbranch_vccnz .LBB78_1760
; %bb.1759:
	global_load_ubyte v3, v[1:2], off
	s_movk_i32 s4, 0x7f00
	s_brev_b32 s5, 16
	s_waitcnt vmcnt(0)
	v_lshlrev_b16_e32 v4, 8, v3
	v_lshlrev_b32_e32 v3, 25, v3
	v_lshrrev_b32_e32 v8, 4, v3
	v_and_or_b32 v9, v4, s4, 0.5
	v_or_b32_e32 v8, 0x70000000, v8
	v_add_f32_e32 v9, -0.5, v9
	v_mul_f32_e32 v8, 0x7800000, v8
	v_cmp_gt_u32_e32 vcc, s5, v3
	v_bfe_i32 v4, v4, 0, 16
	v_cndmask_b32_e32 v3, v8, v9, vcc
	s_brev_b32 s4, 1
	v_and_or_b32 v3, v4, s4, v3
	v_cvt_i32_f32_e32 v3, v3
.LBB78_1760:
	s_mov_b64 s[4:5], 0
	s_mov_b64 s[20:21], -1
.LBB78_1761:
	s_andn2_b64 vcc, exec, s[4:5]
	s_mov_b64 s[4:5], 0
	s_cbranch_vccnz .LBB78_1772
; %bb.1762:
	s_cmp_gt_i32 s24, 14
	s_cbranch_scc0 .LBB78_1765
; %bb.1763:
	s_cmp_eq_u32 s24, 15
	s_cbranch_scc0 .LBB78_1768
; %bb.1764:
	global_load_ushort v3, v[1:2], off
	s_mov_b64 s[0:1], 0
	s_mov_b64 s[20:21], -1
	s_waitcnt vmcnt(0)
	v_lshlrev_b32_e32 v3, 16, v3
	v_cvt_i32_f32_e32 v3, v3
	s_branch .LBB78_1769
.LBB78_1765:
	s_mov_b64 s[22:23], -1
                                        ; implicit-def: $vgpr3
	s_branch .LBB78_1770
.LBB78_1766:
	s_andn2_saveexec_b64 s[4:5], s[4:5]
	s_cbranch_execz .LBB78_1747
.LBB78_1767:
	v_cmp_ne_u16_e32 vcc, 0, v4
	s_andn2_b64 s[20:21], s[20:21], exec
	s_and_b64 s[22:23], vcc, exec
	s_or_b64 s[20:21], s[20:21], s[22:23]
	s_or_b64 exec, exec, s[4:5]
	v_mov_b32_e32 v3, 0
	s_and_saveexec_b64 s[4:5], s[20:21]
	s_cbranch_execnz .LBB78_1748
	s_branch .LBB78_1749
.LBB78_1768:
	s_mov_b64 s[0:1], -1
                                        ; implicit-def: $vgpr3
.LBB78_1769:
	s_mov_b64 s[22:23], 0
.LBB78_1770:
	s_and_b64 vcc, exec, s[22:23]
	s_cbranch_vccz .LBB78_1772
; %bb.1771:
	s_cmp_lg_u32 s24, 11
	s_mov_b64 s[4:5], -1
	s_cselect_b64 s[0:1], -1, 0
.LBB78_1772:
	s_and_b64 vcc, exec, s[0:1]
	s_cbranch_vccnz .LBB78_1851
; %bb.1773:
	s_andn2_b64 vcc, exec, s[4:5]
	s_cbranch_vccnz .LBB78_1775
.LBB78_1774:
	global_load_ubyte v3, v[1:2], off
	s_mov_b64 s[20:21], -1
	s_waitcnt vmcnt(0)
	v_cmp_ne_u16_e32 vcc, 0, v3
	v_cndmask_b32_e64 v3, 0, 1, vcc
.LBB78_1775:
	s_branch .LBB78_1706
.LBB78_1776:
	s_and_b32 s4, 0xffff, s29
	s_cmp_lt_i32 s4, 5
	s_cbranch_scc1 .LBB78_1781
; %bb.1777:
	s_cmp_lt_i32 s4, 8
	s_cbranch_scc1 .LBB78_1782
; %bb.1778:
	;; [unrolled: 3-line block ×3, first 2 shown]
	s_cmp_gt_i32 s4, 9
	s_cbranch_scc0 .LBB78_1784
; %bb.1780:
	global_load_dwordx2 v[3:4], v[1:2], off
	s_mov_b64 s[0:1], 0
	s_waitcnt vmcnt(0)
	v_cvt_i32_f64_e32 v3, v[3:4]
	s_branch .LBB78_1785
.LBB78_1781:
                                        ; implicit-def: $vgpr3
	s_branch .LBB78_1803
.LBB78_1782:
	s_mov_b64 s[0:1], -1
                                        ; implicit-def: $vgpr3
	s_branch .LBB78_1791
.LBB78_1783:
	s_mov_b64 s[0:1], -1
                                        ; implicit-def: $vgpr3
	s_branch .LBB78_1788
.LBB78_1784:
	s_mov_b64 s[0:1], -1
                                        ; implicit-def: $vgpr3
.LBB78_1785:
	s_andn2_b64 vcc, exec, s[0:1]
	s_cbranch_vccnz .LBB78_1787
; %bb.1786:
	global_load_dword v3, v[1:2], off
	s_waitcnt vmcnt(0)
	v_cvt_i32_f32_e32 v3, v3
.LBB78_1787:
	s_mov_b64 s[0:1], 0
.LBB78_1788:
	s_andn2_b64 vcc, exec, s[0:1]
	s_cbranch_vccnz .LBB78_1790
; %bb.1789:
	global_load_dword v3, v[1:2], off
	s_waitcnt vmcnt(0)
	v_cvt_i16_f16_e32 v3, v3
.LBB78_1790:
	s_mov_b64 s[0:1], 0
.LBB78_1791:
	s_andn2_b64 vcc, exec, s[0:1]
	s_cbranch_vccnz .LBB78_1802
; %bb.1792:
	s_cmp_lt_i32 s4, 6
	s_cbranch_scc1 .LBB78_1795
; %bb.1793:
	s_cmp_gt_i32 s4, 6
	s_cbranch_scc0 .LBB78_1796
; %bb.1794:
	global_load_dwordx2 v[3:4], v[1:2], off
	s_mov_b64 s[0:1], 0
	s_waitcnt vmcnt(0)
	v_cvt_i32_f64_e32 v3, v[3:4]
	s_branch .LBB78_1797
.LBB78_1795:
	s_mov_b64 s[0:1], -1
                                        ; implicit-def: $vgpr3
	s_branch .LBB78_1800
.LBB78_1796:
	s_mov_b64 s[0:1], -1
                                        ; implicit-def: $vgpr3
.LBB78_1797:
	s_andn2_b64 vcc, exec, s[0:1]
	s_cbranch_vccnz .LBB78_1799
; %bb.1798:
	global_load_dword v3, v[1:2], off
	s_waitcnt vmcnt(0)
	v_cvt_i32_f32_e32 v3, v3
.LBB78_1799:
	s_mov_b64 s[0:1], 0
.LBB78_1800:
	s_andn2_b64 vcc, exec, s[0:1]
	s_cbranch_vccnz .LBB78_1802
; %bb.1801:
	global_load_ushort v3, v[1:2], off
	s_waitcnt vmcnt(0)
	v_cvt_i16_f16_e32 v3, v3
.LBB78_1802:
	s_cbranch_execnz .LBB78_1822
.LBB78_1803:
	s_cmp_lt_i32 s4, 2
	s_cbranch_scc1 .LBB78_1807
; %bb.1804:
	s_cmp_lt_i32 s4, 3
	s_cbranch_scc1 .LBB78_1808
; %bb.1805:
	s_cmp_gt_i32 s4, 3
	s_cbranch_scc0 .LBB78_1809
; %bb.1806:
	global_load_dwordx2 v[3:4], v[1:2], off
	s_mov_b64 s[0:1], 0
	s_branch .LBB78_1810
.LBB78_1807:
	s_mov_b64 s[0:1], -1
                                        ; implicit-def: $vgpr3
	s_branch .LBB78_1816
.LBB78_1808:
	s_mov_b64 s[0:1], -1
                                        ; implicit-def: $vgpr3
	s_branch .LBB78_1813
.LBB78_1809:
	s_mov_b64 s[0:1], -1
                                        ; implicit-def: $vgpr3
.LBB78_1810:
	s_andn2_b64 vcc, exec, s[0:1]
	s_cbranch_vccnz .LBB78_1812
; %bb.1811:
	global_load_dword v3, v[1:2], off
.LBB78_1812:
	s_mov_b64 s[0:1], 0
.LBB78_1813:
	s_andn2_b64 vcc, exec, s[0:1]
	s_cbranch_vccnz .LBB78_1815
; %bb.1814:
	global_load_ushort v3, v[1:2], off
.LBB78_1815:
	s_mov_b64 s[0:1], 0
.LBB78_1816:
	s_andn2_b64 vcc, exec, s[0:1]
	s_cbranch_vccnz .LBB78_1822
; %bb.1817:
	s_cmp_gt_i32 s4, 0
	s_cbranch_scc0 .LBB78_1819
; %bb.1818:
	global_load_sbyte v3, v[1:2], off
	s_mov_b64 s[0:1], 0
	s_branch .LBB78_1820
.LBB78_1819:
	s_mov_b64 s[0:1], -1
                                        ; implicit-def: $vgpr3
.LBB78_1820:
	s_andn2_b64 vcc, exec, s[0:1]
	s_cbranch_vccnz .LBB78_1822
; %bb.1821:
	global_load_ubyte v3, v[1:2], off
.LBB78_1822:
.LBB78_1823:
	s_cmp_lt_i32 s15, 1
	s_mov_b64 s[0:1], 0
	s_cbranch_scc1 .LBB78_1827
; %bb.1824:
	s_cmp_gt_i32 s15, 1
	s_cbranch_scc0 .LBB78_1828
; %bb.1825:
	s_cmp_eq_u32 s15, 2
	s_cbranch_scc0 .LBB78_1829
; %bb.1826:
	s_waitcnt vmcnt(0)
	v_cmp_le_i16_e64 s[4:5], v0, v3
	s_mov_b64 s[20:21], 0
	s_branch .LBB78_1830
.LBB78_1827:
                                        ; implicit-def: $sgpr4_sgpr5
	s_mov_b64 s[20:21], 0
	s_cbranch_execnz .LBB78_1834
	s_branch .LBB78_1835
.LBB78_1828:
	s_mov_b64 s[22:23], -1
	s_mov_b64 s[20:21], 0
                                        ; implicit-def: $sgpr4_sgpr5
	s_branch .LBB78_1831
.LBB78_1829:
	s_mov_b64 s[20:21], -1
                                        ; implicit-def: $sgpr4_sgpr5
.LBB78_1830:
	s_mov_b64 s[22:23], 0
.LBB78_1831:
	s_and_b64 vcc, exec, s[22:23]
	s_cbranch_vccz .LBB78_1833
; %bb.1832:
	s_waitcnt vmcnt(0)
	v_cmp_gt_i16_e32 vcc, v0, v3
	s_andn2_b64 s[4:5], s[4:5], exec
	s_and_b64 s[22:23], vcc, exec
	s_or_b64 s[4:5], s[4:5], s[22:23]
.LBB78_1833:
	s_branch .LBB78_1835
.LBB78_1834:
	s_cmp_lg_u32 s15, 0
	s_mov_b64 s[0:1], -1
	s_cselect_b64 s[20:21], -1, 0
.LBB78_1835:
	s_andn2_b64 vcc, exec, s[20:21]
	s_cbranch_vccnz .LBB78_1837
; %bb.1836:
	s_waitcnt vmcnt(0)
	v_cmp_lt_i16_e32 vcc, v0, v3
	s_andn2_b64 s[4:5], s[4:5], exec
	s_and_b64 s[20:21], vcc, exec
	s_or_b64 s[4:5], s[4:5], s[20:21]
	s_cbranch_execz .LBB78_1838
	s_branch .LBB78_1839
.LBB78_1837:
	s_andn2_b64 vcc, exec, s[0:1]
	s_cbranch_vccnz .LBB78_1839
.LBB78_1838:
	s_waitcnt vmcnt(0)
	v_cmp_ge_i16_e32 vcc, v0, v3
	s_andn2_b64 s[0:1], s[4:5], exec
	s_and_b64 s[4:5], vcc, exec
	s_or_b64 s[4:5], s[0:1], s[4:5]
.LBB78_1839:
	s_lshl_b32 s13, s13, 7
	v_add_u32_e32 v6, s13, v6
	v_ashrrev_i32_e32 v0, 31, v6
	v_mov_b32_e32 v1, s11
	v_add_co_u32_e32 v2, vcc, s10, v6
	s_cmp_lt_i32 s28, 11
	s_waitcnt vmcnt(0)
	v_addc_co_u32_e32 v3, vcc, v1, v0, vcc
	s_cbranch_scc1 .LBB78_1846
; %bb.1840:
	s_and_b32 s26, 0xffff, s28
	s_cmp_gt_i32 s26, 25
	s_mov_b64 s[20:21], 0
	s_cbranch_scc0 .LBB78_1848
; %bb.1841:
	s_cmp_gt_i32 s26, 28
	s_cbranch_scc0 .LBB78_1849
; %bb.1842:
	s_cmp_gt_i32 s26, 43
	;; [unrolled: 3-line block ×3, first 2 shown]
	s_cbranch_scc0 .LBB78_1852
; %bb.1844:
	s_cmp_eq_u32 s26, 46
	s_mov_b64 s[24:25], 0
	s_cbranch_scc0 .LBB78_1853
; %bb.1845:
	global_load_dword v0, v[2:3], off
	s_mov_b64 s[0:1], 0
	s_mov_b64 s[22:23], -1
	s_waitcnt vmcnt(0)
	v_lshlrev_b32_e32 v0, 16, v0
	v_cvt_i32_f32_e32 v0, v0
	s_branch .LBB78_1854
.LBB78_1846:
	s_mov_b64 s[22:23], 0
                                        ; implicit-def: $vgpr0
	s_cbranch_execnz .LBB78_1916
.LBB78_1847:
	s_andn2_b64 vcc, exec, s[22:23]
	s_cbranch_vccnz .LBB78_2634
	s_branch .LBB78_1964
.LBB78_1848:
	s_mov_b64 s[24:25], -1
	s_mov_b64 s[22:23], 0
	s_mov_b64 s[0:1], 0
                                        ; implicit-def: $vgpr0
	s_branch .LBB78_1881
.LBB78_1849:
	s_mov_b64 s[24:25], -1
	s_mov_b64 s[22:23], 0
	s_mov_b64 s[0:1], 0
                                        ; implicit-def: $vgpr0
	s_branch .LBB78_1864
.LBB78_1850:
	s_mov_b64 s[24:25], -1
	s_mov_b64 s[22:23], 0
	s_mov_b64 s[0:1], 0
                                        ; implicit-def: $vgpr0
	s_branch .LBB78_1859
.LBB78_1851:
	s_trap 2
	s_or_b64 s[18:19], s[18:19], exec
	s_cbranch_execz .LBB78_1774
	s_branch .LBB78_1775
.LBB78_1852:
	s_mov_b64 s[24:25], -1
	s_mov_b64 s[22:23], 0
	s_mov_b64 s[0:1], 0
                                        ; implicit-def: $vgpr0
	s_branch .LBB78_1854
.LBB78_1853:
	s_mov_b64 s[0:1], -1
                                        ; implicit-def: $vgpr0
	s_mov_b64 s[22:23], 0
.LBB78_1854:
	s_and_b64 vcc, exec, s[24:25]
	s_cbranch_vccz .LBB78_1858
; %bb.1855:
	s_cmp_eq_u32 s26, 44
	s_cbranch_scc0 .LBB78_1857
; %bb.1856:
	global_load_ubyte v0, v[2:3], off
	s_mov_b64 s[0:1], 0
	s_mov_b64 s[22:23], -1
	s_waitcnt vmcnt(0)
	v_lshlrev_b32_e32 v1, 23, v0
	v_cvt_i32_f32_e32 v1, v1
	v_cmp_ne_u32_e32 vcc, 0, v0
	v_cndmask_b32_e32 v0, 0, v1, vcc
	s_branch .LBB78_1858
.LBB78_1857:
	s_mov_b64 s[0:1], -1
                                        ; implicit-def: $vgpr0
.LBB78_1858:
	s_mov_b64 s[24:25], 0
.LBB78_1859:
	s_and_b64 vcc, exec, s[24:25]
	s_cbranch_vccz .LBB78_1863
; %bb.1860:
	s_cmp_eq_u32 s26, 29
	s_cbranch_scc0 .LBB78_1862
; %bb.1861:
	global_load_dwordx2 v[0:1], v[2:3], off
	s_mov_b64 s[0:1], 0
	s_mov_b64 s[22:23], -1
	s_branch .LBB78_1863
.LBB78_1862:
	s_mov_b64 s[0:1], -1
                                        ; implicit-def: $vgpr0
.LBB78_1863:
	s_mov_b64 s[24:25], 0
.LBB78_1864:
	s_and_b64 vcc, exec, s[24:25]
	s_cbranch_vccz .LBB78_1880
; %bb.1865:
	s_cmp_lt_i32 s26, 27
	s_cbranch_scc1 .LBB78_1868
; %bb.1866:
	s_cmp_gt_i32 s26, 27
	s_cbranch_scc0 .LBB78_1869
; %bb.1867:
	global_load_dword v0, v[2:3], off
	s_mov_b64 s[22:23], 0
	s_branch .LBB78_1870
.LBB78_1868:
	s_mov_b64 s[22:23], -1
                                        ; implicit-def: $vgpr0
	s_branch .LBB78_1873
.LBB78_1869:
	s_mov_b64 s[22:23], -1
                                        ; implicit-def: $vgpr0
.LBB78_1870:
	s_andn2_b64 vcc, exec, s[22:23]
	s_cbranch_vccnz .LBB78_1872
; %bb.1871:
	global_load_ushort v0, v[2:3], off
.LBB78_1872:
	s_mov_b64 s[22:23], 0
.LBB78_1873:
	s_andn2_b64 vcc, exec, s[22:23]
	s_cbranch_vccnz .LBB78_1879
; %bb.1874:
	global_load_ubyte v1, v[2:3], off
	s_movk_i32 s22, 0x7f
	s_mov_b64 s[24:25], 0
	s_waitcnt vmcnt(0)
	v_cmp_lt_i16_e32 vcc, s22, v1
	s_and_saveexec_b64 s[22:23], vcc
	s_xor_b64 s[22:23], exec, s[22:23]
	s_cbranch_execz .LBB78_1891
; %bb.1875:
	s_movk_i32 s24, 0x80
	v_cmp_ne_u16_e32 vcc, s24, v1
	s_and_b64 s[24:25], vcc, exec
	s_andn2_saveexec_b64 s[22:23], s[22:23]
	s_cbranch_execnz .LBB78_1892
.LBB78_1876:
	s_or_b64 exec, exec, s[22:23]
	v_mov_b32_e32 v0, 0
	s_and_saveexec_b64 s[22:23], s[24:25]
	s_cbranch_execz .LBB78_1878
.LBB78_1877:
	v_lshlrev_b32_e32 v0, 24, v1
	v_and_b32_e32 v1, 0xffff, v1
	v_and_b32_e32 v4, 7, v1
	v_ffbh_u32_e32 v9, v4
	v_min_u32_e32 v9, 32, v9
	v_subrev_u32_e32 v10, 28, v9
	v_bfe_u32 v8, v1, 3, 4
	v_lshlrev_b32_e32 v1, v10, v1
	v_sub_u32_e32 v9, 29, v9
	v_and_b32_e32 v1, 7, v1
	v_cmp_eq_u32_e32 vcc, 0, v8
	v_cndmask_b32_e32 v8, v8, v9, vcc
	v_cndmask_b32_e32 v1, v4, v1, vcc
	v_mov_b32_e32 v4, 0x3b800000
	v_lshlrev_b32_e32 v1, 20, v1
	v_and_b32_e32 v0, 0x80000000, v0
	v_lshl_add_u32 v4, v8, 23, v4
	v_or3_b32 v0, v0, v4, v1
	v_cvt_i32_f32_e32 v0, v0
.LBB78_1878:
	s_or_b64 exec, exec, s[22:23]
.LBB78_1879:
	s_mov_b64 s[22:23], -1
.LBB78_1880:
	s_mov_b64 s[24:25], 0
.LBB78_1881:
	s_and_b64 vcc, exec, s[24:25]
	s_cbranch_vccz .LBB78_1912
; %bb.1882:
	s_cmp_gt_i32 s26, 22
	s_cbranch_scc0 .LBB78_1890
; %bb.1883:
	s_cmp_lt_i32 s26, 24
	s_cbranch_scc1 .LBB78_1893
; %bb.1884:
	s_cmp_gt_i32 s26, 24
	s_cbranch_scc0 .LBB78_1894
; %bb.1885:
	global_load_ubyte v1, v[2:3], off
	s_movk_i32 s20, 0x7f
	s_mov_b64 s[22:23], 0
	s_waitcnt vmcnt(0)
	v_cmp_lt_i16_e32 vcc, s20, v1
	s_and_saveexec_b64 s[20:21], vcc
	s_xor_b64 s[20:21], exec, s[20:21]
	s_cbranch_execz .LBB78_1906
; %bb.1886:
	s_movk_i32 s22, 0x80
	v_cmp_ne_u16_e32 vcc, s22, v1
	s_and_b64 s[22:23], vcc, exec
	s_andn2_saveexec_b64 s[20:21], s[20:21]
	s_cbranch_execnz .LBB78_1907
.LBB78_1887:
	s_or_b64 exec, exec, s[20:21]
	v_mov_b32_e32 v0, 0
	s_and_saveexec_b64 s[20:21], s[22:23]
	s_cbranch_execz .LBB78_1889
.LBB78_1888:
	v_lshlrev_b32_e32 v0, 24, v1
	v_and_b32_e32 v1, 0xffff, v1
	v_and_b32_e32 v4, 3, v1
	v_ffbh_u32_e32 v9, v4
	v_min_u32_e32 v9, 32, v9
	v_subrev_u32_e32 v10, 29, v9
	v_bfe_u32 v8, v1, 2, 5
	v_lshlrev_b32_e32 v1, v10, v1
	v_sub_u32_e32 v9, 30, v9
	v_and_b32_e32 v1, 3, v1
	v_cmp_eq_u32_e32 vcc, 0, v8
	v_cndmask_b32_e32 v8, v8, v9, vcc
	v_cndmask_b32_e32 v1, v4, v1, vcc
	v_mov_b32_e32 v4, 0x37800000
	v_lshlrev_b32_e32 v1, 21, v1
	v_and_b32_e32 v0, 0x80000000, v0
	v_lshl_add_u32 v4, v8, 23, v4
	v_or3_b32 v0, v0, v4, v1
	v_cvt_i32_f32_e32 v0, v0
.LBB78_1889:
	s_or_b64 exec, exec, s[20:21]
	s_mov_b64 s[20:21], 0
	s_branch .LBB78_1895
.LBB78_1890:
	s_mov_b64 s[20:21], -1
                                        ; implicit-def: $vgpr0
	s_branch .LBB78_1901
.LBB78_1891:
	s_andn2_saveexec_b64 s[22:23], s[22:23]
	s_cbranch_execz .LBB78_1876
.LBB78_1892:
	v_cmp_ne_u16_e32 vcc, 0, v1
	s_andn2_b64 s[24:25], s[24:25], exec
	s_and_b64 s[30:31], vcc, exec
	s_or_b64 s[24:25], s[24:25], s[30:31]
	s_or_b64 exec, exec, s[22:23]
	v_mov_b32_e32 v0, 0
	s_and_saveexec_b64 s[22:23], s[24:25]
	s_cbranch_execnz .LBB78_1877
	s_branch .LBB78_1878
.LBB78_1893:
	s_mov_b64 s[20:21], -1
                                        ; implicit-def: $vgpr0
	s_branch .LBB78_1898
.LBB78_1894:
	s_mov_b64 s[20:21], -1
                                        ; implicit-def: $vgpr0
.LBB78_1895:
	s_and_b64 vcc, exec, s[20:21]
	s_cbranch_vccz .LBB78_1897
; %bb.1896:
	global_load_ubyte v0, v[2:3], off
	s_mov_b32 s20, 0x7f800000
	s_waitcnt vmcnt(0)
	v_lshlrev_b32_e32 v0, 24, v0
	v_and_b32_e32 v1, 0x7f000000, v0
	v_ffbh_u32_e32 v4, v1
	v_min_u32_e32 v4, 32, v4
	v_sub_u32_e64 v4, v4, 4 clamp
	v_lshlrev_b32_e32 v9, v4, v1
	v_lshlrev_b32_e32 v4, 23, v4
	v_lshrrev_b32_e32 v9, 4, v9
	v_add_u32_e32 v8, 0x1000000, v1
	v_sub_u32_e32 v4, v9, v4
	v_ashrrev_i32_e32 v8, 8, v8
	v_add_u32_e32 v4, 0x3c000000, v4
	v_and_or_b32 v4, v8, s20, v4
	v_cmp_ne_u32_e32 vcc, 0, v1
	v_cndmask_b32_e32 v1, 0, v4, vcc
	s_brev_b32 s20, 1
	v_and_or_b32 v0, v0, s20, v1
	v_cvt_i32_f32_e32 v0, v0
.LBB78_1897:
	s_mov_b64 s[20:21], 0
.LBB78_1898:
	s_andn2_b64 vcc, exec, s[20:21]
	s_cbranch_vccnz .LBB78_1900
; %bb.1899:
	global_load_ubyte v0, v[2:3], off
	s_movk_i32 s20, 0x7f00
	s_brev_b32 s21, 16
	s_waitcnt vmcnt(0)
	v_lshlrev_b16_e32 v1, 8, v0
	v_lshlrev_b32_e32 v0, 25, v0
	v_lshrrev_b32_e32 v4, 4, v0
	v_and_or_b32 v8, v1, s20, 0.5
	v_or_b32_e32 v4, 0x70000000, v4
	v_add_f32_e32 v8, -0.5, v8
	v_mul_f32_e32 v4, 0x7800000, v4
	v_cmp_gt_u32_e32 vcc, s21, v0
	v_bfe_i32 v1, v1, 0, 16
	v_cndmask_b32_e32 v0, v4, v8, vcc
	s_brev_b32 s20, 1
	v_and_or_b32 v0, v1, s20, v0
	v_cvt_i32_f32_e32 v0, v0
.LBB78_1900:
	s_mov_b64 s[20:21], 0
	s_mov_b64 s[22:23], -1
.LBB78_1901:
	s_andn2_b64 vcc, exec, s[20:21]
	s_mov_b64 s[20:21], 0
	s_cbranch_vccnz .LBB78_1912
; %bb.1902:
	s_cmp_gt_i32 s26, 14
	s_cbranch_scc0 .LBB78_1905
; %bb.1903:
	s_cmp_eq_u32 s26, 15
	s_cbranch_scc0 .LBB78_1908
; %bb.1904:
	global_load_ushort v0, v[2:3], off
	s_mov_b64 s[0:1], 0
	s_mov_b64 s[22:23], -1
	s_waitcnt vmcnt(0)
	v_lshlrev_b32_e32 v0, 16, v0
	v_cvt_i32_f32_e32 v0, v0
	s_branch .LBB78_1909
.LBB78_1905:
	s_mov_b64 s[24:25], -1
                                        ; implicit-def: $vgpr0
	s_branch .LBB78_1910
.LBB78_1906:
	s_andn2_saveexec_b64 s[20:21], s[20:21]
	s_cbranch_execz .LBB78_1887
.LBB78_1907:
	v_cmp_ne_u16_e32 vcc, 0, v1
	s_andn2_b64 s[22:23], s[22:23], exec
	s_and_b64 s[24:25], vcc, exec
	s_or_b64 s[22:23], s[22:23], s[24:25]
	s_or_b64 exec, exec, s[20:21]
	v_mov_b32_e32 v0, 0
	s_and_saveexec_b64 s[20:21], s[22:23]
	s_cbranch_execnz .LBB78_1888
	s_branch .LBB78_1889
.LBB78_1908:
	s_mov_b64 s[0:1], -1
                                        ; implicit-def: $vgpr0
.LBB78_1909:
	s_mov_b64 s[24:25], 0
.LBB78_1910:
	s_and_b64 vcc, exec, s[24:25]
	s_cbranch_vccz .LBB78_1912
; %bb.1911:
	s_cmp_lg_u32 s26, 11
	s_mov_b64 s[20:21], -1
	s_cselect_b64 s[0:1], -1, 0
.LBB78_1912:
	s_and_b64 vcc, exec, s[0:1]
	s_cbranch_vccnz .LBB78_1975
; %bb.1913:
	s_andn2_b64 vcc, exec, s[20:21]
	s_cbranch_vccnz .LBB78_1915
.LBB78_1914:
	global_load_ubyte v0, v[2:3], off
	s_mov_b64 s[22:23], -1
	s_waitcnt vmcnt(0)
	v_cmp_ne_u16_e32 vcc, 0, v0
	v_cndmask_b32_e64 v0, 0, 1, vcc
.LBB78_1915:
	s_branch .LBB78_1847
.LBB78_1916:
	s_and_b32 s20, 0xffff, s28
	s_cmp_lt_i32 s20, 5
	s_cbranch_scc1 .LBB78_1921
; %bb.1917:
	s_cmp_lt_i32 s20, 8
	s_cbranch_scc1 .LBB78_1922
; %bb.1918:
	;; [unrolled: 3-line block ×3, first 2 shown]
	s_cmp_gt_i32 s20, 9
	s_cbranch_scc0 .LBB78_1924
; %bb.1920:
	global_load_dwordx2 v[0:1], v[2:3], off
	s_mov_b64 s[0:1], 0
	s_waitcnt vmcnt(0)
	v_cvt_i32_f64_e32 v0, v[0:1]
	s_branch .LBB78_1925
.LBB78_1921:
	s_mov_b64 s[0:1], -1
                                        ; implicit-def: $vgpr0
	s_branch .LBB78_1943
.LBB78_1922:
	s_mov_b64 s[0:1], -1
                                        ; implicit-def: $vgpr0
	s_branch .LBB78_1931
.LBB78_1923:
	s_mov_b64 s[0:1], -1
                                        ; implicit-def: $vgpr0
	s_branch .LBB78_1928
.LBB78_1924:
	s_mov_b64 s[0:1], -1
                                        ; implicit-def: $vgpr0
.LBB78_1925:
	s_andn2_b64 vcc, exec, s[0:1]
	s_cbranch_vccnz .LBB78_1927
; %bb.1926:
	global_load_dword v0, v[2:3], off
	s_waitcnt vmcnt(0)
	v_cvt_i32_f32_e32 v0, v0
.LBB78_1927:
	s_mov_b64 s[0:1], 0
.LBB78_1928:
	s_andn2_b64 vcc, exec, s[0:1]
	s_cbranch_vccnz .LBB78_1930
; %bb.1929:
	global_load_dword v0, v[2:3], off
	s_waitcnt vmcnt(0)
	v_cvt_i16_f16_e32 v0, v0
.LBB78_1930:
	s_mov_b64 s[0:1], 0
.LBB78_1931:
	s_andn2_b64 vcc, exec, s[0:1]
	s_cbranch_vccnz .LBB78_1942
; %bb.1932:
	s_cmp_lt_i32 s20, 6
	s_cbranch_scc1 .LBB78_1935
; %bb.1933:
	s_cmp_gt_i32 s20, 6
	s_cbranch_scc0 .LBB78_1936
; %bb.1934:
	global_load_dwordx2 v[0:1], v[2:3], off
	s_mov_b64 s[0:1], 0
	s_waitcnt vmcnt(0)
	v_cvt_i32_f64_e32 v0, v[0:1]
	s_branch .LBB78_1937
.LBB78_1935:
	s_mov_b64 s[0:1], -1
                                        ; implicit-def: $vgpr0
	s_branch .LBB78_1940
.LBB78_1936:
	s_mov_b64 s[0:1], -1
                                        ; implicit-def: $vgpr0
.LBB78_1937:
	s_andn2_b64 vcc, exec, s[0:1]
	s_cbranch_vccnz .LBB78_1939
; %bb.1938:
	global_load_dword v0, v[2:3], off
	s_waitcnt vmcnt(0)
	v_cvt_i32_f32_e32 v0, v0
.LBB78_1939:
	s_mov_b64 s[0:1], 0
.LBB78_1940:
	s_andn2_b64 vcc, exec, s[0:1]
	s_cbranch_vccnz .LBB78_1942
; %bb.1941:
	global_load_ushort v0, v[2:3], off
	s_waitcnt vmcnt(0)
	v_cvt_i16_f16_e32 v0, v0
.LBB78_1942:
	s_mov_b64 s[0:1], 0
.LBB78_1943:
	s_andn2_b64 vcc, exec, s[0:1]
	s_cbranch_vccnz .LBB78_1963
; %bb.1944:
	s_cmp_lt_i32 s20, 2
	s_cbranch_scc1 .LBB78_1948
; %bb.1945:
	s_cmp_lt_i32 s20, 3
	s_cbranch_scc1 .LBB78_1949
; %bb.1946:
	s_cmp_gt_i32 s20, 3
	s_cbranch_scc0 .LBB78_1950
; %bb.1947:
	global_load_dwordx2 v[0:1], v[2:3], off
	s_mov_b64 s[0:1], 0
	s_branch .LBB78_1951
.LBB78_1948:
	s_mov_b64 s[0:1], -1
                                        ; implicit-def: $vgpr0
	s_branch .LBB78_1957
.LBB78_1949:
	s_mov_b64 s[0:1], -1
                                        ; implicit-def: $vgpr0
	s_branch .LBB78_1954
.LBB78_1950:
	s_mov_b64 s[0:1], -1
                                        ; implicit-def: $vgpr0
.LBB78_1951:
	s_andn2_b64 vcc, exec, s[0:1]
	s_cbranch_vccnz .LBB78_1953
; %bb.1952:
	global_load_dword v0, v[2:3], off
.LBB78_1953:
	s_mov_b64 s[0:1], 0
.LBB78_1954:
	s_andn2_b64 vcc, exec, s[0:1]
	s_cbranch_vccnz .LBB78_1956
; %bb.1955:
	global_load_ushort v0, v[2:3], off
.LBB78_1956:
	s_mov_b64 s[0:1], 0
.LBB78_1957:
	s_andn2_b64 vcc, exec, s[0:1]
	s_cbranch_vccnz .LBB78_1963
; %bb.1958:
	s_cmp_gt_i32 s20, 0
	s_cbranch_scc0 .LBB78_1960
; %bb.1959:
	global_load_sbyte v0, v[2:3], off
	s_mov_b64 s[0:1], 0
	s_branch .LBB78_1961
.LBB78_1960:
	s_mov_b64 s[0:1], -1
                                        ; implicit-def: $vgpr0
.LBB78_1961:
	s_andn2_b64 vcc, exec, s[0:1]
	s_cbranch_vccnz .LBB78_1963
; %bb.1962:
	global_load_ubyte v0, v[2:3], off
.LBB78_1963:
.LBB78_1964:
	s_lshl_b32 s14, s14, 7
	v_add_u32_e32 v7, s14, v7
	v_ashrrev_i32_e32 v2, 31, v7
	v_mov_b32_e32 v3, s3
	s_waitcnt vmcnt(0)
	v_add_co_u32_e32 v1, vcc, s2, v7
	s_cmp_lt_i32 s29, 11
	v_addc_co_u32_e32 v2, vcc, v3, v2, vcc
	s_cbranch_scc1 .LBB78_1971
; %bb.1965:
	s_and_b32 s26, 0xffff, s29
	s_cmp_gt_i32 s26, 25
	s_mov_b64 s[20:21], 0
	s_cbranch_scc0 .LBB78_1972
; %bb.1966:
	s_cmp_gt_i32 s26, 28
	s_cbranch_scc0 .LBB78_1973
; %bb.1967:
	s_cmp_gt_i32 s26, 43
	;; [unrolled: 3-line block ×3, first 2 shown]
	s_cbranch_scc0 .LBB78_1976
; %bb.1969:
	s_cmp_eq_u32 s26, 46
	s_mov_b64 s[24:25], 0
	s_cbranch_scc0 .LBB78_1977
; %bb.1970:
	global_load_dword v3, v[1:2], off
	s_mov_b64 s[0:1], 0
	s_mov_b64 s[22:23], -1
	s_waitcnt vmcnt(0)
	v_lshlrev_b32_e32 v3, 16, v3
	v_cvt_i32_f32_e32 v3, v3
	s_branch .LBB78_1978
.LBB78_1971:
	s_mov_b64 s[0:1], -1
	s_mov_b64 s[22:23], 0
                                        ; implicit-def: $vgpr3
	s_branch .LBB78_2040
.LBB78_1972:
	s_mov_b64 s[24:25], -1
	s_mov_b64 s[22:23], 0
	s_mov_b64 s[0:1], 0
                                        ; implicit-def: $vgpr3
	s_branch .LBB78_2005
.LBB78_1973:
	s_mov_b64 s[24:25], -1
	s_mov_b64 s[22:23], 0
	s_mov_b64 s[0:1], 0
                                        ; implicit-def: $vgpr3
	s_branch .LBB78_1988
.LBB78_1974:
	s_mov_b64 s[24:25], -1
	s_mov_b64 s[22:23], 0
	s_mov_b64 s[0:1], 0
                                        ; implicit-def: $vgpr3
	s_branch .LBB78_1983
.LBB78_1975:
	s_trap 2
	s_or_b64 s[18:19], s[18:19], exec
	s_cbranch_execz .LBB78_1914
	s_branch .LBB78_1915
.LBB78_1976:
	s_mov_b64 s[24:25], -1
	s_mov_b64 s[22:23], 0
	s_mov_b64 s[0:1], 0
                                        ; implicit-def: $vgpr3
	s_branch .LBB78_1978
.LBB78_1977:
	s_mov_b64 s[0:1], -1
                                        ; implicit-def: $vgpr3
	s_mov_b64 s[22:23], 0
.LBB78_1978:
	s_and_b64 vcc, exec, s[24:25]
	s_cbranch_vccz .LBB78_1982
; %bb.1979:
	s_cmp_eq_u32 s26, 44
	s_cbranch_scc0 .LBB78_1981
; %bb.1980:
	global_load_ubyte v3, v[1:2], off
	s_mov_b64 s[0:1], 0
	s_mov_b64 s[22:23], -1
	s_waitcnt vmcnt(0)
	v_lshlrev_b32_e32 v4, 23, v3
	v_cvt_i32_f32_e32 v4, v4
	v_cmp_ne_u32_e32 vcc, 0, v3
	v_cndmask_b32_e32 v3, 0, v4, vcc
	s_branch .LBB78_1982
.LBB78_1981:
	s_mov_b64 s[0:1], -1
                                        ; implicit-def: $vgpr3
.LBB78_1982:
	s_mov_b64 s[24:25], 0
.LBB78_1983:
	s_and_b64 vcc, exec, s[24:25]
	s_cbranch_vccz .LBB78_1987
; %bb.1984:
	s_cmp_eq_u32 s26, 29
	s_cbranch_scc0 .LBB78_1986
; %bb.1985:
	global_load_dwordx2 v[3:4], v[1:2], off
	s_mov_b64 s[0:1], 0
	s_mov_b64 s[22:23], -1
	s_branch .LBB78_1987
.LBB78_1986:
	s_mov_b64 s[0:1], -1
                                        ; implicit-def: $vgpr3
.LBB78_1987:
	s_mov_b64 s[24:25], 0
.LBB78_1988:
	s_and_b64 vcc, exec, s[24:25]
	s_cbranch_vccz .LBB78_2004
; %bb.1989:
	s_cmp_lt_i32 s26, 27
	s_cbranch_scc1 .LBB78_1992
; %bb.1990:
	s_cmp_gt_i32 s26, 27
	s_cbranch_scc0 .LBB78_1993
; %bb.1991:
	global_load_dword v3, v[1:2], off
	s_mov_b64 s[22:23], 0
	s_branch .LBB78_1994
.LBB78_1992:
	s_mov_b64 s[22:23], -1
                                        ; implicit-def: $vgpr3
	s_branch .LBB78_1997
.LBB78_1993:
	s_mov_b64 s[22:23], -1
                                        ; implicit-def: $vgpr3
.LBB78_1994:
	s_andn2_b64 vcc, exec, s[22:23]
	s_cbranch_vccnz .LBB78_1996
; %bb.1995:
	global_load_ushort v3, v[1:2], off
.LBB78_1996:
	s_mov_b64 s[22:23], 0
.LBB78_1997:
	s_andn2_b64 vcc, exec, s[22:23]
	s_cbranch_vccnz .LBB78_2003
; %bb.1998:
	global_load_ubyte v4, v[1:2], off
	s_movk_i32 s22, 0x7f
	s_mov_b64 s[24:25], 0
	s_waitcnt vmcnt(0)
	v_cmp_lt_i16_e32 vcc, s22, v4
	s_and_saveexec_b64 s[22:23], vcc
	s_xor_b64 s[22:23], exec, s[22:23]
	s_cbranch_execz .LBB78_2015
; %bb.1999:
	s_movk_i32 s24, 0x80
	v_cmp_ne_u16_e32 vcc, s24, v4
	s_and_b64 s[24:25], vcc, exec
	s_andn2_saveexec_b64 s[22:23], s[22:23]
	s_cbranch_execnz .LBB78_2016
.LBB78_2000:
	s_or_b64 exec, exec, s[22:23]
	v_mov_b32_e32 v3, 0
	s_and_saveexec_b64 s[22:23], s[24:25]
	s_cbranch_execz .LBB78_2002
.LBB78_2001:
	v_lshlrev_b32_e32 v3, 24, v4
	v_and_b32_e32 v4, 0xffff, v4
	v_and_b32_e32 v8, 7, v4
	v_ffbh_u32_e32 v10, v8
	v_min_u32_e32 v10, 32, v10
	v_subrev_u32_e32 v11, 28, v10
	v_bfe_u32 v9, v4, 3, 4
	v_lshlrev_b32_e32 v4, v11, v4
	v_sub_u32_e32 v10, 29, v10
	v_and_b32_e32 v4, 7, v4
	v_cmp_eq_u32_e32 vcc, 0, v9
	v_cndmask_b32_e32 v9, v9, v10, vcc
	v_cndmask_b32_e32 v4, v8, v4, vcc
	v_mov_b32_e32 v8, 0x3b800000
	v_lshlrev_b32_e32 v4, 20, v4
	v_and_b32_e32 v3, 0x80000000, v3
	v_lshl_add_u32 v8, v9, 23, v8
	v_or3_b32 v3, v3, v8, v4
	v_cvt_i32_f32_e32 v3, v3
.LBB78_2002:
	s_or_b64 exec, exec, s[22:23]
.LBB78_2003:
	s_mov_b64 s[22:23], -1
.LBB78_2004:
	s_mov_b64 s[24:25], 0
.LBB78_2005:
	s_and_b64 vcc, exec, s[24:25]
	s_cbranch_vccz .LBB78_2036
; %bb.2006:
	s_cmp_gt_i32 s26, 22
	s_cbranch_scc0 .LBB78_2014
; %bb.2007:
	s_cmp_lt_i32 s26, 24
	s_cbranch_scc1 .LBB78_2017
; %bb.2008:
	s_cmp_gt_i32 s26, 24
	s_cbranch_scc0 .LBB78_2018
; %bb.2009:
	global_load_ubyte v4, v[1:2], off
	s_movk_i32 s20, 0x7f
	s_mov_b64 s[22:23], 0
	s_waitcnt vmcnt(0)
	v_cmp_lt_i16_e32 vcc, s20, v4
	s_and_saveexec_b64 s[20:21], vcc
	s_xor_b64 s[20:21], exec, s[20:21]
	s_cbranch_execz .LBB78_2030
; %bb.2010:
	s_movk_i32 s22, 0x80
	v_cmp_ne_u16_e32 vcc, s22, v4
	s_and_b64 s[22:23], vcc, exec
	s_andn2_saveexec_b64 s[20:21], s[20:21]
	s_cbranch_execnz .LBB78_2031
.LBB78_2011:
	s_or_b64 exec, exec, s[20:21]
	v_mov_b32_e32 v3, 0
	s_and_saveexec_b64 s[20:21], s[22:23]
	s_cbranch_execz .LBB78_2013
.LBB78_2012:
	v_lshlrev_b32_e32 v3, 24, v4
	v_and_b32_e32 v4, 0xffff, v4
	v_and_b32_e32 v8, 3, v4
	v_ffbh_u32_e32 v10, v8
	v_min_u32_e32 v10, 32, v10
	v_subrev_u32_e32 v11, 29, v10
	v_bfe_u32 v9, v4, 2, 5
	v_lshlrev_b32_e32 v4, v11, v4
	v_sub_u32_e32 v10, 30, v10
	v_and_b32_e32 v4, 3, v4
	v_cmp_eq_u32_e32 vcc, 0, v9
	v_cndmask_b32_e32 v9, v9, v10, vcc
	v_cndmask_b32_e32 v4, v8, v4, vcc
	v_mov_b32_e32 v8, 0x37800000
	v_lshlrev_b32_e32 v4, 21, v4
	v_and_b32_e32 v3, 0x80000000, v3
	v_lshl_add_u32 v8, v9, 23, v8
	v_or3_b32 v3, v3, v8, v4
	v_cvt_i32_f32_e32 v3, v3
.LBB78_2013:
	s_or_b64 exec, exec, s[20:21]
	s_mov_b64 s[20:21], 0
	s_branch .LBB78_2019
.LBB78_2014:
	s_mov_b64 s[20:21], -1
                                        ; implicit-def: $vgpr3
	s_branch .LBB78_2025
.LBB78_2015:
	s_andn2_saveexec_b64 s[22:23], s[22:23]
	s_cbranch_execz .LBB78_2000
.LBB78_2016:
	v_cmp_ne_u16_e32 vcc, 0, v4
	s_andn2_b64 s[24:25], s[24:25], exec
	s_and_b64 s[30:31], vcc, exec
	s_or_b64 s[24:25], s[24:25], s[30:31]
	s_or_b64 exec, exec, s[22:23]
	v_mov_b32_e32 v3, 0
	s_and_saveexec_b64 s[22:23], s[24:25]
	s_cbranch_execnz .LBB78_2001
	s_branch .LBB78_2002
.LBB78_2017:
	s_mov_b64 s[20:21], -1
                                        ; implicit-def: $vgpr3
	s_branch .LBB78_2022
.LBB78_2018:
	s_mov_b64 s[20:21], -1
                                        ; implicit-def: $vgpr3
.LBB78_2019:
	s_and_b64 vcc, exec, s[20:21]
	s_cbranch_vccz .LBB78_2021
; %bb.2020:
	global_load_ubyte v3, v[1:2], off
	s_mov_b32 s20, 0x7f800000
	s_waitcnt vmcnt(0)
	v_lshlrev_b32_e32 v3, 24, v3
	v_and_b32_e32 v4, 0x7f000000, v3
	v_ffbh_u32_e32 v8, v4
	v_min_u32_e32 v8, 32, v8
	v_sub_u32_e64 v8, v8, 4 clamp
	v_lshlrev_b32_e32 v10, v8, v4
	v_lshlrev_b32_e32 v8, 23, v8
	v_lshrrev_b32_e32 v10, 4, v10
	v_add_u32_e32 v9, 0x1000000, v4
	v_sub_u32_e32 v8, v10, v8
	v_ashrrev_i32_e32 v9, 8, v9
	v_add_u32_e32 v8, 0x3c000000, v8
	v_and_or_b32 v8, v9, s20, v8
	v_cmp_ne_u32_e32 vcc, 0, v4
	v_cndmask_b32_e32 v4, 0, v8, vcc
	s_brev_b32 s20, 1
	v_and_or_b32 v3, v3, s20, v4
	v_cvt_i32_f32_e32 v3, v3
.LBB78_2021:
	s_mov_b64 s[20:21], 0
.LBB78_2022:
	s_andn2_b64 vcc, exec, s[20:21]
	s_cbranch_vccnz .LBB78_2024
; %bb.2023:
	global_load_ubyte v3, v[1:2], off
	s_movk_i32 s20, 0x7f00
	s_brev_b32 s21, 16
	s_waitcnt vmcnt(0)
	v_lshlrev_b16_e32 v4, 8, v3
	v_lshlrev_b32_e32 v3, 25, v3
	v_lshrrev_b32_e32 v8, 4, v3
	v_and_or_b32 v9, v4, s20, 0.5
	v_or_b32_e32 v8, 0x70000000, v8
	v_add_f32_e32 v9, -0.5, v9
	v_mul_f32_e32 v8, 0x7800000, v8
	v_cmp_gt_u32_e32 vcc, s21, v3
	v_bfe_i32 v4, v4, 0, 16
	v_cndmask_b32_e32 v3, v8, v9, vcc
	s_brev_b32 s20, 1
	v_and_or_b32 v3, v4, s20, v3
	v_cvt_i32_f32_e32 v3, v3
.LBB78_2024:
	s_mov_b64 s[20:21], 0
	s_mov_b64 s[22:23], -1
.LBB78_2025:
	s_andn2_b64 vcc, exec, s[20:21]
	s_mov_b64 s[20:21], 0
	s_cbranch_vccnz .LBB78_2036
; %bb.2026:
	s_cmp_gt_i32 s26, 14
	s_cbranch_scc0 .LBB78_2029
; %bb.2027:
	s_cmp_eq_u32 s26, 15
	s_cbranch_scc0 .LBB78_2032
; %bb.2028:
	global_load_ushort v3, v[1:2], off
	s_mov_b64 s[0:1], 0
	s_mov_b64 s[22:23], -1
	s_waitcnt vmcnt(0)
	v_lshlrev_b32_e32 v3, 16, v3
	v_cvt_i32_f32_e32 v3, v3
	s_branch .LBB78_2033
.LBB78_2029:
	s_mov_b64 s[24:25], -1
                                        ; implicit-def: $vgpr3
	s_branch .LBB78_2034
.LBB78_2030:
	s_andn2_saveexec_b64 s[20:21], s[20:21]
	s_cbranch_execz .LBB78_2011
.LBB78_2031:
	v_cmp_ne_u16_e32 vcc, 0, v4
	s_andn2_b64 s[22:23], s[22:23], exec
	s_and_b64 s[24:25], vcc, exec
	s_or_b64 s[22:23], s[22:23], s[24:25]
	s_or_b64 exec, exec, s[20:21]
	v_mov_b32_e32 v3, 0
	s_and_saveexec_b64 s[20:21], s[22:23]
	s_cbranch_execnz .LBB78_2012
	s_branch .LBB78_2013
.LBB78_2032:
	s_mov_b64 s[0:1], -1
                                        ; implicit-def: $vgpr3
.LBB78_2033:
	s_mov_b64 s[24:25], 0
.LBB78_2034:
	s_and_b64 vcc, exec, s[24:25]
	s_cbranch_vccz .LBB78_2036
; %bb.2035:
	s_cmp_lg_u32 s26, 11
	s_mov_b64 s[20:21], -1
	s_cselect_b64 s[0:1], -1, 0
.LBB78_2036:
	s_and_b64 vcc, exec, s[0:1]
	s_cbranch_vccnz .LBB78_2118
; %bb.2037:
	s_andn2_b64 vcc, exec, s[20:21]
	s_cbranch_vccnz .LBB78_2039
.LBB78_2038:
	global_load_ubyte v3, v[1:2], off
	s_mov_b64 s[22:23], -1
	s_waitcnt vmcnt(0)
	v_cmp_ne_u16_e32 vcc, 0, v3
	v_cndmask_b32_e64 v3, 0, 1, vcc
.LBB78_2039:
	s_mov_b64 s[0:1], 0
.LBB78_2040:
	s_and_b64 vcc, exec, s[0:1]
	s_cbranch_vccz .LBB78_2089
; %bb.2041:
	s_and_b32 s20, 0xffff, s29
	s_cmp_lt_i32 s20, 5
	s_cbranch_scc1 .LBB78_2046
; %bb.2042:
	s_cmp_lt_i32 s20, 8
	s_cbranch_scc1 .LBB78_2047
; %bb.2043:
	;; [unrolled: 3-line block ×3, first 2 shown]
	s_cmp_gt_i32 s20, 9
	s_cbranch_scc0 .LBB78_2049
; %bb.2045:
	global_load_dwordx2 v[3:4], v[1:2], off
	s_mov_b64 s[0:1], 0
	s_waitcnt vmcnt(0)
	v_cvt_i32_f64_e32 v3, v[3:4]
	s_branch .LBB78_2050
.LBB78_2046:
	s_mov_b64 s[0:1], -1
                                        ; implicit-def: $vgpr3
	s_branch .LBB78_2068
.LBB78_2047:
	s_mov_b64 s[0:1], -1
                                        ; implicit-def: $vgpr3
	s_branch .LBB78_2056
.LBB78_2048:
	s_mov_b64 s[0:1], -1
                                        ; implicit-def: $vgpr3
	s_branch .LBB78_2053
.LBB78_2049:
	s_mov_b64 s[0:1], -1
                                        ; implicit-def: $vgpr3
.LBB78_2050:
	s_andn2_b64 vcc, exec, s[0:1]
	s_cbranch_vccnz .LBB78_2052
; %bb.2051:
	global_load_dword v3, v[1:2], off
	s_waitcnt vmcnt(0)
	v_cvt_i32_f32_e32 v3, v3
.LBB78_2052:
	s_mov_b64 s[0:1], 0
.LBB78_2053:
	s_andn2_b64 vcc, exec, s[0:1]
	s_cbranch_vccnz .LBB78_2055
; %bb.2054:
	global_load_dword v3, v[1:2], off
	s_waitcnt vmcnt(0)
	v_cvt_i16_f16_e32 v3, v3
.LBB78_2055:
	s_mov_b64 s[0:1], 0
.LBB78_2056:
	s_andn2_b64 vcc, exec, s[0:1]
	s_cbranch_vccnz .LBB78_2067
; %bb.2057:
	s_cmp_lt_i32 s20, 6
	s_cbranch_scc1 .LBB78_2060
; %bb.2058:
	s_cmp_gt_i32 s20, 6
	s_cbranch_scc0 .LBB78_2061
; %bb.2059:
	global_load_dwordx2 v[3:4], v[1:2], off
	s_mov_b64 s[0:1], 0
	s_waitcnt vmcnt(0)
	v_cvt_i32_f64_e32 v3, v[3:4]
	s_branch .LBB78_2062
.LBB78_2060:
	s_mov_b64 s[0:1], -1
                                        ; implicit-def: $vgpr3
	s_branch .LBB78_2065
.LBB78_2061:
	s_mov_b64 s[0:1], -1
                                        ; implicit-def: $vgpr3
.LBB78_2062:
	s_andn2_b64 vcc, exec, s[0:1]
	s_cbranch_vccnz .LBB78_2064
; %bb.2063:
	global_load_dword v3, v[1:2], off
	s_waitcnt vmcnt(0)
	v_cvt_i32_f32_e32 v3, v3
.LBB78_2064:
	s_mov_b64 s[0:1], 0
.LBB78_2065:
	s_andn2_b64 vcc, exec, s[0:1]
	s_cbranch_vccnz .LBB78_2067
; %bb.2066:
	global_load_ushort v3, v[1:2], off
	s_waitcnt vmcnt(0)
	v_cvt_i16_f16_e32 v3, v3
.LBB78_2067:
	s_mov_b64 s[0:1], 0
.LBB78_2068:
	s_andn2_b64 vcc, exec, s[0:1]
	s_cbranch_vccnz .LBB78_2088
; %bb.2069:
	s_cmp_lt_i32 s20, 2
	s_cbranch_scc1 .LBB78_2073
; %bb.2070:
	s_cmp_lt_i32 s20, 3
	s_cbranch_scc1 .LBB78_2074
; %bb.2071:
	s_cmp_gt_i32 s20, 3
	s_cbranch_scc0 .LBB78_2075
; %bb.2072:
	global_load_dwordx2 v[3:4], v[1:2], off
	s_mov_b64 s[0:1], 0
	s_branch .LBB78_2076
.LBB78_2073:
	s_mov_b64 s[0:1], -1
                                        ; implicit-def: $vgpr3
	s_branch .LBB78_2082
.LBB78_2074:
	s_mov_b64 s[0:1], -1
                                        ; implicit-def: $vgpr3
	s_branch .LBB78_2079
.LBB78_2075:
	s_mov_b64 s[0:1], -1
                                        ; implicit-def: $vgpr3
.LBB78_2076:
	s_andn2_b64 vcc, exec, s[0:1]
	s_cbranch_vccnz .LBB78_2078
; %bb.2077:
	global_load_dword v3, v[1:2], off
.LBB78_2078:
	s_mov_b64 s[0:1], 0
.LBB78_2079:
	s_andn2_b64 vcc, exec, s[0:1]
	s_cbranch_vccnz .LBB78_2081
; %bb.2080:
	global_load_ushort v3, v[1:2], off
.LBB78_2081:
	s_mov_b64 s[0:1], 0
.LBB78_2082:
	s_andn2_b64 vcc, exec, s[0:1]
	s_cbranch_vccnz .LBB78_2088
; %bb.2083:
	s_cmp_gt_i32 s20, 0
	s_cbranch_scc0 .LBB78_2085
; %bb.2084:
	global_load_sbyte v3, v[1:2], off
	s_mov_b64 s[0:1], 0
	s_branch .LBB78_2086
.LBB78_2085:
	s_mov_b64 s[0:1], -1
                                        ; implicit-def: $vgpr3
.LBB78_2086:
	s_andn2_b64 vcc, exec, s[0:1]
	s_cbranch_vccnz .LBB78_2088
; %bb.2087:
	global_load_ubyte v3, v[1:2], off
.LBB78_2088:
	s_mov_b64 s[22:23], -1
.LBB78_2089:
	s_andn2_b64 vcc, exec, s[22:23]
	s_cbranch_vccnz .LBB78_2634
; %bb.2090:
	s_cmp_lt_i32 s15, 1
	s_mov_b64 s[0:1], 0
	s_cbranch_scc1 .LBB78_2094
; %bb.2091:
	s_cmp_gt_i32 s15, 1
	s_cbranch_scc0 .LBB78_2095
; %bb.2092:
	s_cmp_eq_u32 s15, 2
	s_cbranch_scc0 .LBB78_2096
; %bb.2093:
	s_waitcnt vmcnt(0)
	v_cmp_le_i16_e64 s[20:21], v0, v3
	s_mov_b64 s[22:23], 0
	s_branch .LBB78_2097
.LBB78_2094:
	s_mov_b64 s[24:25], -1
                                        ; implicit-def: $sgpr20_sgpr21
	s_mov_b64 s[22:23], 0
	s_branch .LBB78_2101
.LBB78_2095:
	s_mov_b64 s[24:25], -1
	s_mov_b64 s[22:23], 0
                                        ; implicit-def: $sgpr20_sgpr21
	s_branch .LBB78_2098
.LBB78_2096:
	s_mov_b64 s[22:23], -1
                                        ; implicit-def: $sgpr20_sgpr21
.LBB78_2097:
	s_mov_b64 s[24:25], 0
.LBB78_2098:
	s_and_b64 vcc, exec, s[24:25]
	s_cbranch_vccz .LBB78_2100
; %bb.2099:
	s_waitcnt vmcnt(0)
	v_cmp_gt_i16_e32 vcc, v0, v3
	s_andn2_b64 s[20:21], s[20:21], exec
	s_and_b64 s[24:25], vcc, exec
	s_or_b64 s[20:21], s[20:21], s[24:25]
.LBB78_2100:
	s_mov_b64 s[24:25], 0
.LBB78_2101:
	s_and_b64 vcc, exec, s[24:25]
	s_cbranch_vccz .LBB78_2112
; %bb.2102:
	s_cmp_lg_u32 s15, 0
	s_mov_b64 s[0:1], -1
	s_cselect_b64 s[22:23], -1, 0
	s_andn2_b64 vcc, exec, s[22:23]
	s_cbranch_vccz .LBB78_2113
.LBB78_2103:
	s_andn2_b64 vcc, exec, s[0:1]
	s_cbranch_vccnz .LBB78_2105
.LBB78_2104:
	s_waitcnt vmcnt(0)
	v_cmp_ge_i16_e32 vcc, v0, v3
	s_andn2_b64 s[0:1], s[20:21], exec
	s_and_b64 s[20:21], vcc, exec
	s_or_b64 s[20:21], s[0:1], s[20:21]
.LBB78_2105:
	v_add_u32_e32 v6, s13, v6
	v_ashrrev_i32_e32 v0, 31, v6
	v_mov_b32_e32 v1, s11
	v_add_co_u32_e32 v2, vcc, s10, v6
	s_cmp_lt_i32 s28, 11
	s_waitcnt vmcnt(0)
	v_addc_co_u32_e32 v3, vcc, v1, v0, vcc
	s_cbranch_scc1 .LBB78_2114
; %bb.2106:
	s_and_b32 s30, 0xffff, s28
	s_cmp_gt_i32 s30, 25
	s_mov_b64 s[22:23], 0
	s_cbranch_scc0 .LBB78_2115
; %bb.2107:
	s_cmp_gt_i32 s30, 28
	s_cbranch_scc0 .LBB78_2116
; %bb.2108:
	s_cmp_gt_i32 s30, 43
	;; [unrolled: 3-line block ×3, first 2 shown]
	s_cbranch_scc0 .LBB78_2119
; %bb.2110:
	s_cmp_eq_u32 s30, 46
	s_mov_b64 s[26:27], 0
	s_cbranch_scc0 .LBB78_2120
; %bb.2111:
	global_load_dword v0, v[2:3], off
	s_mov_b64 s[0:1], 0
	s_mov_b64 s[24:25], -1
	s_waitcnt vmcnt(0)
	v_lshlrev_b32_e32 v0, 16, v0
	v_cvt_i32_f32_e32 v0, v0
	s_branch .LBB78_2121
.LBB78_2112:
	s_andn2_b64 vcc, exec, s[22:23]
	s_cbranch_vccnz .LBB78_2103
.LBB78_2113:
	s_waitcnt vmcnt(0)
	v_cmp_lt_i16_e32 vcc, v0, v3
	s_andn2_b64 s[20:21], s[20:21], exec
	s_and_b64 s[22:23], vcc, exec
	s_or_b64 s[20:21], s[20:21], s[22:23]
	s_cbranch_execz .LBB78_2104
	s_branch .LBB78_2105
.LBB78_2114:
	s_mov_b64 s[0:1], -1
	s_mov_b64 s[24:25], 0
                                        ; implicit-def: $vgpr0
	s_branch .LBB78_2183
.LBB78_2115:
	s_mov_b64 s[26:27], -1
	s_mov_b64 s[24:25], 0
	s_mov_b64 s[0:1], 0
                                        ; implicit-def: $vgpr0
	s_branch .LBB78_2148
.LBB78_2116:
	s_mov_b64 s[26:27], -1
	s_mov_b64 s[24:25], 0
	s_mov_b64 s[0:1], 0
                                        ; implicit-def: $vgpr0
	s_branch .LBB78_2131
.LBB78_2117:
	s_mov_b64 s[26:27], -1
	s_mov_b64 s[24:25], 0
	s_mov_b64 s[0:1], 0
                                        ; implicit-def: $vgpr0
	s_branch .LBB78_2126
.LBB78_2118:
	s_trap 2
	s_or_b64 s[18:19], s[18:19], exec
	s_cbranch_execz .LBB78_2038
	s_branch .LBB78_2039
.LBB78_2119:
	s_mov_b64 s[26:27], -1
	s_mov_b64 s[24:25], 0
	s_mov_b64 s[0:1], 0
                                        ; implicit-def: $vgpr0
	s_branch .LBB78_2121
.LBB78_2120:
	s_mov_b64 s[0:1], -1
                                        ; implicit-def: $vgpr0
	s_mov_b64 s[24:25], 0
.LBB78_2121:
	s_and_b64 vcc, exec, s[26:27]
	s_cbranch_vccz .LBB78_2125
; %bb.2122:
	s_cmp_eq_u32 s30, 44
	s_cbranch_scc0 .LBB78_2124
; %bb.2123:
	global_load_ubyte v0, v[2:3], off
	s_mov_b64 s[0:1], 0
	s_mov_b64 s[24:25], -1
	s_waitcnt vmcnt(0)
	v_lshlrev_b32_e32 v1, 23, v0
	v_cvt_i32_f32_e32 v1, v1
	v_cmp_ne_u32_e32 vcc, 0, v0
	v_cndmask_b32_e32 v0, 0, v1, vcc
	s_branch .LBB78_2125
.LBB78_2124:
	s_mov_b64 s[0:1], -1
                                        ; implicit-def: $vgpr0
.LBB78_2125:
	s_mov_b64 s[26:27], 0
.LBB78_2126:
	s_and_b64 vcc, exec, s[26:27]
	s_cbranch_vccz .LBB78_2130
; %bb.2127:
	s_cmp_eq_u32 s30, 29
	s_cbranch_scc0 .LBB78_2129
; %bb.2128:
	global_load_dwordx2 v[0:1], v[2:3], off
	s_mov_b64 s[0:1], 0
	s_mov_b64 s[24:25], -1
	s_branch .LBB78_2130
.LBB78_2129:
	s_mov_b64 s[0:1], -1
                                        ; implicit-def: $vgpr0
.LBB78_2130:
	s_mov_b64 s[26:27], 0
.LBB78_2131:
	s_and_b64 vcc, exec, s[26:27]
	s_cbranch_vccz .LBB78_2147
; %bb.2132:
	s_cmp_lt_i32 s30, 27
	s_cbranch_scc1 .LBB78_2135
; %bb.2133:
	s_cmp_gt_i32 s30, 27
	s_cbranch_scc0 .LBB78_2136
; %bb.2134:
	global_load_dword v0, v[2:3], off
	s_mov_b64 s[24:25], 0
	s_branch .LBB78_2137
.LBB78_2135:
	s_mov_b64 s[24:25], -1
                                        ; implicit-def: $vgpr0
	s_branch .LBB78_2140
.LBB78_2136:
	s_mov_b64 s[24:25], -1
                                        ; implicit-def: $vgpr0
.LBB78_2137:
	s_andn2_b64 vcc, exec, s[24:25]
	s_cbranch_vccnz .LBB78_2139
; %bb.2138:
	global_load_ushort v0, v[2:3], off
.LBB78_2139:
	s_mov_b64 s[24:25], 0
.LBB78_2140:
	s_andn2_b64 vcc, exec, s[24:25]
	s_cbranch_vccnz .LBB78_2146
; %bb.2141:
	global_load_ubyte v1, v[2:3], off
	s_movk_i32 s24, 0x7f
	s_mov_b64 s[26:27], 0
	s_waitcnt vmcnt(0)
	v_cmp_lt_i16_e32 vcc, s24, v1
	s_and_saveexec_b64 s[24:25], vcc
	s_xor_b64 s[24:25], exec, s[24:25]
	s_cbranch_execz .LBB78_2158
; %bb.2142:
	s_movk_i32 s26, 0x80
	v_cmp_ne_u16_e32 vcc, s26, v1
	s_and_b64 s[26:27], vcc, exec
	s_andn2_saveexec_b64 s[24:25], s[24:25]
	s_cbranch_execnz .LBB78_2159
.LBB78_2143:
	s_or_b64 exec, exec, s[24:25]
	v_mov_b32_e32 v0, 0
	s_and_saveexec_b64 s[24:25], s[26:27]
	s_cbranch_execz .LBB78_2145
.LBB78_2144:
	v_lshlrev_b32_e32 v0, 24, v1
	v_and_b32_e32 v1, 0xffff, v1
	v_and_b32_e32 v4, 7, v1
	v_ffbh_u32_e32 v9, v4
	v_min_u32_e32 v9, 32, v9
	v_subrev_u32_e32 v10, 28, v9
	v_bfe_u32 v8, v1, 3, 4
	v_lshlrev_b32_e32 v1, v10, v1
	v_sub_u32_e32 v9, 29, v9
	v_and_b32_e32 v1, 7, v1
	v_cmp_eq_u32_e32 vcc, 0, v8
	v_cndmask_b32_e32 v8, v8, v9, vcc
	v_cndmask_b32_e32 v1, v4, v1, vcc
	v_mov_b32_e32 v4, 0x3b800000
	v_lshlrev_b32_e32 v1, 20, v1
	v_and_b32_e32 v0, 0x80000000, v0
	v_lshl_add_u32 v4, v8, 23, v4
	v_or3_b32 v0, v0, v4, v1
	v_cvt_i32_f32_e32 v0, v0
.LBB78_2145:
	s_or_b64 exec, exec, s[24:25]
.LBB78_2146:
	s_mov_b64 s[24:25], -1
.LBB78_2147:
	s_mov_b64 s[26:27], 0
.LBB78_2148:
	s_and_b64 vcc, exec, s[26:27]
	s_cbranch_vccz .LBB78_2179
; %bb.2149:
	s_cmp_gt_i32 s30, 22
	s_cbranch_scc0 .LBB78_2157
; %bb.2150:
	s_cmp_lt_i32 s30, 24
	s_cbranch_scc1 .LBB78_2160
; %bb.2151:
	s_cmp_gt_i32 s30, 24
	s_cbranch_scc0 .LBB78_2161
; %bb.2152:
	global_load_ubyte v1, v[2:3], off
	s_movk_i32 s22, 0x7f
	s_mov_b64 s[24:25], 0
	s_waitcnt vmcnt(0)
	v_cmp_lt_i16_e32 vcc, s22, v1
	s_and_saveexec_b64 s[22:23], vcc
	s_xor_b64 s[22:23], exec, s[22:23]
	s_cbranch_execz .LBB78_2173
; %bb.2153:
	s_movk_i32 s24, 0x80
	v_cmp_ne_u16_e32 vcc, s24, v1
	s_and_b64 s[24:25], vcc, exec
	s_andn2_saveexec_b64 s[22:23], s[22:23]
	s_cbranch_execnz .LBB78_2174
.LBB78_2154:
	s_or_b64 exec, exec, s[22:23]
	v_mov_b32_e32 v0, 0
	s_and_saveexec_b64 s[22:23], s[24:25]
	s_cbranch_execz .LBB78_2156
.LBB78_2155:
	v_lshlrev_b32_e32 v0, 24, v1
	v_and_b32_e32 v1, 0xffff, v1
	v_and_b32_e32 v4, 3, v1
	v_ffbh_u32_e32 v9, v4
	v_min_u32_e32 v9, 32, v9
	v_subrev_u32_e32 v10, 29, v9
	v_bfe_u32 v8, v1, 2, 5
	v_lshlrev_b32_e32 v1, v10, v1
	v_sub_u32_e32 v9, 30, v9
	v_and_b32_e32 v1, 3, v1
	v_cmp_eq_u32_e32 vcc, 0, v8
	v_cndmask_b32_e32 v8, v8, v9, vcc
	v_cndmask_b32_e32 v1, v4, v1, vcc
	v_mov_b32_e32 v4, 0x37800000
	v_lshlrev_b32_e32 v1, 21, v1
	v_and_b32_e32 v0, 0x80000000, v0
	v_lshl_add_u32 v4, v8, 23, v4
	v_or3_b32 v0, v0, v4, v1
	v_cvt_i32_f32_e32 v0, v0
.LBB78_2156:
	s_or_b64 exec, exec, s[22:23]
	s_mov_b64 s[22:23], 0
	s_branch .LBB78_2162
.LBB78_2157:
	s_mov_b64 s[22:23], -1
                                        ; implicit-def: $vgpr0
	s_branch .LBB78_2168
.LBB78_2158:
	s_andn2_saveexec_b64 s[24:25], s[24:25]
	s_cbranch_execz .LBB78_2143
.LBB78_2159:
	v_cmp_ne_u16_e32 vcc, 0, v1
	s_andn2_b64 s[26:27], s[26:27], exec
	s_and_b64 s[34:35], vcc, exec
	s_or_b64 s[26:27], s[26:27], s[34:35]
	s_or_b64 exec, exec, s[24:25]
	v_mov_b32_e32 v0, 0
	s_and_saveexec_b64 s[24:25], s[26:27]
	s_cbranch_execnz .LBB78_2144
	s_branch .LBB78_2145
.LBB78_2160:
	s_mov_b64 s[22:23], -1
                                        ; implicit-def: $vgpr0
	s_branch .LBB78_2165
.LBB78_2161:
	s_mov_b64 s[22:23], -1
                                        ; implicit-def: $vgpr0
.LBB78_2162:
	s_and_b64 vcc, exec, s[22:23]
	s_cbranch_vccz .LBB78_2164
; %bb.2163:
	global_load_ubyte v0, v[2:3], off
	s_mov_b32 s22, 0x7f800000
	s_waitcnt vmcnt(0)
	v_lshlrev_b32_e32 v0, 24, v0
	v_and_b32_e32 v1, 0x7f000000, v0
	v_ffbh_u32_e32 v4, v1
	v_min_u32_e32 v4, 32, v4
	v_sub_u32_e64 v4, v4, 4 clamp
	v_lshlrev_b32_e32 v9, v4, v1
	v_lshlrev_b32_e32 v4, 23, v4
	v_lshrrev_b32_e32 v9, 4, v9
	v_add_u32_e32 v8, 0x1000000, v1
	v_sub_u32_e32 v4, v9, v4
	v_ashrrev_i32_e32 v8, 8, v8
	v_add_u32_e32 v4, 0x3c000000, v4
	v_and_or_b32 v4, v8, s22, v4
	v_cmp_ne_u32_e32 vcc, 0, v1
	v_cndmask_b32_e32 v1, 0, v4, vcc
	s_brev_b32 s22, 1
	v_and_or_b32 v0, v0, s22, v1
	v_cvt_i32_f32_e32 v0, v0
.LBB78_2164:
	s_mov_b64 s[22:23], 0
.LBB78_2165:
	s_andn2_b64 vcc, exec, s[22:23]
	s_cbranch_vccnz .LBB78_2167
; %bb.2166:
	global_load_ubyte v0, v[2:3], off
	s_movk_i32 s22, 0x7f00
	s_brev_b32 s23, 16
	s_waitcnt vmcnt(0)
	v_lshlrev_b16_e32 v1, 8, v0
	v_lshlrev_b32_e32 v0, 25, v0
	v_lshrrev_b32_e32 v4, 4, v0
	v_and_or_b32 v8, v1, s22, 0.5
	v_or_b32_e32 v4, 0x70000000, v4
	v_add_f32_e32 v8, -0.5, v8
	v_mul_f32_e32 v4, 0x7800000, v4
	v_cmp_gt_u32_e32 vcc, s23, v0
	v_bfe_i32 v1, v1, 0, 16
	v_cndmask_b32_e32 v0, v4, v8, vcc
	s_brev_b32 s22, 1
	v_and_or_b32 v0, v1, s22, v0
	v_cvt_i32_f32_e32 v0, v0
.LBB78_2167:
	s_mov_b64 s[22:23], 0
	s_mov_b64 s[24:25], -1
.LBB78_2168:
	s_andn2_b64 vcc, exec, s[22:23]
	s_mov_b64 s[22:23], 0
	s_cbranch_vccnz .LBB78_2179
; %bb.2169:
	s_cmp_gt_i32 s30, 14
	s_cbranch_scc0 .LBB78_2172
; %bb.2170:
	s_cmp_eq_u32 s30, 15
	s_cbranch_scc0 .LBB78_2175
; %bb.2171:
	global_load_ushort v0, v[2:3], off
	s_mov_b64 s[0:1], 0
	s_mov_b64 s[24:25], -1
	s_waitcnt vmcnt(0)
	v_lshlrev_b32_e32 v0, 16, v0
	v_cvt_i32_f32_e32 v0, v0
	s_branch .LBB78_2176
.LBB78_2172:
	s_mov_b64 s[26:27], -1
                                        ; implicit-def: $vgpr0
	s_branch .LBB78_2177
.LBB78_2173:
	s_andn2_saveexec_b64 s[22:23], s[22:23]
	s_cbranch_execz .LBB78_2154
.LBB78_2174:
	v_cmp_ne_u16_e32 vcc, 0, v1
	s_andn2_b64 s[24:25], s[24:25], exec
	s_and_b64 s[26:27], vcc, exec
	s_or_b64 s[24:25], s[24:25], s[26:27]
	s_or_b64 exec, exec, s[22:23]
	v_mov_b32_e32 v0, 0
	s_and_saveexec_b64 s[22:23], s[24:25]
	s_cbranch_execnz .LBB78_2155
	s_branch .LBB78_2156
.LBB78_2175:
	s_mov_b64 s[0:1], -1
                                        ; implicit-def: $vgpr0
.LBB78_2176:
	s_mov_b64 s[26:27], 0
.LBB78_2177:
	s_and_b64 vcc, exec, s[26:27]
	s_cbranch_vccz .LBB78_2179
; %bb.2178:
	s_cmp_lg_u32 s30, 11
	s_mov_b64 s[22:23], -1
	s_cselect_b64 s[0:1], -1, 0
.LBB78_2179:
	s_and_b64 vcc, exec, s[0:1]
	s_cbranch_vccnz .LBB78_2244
; %bb.2180:
	s_andn2_b64 vcc, exec, s[22:23]
	s_cbranch_vccnz .LBB78_2182
.LBB78_2181:
	global_load_ubyte v0, v[2:3], off
	s_mov_b64 s[24:25], -1
	s_waitcnt vmcnt(0)
	v_cmp_ne_u16_e32 vcc, 0, v0
	v_cndmask_b32_e64 v0, 0, 1, vcc
.LBB78_2182:
	s_mov_b64 s[0:1], 0
.LBB78_2183:
	s_and_b64 vcc, exec, s[0:1]
	s_cbranch_vccz .LBB78_2232
; %bb.2184:
	s_and_b32 s22, 0xffff, s28
	s_cmp_lt_i32 s22, 5
	s_cbranch_scc1 .LBB78_2189
; %bb.2185:
	s_cmp_lt_i32 s22, 8
	s_cbranch_scc1 .LBB78_2190
; %bb.2186:
	;; [unrolled: 3-line block ×3, first 2 shown]
	s_cmp_gt_i32 s22, 9
	s_cbranch_scc0 .LBB78_2192
; %bb.2188:
	global_load_dwordx2 v[0:1], v[2:3], off
	s_mov_b64 s[0:1], 0
	s_waitcnt vmcnt(0)
	v_cvt_i32_f64_e32 v0, v[0:1]
	s_branch .LBB78_2193
.LBB78_2189:
	s_mov_b64 s[0:1], -1
                                        ; implicit-def: $vgpr0
	s_branch .LBB78_2211
.LBB78_2190:
	s_mov_b64 s[0:1], -1
                                        ; implicit-def: $vgpr0
	s_branch .LBB78_2199
.LBB78_2191:
	s_mov_b64 s[0:1], -1
                                        ; implicit-def: $vgpr0
	s_branch .LBB78_2196
.LBB78_2192:
	s_mov_b64 s[0:1], -1
                                        ; implicit-def: $vgpr0
.LBB78_2193:
	s_andn2_b64 vcc, exec, s[0:1]
	s_cbranch_vccnz .LBB78_2195
; %bb.2194:
	global_load_dword v0, v[2:3], off
	s_waitcnt vmcnt(0)
	v_cvt_i32_f32_e32 v0, v0
.LBB78_2195:
	s_mov_b64 s[0:1], 0
.LBB78_2196:
	s_andn2_b64 vcc, exec, s[0:1]
	s_cbranch_vccnz .LBB78_2198
; %bb.2197:
	global_load_dword v0, v[2:3], off
	s_waitcnt vmcnt(0)
	v_cvt_i16_f16_e32 v0, v0
.LBB78_2198:
	s_mov_b64 s[0:1], 0
.LBB78_2199:
	s_andn2_b64 vcc, exec, s[0:1]
	s_cbranch_vccnz .LBB78_2210
; %bb.2200:
	s_cmp_lt_i32 s22, 6
	s_cbranch_scc1 .LBB78_2203
; %bb.2201:
	s_cmp_gt_i32 s22, 6
	s_cbranch_scc0 .LBB78_2204
; %bb.2202:
	global_load_dwordx2 v[0:1], v[2:3], off
	s_mov_b64 s[0:1], 0
	s_waitcnt vmcnt(0)
	v_cvt_i32_f64_e32 v0, v[0:1]
	s_branch .LBB78_2205
.LBB78_2203:
	s_mov_b64 s[0:1], -1
                                        ; implicit-def: $vgpr0
	s_branch .LBB78_2208
.LBB78_2204:
	s_mov_b64 s[0:1], -1
                                        ; implicit-def: $vgpr0
.LBB78_2205:
	s_andn2_b64 vcc, exec, s[0:1]
	s_cbranch_vccnz .LBB78_2207
; %bb.2206:
	global_load_dword v0, v[2:3], off
	s_waitcnt vmcnt(0)
	v_cvt_i32_f32_e32 v0, v0
.LBB78_2207:
	s_mov_b64 s[0:1], 0
.LBB78_2208:
	s_andn2_b64 vcc, exec, s[0:1]
	s_cbranch_vccnz .LBB78_2210
; %bb.2209:
	global_load_ushort v0, v[2:3], off
	s_waitcnt vmcnt(0)
	v_cvt_i16_f16_e32 v0, v0
.LBB78_2210:
	s_mov_b64 s[0:1], 0
.LBB78_2211:
	s_andn2_b64 vcc, exec, s[0:1]
	s_cbranch_vccnz .LBB78_2231
; %bb.2212:
	s_cmp_lt_i32 s22, 2
	s_cbranch_scc1 .LBB78_2216
; %bb.2213:
	s_cmp_lt_i32 s22, 3
	s_cbranch_scc1 .LBB78_2217
; %bb.2214:
	s_cmp_gt_i32 s22, 3
	s_cbranch_scc0 .LBB78_2218
; %bb.2215:
	global_load_dwordx2 v[0:1], v[2:3], off
	s_mov_b64 s[0:1], 0
	s_branch .LBB78_2219
.LBB78_2216:
	s_mov_b64 s[0:1], -1
                                        ; implicit-def: $vgpr0
	s_branch .LBB78_2225
.LBB78_2217:
	s_mov_b64 s[0:1], -1
                                        ; implicit-def: $vgpr0
	s_branch .LBB78_2222
.LBB78_2218:
	s_mov_b64 s[0:1], -1
                                        ; implicit-def: $vgpr0
.LBB78_2219:
	s_andn2_b64 vcc, exec, s[0:1]
	s_cbranch_vccnz .LBB78_2221
; %bb.2220:
	global_load_dword v0, v[2:3], off
.LBB78_2221:
	s_mov_b64 s[0:1], 0
.LBB78_2222:
	s_andn2_b64 vcc, exec, s[0:1]
	s_cbranch_vccnz .LBB78_2224
; %bb.2223:
	global_load_ushort v0, v[2:3], off
.LBB78_2224:
	s_mov_b64 s[0:1], 0
.LBB78_2225:
	s_andn2_b64 vcc, exec, s[0:1]
	s_cbranch_vccnz .LBB78_2231
; %bb.2226:
	s_cmp_gt_i32 s22, 0
	s_cbranch_scc0 .LBB78_2228
; %bb.2227:
	global_load_sbyte v0, v[2:3], off
	s_mov_b64 s[0:1], 0
	s_branch .LBB78_2229
.LBB78_2228:
	s_mov_b64 s[0:1], -1
                                        ; implicit-def: $vgpr0
.LBB78_2229:
	s_andn2_b64 vcc, exec, s[0:1]
	s_cbranch_vccnz .LBB78_2231
; %bb.2230:
	global_load_ubyte v0, v[2:3], off
.LBB78_2231:
	s_mov_b64 s[24:25], -1
.LBB78_2232:
	s_andn2_b64 vcc, exec, s[24:25]
	s_cbranch_vccnz .LBB78_2634
; %bb.2233:
	v_add_u32_e32 v7, s14, v7
	v_ashrrev_i32_e32 v2, 31, v7
	v_mov_b32_e32 v3, s3
	s_waitcnt vmcnt(0)
	v_add_co_u32_e32 v1, vcc, s2, v7
	s_cmp_lt_i32 s29, 11
	v_addc_co_u32_e32 v2, vcc, v3, v2, vcc
	s_cbranch_scc1 .LBB78_2240
; %bb.2234:
	s_and_b32 s30, 0xffff, s29
	s_cmp_gt_i32 s30, 25
	s_mov_b64 s[22:23], 0
	s_cbranch_scc0 .LBB78_2241
; %bb.2235:
	s_cmp_gt_i32 s30, 28
	s_cbranch_scc0 .LBB78_2242
; %bb.2236:
	s_cmp_gt_i32 s30, 43
	;; [unrolled: 3-line block ×3, first 2 shown]
	s_cbranch_scc0 .LBB78_2245
; %bb.2238:
	s_cmp_eq_u32 s30, 46
	s_mov_b64 s[26:27], 0
	s_cbranch_scc0 .LBB78_2248
; %bb.2239:
	global_load_dword v3, v[1:2], off
	s_mov_b64 s[0:1], 0
	s_mov_b64 s[24:25], -1
	s_waitcnt vmcnt(0)
	v_lshlrev_b32_e32 v3, 16, v3
	v_cvt_i32_f32_e32 v3, v3
	s_branch .LBB78_2249
.LBB78_2240:
	s_mov_b64 s[0:1], -1
	s_mov_b64 s[24:25], 0
                                        ; implicit-def: $vgpr3
	s_branch .LBB78_2311
.LBB78_2241:
	s_mov_b64 s[26:27], -1
	s_mov_b64 s[24:25], 0
	s_mov_b64 s[0:1], 0
                                        ; implicit-def: $vgpr3
	s_branch .LBB78_2276
.LBB78_2242:
	s_mov_b64 s[26:27], -1
	s_mov_b64 s[24:25], 0
	s_mov_b64 s[0:1], 0
                                        ; implicit-def: $vgpr3
	s_branch .LBB78_2259
.LBB78_2243:
	s_mov_b64 s[26:27], -1
	s_mov_b64 s[24:25], 0
	s_mov_b64 s[0:1], 0
                                        ; implicit-def: $vgpr3
	s_branch .LBB78_2254
.LBB78_2244:
	s_trap 2
	s_or_b64 s[18:19], s[18:19], exec
	s_cbranch_execz .LBB78_2181
	s_branch .LBB78_2182
.LBB78_2245:
	s_mov_b64 s[26:27], -1
	s_mov_b64 s[24:25], 0
	s_mov_b64 s[0:1], 0
                                        ; implicit-def: $vgpr3
	s_branch .LBB78_2249
.LBB78_2246:
	s_andn2_saveexec_b64 s[46:47], s[46:47]
	s_cbranch_execz .LBB78_1111
.LBB78_2247:
	v_add_f32_e32 v2, 0x42800000, v3
	v_and_b32_e32 v2, 0xff, v2
	v_cmp_ne_u32_e32 vcc, 0, v2
	s_andn2_b64 s[44:45], s[44:45], exec
	s_and_b64 s[52:53], vcc, exec
	s_or_b64 s[44:45], s[44:45], s[52:53]
	s_or_b64 exec, exec, s[46:47]
	v_mov_b32_e32 v4, 0
	s_and_saveexec_b64 s[46:47], s[44:45]
	s_cbranch_execnz .LBB78_1112
	s_branch .LBB78_1113
.LBB78_2248:
	s_mov_b64 s[0:1], -1
                                        ; implicit-def: $vgpr3
	s_mov_b64 s[24:25], 0
.LBB78_2249:
	s_and_b64 vcc, exec, s[26:27]
	s_cbranch_vccz .LBB78_2253
; %bb.2250:
	s_cmp_eq_u32 s30, 44
	s_cbranch_scc0 .LBB78_2252
; %bb.2251:
	global_load_ubyte v3, v[1:2], off
	s_mov_b64 s[0:1], 0
	s_mov_b64 s[24:25], -1
	s_waitcnt vmcnt(0)
	v_lshlrev_b32_e32 v4, 23, v3
	v_cvt_i32_f32_e32 v4, v4
	v_cmp_ne_u32_e32 vcc, 0, v3
	v_cndmask_b32_e32 v3, 0, v4, vcc
	s_branch .LBB78_2253
.LBB78_2252:
	s_mov_b64 s[0:1], -1
                                        ; implicit-def: $vgpr3
.LBB78_2253:
	s_mov_b64 s[26:27], 0
.LBB78_2254:
	s_and_b64 vcc, exec, s[26:27]
	s_cbranch_vccz .LBB78_2258
; %bb.2255:
	s_cmp_eq_u32 s30, 29
	s_cbranch_scc0 .LBB78_2257
; %bb.2256:
	global_load_dwordx2 v[3:4], v[1:2], off
	s_mov_b64 s[0:1], 0
	s_mov_b64 s[24:25], -1
	s_branch .LBB78_2258
.LBB78_2257:
	s_mov_b64 s[0:1], -1
                                        ; implicit-def: $vgpr3
.LBB78_2258:
	s_mov_b64 s[26:27], 0
.LBB78_2259:
	s_and_b64 vcc, exec, s[26:27]
	s_cbranch_vccz .LBB78_2275
; %bb.2260:
	s_cmp_lt_i32 s30, 27
	s_cbranch_scc1 .LBB78_2263
; %bb.2261:
	s_cmp_gt_i32 s30, 27
	s_cbranch_scc0 .LBB78_2264
; %bb.2262:
	global_load_dword v3, v[1:2], off
	s_mov_b64 s[24:25], 0
	s_branch .LBB78_2265
.LBB78_2263:
	s_mov_b64 s[24:25], -1
                                        ; implicit-def: $vgpr3
	s_branch .LBB78_2268
.LBB78_2264:
	s_mov_b64 s[24:25], -1
                                        ; implicit-def: $vgpr3
.LBB78_2265:
	s_andn2_b64 vcc, exec, s[24:25]
	s_cbranch_vccnz .LBB78_2267
; %bb.2266:
	global_load_ushort v3, v[1:2], off
.LBB78_2267:
	s_mov_b64 s[24:25], 0
.LBB78_2268:
	s_andn2_b64 vcc, exec, s[24:25]
	s_cbranch_vccnz .LBB78_2274
; %bb.2269:
	global_load_ubyte v4, v[1:2], off
	s_movk_i32 s24, 0x7f
	s_mov_b64 s[26:27], 0
	s_waitcnt vmcnt(0)
	v_cmp_lt_i16_e32 vcc, s24, v4
	s_and_saveexec_b64 s[24:25], vcc
	s_xor_b64 s[24:25], exec, s[24:25]
	s_cbranch_execz .LBB78_2286
; %bb.2270:
	s_movk_i32 s26, 0x80
	v_cmp_ne_u16_e32 vcc, s26, v4
	s_and_b64 s[26:27], vcc, exec
	s_andn2_saveexec_b64 s[24:25], s[24:25]
	s_cbranch_execnz .LBB78_2287
.LBB78_2271:
	s_or_b64 exec, exec, s[24:25]
	v_mov_b32_e32 v3, 0
	s_and_saveexec_b64 s[24:25], s[26:27]
	s_cbranch_execz .LBB78_2273
.LBB78_2272:
	v_lshlrev_b32_e32 v3, 24, v4
	v_and_b32_e32 v4, 0xffff, v4
	v_and_b32_e32 v8, 7, v4
	v_ffbh_u32_e32 v10, v8
	v_min_u32_e32 v10, 32, v10
	v_subrev_u32_e32 v11, 28, v10
	v_bfe_u32 v9, v4, 3, 4
	v_lshlrev_b32_e32 v4, v11, v4
	v_sub_u32_e32 v10, 29, v10
	v_and_b32_e32 v4, 7, v4
	v_cmp_eq_u32_e32 vcc, 0, v9
	v_cndmask_b32_e32 v9, v9, v10, vcc
	v_cndmask_b32_e32 v4, v8, v4, vcc
	v_mov_b32_e32 v8, 0x3b800000
	v_lshlrev_b32_e32 v4, 20, v4
	v_and_b32_e32 v3, 0x80000000, v3
	v_lshl_add_u32 v8, v9, 23, v8
	v_or3_b32 v3, v3, v8, v4
	v_cvt_i32_f32_e32 v3, v3
.LBB78_2273:
	s_or_b64 exec, exec, s[24:25]
.LBB78_2274:
	s_mov_b64 s[24:25], -1
.LBB78_2275:
	s_mov_b64 s[26:27], 0
.LBB78_2276:
	s_and_b64 vcc, exec, s[26:27]
	s_cbranch_vccz .LBB78_2307
; %bb.2277:
	s_cmp_gt_i32 s30, 22
	s_cbranch_scc0 .LBB78_2285
; %bb.2278:
	s_cmp_lt_i32 s30, 24
	s_cbranch_scc1 .LBB78_2288
; %bb.2279:
	s_cmp_gt_i32 s30, 24
	s_cbranch_scc0 .LBB78_2289
; %bb.2280:
	global_load_ubyte v4, v[1:2], off
	s_movk_i32 s22, 0x7f
	s_mov_b64 s[24:25], 0
	s_waitcnt vmcnt(0)
	v_cmp_lt_i16_e32 vcc, s22, v4
	s_and_saveexec_b64 s[22:23], vcc
	s_xor_b64 s[22:23], exec, s[22:23]
	s_cbranch_execz .LBB78_2301
; %bb.2281:
	s_movk_i32 s24, 0x80
	v_cmp_ne_u16_e32 vcc, s24, v4
	s_and_b64 s[24:25], vcc, exec
	s_andn2_saveexec_b64 s[22:23], s[22:23]
	s_cbranch_execnz .LBB78_2302
.LBB78_2282:
	s_or_b64 exec, exec, s[22:23]
	v_mov_b32_e32 v3, 0
	s_and_saveexec_b64 s[22:23], s[24:25]
	s_cbranch_execz .LBB78_2284
.LBB78_2283:
	v_lshlrev_b32_e32 v3, 24, v4
	v_and_b32_e32 v4, 0xffff, v4
	v_and_b32_e32 v8, 3, v4
	v_ffbh_u32_e32 v10, v8
	v_min_u32_e32 v10, 32, v10
	v_subrev_u32_e32 v11, 29, v10
	v_bfe_u32 v9, v4, 2, 5
	v_lshlrev_b32_e32 v4, v11, v4
	v_sub_u32_e32 v10, 30, v10
	v_and_b32_e32 v4, 3, v4
	v_cmp_eq_u32_e32 vcc, 0, v9
	v_cndmask_b32_e32 v9, v9, v10, vcc
	v_cndmask_b32_e32 v4, v8, v4, vcc
	v_mov_b32_e32 v8, 0x37800000
	v_lshlrev_b32_e32 v4, 21, v4
	v_and_b32_e32 v3, 0x80000000, v3
	v_lshl_add_u32 v8, v9, 23, v8
	v_or3_b32 v3, v3, v8, v4
	v_cvt_i32_f32_e32 v3, v3
.LBB78_2284:
	s_or_b64 exec, exec, s[22:23]
	s_mov_b64 s[22:23], 0
	s_branch .LBB78_2290
.LBB78_2285:
	s_mov_b64 s[22:23], -1
                                        ; implicit-def: $vgpr3
	s_branch .LBB78_2296
.LBB78_2286:
	s_andn2_saveexec_b64 s[24:25], s[24:25]
	s_cbranch_execz .LBB78_2271
.LBB78_2287:
	v_cmp_ne_u16_e32 vcc, 0, v4
	s_andn2_b64 s[26:27], s[26:27], exec
	s_and_b64 s[34:35], vcc, exec
	s_or_b64 s[26:27], s[26:27], s[34:35]
	s_or_b64 exec, exec, s[24:25]
	v_mov_b32_e32 v3, 0
	s_and_saveexec_b64 s[24:25], s[26:27]
	s_cbranch_execnz .LBB78_2272
	s_branch .LBB78_2273
.LBB78_2288:
	s_mov_b64 s[22:23], -1
                                        ; implicit-def: $vgpr3
	s_branch .LBB78_2293
.LBB78_2289:
	s_mov_b64 s[22:23], -1
                                        ; implicit-def: $vgpr3
.LBB78_2290:
	s_and_b64 vcc, exec, s[22:23]
	s_cbranch_vccz .LBB78_2292
; %bb.2291:
	global_load_ubyte v3, v[1:2], off
	s_mov_b32 s22, 0x7f800000
	s_waitcnt vmcnt(0)
	v_lshlrev_b32_e32 v3, 24, v3
	v_and_b32_e32 v4, 0x7f000000, v3
	v_ffbh_u32_e32 v8, v4
	v_min_u32_e32 v8, 32, v8
	v_sub_u32_e64 v8, v8, 4 clamp
	v_lshlrev_b32_e32 v10, v8, v4
	v_lshlrev_b32_e32 v8, 23, v8
	v_lshrrev_b32_e32 v10, 4, v10
	v_add_u32_e32 v9, 0x1000000, v4
	v_sub_u32_e32 v8, v10, v8
	v_ashrrev_i32_e32 v9, 8, v9
	v_add_u32_e32 v8, 0x3c000000, v8
	v_and_or_b32 v8, v9, s22, v8
	v_cmp_ne_u32_e32 vcc, 0, v4
	v_cndmask_b32_e32 v4, 0, v8, vcc
	s_brev_b32 s22, 1
	v_and_or_b32 v3, v3, s22, v4
	v_cvt_i32_f32_e32 v3, v3
.LBB78_2292:
	s_mov_b64 s[22:23], 0
.LBB78_2293:
	s_andn2_b64 vcc, exec, s[22:23]
	s_cbranch_vccnz .LBB78_2295
; %bb.2294:
	global_load_ubyte v3, v[1:2], off
	s_movk_i32 s22, 0x7f00
	s_brev_b32 s23, 16
	s_waitcnt vmcnt(0)
	v_lshlrev_b16_e32 v4, 8, v3
	v_lshlrev_b32_e32 v3, 25, v3
	v_lshrrev_b32_e32 v8, 4, v3
	v_and_or_b32 v9, v4, s22, 0.5
	v_or_b32_e32 v8, 0x70000000, v8
	v_add_f32_e32 v9, -0.5, v9
	v_mul_f32_e32 v8, 0x7800000, v8
	v_cmp_gt_u32_e32 vcc, s23, v3
	v_bfe_i32 v4, v4, 0, 16
	v_cndmask_b32_e32 v3, v8, v9, vcc
	s_brev_b32 s22, 1
	v_and_or_b32 v3, v4, s22, v3
	v_cvt_i32_f32_e32 v3, v3
.LBB78_2295:
	s_mov_b64 s[22:23], 0
	s_mov_b64 s[24:25], -1
.LBB78_2296:
	s_andn2_b64 vcc, exec, s[22:23]
	s_mov_b64 s[22:23], 0
	s_cbranch_vccnz .LBB78_2307
; %bb.2297:
	s_cmp_gt_i32 s30, 14
	s_cbranch_scc0 .LBB78_2300
; %bb.2298:
	s_cmp_eq_u32 s30, 15
	s_cbranch_scc0 .LBB78_2303
; %bb.2299:
	global_load_ushort v3, v[1:2], off
	s_mov_b64 s[0:1], 0
	s_mov_b64 s[24:25], -1
	s_waitcnt vmcnt(0)
	v_lshlrev_b32_e32 v3, 16, v3
	v_cvt_i32_f32_e32 v3, v3
	s_branch .LBB78_2304
.LBB78_2300:
	s_mov_b64 s[26:27], -1
                                        ; implicit-def: $vgpr3
	s_branch .LBB78_2305
.LBB78_2301:
	s_andn2_saveexec_b64 s[22:23], s[22:23]
	s_cbranch_execz .LBB78_2282
.LBB78_2302:
	v_cmp_ne_u16_e32 vcc, 0, v4
	s_andn2_b64 s[24:25], s[24:25], exec
	s_and_b64 s[26:27], vcc, exec
	s_or_b64 s[24:25], s[24:25], s[26:27]
	s_or_b64 exec, exec, s[22:23]
	v_mov_b32_e32 v3, 0
	s_and_saveexec_b64 s[22:23], s[24:25]
	s_cbranch_execnz .LBB78_2283
	s_branch .LBB78_2284
.LBB78_2303:
	s_mov_b64 s[0:1], -1
                                        ; implicit-def: $vgpr3
.LBB78_2304:
	s_mov_b64 s[26:27], 0
.LBB78_2305:
	s_and_b64 vcc, exec, s[26:27]
	s_cbranch_vccz .LBB78_2307
; %bb.2306:
	s_cmp_lg_u32 s30, 11
	s_mov_b64 s[22:23], -1
	s_cselect_b64 s[0:1], -1, 0
.LBB78_2307:
	s_and_b64 vcc, exec, s[0:1]
	s_cbranch_vccnz .LBB78_2389
; %bb.2308:
	s_andn2_b64 vcc, exec, s[22:23]
	s_cbranch_vccnz .LBB78_2310
.LBB78_2309:
	global_load_ubyte v3, v[1:2], off
	s_mov_b64 s[24:25], -1
	s_waitcnt vmcnt(0)
	v_cmp_ne_u16_e32 vcc, 0, v3
	v_cndmask_b32_e64 v3, 0, 1, vcc
.LBB78_2310:
	s_mov_b64 s[0:1], 0
.LBB78_2311:
	s_and_b64 vcc, exec, s[0:1]
	s_cbranch_vccz .LBB78_2360
; %bb.2312:
	s_and_b32 s22, 0xffff, s29
	s_cmp_lt_i32 s22, 5
	s_cbranch_scc1 .LBB78_2317
; %bb.2313:
	s_cmp_lt_i32 s22, 8
	s_cbranch_scc1 .LBB78_2318
; %bb.2314:
	;; [unrolled: 3-line block ×3, first 2 shown]
	s_cmp_gt_i32 s22, 9
	s_cbranch_scc0 .LBB78_2320
; %bb.2316:
	global_load_dwordx2 v[3:4], v[1:2], off
	s_mov_b64 s[0:1], 0
	s_waitcnt vmcnt(0)
	v_cvt_i32_f64_e32 v3, v[3:4]
	s_branch .LBB78_2321
.LBB78_2317:
	s_mov_b64 s[0:1], -1
                                        ; implicit-def: $vgpr3
	s_branch .LBB78_2339
.LBB78_2318:
	s_mov_b64 s[0:1], -1
                                        ; implicit-def: $vgpr3
	s_branch .LBB78_2327
.LBB78_2319:
	s_mov_b64 s[0:1], -1
                                        ; implicit-def: $vgpr3
	s_branch .LBB78_2324
.LBB78_2320:
	s_mov_b64 s[0:1], -1
                                        ; implicit-def: $vgpr3
.LBB78_2321:
	s_andn2_b64 vcc, exec, s[0:1]
	s_cbranch_vccnz .LBB78_2323
; %bb.2322:
	global_load_dword v3, v[1:2], off
	s_waitcnt vmcnt(0)
	v_cvt_i32_f32_e32 v3, v3
.LBB78_2323:
	s_mov_b64 s[0:1], 0
.LBB78_2324:
	s_andn2_b64 vcc, exec, s[0:1]
	s_cbranch_vccnz .LBB78_2326
; %bb.2325:
	global_load_dword v3, v[1:2], off
	s_waitcnt vmcnt(0)
	v_cvt_i16_f16_e32 v3, v3
.LBB78_2326:
	s_mov_b64 s[0:1], 0
.LBB78_2327:
	s_andn2_b64 vcc, exec, s[0:1]
	s_cbranch_vccnz .LBB78_2338
; %bb.2328:
	s_cmp_lt_i32 s22, 6
	s_cbranch_scc1 .LBB78_2331
; %bb.2329:
	s_cmp_gt_i32 s22, 6
	s_cbranch_scc0 .LBB78_2332
; %bb.2330:
	global_load_dwordx2 v[3:4], v[1:2], off
	s_mov_b64 s[0:1], 0
	s_waitcnt vmcnt(0)
	v_cvt_i32_f64_e32 v3, v[3:4]
	s_branch .LBB78_2333
.LBB78_2331:
	s_mov_b64 s[0:1], -1
                                        ; implicit-def: $vgpr3
	s_branch .LBB78_2336
.LBB78_2332:
	s_mov_b64 s[0:1], -1
                                        ; implicit-def: $vgpr3
.LBB78_2333:
	s_andn2_b64 vcc, exec, s[0:1]
	s_cbranch_vccnz .LBB78_2335
; %bb.2334:
	global_load_dword v3, v[1:2], off
	s_waitcnt vmcnt(0)
	v_cvt_i32_f32_e32 v3, v3
.LBB78_2335:
	s_mov_b64 s[0:1], 0
.LBB78_2336:
	s_andn2_b64 vcc, exec, s[0:1]
	s_cbranch_vccnz .LBB78_2338
; %bb.2337:
	global_load_ushort v3, v[1:2], off
	s_waitcnt vmcnt(0)
	v_cvt_i16_f16_e32 v3, v3
.LBB78_2338:
	s_mov_b64 s[0:1], 0
.LBB78_2339:
	s_andn2_b64 vcc, exec, s[0:1]
	s_cbranch_vccnz .LBB78_2359
; %bb.2340:
	s_cmp_lt_i32 s22, 2
	s_cbranch_scc1 .LBB78_2344
; %bb.2341:
	s_cmp_lt_i32 s22, 3
	s_cbranch_scc1 .LBB78_2345
; %bb.2342:
	s_cmp_gt_i32 s22, 3
	s_cbranch_scc0 .LBB78_2346
; %bb.2343:
	global_load_dwordx2 v[3:4], v[1:2], off
	s_mov_b64 s[0:1], 0
	s_branch .LBB78_2347
.LBB78_2344:
	s_mov_b64 s[0:1], -1
                                        ; implicit-def: $vgpr3
	s_branch .LBB78_2353
.LBB78_2345:
	s_mov_b64 s[0:1], -1
                                        ; implicit-def: $vgpr3
	s_branch .LBB78_2350
.LBB78_2346:
	s_mov_b64 s[0:1], -1
                                        ; implicit-def: $vgpr3
.LBB78_2347:
	s_andn2_b64 vcc, exec, s[0:1]
	s_cbranch_vccnz .LBB78_2349
; %bb.2348:
	global_load_dword v3, v[1:2], off
.LBB78_2349:
	s_mov_b64 s[0:1], 0
.LBB78_2350:
	s_andn2_b64 vcc, exec, s[0:1]
	s_cbranch_vccnz .LBB78_2352
; %bb.2351:
	global_load_ushort v3, v[1:2], off
.LBB78_2352:
	s_mov_b64 s[0:1], 0
.LBB78_2353:
	s_andn2_b64 vcc, exec, s[0:1]
	s_cbranch_vccnz .LBB78_2359
; %bb.2354:
	s_cmp_gt_i32 s22, 0
	s_cbranch_scc0 .LBB78_2356
; %bb.2355:
	global_load_sbyte v3, v[1:2], off
	s_mov_b64 s[0:1], 0
	s_branch .LBB78_2357
.LBB78_2356:
	s_mov_b64 s[0:1], -1
                                        ; implicit-def: $vgpr3
.LBB78_2357:
	s_andn2_b64 vcc, exec, s[0:1]
	s_cbranch_vccnz .LBB78_2359
; %bb.2358:
	global_load_ubyte v3, v[1:2], off
.LBB78_2359:
	s_mov_b64 s[24:25], -1
.LBB78_2360:
	s_andn2_b64 vcc, exec, s[24:25]
	s_cbranch_vccnz .LBB78_2634
; %bb.2361:
	s_cmp_lt_i32 s15, 1
	s_mov_b64 s[0:1], 0
	s_cbranch_scc1 .LBB78_2365
; %bb.2362:
	s_cmp_gt_i32 s15, 1
	s_cbranch_scc0 .LBB78_2366
; %bb.2363:
	s_cmp_eq_u32 s15, 2
	s_cbranch_scc0 .LBB78_2367
; %bb.2364:
	s_waitcnt vmcnt(0)
	v_cmp_le_i16_e64 s[22:23], v0, v3
	s_mov_b64 s[24:25], 0
	s_branch .LBB78_2368
.LBB78_2365:
	s_mov_b64 s[26:27], -1
                                        ; implicit-def: $sgpr22_sgpr23
	s_mov_b64 s[24:25], 0
	s_branch .LBB78_2372
.LBB78_2366:
	s_mov_b64 s[26:27], -1
	s_mov_b64 s[24:25], 0
                                        ; implicit-def: $sgpr22_sgpr23
	s_branch .LBB78_2369
.LBB78_2367:
	s_mov_b64 s[24:25], -1
                                        ; implicit-def: $sgpr22_sgpr23
.LBB78_2368:
	s_mov_b64 s[26:27], 0
.LBB78_2369:
	s_and_b64 vcc, exec, s[26:27]
	s_cbranch_vccz .LBB78_2371
; %bb.2370:
	s_waitcnt vmcnt(0)
	v_cmp_gt_i16_e32 vcc, v0, v3
	s_andn2_b64 s[22:23], s[22:23], exec
	s_and_b64 s[26:27], vcc, exec
	s_or_b64 s[22:23], s[22:23], s[26:27]
.LBB78_2371:
	s_mov_b64 s[26:27], 0
.LBB78_2372:
	s_and_b64 vcc, exec, s[26:27]
	s_cbranch_vccz .LBB78_2383
; %bb.2373:
	s_cmp_lg_u32 s15, 0
	s_mov_b64 s[0:1], -1
	s_cselect_b64 s[24:25], -1, 0
	s_andn2_b64 vcc, exec, s[24:25]
	s_cbranch_vccz .LBB78_2384
.LBB78_2374:
	s_andn2_b64 vcc, exec, s[0:1]
	s_cbranch_vccnz .LBB78_2376
.LBB78_2375:
	s_waitcnt vmcnt(0)
	v_cmp_ge_i16_e32 vcc, v0, v3
	s_andn2_b64 s[0:1], s[22:23], exec
	s_and_b64 s[22:23], vcc, exec
	s_or_b64 s[22:23], s[0:1], s[22:23]
.LBB78_2376:
	v_add_u32_e32 v0, s13, v6
	v_ashrrev_i32_e32 v1, 31, v0
	s_waitcnt vmcnt(0)
	v_mov_b32_e32 v3, s11
	v_add_co_u32_e32 v2, vcc, s10, v0
	s_cmp_lt_i32 s28, 11
	v_addc_co_u32_e32 v3, vcc, v3, v1, vcc
	s_cbranch_scc1 .LBB78_2385
; %bb.2377:
	s_and_b32 s13, 0xffff, s28
	s_cmp_gt_i32 s13, 25
	s_mov_b64 s[10:11], 0
	s_cbranch_scc0 .LBB78_2386
; %bb.2378:
	s_cmp_gt_i32 s13, 28
	s_cbranch_scc0 .LBB78_2387
; %bb.2379:
	s_cmp_gt_i32 s13, 43
	;; [unrolled: 3-line block ×3, first 2 shown]
	s_cbranch_scc0 .LBB78_2390
; %bb.2381:
	s_cmp_eq_u32 s13, 46
	s_mov_b64 s[26:27], 0
	s_cbranch_scc0 .LBB78_2391
; %bb.2382:
	global_load_dword v0, v[2:3], off
	s_mov_b64 s[0:1], 0
	s_mov_b64 s[24:25], -1
	s_waitcnt vmcnt(0)
	v_lshlrev_b32_e32 v0, 16, v0
	v_cvt_i32_f32_e32 v0, v0
	s_branch .LBB78_2392
.LBB78_2383:
	s_andn2_b64 vcc, exec, s[24:25]
	s_cbranch_vccnz .LBB78_2374
.LBB78_2384:
	s_waitcnt vmcnt(0)
	v_cmp_lt_i16_e32 vcc, v0, v3
	s_andn2_b64 s[22:23], s[22:23], exec
	s_and_b64 s[24:25], vcc, exec
	s_or_b64 s[22:23], s[22:23], s[24:25]
	s_cbranch_execz .LBB78_2375
	s_branch .LBB78_2376
.LBB78_2385:
	s_mov_b64 s[0:1], -1
	s_mov_b64 s[24:25], 0
                                        ; implicit-def: $vgpr0
	s_branch .LBB78_2454
.LBB78_2386:
	s_mov_b64 s[26:27], -1
	s_mov_b64 s[24:25], 0
	s_mov_b64 s[0:1], 0
                                        ; implicit-def: $vgpr0
	s_branch .LBB78_2419
.LBB78_2387:
	s_mov_b64 s[26:27], -1
	s_mov_b64 s[24:25], 0
	s_mov_b64 s[0:1], 0
                                        ; implicit-def: $vgpr0
	s_branch .LBB78_2402
.LBB78_2388:
	s_mov_b64 s[26:27], -1
	s_mov_b64 s[24:25], 0
	s_mov_b64 s[0:1], 0
                                        ; implicit-def: $vgpr0
	s_branch .LBB78_2397
.LBB78_2389:
	s_trap 2
	s_or_b64 s[18:19], s[18:19], exec
	s_cbranch_execz .LBB78_2309
	s_branch .LBB78_2310
.LBB78_2390:
	s_mov_b64 s[26:27], -1
	s_mov_b64 s[24:25], 0
	s_mov_b64 s[0:1], 0
                                        ; implicit-def: $vgpr0
	s_branch .LBB78_2392
.LBB78_2391:
	s_mov_b64 s[0:1], -1
                                        ; implicit-def: $vgpr0
	s_mov_b64 s[24:25], 0
.LBB78_2392:
	s_and_b64 vcc, exec, s[26:27]
	s_cbranch_vccz .LBB78_2396
; %bb.2393:
	s_cmp_eq_u32 s13, 44
	s_cbranch_scc0 .LBB78_2395
; %bb.2394:
	global_load_ubyte v0, v[2:3], off
	s_mov_b64 s[0:1], 0
	s_mov_b64 s[24:25], -1
	s_waitcnt vmcnt(0)
	v_lshlrev_b32_e32 v1, 23, v0
	v_cvt_i32_f32_e32 v1, v1
	v_cmp_ne_u32_e32 vcc, 0, v0
	v_cndmask_b32_e32 v0, 0, v1, vcc
	s_branch .LBB78_2396
.LBB78_2395:
	s_mov_b64 s[0:1], -1
                                        ; implicit-def: $vgpr0
.LBB78_2396:
	s_mov_b64 s[26:27], 0
.LBB78_2397:
	s_and_b64 vcc, exec, s[26:27]
	s_cbranch_vccz .LBB78_2401
; %bb.2398:
	s_cmp_eq_u32 s13, 29
	s_cbranch_scc0 .LBB78_2400
; %bb.2399:
	global_load_dwordx2 v[0:1], v[2:3], off
	s_mov_b64 s[0:1], 0
	s_mov_b64 s[24:25], -1
	s_branch .LBB78_2401
.LBB78_2400:
	s_mov_b64 s[0:1], -1
                                        ; implicit-def: $vgpr0
.LBB78_2401:
	s_mov_b64 s[26:27], 0
.LBB78_2402:
	s_and_b64 vcc, exec, s[26:27]
	s_cbranch_vccz .LBB78_2418
; %bb.2403:
	s_cmp_lt_i32 s13, 27
	s_cbranch_scc1 .LBB78_2406
; %bb.2404:
	s_cmp_gt_i32 s13, 27
	s_cbranch_scc0 .LBB78_2407
; %bb.2405:
	global_load_dword v0, v[2:3], off
	s_mov_b64 s[24:25], 0
	s_branch .LBB78_2408
.LBB78_2406:
	s_mov_b64 s[24:25], -1
                                        ; implicit-def: $vgpr0
	s_branch .LBB78_2411
.LBB78_2407:
	s_mov_b64 s[24:25], -1
                                        ; implicit-def: $vgpr0
.LBB78_2408:
	s_andn2_b64 vcc, exec, s[24:25]
	s_cbranch_vccnz .LBB78_2410
; %bb.2409:
	global_load_ushort v0, v[2:3], off
.LBB78_2410:
	s_mov_b64 s[24:25], 0
.LBB78_2411:
	s_andn2_b64 vcc, exec, s[24:25]
	s_cbranch_vccnz .LBB78_2417
; %bb.2412:
	global_load_ubyte v1, v[2:3], off
	s_movk_i32 s24, 0x7f
	s_mov_b64 s[26:27], 0
	s_waitcnt vmcnt(0)
	v_cmp_lt_i16_e32 vcc, s24, v1
	s_and_saveexec_b64 s[24:25], vcc
	s_xor_b64 s[24:25], exec, s[24:25]
	s_cbranch_execz .LBB78_2429
; %bb.2413:
	s_movk_i32 s26, 0x80
	v_cmp_ne_u16_e32 vcc, s26, v1
	s_and_b64 s[26:27], vcc, exec
	s_andn2_saveexec_b64 s[24:25], s[24:25]
	s_cbranch_execnz .LBB78_2430
.LBB78_2414:
	s_or_b64 exec, exec, s[24:25]
	v_mov_b32_e32 v0, 0
	s_and_saveexec_b64 s[24:25], s[26:27]
	s_cbranch_execz .LBB78_2416
.LBB78_2415:
	v_lshlrev_b32_e32 v0, 24, v1
	v_and_b32_e32 v1, 0xffff, v1
	v_and_b32_e32 v4, 7, v1
	v_ffbh_u32_e32 v8, v4
	v_min_u32_e32 v8, 32, v8
	v_subrev_u32_e32 v9, 28, v8
	v_bfe_u32 v6, v1, 3, 4
	v_lshlrev_b32_e32 v1, v9, v1
	v_sub_u32_e32 v8, 29, v8
	v_and_b32_e32 v1, 7, v1
	v_cmp_eq_u32_e32 vcc, 0, v6
	v_cndmask_b32_e32 v6, v6, v8, vcc
	v_cndmask_b32_e32 v1, v4, v1, vcc
	v_mov_b32_e32 v4, 0x3b800000
	v_lshlrev_b32_e32 v1, 20, v1
	v_and_b32_e32 v0, 0x80000000, v0
	v_lshl_add_u32 v4, v6, 23, v4
	v_or3_b32 v0, v0, v4, v1
	v_cvt_i32_f32_e32 v0, v0
.LBB78_2416:
	s_or_b64 exec, exec, s[24:25]
.LBB78_2417:
	s_mov_b64 s[24:25], -1
.LBB78_2418:
	s_mov_b64 s[26:27], 0
.LBB78_2419:
	s_and_b64 vcc, exec, s[26:27]
	s_cbranch_vccz .LBB78_2450
; %bb.2420:
	s_cmp_gt_i32 s13, 22
	s_cbranch_scc0 .LBB78_2428
; %bb.2421:
	s_cmp_lt_i32 s13, 24
	s_cbranch_scc1 .LBB78_2431
; %bb.2422:
	s_cmp_gt_i32 s13, 24
	s_cbranch_scc0 .LBB78_2432
; %bb.2423:
	global_load_ubyte v1, v[2:3], off
	s_movk_i32 s10, 0x7f
	s_mov_b64 s[24:25], 0
	s_waitcnt vmcnt(0)
	v_cmp_lt_i16_e32 vcc, s10, v1
	s_and_saveexec_b64 s[10:11], vcc
	s_xor_b64 s[10:11], exec, s[10:11]
	s_cbranch_execz .LBB78_2444
; %bb.2424:
	s_movk_i32 s24, 0x80
	v_cmp_ne_u16_e32 vcc, s24, v1
	s_and_b64 s[24:25], vcc, exec
	s_andn2_saveexec_b64 s[10:11], s[10:11]
	s_cbranch_execnz .LBB78_2445
.LBB78_2425:
	s_or_b64 exec, exec, s[10:11]
	v_mov_b32_e32 v0, 0
	s_and_saveexec_b64 s[10:11], s[24:25]
	s_cbranch_execz .LBB78_2427
.LBB78_2426:
	v_lshlrev_b32_e32 v0, 24, v1
	v_and_b32_e32 v1, 0xffff, v1
	v_and_b32_e32 v4, 3, v1
	v_ffbh_u32_e32 v8, v4
	v_min_u32_e32 v8, 32, v8
	v_subrev_u32_e32 v9, 29, v8
	v_bfe_u32 v6, v1, 2, 5
	v_lshlrev_b32_e32 v1, v9, v1
	v_sub_u32_e32 v8, 30, v8
	v_and_b32_e32 v1, 3, v1
	v_cmp_eq_u32_e32 vcc, 0, v6
	v_cndmask_b32_e32 v6, v6, v8, vcc
	v_cndmask_b32_e32 v1, v4, v1, vcc
	v_mov_b32_e32 v4, 0x37800000
	v_lshlrev_b32_e32 v1, 21, v1
	v_and_b32_e32 v0, 0x80000000, v0
	v_lshl_add_u32 v4, v6, 23, v4
	v_or3_b32 v0, v0, v4, v1
	v_cvt_i32_f32_e32 v0, v0
.LBB78_2427:
	s_or_b64 exec, exec, s[10:11]
	s_mov_b64 s[10:11], 0
	s_branch .LBB78_2433
.LBB78_2428:
	s_mov_b64 s[10:11], -1
                                        ; implicit-def: $vgpr0
	s_branch .LBB78_2439
.LBB78_2429:
	s_andn2_saveexec_b64 s[24:25], s[24:25]
	s_cbranch_execz .LBB78_2414
.LBB78_2430:
	v_cmp_ne_u16_e32 vcc, 0, v1
	s_andn2_b64 s[26:27], s[26:27], exec
	s_and_b64 s[30:31], vcc, exec
	s_or_b64 s[26:27], s[26:27], s[30:31]
	s_or_b64 exec, exec, s[24:25]
	v_mov_b32_e32 v0, 0
	s_and_saveexec_b64 s[24:25], s[26:27]
	s_cbranch_execnz .LBB78_2415
	s_branch .LBB78_2416
.LBB78_2431:
	s_mov_b64 s[10:11], -1
                                        ; implicit-def: $vgpr0
	s_branch .LBB78_2436
.LBB78_2432:
	s_mov_b64 s[10:11], -1
                                        ; implicit-def: $vgpr0
.LBB78_2433:
	s_and_b64 vcc, exec, s[10:11]
	s_cbranch_vccz .LBB78_2435
; %bb.2434:
	global_load_ubyte v0, v[2:3], off
	s_mov_b32 s10, 0x7f800000
	s_waitcnt vmcnt(0)
	v_lshlrev_b32_e32 v0, 24, v0
	v_and_b32_e32 v1, 0x7f000000, v0
	v_ffbh_u32_e32 v4, v1
	v_min_u32_e32 v4, 32, v4
	v_sub_u32_e64 v4, v4, 4 clamp
	v_lshlrev_b32_e32 v8, v4, v1
	v_lshlrev_b32_e32 v4, 23, v4
	v_lshrrev_b32_e32 v8, 4, v8
	v_add_u32_e32 v6, 0x1000000, v1
	v_sub_u32_e32 v4, v8, v4
	v_ashrrev_i32_e32 v6, 8, v6
	v_add_u32_e32 v4, 0x3c000000, v4
	v_and_or_b32 v4, v6, s10, v4
	v_cmp_ne_u32_e32 vcc, 0, v1
	v_cndmask_b32_e32 v1, 0, v4, vcc
	s_brev_b32 s10, 1
	v_and_or_b32 v0, v0, s10, v1
	v_cvt_i32_f32_e32 v0, v0
.LBB78_2435:
	s_mov_b64 s[10:11], 0
.LBB78_2436:
	s_andn2_b64 vcc, exec, s[10:11]
	s_cbranch_vccnz .LBB78_2438
; %bb.2437:
	global_load_ubyte v0, v[2:3], off
	s_movk_i32 s10, 0x7f00
	s_brev_b32 s11, 16
	s_waitcnt vmcnt(0)
	v_lshlrev_b16_e32 v1, 8, v0
	v_lshlrev_b32_e32 v0, 25, v0
	v_lshrrev_b32_e32 v4, 4, v0
	v_and_or_b32 v6, v1, s10, 0.5
	v_or_b32_e32 v4, 0x70000000, v4
	v_add_f32_e32 v6, -0.5, v6
	v_mul_f32_e32 v4, 0x7800000, v4
	v_cmp_gt_u32_e32 vcc, s11, v0
	v_bfe_i32 v1, v1, 0, 16
	v_cndmask_b32_e32 v0, v4, v6, vcc
	s_brev_b32 s10, 1
	v_and_or_b32 v0, v1, s10, v0
	v_cvt_i32_f32_e32 v0, v0
.LBB78_2438:
	s_mov_b64 s[10:11], 0
	s_mov_b64 s[24:25], -1
.LBB78_2439:
	s_andn2_b64 vcc, exec, s[10:11]
	s_mov_b64 s[10:11], 0
	s_cbranch_vccnz .LBB78_2450
; %bb.2440:
	s_cmp_gt_i32 s13, 14
	s_cbranch_scc0 .LBB78_2443
; %bb.2441:
	s_cmp_eq_u32 s13, 15
	s_cbranch_scc0 .LBB78_2446
; %bb.2442:
	global_load_ushort v0, v[2:3], off
	s_mov_b64 s[0:1], 0
	s_mov_b64 s[24:25], -1
	s_waitcnt vmcnt(0)
	v_lshlrev_b32_e32 v0, 16, v0
	v_cvt_i32_f32_e32 v0, v0
	s_branch .LBB78_2447
.LBB78_2443:
	s_mov_b64 s[26:27], -1
                                        ; implicit-def: $vgpr0
	s_branch .LBB78_2448
.LBB78_2444:
	s_andn2_saveexec_b64 s[10:11], s[10:11]
	s_cbranch_execz .LBB78_2425
.LBB78_2445:
	v_cmp_ne_u16_e32 vcc, 0, v1
	s_andn2_b64 s[24:25], s[24:25], exec
	s_and_b64 s[26:27], vcc, exec
	s_or_b64 s[24:25], s[24:25], s[26:27]
	s_or_b64 exec, exec, s[10:11]
	v_mov_b32_e32 v0, 0
	s_and_saveexec_b64 s[10:11], s[24:25]
	s_cbranch_execnz .LBB78_2426
	s_branch .LBB78_2427
.LBB78_2446:
	s_mov_b64 s[0:1], -1
                                        ; implicit-def: $vgpr0
.LBB78_2447:
	s_mov_b64 s[26:27], 0
.LBB78_2448:
	s_and_b64 vcc, exec, s[26:27]
	s_cbranch_vccz .LBB78_2450
; %bb.2449:
	s_cmp_lg_u32 s13, 11
	s_mov_b64 s[10:11], -1
	s_cselect_b64 s[0:1], -1, 0
.LBB78_2450:
	s_and_b64 vcc, exec, s[0:1]
	s_cbranch_vccnz .LBB78_2515
; %bb.2451:
	s_andn2_b64 vcc, exec, s[10:11]
	s_cbranch_vccnz .LBB78_2453
.LBB78_2452:
	global_load_ubyte v0, v[2:3], off
	s_mov_b64 s[24:25], -1
	s_waitcnt vmcnt(0)
	v_cmp_ne_u16_e32 vcc, 0, v0
	v_cndmask_b32_e64 v0, 0, 1, vcc
.LBB78_2453:
	s_mov_b64 s[0:1], 0
.LBB78_2454:
	s_and_b64 vcc, exec, s[0:1]
	s_cbranch_vccz .LBB78_2503
; %bb.2455:
	s_and_b32 s10, 0xffff, s28
	s_cmp_lt_i32 s10, 5
	s_cbranch_scc1 .LBB78_2460
; %bb.2456:
	s_cmp_lt_i32 s10, 8
	s_cbranch_scc1 .LBB78_2461
; %bb.2457:
	;; [unrolled: 3-line block ×3, first 2 shown]
	s_cmp_gt_i32 s10, 9
	s_cbranch_scc0 .LBB78_2463
; %bb.2459:
	global_load_dwordx2 v[0:1], v[2:3], off
	s_mov_b64 s[0:1], 0
	s_waitcnt vmcnt(0)
	v_cvt_i32_f64_e32 v0, v[0:1]
	s_branch .LBB78_2464
.LBB78_2460:
	s_mov_b64 s[0:1], -1
                                        ; implicit-def: $vgpr0
	s_branch .LBB78_2482
.LBB78_2461:
	s_mov_b64 s[0:1], -1
                                        ; implicit-def: $vgpr0
	s_branch .LBB78_2470
.LBB78_2462:
	s_mov_b64 s[0:1], -1
                                        ; implicit-def: $vgpr0
	s_branch .LBB78_2467
.LBB78_2463:
	s_mov_b64 s[0:1], -1
                                        ; implicit-def: $vgpr0
.LBB78_2464:
	s_andn2_b64 vcc, exec, s[0:1]
	s_cbranch_vccnz .LBB78_2466
; %bb.2465:
	global_load_dword v0, v[2:3], off
	s_waitcnt vmcnt(0)
	v_cvt_i32_f32_e32 v0, v0
.LBB78_2466:
	s_mov_b64 s[0:1], 0
.LBB78_2467:
	s_andn2_b64 vcc, exec, s[0:1]
	s_cbranch_vccnz .LBB78_2469
; %bb.2468:
	global_load_dword v0, v[2:3], off
	s_waitcnt vmcnt(0)
	v_cvt_i16_f16_e32 v0, v0
.LBB78_2469:
	s_mov_b64 s[0:1], 0
.LBB78_2470:
	s_andn2_b64 vcc, exec, s[0:1]
	s_cbranch_vccnz .LBB78_2481
; %bb.2471:
	s_cmp_lt_i32 s10, 6
	s_cbranch_scc1 .LBB78_2474
; %bb.2472:
	s_cmp_gt_i32 s10, 6
	s_cbranch_scc0 .LBB78_2475
; %bb.2473:
	global_load_dwordx2 v[0:1], v[2:3], off
	s_mov_b64 s[0:1], 0
	s_waitcnt vmcnt(0)
	v_cvt_i32_f64_e32 v0, v[0:1]
	s_branch .LBB78_2476
.LBB78_2474:
	s_mov_b64 s[0:1], -1
                                        ; implicit-def: $vgpr0
	s_branch .LBB78_2479
.LBB78_2475:
	s_mov_b64 s[0:1], -1
                                        ; implicit-def: $vgpr0
.LBB78_2476:
	s_andn2_b64 vcc, exec, s[0:1]
	s_cbranch_vccnz .LBB78_2478
; %bb.2477:
	global_load_dword v0, v[2:3], off
	s_waitcnt vmcnt(0)
	v_cvt_i32_f32_e32 v0, v0
.LBB78_2478:
	s_mov_b64 s[0:1], 0
.LBB78_2479:
	s_andn2_b64 vcc, exec, s[0:1]
	s_cbranch_vccnz .LBB78_2481
; %bb.2480:
	global_load_ushort v0, v[2:3], off
	s_waitcnt vmcnt(0)
	v_cvt_i16_f16_e32 v0, v0
.LBB78_2481:
	s_mov_b64 s[0:1], 0
.LBB78_2482:
	s_andn2_b64 vcc, exec, s[0:1]
	s_cbranch_vccnz .LBB78_2502
; %bb.2483:
	s_cmp_lt_i32 s10, 2
	s_cbranch_scc1 .LBB78_2487
; %bb.2484:
	s_cmp_lt_i32 s10, 3
	s_cbranch_scc1 .LBB78_2488
; %bb.2485:
	s_cmp_gt_i32 s10, 3
	s_cbranch_scc0 .LBB78_2489
; %bb.2486:
	global_load_dwordx2 v[0:1], v[2:3], off
	s_mov_b64 s[0:1], 0
	s_branch .LBB78_2490
.LBB78_2487:
	s_mov_b64 s[0:1], -1
                                        ; implicit-def: $vgpr0
	s_branch .LBB78_2496
.LBB78_2488:
	s_mov_b64 s[0:1], -1
                                        ; implicit-def: $vgpr0
	s_branch .LBB78_2493
.LBB78_2489:
	s_mov_b64 s[0:1], -1
                                        ; implicit-def: $vgpr0
.LBB78_2490:
	s_andn2_b64 vcc, exec, s[0:1]
	s_cbranch_vccnz .LBB78_2492
; %bb.2491:
	global_load_dword v0, v[2:3], off
.LBB78_2492:
	s_mov_b64 s[0:1], 0
.LBB78_2493:
	s_andn2_b64 vcc, exec, s[0:1]
	s_cbranch_vccnz .LBB78_2495
; %bb.2494:
	global_load_ushort v0, v[2:3], off
.LBB78_2495:
	s_mov_b64 s[0:1], 0
.LBB78_2496:
	s_andn2_b64 vcc, exec, s[0:1]
	s_cbranch_vccnz .LBB78_2502
; %bb.2497:
	s_cmp_gt_i32 s10, 0
	s_cbranch_scc0 .LBB78_2499
; %bb.2498:
	global_load_sbyte v0, v[2:3], off
	s_mov_b64 s[0:1], 0
	s_branch .LBB78_2500
.LBB78_2499:
	s_mov_b64 s[0:1], -1
                                        ; implicit-def: $vgpr0
.LBB78_2500:
	s_andn2_b64 vcc, exec, s[0:1]
	s_cbranch_vccnz .LBB78_2502
; %bb.2501:
	global_load_ubyte v0, v[2:3], off
.LBB78_2502:
	s_mov_b64 s[24:25], -1
.LBB78_2503:
	s_andn2_b64 vcc, exec, s[24:25]
	s_cbranch_vccnz .LBB78_2634
; %bb.2504:
	s_waitcnt vmcnt(0)
	v_add_u32_e32 v1, s14, v7
	v_ashrrev_i32_e32 v2, 31, v1
	v_mov_b32_e32 v3, s3
	v_add_co_u32_e32 v1, vcc, s2, v1
	s_cmp_lt_i32 s29, 11
	v_addc_co_u32_e32 v2, vcc, v3, v2, vcc
	s_cbranch_scc1 .LBB78_2511
; %bb.2505:
	s_and_b32 s13, 0xffff, s29
	s_cmp_gt_i32 s13, 25
	s_mov_b64 s[2:3], 0
	s_cbranch_scc0 .LBB78_2512
; %bb.2506:
	s_cmp_gt_i32 s13, 28
	s_cbranch_scc0 .LBB78_2513
; %bb.2507:
	s_cmp_gt_i32 s13, 43
	;; [unrolled: 3-line block ×3, first 2 shown]
	s_cbranch_scc0 .LBB78_2516
; %bb.2509:
	s_cmp_eq_u32 s13, 46
	s_mov_b64 s[24:25], 0
	s_cbranch_scc0 .LBB78_2517
; %bb.2510:
	global_load_dword v3, v[1:2], off
	s_mov_b64 s[0:1], 0
	s_mov_b64 s[10:11], -1
	s_waitcnt vmcnt(0)
	v_lshlrev_b32_e32 v3, 16, v3
	v_cvt_i32_f32_e32 v3, v3
	s_branch .LBB78_2518
.LBB78_2511:
	s_mov_b64 s[0:1], -1
	s_mov_b64 s[10:11], 0
                                        ; implicit-def: $vgpr3
	s_branch .LBB78_2580
.LBB78_2512:
	s_mov_b64 s[24:25], -1
	s_mov_b64 s[10:11], 0
	s_mov_b64 s[0:1], 0
                                        ; implicit-def: $vgpr3
	s_branch .LBB78_2545
.LBB78_2513:
	s_mov_b64 s[24:25], -1
	s_mov_b64 s[10:11], 0
	s_mov_b64 s[0:1], 0
                                        ; implicit-def: $vgpr3
	s_branch .LBB78_2528
.LBB78_2514:
	s_mov_b64 s[24:25], -1
	s_mov_b64 s[10:11], 0
	s_mov_b64 s[0:1], 0
                                        ; implicit-def: $vgpr3
	s_branch .LBB78_2523
.LBB78_2515:
	s_trap 2
	s_or_b64 s[18:19], s[18:19], exec
	s_cbranch_execz .LBB78_2452
	s_branch .LBB78_2453
.LBB78_2516:
	s_mov_b64 s[24:25], -1
	s_mov_b64 s[10:11], 0
	s_mov_b64 s[0:1], 0
                                        ; implicit-def: $vgpr3
	s_branch .LBB78_2518
.LBB78_2517:
	s_mov_b64 s[0:1], -1
                                        ; implicit-def: $vgpr3
	s_mov_b64 s[10:11], 0
.LBB78_2518:
	s_and_b64 vcc, exec, s[24:25]
	s_cbranch_vccz .LBB78_2522
; %bb.2519:
	s_cmp_eq_u32 s13, 44
	s_cbranch_scc0 .LBB78_2521
; %bb.2520:
	global_load_ubyte v3, v[1:2], off
	s_mov_b64 s[0:1], 0
	s_mov_b64 s[10:11], -1
	s_waitcnt vmcnt(0)
	v_lshlrev_b32_e32 v4, 23, v3
	v_cvt_i32_f32_e32 v4, v4
	v_cmp_ne_u32_e32 vcc, 0, v3
	v_cndmask_b32_e32 v3, 0, v4, vcc
	s_branch .LBB78_2522
.LBB78_2521:
	s_mov_b64 s[0:1], -1
                                        ; implicit-def: $vgpr3
.LBB78_2522:
	s_mov_b64 s[24:25], 0
.LBB78_2523:
	s_and_b64 vcc, exec, s[24:25]
	s_cbranch_vccz .LBB78_2527
; %bb.2524:
	s_cmp_eq_u32 s13, 29
	s_cbranch_scc0 .LBB78_2526
; %bb.2525:
	global_load_dwordx2 v[3:4], v[1:2], off
	s_mov_b64 s[0:1], 0
	s_mov_b64 s[10:11], -1
	s_branch .LBB78_2527
.LBB78_2526:
	s_mov_b64 s[0:1], -1
                                        ; implicit-def: $vgpr3
.LBB78_2527:
	s_mov_b64 s[24:25], 0
.LBB78_2528:
	s_and_b64 vcc, exec, s[24:25]
	s_cbranch_vccz .LBB78_2544
; %bb.2529:
	s_cmp_lt_i32 s13, 27
	s_cbranch_scc1 .LBB78_2532
; %bb.2530:
	s_cmp_gt_i32 s13, 27
	s_cbranch_scc0 .LBB78_2533
; %bb.2531:
	global_load_dword v3, v[1:2], off
	s_mov_b64 s[10:11], 0
	s_branch .LBB78_2534
.LBB78_2532:
	s_mov_b64 s[10:11], -1
                                        ; implicit-def: $vgpr3
	s_branch .LBB78_2537
.LBB78_2533:
	s_mov_b64 s[10:11], -1
                                        ; implicit-def: $vgpr3
.LBB78_2534:
	s_andn2_b64 vcc, exec, s[10:11]
	s_cbranch_vccnz .LBB78_2536
; %bb.2535:
	global_load_ushort v3, v[1:2], off
.LBB78_2536:
	s_mov_b64 s[10:11], 0
.LBB78_2537:
	s_andn2_b64 vcc, exec, s[10:11]
	s_cbranch_vccnz .LBB78_2543
; %bb.2538:
	global_load_ubyte v4, v[1:2], off
	s_movk_i32 s10, 0x7f
	s_mov_b64 s[24:25], 0
	s_waitcnt vmcnt(0)
	v_cmp_lt_i16_e32 vcc, s10, v4
	s_and_saveexec_b64 s[10:11], vcc
	s_xor_b64 s[10:11], exec, s[10:11]
	s_cbranch_execz .LBB78_2555
; %bb.2539:
	s_movk_i32 s14, 0x80
	v_cmp_ne_u16_e32 vcc, s14, v4
	s_and_b64 s[24:25], vcc, exec
	s_andn2_saveexec_b64 s[10:11], s[10:11]
	s_cbranch_execnz .LBB78_2556
.LBB78_2540:
	s_or_b64 exec, exec, s[10:11]
	v_mov_b32_e32 v3, 0
	s_and_saveexec_b64 s[10:11], s[24:25]
	s_cbranch_execz .LBB78_2542
.LBB78_2541:
	v_lshlrev_b32_e32 v3, 24, v4
	v_and_b32_e32 v4, 0xffff, v4
	v_and_b32_e32 v6, 7, v4
	v_ffbh_u32_e32 v8, v6
	v_min_u32_e32 v8, 32, v8
	v_subrev_u32_e32 v9, 28, v8
	v_bfe_u32 v7, v4, 3, 4
	v_lshlrev_b32_e32 v4, v9, v4
	v_sub_u32_e32 v8, 29, v8
	v_and_b32_e32 v4, 7, v4
	v_cmp_eq_u32_e32 vcc, 0, v7
	v_cndmask_b32_e32 v7, v7, v8, vcc
	v_cndmask_b32_e32 v4, v6, v4, vcc
	v_mov_b32_e32 v6, 0x3b800000
	v_lshlrev_b32_e32 v4, 20, v4
	v_and_b32_e32 v3, 0x80000000, v3
	v_lshl_add_u32 v6, v7, 23, v6
	v_or3_b32 v3, v3, v6, v4
	v_cvt_i32_f32_e32 v3, v3
.LBB78_2542:
	s_or_b64 exec, exec, s[10:11]
.LBB78_2543:
	s_mov_b64 s[10:11], -1
.LBB78_2544:
	s_mov_b64 s[24:25], 0
.LBB78_2545:
	s_and_b64 vcc, exec, s[24:25]
	s_cbranch_vccz .LBB78_2576
; %bb.2546:
	s_cmp_gt_i32 s13, 22
	s_cbranch_scc0 .LBB78_2554
; %bb.2547:
	s_cmp_lt_i32 s13, 24
	s_cbranch_scc1 .LBB78_2557
; %bb.2548:
	s_cmp_gt_i32 s13, 24
	s_cbranch_scc0 .LBB78_2558
; %bb.2549:
	global_load_ubyte v4, v[1:2], off
	s_movk_i32 s2, 0x7f
	s_mov_b64 s[10:11], 0
	s_waitcnt vmcnt(0)
	v_cmp_lt_i16_e32 vcc, s2, v4
	s_and_saveexec_b64 s[2:3], vcc
	s_xor_b64 s[2:3], exec, s[2:3]
	s_cbranch_execz .LBB78_2570
; %bb.2550:
	s_movk_i32 s10, 0x80
	v_cmp_ne_u16_e32 vcc, s10, v4
	s_and_b64 s[10:11], vcc, exec
	s_andn2_saveexec_b64 s[2:3], s[2:3]
	s_cbranch_execnz .LBB78_2571
.LBB78_2551:
	s_or_b64 exec, exec, s[2:3]
	v_mov_b32_e32 v3, 0
	s_and_saveexec_b64 s[2:3], s[10:11]
	s_cbranch_execz .LBB78_2553
.LBB78_2552:
	v_lshlrev_b32_e32 v3, 24, v4
	v_and_b32_e32 v4, 0xffff, v4
	v_and_b32_e32 v6, 3, v4
	v_ffbh_u32_e32 v8, v6
	v_min_u32_e32 v8, 32, v8
	v_subrev_u32_e32 v9, 29, v8
	v_bfe_u32 v7, v4, 2, 5
	v_lshlrev_b32_e32 v4, v9, v4
	v_sub_u32_e32 v8, 30, v8
	v_and_b32_e32 v4, 3, v4
	v_cmp_eq_u32_e32 vcc, 0, v7
	v_cndmask_b32_e32 v7, v7, v8, vcc
	v_cndmask_b32_e32 v4, v6, v4, vcc
	v_mov_b32_e32 v6, 0x37800000
	v_lshlrev_b32_e32 v4, 21, v4
	v_and_b32_e32 v3, 0x80000000, v3
	v_lshl_add_u32 v6, v7, 23, v6
	v_or3_b32 v3, v3, v6, v4
	v_cvt_i32_f32_e32 v3, v3
.LBB78_2553:
	s_or_b64 exec, exec, s[2:3]
	s_mov_b64 s[2:3], 0
	s_branch .LBB78_2559
.LBB78_2554:
	s_mov_b64 s[2:3], -1
                                        ; implicit-def: $vgpr3
	s_branch .LBB78_2565
.LBB78_2555:
	s_andn2_saveexec_b64 s[10:11], s[10:11]
	s_cbranch_execz .LBB78_2540
.LBB78_2556:
	v_cmp_ne_u16_e32 vcc, 0, v4
	s_andn2_b64 s[24:25], s[24:25], exec
	s_and_b64 s[26:27], vcc, exec
	s_or_b64 s[24:25], s[24:25], s[26:27]
	s_or_b64 exec, exec, s[10:11]
	v_mov_b32_e32 v3, 0
	s_and_saveexec_b64 s[10:11], s[24:25]
	s_cbranch_execnz .LBB78_2541
	s_branch .LBB78_2542
.LBB78_2557:
	s_mov_b64 s[2:3], -1
                                        ; implicit-def: $vgpr3
	s_branch .LBB78_2562
.LBB78_2558:
	s_mov_b64 s[2:3], -1
                                        ; implicit-def: $vgpr3
.LBB78_2559:
	s_and_b64 vcc, exec, s[2:3]
	s_cbranch_vccz .LBB78_2561
; %bb.2560:
	global_load_ubyte v3, v[1:2], off
	s_mov_b32 s2, 0x7f800000
	s_waitcnt vmcnt(0)
	v_lshlrev_b32_e32 v3, 24, v3
	v_and_b32_e32 v4, 0x7f000000, v3
	v_ffbh_u32_e32 v6, v4
	v_min_u32_e32 v6, 32, v6
	v_sub_u32_e64 v6, v6, 4 clamp
	v_lshlrev_b32_e32 v8, v6, v4
	v_lshlrev_b32_e32 v6, 23, v6
	v_lshrrev_b32_e32 v8, 4, v8
	v_add_u32_e32 v7, 0x1000000, v4
	v_sub_u32_e32 v6, v8, v6
	v_ashrrev_i32_e32 v7, 8, v7
	v_add_u32_e32 v6, 0x3c000000, v6
	v_and_or_b32 v6, v7, s2, v6
	v_cmp_ne_u32_e32 vcc, 0, v4
	v_cndmask_b32_e32 v4, 0, v6, vcc
	s_brev_b32 s2, 1
	v_and_or_b32 v3, v3, s2, v4
	v_cvt_i32_f32_e32 v3, v3
.LBB78_2561:
	s_mov_b64 s[2:3], 0
.LBB78_2562:
	s_andn2_b64 vcc, exec, s[2:3]
	s_cbranch_vccnz .LBB78_2564
; %bb.2563:
	global_load_ubyte v3, v[1:2], off
	s_movk_i32 s2, 0x7f00
	s_brev_b32 s3, 16
	s_waitcnt vmcnt(0)
	v_lshlrev_b16_e32 v4, 8, v3
	v_lshlrev_b32_e32 v3, 25, v3
	v_lshrrev_b32_e32 v6, 4, v3
	v_and_or_b32 v7, v4, s2, 0.5
	v_or_b32_e32 v6, 0x70000000, v6
	v_add_f32_e32 v7, -0.5, v7
	v_mul_f32_e32 v6, 0x7800000, v6
	v_cmp_gt_u32_e32 vcc, s3, v3
	v_bfe_i32 v4, v4, 0, 16
	v_cndmask_b32_e32 v3, v6, v7, vcc
	s_brev_b32 s2, 1
	v_and_or_b32 v3, v4, s2, v3
	v_cvt_i32_f32_e32 v3, v3
.LBB78_2564:
	s_mov_b64 s[2:3], 0
	s_mov_b64 s[10:11], -1
.LBB78_2565:
	s_andn2_b64 vcc, exec, s[2:3]
	s_mov_b64 s[2:3], 0
	s_cbranch_vccnz .LBB78_2576
; %bb.2566:
	s_cmp_gt_i32 s13, 14
	s_cbranch_scc0 .LBB78_2569
; %bb.2567:
	s_cmp_eq_u32 s13, 15
	s_cbranch_scc0 .LBB78_2572
; %bb.2568:
	global_load_ushort v3, v[1:2], off
	s_mov_b64 s[0:1], 0
	s_mov_b64 s[10:11], -1
	s_waitcnt vmcnt(0)
	v_lshlrev_b32_e32 v3, 16, v3
	v_cvt_i32_f32_e32 v3, v3
	s_branch .LBB78_2573
.LBB78_2569:
	s_mov_b64 s[24:25], -1
                                        ; implicit-def: $vgpr3
	s_branch .LBB78_2574
.LBB78_2570:
	s_andn2_saveexec_b64 s[2:3], s[2:3]
	s_cbranch_execz .LBB78_2551
.LBB78_2571:
	v_cmp_ne_u16_e32 vcc, 0, v4
	s_andn2_b64 s[10:11], s[10:11], exec
	s_and_b64 s[24:25], vcc, exec
	s_or_b64 s[10:11], s[10:11], s[24:25]
	s_or_b64 exec, exec, s[2:3]
	v_mov_b32_e32 v3, 0
	s_and_saveexec_b64 s[2:3], s[10:11]
	s_cbranch_execnz .LBB78_2552
	s_branch .LBB78_2553
.LBB78_2572:
	s_mov_b64 s[0:1], -1
                                        ; implicit-def: $vgpr3
.LBB78_2573:
	s_mov_b64 s[24:25], 0
.LBB78_2574:
	s_and_b64 vcc, exec, s[24:25]
	s_cbranch_vccz .LBB78_2576
; %bb.2575:
	s_cmp_lg_u32 s13, 11
	s_mov_b64 s[2:3], -1
	s_cselect_b64 s[0:1], -1, 0
.LBB78_2576:
	s_and_b64 vcc, exec, s[0:1]
	s_cbranch_vccnz .LBB78_3128
; %bb.2577:
	s_andn2_b64 vcc, exec, s[2:3]
	s_cbranch_vccnz .LBB78_2579
.LBB78_2578:
	global_load_ubyte v3, v[1:2], off
	s_mov_b64 s[10:11], -1
	s_waitcnt vmcnt(0)
	v_cmp_ne_u16_e32 vcc, 0, v3
	v_cndmask_b32_e64 v3, 0, 1, vcc
.LBB78_2579:
	s_mov_b64 s[0:1], 0
.LBB78_2580:
	s_and_b64 vcc, exec, s[0:1]
	s_cbranch_vccz .LBB78_2629
; %bb.2581:
	s_and_b32 s2, 0xffff, s29
	s_cmp_lt_i32 s2, 5
	s_cbranch_scc1 .LBB78_2586
; %bb.2582:
	s_cmp_lt_i32 s2, 8
	s_cbranch_scc1 .LBB78_2587
; %bb.2583:
	;; [unrolled: 3-line block ×3, first 2 shown]
	s_cmp_gt_i32 s2, 9
	s_cbranch_scc0 .LBB78_2589
; %bb.2585:
	global_load_dwordx2 v[3:4], v[1:2], off
	s_mov_b64 s[0:1], 0
	s_waitcnt vmcnt(0)
	v_cvt_i32_f64_e32 v3, v[3:4]
	s_branch .LBB78_2590
.LBB78_2586:
	s_mov_b64 s[0:1], -1
                                        ; implicit-def: $vgpr3
	s_branch .LBB78_2608
.LBB78_2587:
	s_mov_b64 s[0:1], -1
                                        ; implicit-def: $vgpr3
	s_branch .LBB78_2596
.LBB78_2588:
	s_mov_b64 s[0:1], -1
                                        ; implicit-def: $vgpr3
	s_branch .LBB78_2593
.LBB78_2589:
	s_mov_b64 s[0:1], -1
                                        ; implicit-def: $vgpr3
.LBB78_2590:
	s_andn2_b64 vcc, exec, s[0:1]
	s_cbranch_vccnz .LBB78_2592
; %bb.2591:
	global_load_dword v3, v[1:2], off
	s_waitcnt vmcnt(0)
	v_cvt_i32_f32_e32 v3, v3
.LBB78_2592:
	s_mov_b64 s[0:1], 0
.LBB78_2593:
	s_andn2_b64 vcc, exec, s[0:1]
	s_cbranch_vccnz .LBB78_2595
; %bb.2594:
	global_load_dword v3, v[1:2], off
	s_waitcnt vmcnt(0)
	v_cvt_i16_f16_e32 v3, v3
.LBB78_2595:
	s_mov_b64 s[0:1], 0
.LBB78_2596:
	s_andn2_b64 vcc, exec, s[0:1]
	s_cbranch_vccnz .LBB78_2607
; %bb.2597:
	s_cmp_lt_i32 s2, 6
	s_cbranch_scc1 .LBB78_2600
; %bb.2598:
	s_cmp_gt_i32 s2, 6
	s_cbranch_scc0 .LBB78_2601
; %bb.2599:
	global_load_dwordx2 v[3:4], v[1:2], off
	s_mov_b64 s[0:1], 0
	s_waitcnt vmcnt(0)
	v_cvt_i32_f64_e32 v3, v[3:4]
	s_branch .LBB78_2602
.LBB78_2600:
	s_mov_b64 s[0:1], -1
                                        ; implicit-def: $vgpr3
	s_branch .LBB78_2605
.LBB78_2601:
	s_mov_b64 s[0:1], -1
                                        ; implicit-def: $vgpr3
.LBB78_2602:
	s_andn2_b64 vcc, exec, s[0:1]
	s_cbranch_vccnz .LBB78_2604
; %bb.2603:
	global_load_dword v3, v[1:2], off
	s_waitcnt vmcnt(0)
	v_cvt_i32_f32_e32 v3, v3
.LBB78_2604:
	s_mov_b64 s[0:1], 0
.LBB78_2605:
	s_andn2_b64 vcc, exec, s[0:1]
	s_cbranch_vccnz .LBB78_2607
; %bb.2606:
	global_load_ushort v3, v[1:2], off
	s_waitcnt vmcnt(0)
	v_cvt_i16_f16_e32 v3, v3
.LBB78_2607:
	s_mov_b64 s[0:1], 0
.LBB78_2608:
	s_andn2_b64 vcc, exec, s[0:1]
	s_cbranch_vccnz .LBB78_2628
; %bb.2609:
	s_cmp_lt_i32 s2, 2
	s_cbranch_scc1 .LBB78_2613
; %bb.2610:
	s_cmp_lt_i32 s2, 3
	s_cbranch_scc1 .LBB78_2614
; %bb.2611:
	s_cmp_gt_i32 s2, 3
	s_cbranch_scc0 .LBB78_2615
; %bb.2612:
	global_load_dwordx2 v[3:4], v[1:2], off
	s_mov_b64 s[0:1], 0
	s_branch .LBB78_2616
.LBB78_2613:
	s_mov_b64 s[0:1], -1
                                        ; implicit-def: $vgpr3
	s_branch .LBB78_2622
.LBB78_2614:
	s_mov_b64 s[0:1], -1
                                        ; implicit-def: $vgpr3
	s_branch .LBB78_2619
.LBB78_2615:
	s_mov_b64 s[0:1], -1
                                        ; implicit-def: $vgpr3
.LBB78_2616:
	s_andn2_b64 vcc, exec, s[0:1]
	s_cbranch_vccnz .LBB78_2618
; %bb.2617:
	global_load_dword v3, v[1:2], off
.LBB78_2618:
	s_mov_b64 s[0:1], 0
.LBB78_2619:
	s_andn2_b64 vcc, exec, s[0:1]
	s_cbranch_vccnz .LBB78_2621
; %bb.2620:
	global_load_ushort v3, v[1:2], off
.LBB78_2621:
	s_mov_b64 s[0:1], 0
.LBB78_2622:
	s_andn2_b64 vcc, exec, s[0:1]
	s_cbranch_vccnz .LBB78_2628
; %bb.2623:
	s_cmp_gt_i32 s2, 0
	s_cbranch_scc0 .LBB78_2625
; %bb.2624:
	global_load_sbyte v3, v[1:2], off
	s_mov_b64 s[0:1], 0
	s_branch .LBB78_2626
.LBB78_2625:
	s_mov_b64 s[0:1], -1
                                        ; implicit-def: $vgpr3
.LBB78_2626:
	s_andn2_b64 vcc, exec, s[0:1]
	s_cbranch_vccnz .LBB78_2628
; %bb.2627:
	global_load_ubyte v3, v[1:2], off
.LBB78_2628:
	s_mov_b64 s[10:11], -1
.LBB78_2629:
	s_andn2_b64 vcc, exec, s[10:11]
	s_cbranch_vccnz .LBB78_2634
; %bb.2630:
	s_cmp_lt_i32 s15, 1
	s_mov_b64 s[0:1], 0
	s_cbranch_scc1 .LBB78_2680
; %bb.2631:
	s_cmp_gt_i32 s15, 1
	s_cbranch_scc0 .LBB78_2681
; %bb.2632:
	s_cmp_eq_u32 s15, 2
	s_cbranch_scc0 .LBB78_2682
; %bb.2633:
	s_waitcnt vmcnt(0)
	v_cmp_le_i16_e64 s[24:25], v0, v3
	s_mov_b64 s[2:3], 0
	s_branch .LBB78_2683
.LBB78_2634:
	s_mov_b64 s[0:1], 0
                                        ; implicit-def: $sgpr24_sgpr25
.LBB78_2635:
	s_mov_b64 s[2:3], 0
                                        ; implicit-def: $sgpr28
                                        ; implicit-def: $vgpr0_vgpr1
.LBB78_2636:
	s_and_b64 s[4:5], s[2:3], exec
	s_andn2_b64 s[2:3], s[16:17], exec
	s_and_b64 s[8:9], s[18:19], exec
	s_and_b64 s[0:1], s[0:1], exec
	s_or_b64 s[16:17], s[2:3], s[8:9]
.LBB78_2637:
	s_or_b64 exec, exec, s[6:7]
	s_and_saveexec_b64 s[2:3], s[16:17]
	s_cbranch_execz .LBB78_2640
; %bb.2638:
	; divergent unreachable
	s_or_b64 exec, exec, s[2:3]
	s_and_saveexec_b64 s[2:3], s[4:5]
	s_xor_b64 s[2:3], exec, s[2:3]
	s_cbranch_execnz .LBB78_2641
.LBB78_2639:
	s_or_b64 exec, exec, s[2:3]
	s_and_saveexec_b64 s[2:3], s[0:1]
	s_cbranch_execnz .LBB78_2642
	s_branch .LBB78_2679
.LBB78_2640:
	s_or_b64 exec, exec, s[2:3]
	s_and_saveexec_b64 s[2:3], s[4:5]
	s_xor_b64 s[2:3], exec, s[2:3]
	s_cbranch_execz .LBB78_2639
.LBB78_2641:
	v_cndmask_b32_e64 v2, 0, 1, s[24:25]
	s_waitcnt vmcnt(0)
	global_store_byte v[0:1], v2, off
	s_or_b64 exec, exec, s[2:3]
	s_and_saveexec_b64 s[2:3], s[0:1]
	s_cbranch_execz .LBB78_2679
.LBB78_2642:
	s_sext_i32_i16 s2, s28
	s_cmp_lt_i32 s2, 5
	s_mov_b64 s[0:1], -1
	s_cbranch_scc1 .LBB78_2663
; %bb.2643:
	s_cmp_lt_i32 s2, 8
	s_cbranch_scc1 .LBB78_2653
; %bb.2644:
	s_cmp_lt_i32 s2, 9
	s_cbranch_scc1 .LBB78_2650
; %bb.2645:
	s_cmp_gt_i32 s2, 9
	s_cbranch_scc0 .LBB78_2647
; %bb.2646:
	v_cndmask_b32_e64 v2, 0, 1, s[24:25]
	s_waitcnt vmcnt(0)
	v_cvt_f64_u32_e32 v[2:3], v2
	v_mov_b32_e32 v4, 0
	v_mov_b32_e32 v5, v4
	s_mov_b64 s[0:1], 0
	global_store_dwordx4 v[0:1], v[2:5], off
.LBB78_2647:
	s_andn2_b64 vcc, exec, s[0:1]
	s_cbranch_vccnz .LBB78_2649
; %bb.2648:
	v_cndmask_b32_e64 v2, 0, 1.0, s[24:25]
	s_waitcnt vmcnt(0)
	v_mov_b32_e32 v3, 0
	global_store_dwordx2 v[0:1], v[2:3], off
.LBB78_2649:
	s_mov_b64 s[0:1], 0
.LBB78_2650:
	s_andn2_b64 vcc, exec, s[0:1]
	s_cbranch_vccnz .LBB78_2652
; %bb.2651:
	v_cndmask_b32_e64 v2, 0, 1.0, s[24:25]
	v_cvt_f16_f32_e32 v2, v2
	s_waitcnt vmcnt(0)
	global_store_dword v[0:1], v2, off
.LBB78_2652:
	s_mov_b64 s[0:1], 0
.LBB78_2653:
	s_andn2_b64 vcc, exec, s[0:1]
	s_cbranch_vccnz .LBB78_2662
; %bb.2654:
	s_sext_i32_i16 s2, s28
	s_cmp_lt_i32 s2, 6
	s_mov_b64 s[0:1], -1
	s_cbranch_scc1 .LBB78_2660
; %bb.2655:
	s_cmp_gt_i32 s2, 6
	s_cbranch_scc0 .LBB78_2657
; %bb.2656:
	v_cndmask_b32_e64 v2, 0, 1, s[24:25]
	s_waitcnt vmcnt(0)
	v_cvt_f64_u32_e32 v[2:3], v2
	s_mov_b64 s[0:1], 0
	global_store_dwordx2 v[0:1], v[2:3], off
.LBB78_2657:
	s_andn2_b64 vcc, exec, s[0:1]
	s_cbranch_vccnz .LBB78_2659
; %bb.2658:
	v_cndmask_b32_e64 v2, 0, 1.0, s[24:25]
	s_waitcnt vmcnt(0)
	global_store_dword v[0:1], v2, off
.LBB78_2659:
	s_mov_b64 s[0:1], 0
.LBB78_2660:
	s_andn2_b64 vcc, exec, s[0:1]
	s_cbranch_vccnz .LBB78_2662
; %bb.2661:
	v_cndmask_b32_e64 v2, 0, 1.0, s[24:25]
	v_cvt_f16_f32_e32 v2, v2
	s_waitcnt vmcnt(0)
	global_store_short v[0:1], v2, off
.LBB78_2662:
	s_mov_b64 s[0:1], 0
.LBB78_2663:
	s_andn2_b64 vcc, exec, s[0:1]
	s_cbranch_vccnz .LBB78_2679
; %bb.2664:
	s_sext_i32_i16 s2, s28
	s_cmp_lt_i32 s2, 2
	s_mov_b64 s[0:1], -1
	s_cbranch_scc1 .LBB78_2674
; %bb.2665:
	s_cmp_lt_i32 s2, 3
	s_cbranch_scc1 .LBB78_2671
; %bb.2666:
	s_cmp_gt_i32 s2, 3
	s_cbranch_scc0 .LBB78_2668
; %bb.2667:
	s_mov_b32 s0, 0
	v_cndmask_b32_e64 v2, 0, 1, s[24:25]
	s_waitcnt vmcnt(0)
	v_mov_b32_e32 v3, s0
	global_store_dwordx2 v[0:1], v[2:3], off
	s_mov_b64 s[0:1], 0
.LBB78_2668:
	s_andn2_b64 vcc, exec, s[0:1]
	s_cbranch_vccnz .LBB78_2670
; %bb.2669:
	v_cndmask_b32_e64 v2, 0, 1, s[24:25]
	s_waitcnt vmcnt(0)
	global_store_dword v[0:1], v2, off
.LBB78_2670:
	s_mov_b64 s[0:1], 0
.LBB78_2671:
	s_andn2_b64 vcc, exec, s[0:1]
	s_cbranch_vccnz .LBB78_2673
; %bb.2672:
	v_cndmask_b32_e64 v2, 0, 1, s[24:25]
	s_waitcnt vmcnt(0)
	global_store_short v[0:1], v2, off
.LBB78_2673:
	s_mov_b64 s[0:1], 0
.LBB78_2674:
	s_andn2_b64 vcc, exec, s[0:1]
	s_cbranch_vccnz .LBB78_2679
; %bb.2675:
	s_sext_i32_i16 s2, s28
	s_mov_b64 s[0:1], -1
	s_cmp_gt_i32 s2, 0
	v_cndmask_b32_e64 v2, 0, 1, s[24:25]
	s_cbranch_scc0 .LBB78_2677
; %bb.2676:
	s_waitcnt vmcnt(0)
	global_store_byte v[0:1], v2, off
	s_mov_b64 s[0:1], 0
.LBB78_2677:
	s_andn2_b64 vcc, exec, s[0:1]
	s_cbranch_vccnz .LBB78_2679
; %bb.2678:
	s_waitcnt vmcnt(0)
	global_store_byte v[0:1], v2, off
	s_endpgm
.LBB78_2679:
	s_endpgm
.LBB78_2680:
	s_mov_b64 s[10:11], -1
                                        ; implicit-def: $sgpr24_sgpr25
	s_mov_b64 s[2:3], 0
	s_branch .LBB78_2687
.LBB78_2681:
	s_mov_b64 s[10:11], -1
	s_mov_b64 s[2:3], 0
                                        ; implicit-def: $sgpr24_sgpr25
	s_branch .LBB78_2684
.LBB78_2682:
	s_mov_b64 s[2:3], -1
                                        ; implicit-def: $sgpr24_sgpr25
.LBB78_2683:
	s_mov_b64 s[10:11], 0
.LBB78_2684:
	s_and_b64 vcc, exec, s[10:11]
	s_cbranch_vccz .LBB78_2686
; %bb.2685:
	s_waitcnt vmcnt(0)
	v_cmp_gt_i16_e32 vcc, v0, v3
	s_andn2_b64 s[10:11], s[24:25], exec
	s_and_b64 s[24:25], vcc, exec
	s_or_b64 s[24:25], s[10:11], s[24:25]
.LBB78_2686:
	s_mov_b64 s[10:11], 0
.LBB78_2687:
	s_and_b64 vcc, exec, s[10:11]
	s_cbranch_vccz .LBB78_2769
; %bb.2688:
	s_cmp_lg_u32 s15, 0
	s_mov_b64 s[0:1], -1
	s_cselect_b64 s[2:3], -1, 0
	s_andn2_b64 vcc, exec, s[2:3]
	s_cbranch_vccz .LBB78_2770
.LBB78_2689:
	s_andn2_b64 vcc, exec, s[0:1]
	s_cbranch_vccnz .LBB78_2691
.LBB78_2690:
	s_waitcnt vmcnt(0)
	v_cmp_ge_i16_e32 vcc, v0, v3
	s_andn2_b64 s[0:1], s[24:25], exec
	s_and_b64 s[2:3], vcc, exec
	s_or_b64 s[24:25], s[0:1], s[2:3]
.LBB78_2691:
	v_mul_lo_u32 v2, s12, v5
	v_mov_b32_e32 v1, s9
	s_and_b32 s28, s33, 0xff
	s_cmp_lt_i32 s28, 11
	s_waitcnt vmcnt(0)
	v_ashrrev_i32_e32 v3, 31, v2
	v_add_co_u32_e32 v0, vcc, s8, v2
	v_addc_co_u32_e32 v1, vcc, v1, v3, vcc
	s_cbranch_scc1 .LBB78_2771
; %bb.2692:
	s_and_b32 s13, 0xffff, s28
	s_mov_b64 s[14:15], -1
	s_mov_b64 s[2:3], 0
	s_cmp_gt_i32 s13, 25
	s_mov_b64 s[10:11], 0
	s_mov_b64 s[0:1], 0
	s_cbranch_scc0 .LBB78_2725
; %bb.2693:
	s_cmp_gt_i32 s13, 28
	s_cbranch_scc0 .LBB78_2708
; %bb.2694:
	s_cmp_gt_i32 s13, 43
	;; [unrolled: 3-line block ×3, first 2 shown]
	s_cbranch_scc0 .LBB78_2698
; %bb.2696:
	s_mov_b64 s[0:1], -1
	s_mov_b64 s[14:15], 0
	s_cmp_eq_u32 s13, 46
	s_cbranch_scc0 .LBB78_2698
; %bb.2697:
	v_cndmask_b32_e64 v3, 0, 1.0, s[4:5]
	v_bfe_u32 v4, v3, 16, 1
	s_movk_i32 s0, 0x7fff
	v_add3_u32 v3, v3, v4, s0
	v_lshrrev_b32_e32 v3, 16, v3
	global_store_dword v[0:1], v3, off
	s_mov_b64 s[0:1], 0
	s_mov_b64 s[10:11], -1
.LBB78_2698:
	s_and_b64 vcc, exec, s[14:15]
	s_cbranch_vccz .LBB78_2703
; %bb.2699:
	s_cmp_eq_u32 s13, 44
	s_mov_b64 s[0:1], -1
	s_cbranch_scc0 .LBB78_2703
; %bb.2700:
	v_cndmask_b32_e64 v4, 0, 1.0, s[4:5]
	v_lshrrev_b32_e32 v3, 23, v4
	s_movk_i32 s0, 0xff
	v_cmp_ne_u32_e32 vcc, s0, v3
	v_mov_b32_e32 v5, 0xff
	s_and_saveexec_b64 s[10:11], vcc
; %bb.2701:
	s_mov_b32 s0, 0x3fffff
	v_and_b32_e32 v5, 0x400000, v4
	v_and_or_b32 v4, v4, s0, v3
	v_cmp_ne_u32_e32 vcc, 0, v5
	v_cmp_ne_u32_e64 s[0:1], 0, v4
	s_and_b64 s[0:1], vcc, s[0:1]
	v_cndmask_b32_e64 v4, 0, 1, s[0:1]
	v_add_u32_e32 v5, v3, v4
; %bb.2702:
	s_or_b64 exec, exec, s[10:11]
	s_mov_b64 s[0:1], 0
	s_mov_b64 s[10:11], -1
	global_store_byte v[0:1], v5, off
.LBB78_2703:
	s_mov_b64 s[14:15], 0
.LBB78_2704:
	s_and_b64 vcc, exec, s[14:15]
	s_cbranch_vccz .LBB78_2707
; %bb.2705:
	s_cmp_eq_u32 s13, 29
	s_mov_b64 s[0:1], -1
	s_cbranch_scc0 .LBB78_2707
; %bb.2706:
	s_mov_b32 s0, 0
	v_cndmask_b32_e64 v3, 0, 1, s[4:5]
	v_mov_b32_e32 v4, s0
	global_store_dwordx2 v[0:1], v[3:4], off
	s_mov_b64 s[0:1], 0
	s_mov_b64 s[10:11], -1
.LBB78_2707:
	s_mov_b64 s[14:15], 0
.LBB78_2708:
	s_and_b64 vcc, exec, s[14:15]
	s_cbranch_vccz .LBB78_2724
; %bb.2709:
	s_cmp_lt_i32 s13, 27
	s_mov_b64 s[10:11], -1
	s_cbranch_scc1 .LBB78_2715
; %bb.2710:
	s_cmp_gt_i32 s13, 27
	s_cbranch_scc0 .LBB78_2712
; %bb.2711:
	v_cndmask_b32_e64 v3, 0, 1, s[4:5]
	s_mov_b64 s[10:11], 0
	global_store_dword v[0:1], v3, off
.LBB78_2712:
	s_andn2_b64 vcc, exec, s[10:11]
	s_cbranch_vccnz .LBB78_2714
; %bb.2713:
	v_cndmask_b32_e64 v3, 0, 1, s[4:5]
	global_store_short v[0:1], v3, off
.LBB78_2714:
	s_mov_b64 s[10:11], 0
.LBB78_2715:
	s_andn2_b64 vcc, exec, s[10:11]
	s_cbranch_vccnz .LBB78_2723
; %bb.2716:
	v_cndmask_b32_e64 v4, 0, 1.0, s[4:5]
	s_mov_b32 s10, 0x43800000
	v_cmp_gt_u32_e32 vcc, s10, v4
	v_mov_b32_e32 v5, 0x80
	s_and_saveexec_b64 s[10:11], vcc
	s_cbranch_execz .LBB78_2722
; %bb.2717:
	s_mov_b32 s14, 0x3bffffff
	v_cmp_lt_u32_e32 vcc, s14, v4
	s_mov_b64 s[14:15], 0
                                        ; implicit-def: $vgpr3
	s_and_saveexec_b64 s[26:27], vcc
	s_xor_b64 s[26:27], exec, s[26:27]
	s_cbranch_execz .LBB78_3129
; %bb.2718:
	v_bfe_u32 v3, v4, 20, 1
	s_mov_b32 s29, 0x487ffff
	v_add3_u32 v3, v4, v3, s29
	s_mov_b64 s[14:15], exec
	v_lshrrev_b32_e32 v3, 20, v3
                                        ; implicit-def: $vgpr4
	s_andn2_saveexec_b64 s[26:27], s[26:27]
	s_cbranch_execnz .LBB78_3130
.LBB78_2719:
	s_or_b64 exec, exec, s[26:27]
	v_mov_b32_e32 v5, 0
	s_and_saveexec_b64 s[26:27], s[14:15]
.LBB78_2720:
	v_mov_b32_e32 v5, v3
.LBB78_2721:
	s_or_b64 exec, exec, s[26:27]
.LBB78_2722:
	s_or_b64 exec, exec, s[10:11]
	global_store_byte v[0:1], v5, off
.LBB78_2723:
	s_mov_b64 s[10:11], -1
.LBB78_2724:
	s_mov_b64 s[14:15], 0
.LBB78_2725:
	s_and_b64 vcc, exec, s[14:15]
	s_cbranch_vccz .LBB78_2765
; %bb.2726:
	s_cmp_gt_i32 s13, 22
	s_mov_b64 s[2:3], -1
	s_cbranch_scc0 .LBB78_2758
; %bb.2727:
	s_cmp_lt_i32 s13, 24
	s_cbranch_scc1 .LBB78_2747
; %bb.2728:
	s_cmp_gt_i32 s13, 24
	s_cbranch_scc0 .LBB78_2736
; %bb.2729:
	v_cndmask_b32_e64 v4, 0, 1.0, s[4:5]
	s_mov_b32 s2, 0x47800000
	v_cmp_gt_u32_e32 vcc, s2, v4
	v_mov_b32_e32 v5, 0x80
	s_and_saveexec_b64 s[2:3], vcc
	s_cbranch_execz .LBB78_2735
; %bb.2730:
	s_mov_b32 s10, 0x37ffffff
	v_cmp_lt_u32_e32 vcc, s10, v4
	s_mov_b64 s[10:11], 0
                                        ; implicit-def: $vgpr3
	s_and_saveexec_b64 s[14:15], vcc
	s_xor_b64 s[14:15], exec, s[14:15]
	s_cbranch_execz .LBB78_3132
; %bb.2731:
	v_bfe_u32 v3, v4, 21, 1
	s_mov_b32 s26, 0x88fffff
	v_add3_u32 v3, v4, v3, s26
	s_mov_b64 s[10:11], exec
	v_lshrrev_b32_e32 v3, 21, v3
                                        ; implicit-def: $vgpr4
	s_andn2_saveexec_b64 s[14:15], s[14:15]
	s_cbranch_execnz .LBB78_3133
.LBB78_2732:
	s_or_b64 exec, exec, s[14:15]
	v_mov_b32_e32 v5, 0
	s_and_saveexec_b64 s[14:15], s[10:11]
.LBB78_2733:
	v_mov_b32_e32 v5, v3
.LBB78_2734:
	s_or_b64 exec, exec, s[14:15]
.LBB78_2735:
	s_or_b64 exec, exec, s[2:3]
	s_mov_b64 s[2:3], 0
	global_store_byte v[0:1], v5, off
.LBB78_2736:
	s_and_b64 vcc, exec, s[2:3]
	s_cbranch_vccz .LBB78_2746
; %bb.2737:
	v_cndmask_b32_e64 v3, 0, 1.0, s[4:5]
	s_mov_b32 s2, 0x43f00000
	v_cmp_gt_u32_e32 vcc, s2, v3
                                        ; implicit-def: $vgpr4
	s_and_saveexec_b64 s[2:3], vcc
	s_xor_b64 s[2:3], exec, s[2:3]
	s_cbranch_execz .LBB78_2743
; %bb.2738:
	s_mov_b32 s10, 0x3c7fffff
	v_cmp_lt_u32_e32 vcc, s10, v3
                                        ; implicit-def: $vgpr4
	s_and_saveexec_b64 s[10:11], vcc
	s_xor_b64 s[10:11], exec, s[10:11]
; %bb.2739:
	v_bfe_u32 v4, v3, 20, 1
	s_mov_b32 s14, 0x407ffff
	v_add3_u32 v3, v3, v4, s14
	v_lshrrev_b32_e32 v4, 20, v3
	v_and_b32_e32 v3, 0xff00000, v3
	s_mov_b32 s14, 0x7f00000
	v_mov_b32_e32 v5, 0x7e
	v_cmp_ne_u32_e32 vcc, s14, v3
	v_cndmask_b32_e32 v4, v5, v4, vcc
                                        ; implicit-def: $vgpr3
; %bb.2740:
	s_andn2_saveexec_b64 s[10:11], s[10:11]
; %bb.2741:
	v_add_f32_e32 v4, 0x46800000, v3
; %bb.2742:
	s_or_b64 exec, exec, s[10:11]
                                        ; implicit-def: $vgpr3
.LBB78_2743:
	s_andn2_saveexec_b64 s[2:3], s[2:3]
; %bb.2744:
	s_mov_b32 s10, 0x7f800000
	v_mov_b32_e32 v4, 0x7e
	v_mov_b32_e32 v5, 0x7f
	v_cmp_lt_u32_e32 vcc, s10, v3
	v_cndmask_b32_e32 v4, v4, v5, vcc
; %bb.2745:
	s_or_b64 exec, exec, s[2:3]
	global_store_byte v[0:1], v4, off
.LBB78_2746:
	s_mov_b64 s[2:3], 0
.LBB78_2747:
	s_andn2_b64 vcc, exec, s[2:3]
	s_cbranch_vccnz .LBB78_2757
; %bb.2748:
	v_cndmask_b32_e64 v3, 0, 1.0, s[4:5]
	s_mov_b32 s2, 0x47800000
	v_cmp_gt_u32_e32 vcc, s2, v3
                                        ; implicit-def: $vgpr4
	s_and_saveexec_b64 s[2:3], vcc
	s_xor_b64 s[2:3], exec, s[2:3]
	s_cbranch_execz .LBB78_2754
; %bb.2749:
	s_mov_b32 s10, 0x387fffff
	v_cmp_lt_u32_e32 vcc, s10, v3
                                        ; implicit-def: $vgpr4
	s_and_saveexec_b64 s[10:11], vcc
	s_xor_b64 s[10:11], exec, s[10:11]
; %bb.2750:
	v_bfe_u32 v4, v3, 21, 1
	s_mov_b32 s14, 0x80fffff
	v_add3_u32 v3, v3, v4, s14
	v_lshrrev_b32_e32 v4, 21, v3
                                        ; implicit-def: $vgpr3
; %bb.2751:
	s_andn2_saveexec_b64 s[10:11], s[10:11]
; %bb.2752:
	v_add_f32_e32 v4, 0x43000000, v3
; %bb.2753:
	s_or_b64 exec, exec, s[10:11]
                                        ; implicit-def: $vgpr3
.LBB78_2754:
	s_andn2_saveexec_b64 s[2:3], s[2:3]
; %bb.2755:
	s_mov_b32 s10, 0x7f800000
	v_mov_b32_e32 v4, 0x7c
	v_mov_b32_e32 v5, 0x7f
	v_cmp_lt_u32_e32 vcc, s10, v3
	v_cndmask_b32_e32 v4, v4, v5, vcc
; %bb.2756:
	s_or_b64 exec, exec, s[2:3]
	global_store_byte v[0:1], v4, off
.LBB78_2757:
	s_mov_b64 s[2:3], 0
	s_mov_b64 s[10:11], -1
.LBB78_2758:
	s_andn2_b64 vcc, exec, s[2:3]
	s_mov_b64 s[2:3], 0
	s_cbranch_vccnz .LBB78_2765
; %bb.2759:
	s_cmp_gt_i32 s13, 14
	s_mov_b64 s[14:15], -1
	s_cbranch_scc0 .LBB78_2763
; %bb.2760:
	s_cmp_eq_u32 s13, 15
	s_mov_b64 s[0:1], -1
	s_cbranch_scc0 .LBB78_2762
; %bb.2761:
	v_cndmask_b32_e64 v3, 0, 1.0, s[4:5]
	v_bfe_u32 v4, v3, 16, 1
	s_movk_i32 s0, 0x7fff
	v_add3_u32 v3, v3, v4, s0
	global_store_short_d16_hi v[0:1], v3, off
	s_mov_b64 s[0:1], 0
	s_mov_b64 s[10:11], -1
.LBB78_2762:
	s_mov_b64 s[14:15], 0
.LBB78_2763:
	s_and_b64 vcc, exec, s[14:15]
	s_cbranch_vccz .LBB78_2765
; %bb.2764:
	s_cmp_lg_u32 s13, 11
	s_mov_b64 s[2:3], -1
	s_cselect_b64 s[0:1], -1, 0
.LBB78_2765:
	s_and_b64 vcc, exec, s[0:1]
	s_cbranch_vccnz .LBB78_3131
; %bb.2766:
	s_andn2_b64 vcc, exec, s[2:3]
	s_cbranch_vccnz .LBB78_2768
.LBB78_2767:
	v_cndmask_b32_e64 v3, 0, 1, s[4:5]
	s_mov_b64 s[10:11], -1
	global_store_byte v[0:1], v3, off
.LBB78_2768:
	s_mov_b64 s[0:1], 0
	s_branch .LBB78_2772
.LBB78_2769:
	s_andn2_b64 vcc, exec, s[2:3]
	s_cbranch_vccnz .LBB78_2689
.LBB78_2770:
	s_waitcnt vmcnt(0)
	v_cmp_lt_i16_e32 vcc, v0, v3
	s_andn2_b64 s[2:3], s[24:25], exec
	s_and_b64 s[10:11], vcc, exec
	s_or_b64 s[24:25], s[2:3], s[10:11]
	s_cbranch_execz .LBB78_2690
	s_branch .LBB78_2691
.LBB78_2771:
	s_mov_b64 s[0:1], -1
	s_mov_b64 s[10:11], 0
.LBB78_2772:
	s_and_b64 vcc, exec, s[0:1]
	s_cbranch_vccz .LBB78_2811
; %bb.2773:
	s_and_b32 s2, 0xffff, s28
	s_cmp_lt_i32 s2, 5
	s_mov_b64 s[0:1], -1
	s_cbranch_scc1 .LBB78_2794
; %bb.2774:
	s_cmp_lt_i32 s2, 8
	s_cbranch_scc1 .LBB78_2784
; %bb.2775:
	s_cmp_lt_i32 s2, 9
	s_cbranch_scc1 .LBB78_2781
; %bb.2776:
	s_cmp_gt_i32 s2, 9
	s_cbranch_scc0 .LBB78_2778
; %bb.2777:
	v_cndmask_b32_e64 v3, 0, 1, s[4:5]
	v_cvt_f64_u32_e32 v[3:4], v3
	v_mov_b32_e32 v5, 0
	v_mov_b32_e32 v6, v5
	s_mov_b64 s[0:1], 0
	global_store_dwordx4 v[0:1], v[3:6], off
.LBB78_2778:
	s_andn2_b64 vcc, exec, s[0:1]
	s_cbranch_vccnz .LBB78_2780
; %bb.2779:
	v_cndmask_b32_e64 v3, 0, 1.0, s[4:5]
	v_mov_b32_e32 v4, 0
	global_store_dwordx2 v[0:1], v[3:4], off
.LBB78_2780:
	s_mov_b64 s[0:1], 0
.LBB78_2781:
	s_andn2_b64 vcc, exec, s[0:1]
	s_cbranch_vccnz .LBB78_2783
; %bb.2782:
	v_cndmask_b32_e64 v3, 0, 1.0, s[4:5]
	v_cvt_f16_f32_e32 v3, v3
	global_store_dword v[0:1], v3, off
.LBB78_2783:
	s_mov_b64 s[0:1], 0
.LBB78_2784:
	s_andn2_b64 vcc, exec, s[0:1]
	s_cbranch_vccnz .LBB78_2793
; %bb.2785:
	s_cmp_lt_i32 s2, 6
	s_mov_b64 s[0:1], -1
	s_cbranch_scc1 .LBB78_2791
; %bb.2786:
	s_cmp_gt_i32 s2, 6
	s_cbranch_scc0 .LBB78_2788
; %bb.2787:
	v_cndmask_b32_e64 v3, 0, 1, s[4:5]
	v_cvt_f64_u32_e32 v[3:4], v3
	s_mov_b64 s[0:1], 0
	global_store_dwordx2 v[0:1], v[3:4], off
.LBB78_2788:
	s_andn2_b64 vcc, exec, s[0:1]
	s_cbranch_vccnz .LBB78_2790
; %bb.2789:
	v_cndmask_b32_e64 v3, 0, 1.0, s[4:5]
	global_store_dword v[0:1], v3, off
.LBB78_2790:
	s_mov_b64 s[0:1], 0
.LBB78_2791:
	s_andn2_b64 vcc, exec, s[0:1]
	s_cbranch_vccnz .LBB78_2793
; %bb.2792:
	v_cndmask_b32_e64 v3, 0, 1.0, s[4:5]
	v_cvt_f16_f32_e32 v3, v3
	global_store_short v[0:1], v3, off
.LBB78_2793:
	s_mov_b64 s[0:1], 0
.LBB78_2794:
	s_andn2_b64 vcc, exec, s[0:1]
	s_cbranch_vccnz .LBB78_2810
; %bb.2795:
	s_cmp_lt_i32 s2, 2
	s_mov_b64 s[0:1], -1
	s_cbranch_scc1 .LBB78_2805
; %bb.2796:
	s_cmp_lt_i32 s2, 3
	s_cbranch_scc1 .LBB78_2802
; %bb.2797:
	s_cmp_gt_i32 s2, 3
	s_cbranch_scc0 .LBB78_2799
; %bb.2798:
	s_mov_b32 s0, 0
	v_cndmask_b32_e64 v3, 0, 1, s[4:5]
	v_mov_b32_e32 v4, s0
	global_store_dwordx2 v[0:1], v[3:4], off
	s_mov_b64 s[0:1], 0
.LBB78_2799:
	s_andn2_b64 vcc, exec, s[0:1]
	s_cbranch_vccnz .LBB78_2801
; %bb.2800:
	v_cndmask_b32_e64 v3, 0, 1, s[4:5]
	global_store_dword v[0:1], v3, off
.LBB78_2801:
	s_mov_b64 s[0:1], 0
.LBB78_2802:
	s_andn2_b64 vcc, exec, s[0:1]
	s_cbranch_vccnz .LBB78_2804
; %bb.2803:
	v_cndmask_b32_e64 v3, 0, 1, s[4:5]
	global_store_short v[0:1], v3, off
.LBB78_2804:
	s_mov_b64 s[0:1], 0
.LBB78_2805:
	s_andn2_b64 vcc, exec, s[0:1]
	s_cbranch_vccnz .LBB78_2810
; %bb.2806:
	s_mov_b64 s[0:1], -1
	s_cmp_gt_i32 s2, 0
	v_cndmask_b32_e64 v3, 0, 1, s[4:5]
	s_cbranch_scc0 .LBB78_2808
; %bb.2807:
	global_store_byte v[0:1], v3, off
	s_mov_b64 s[0:1], 0
.LBB78_2808:
	s_andn2_b64 vcc, exec, s[0:1]
	s_cbranch_vccnz .LBB78_2810
; %bb.2809:
	global_store_byte v[0:1], v3, off
.LBB78_2810:
	s_mov_b64 s[10:11], -1
.LBB78_2811:
	s_andn2_b64 vcc, exec, s[10:11]
	s_cbranch_vccnz .LBB78_3126
; %bb.2812:
	s_lshl_b32 s14, s12, 7
	v_add_u32_e32 v2, s14, v2
	v_ashrrev_i32_e32 v1, 31, v2
	v_mov_b32_e32 v3, s9
	v_add_co_u32_e32 v0, vcc, s8, v2
	s_cmp_lt_i32 s28, 11
	v_addc_co_u32_e32 v1, vcc, v3, v1, vcc
	s_cbranch_scc1 .LBB78_2890
; %bb.2813:
	s_and_b32 s15, 0xffff, s28
	s_mov_b64 s[10:11], -1
	s_mov_b64 s[2:3], 0
	s_cmp_gt_i32 s15, 25
	s_mov_b64 s[4:5], 0
	s_mov_b64 s[0:1], 0
	s_cbranch_scc0 .LBB78_2846
; %bb.2814:
	s_cmp_gt_i32 s15, 28
	s_cbranch_scc0 .LBB78_2829
; %bb.2815:
	s_cmp_gt_i32 s15, 43
	;; [unrolled: 3-line block ×3, first 2 shown]
	s_cbranch_scc0 .LBB78_2819
; %bb.2817:
	s_mov_b64 s[0:1], -1
	s_mov_b64 s[10:11], 0
	s_cmp_eq_u32 s15, 46
	s_cbranch_scc0 .LBB78_2819
; %bb.2818:
	v_cndmask_b32_e64 v3, 0, 1.0, s[20:21]
	v_bfe_u32 v4, v3, 16, 1
	s_movk_i32 s0, 0x7fff
	v_add3_u32 v3, v3, v4, s0
	v_lshrrev_b32_e32 v3, 16, v3
	global_store_dword v[0:1], v3, off
	s_mov_b64 s[0:1], 0
	s_mov_b64 s[4:5], -1
.LBB78_2819:
	s_and_b64 vcc, exec, s[10:11]
	s_cbranch_vccz .LBB78_2824
; %bb.2820:
	s_cmp_eq_u32 s15, 44
	s_mov_b64 s[0:1], -1
	s_cbranch_scc0 .LBB78_2824
; %bb.2821:
	v_cndmask_b32_e64 v4, 0, 1.0, s[20:21]
	v_lshrrev_b32_e32 v3, 23, v4
	s_movk_i32 s0, 0xff
	v_cmp_ne_u32_e32 vcc, s0, v3
	v_mov_b32_e32 v5, 0xff
	s_and_saveexec_b64 s[4:5], vcc
; %bb.2822:
	s_mov_b32 s0, 0x3fffff
	v_and_b32_e32 v5, 0x400000, v4
	v_and_or_b32 v4, v4, s0, v3
	v_cmp_ne_u32_e32 vcc, 0, v5
	v_cmp_ne_u32_e64 s[0:1], 0, v4
	s_and_b64 s[0:1], vcc, s[0:1]
	v_cndmask_b32_e64 v4, 0, 1, s[0:1]
	v_add_u32_e32 v5, v3, v4
; %bb.2823:
	s_or_b64 exec, exec, s[4:5]
	s_mov_b64 s[0:1], 0
	s_mov_b64 s[4:5], -1
	global_store_byte v[0:1], v5, off
.LBB78_2824:
	s_mov_b64 s[10:11], 0
.LBB78_2825:
	s_and_b64 vcc, exec, s[10:11]
	s_cbranch_vccz .LBB78_2828
; %bb.2826:
	s_cmp_eq_u32 s15, 29
	s_mov_b64 s[0:1], -1
	s_cbranch_scc0 .LBB78_2828
; %bb.2827:
	s_mov_b32 s0, 0
	v_cndmask_b32_e64 v3, 0, 1, s[20:21]
	v_mov_b32_e32 v4, s0
	global_store_dwordx2 v[0:1], v[3:4], off
	s_mov_b64 s[0:1], 0
	s_mov_b64 s[4:5], -1
.LBB78_2828:
	s_mov_b64 s[10:11], 0
.LBB78_2829:
	s_and_b64 vcc, exec, s[10:11]
	s_cbranch_vccz .LBB78_2845
; %bb.2830:
	s_cmp_lt_i32 s15, 27
	s_mov_b64 s[4:5], -1
	s_cbranch_scc1 .LBB78_2836
; %bb.2831:
	s_cmp_gt_i32 s15, 27
	s_cbranch_scc0 .LBB78_2833
; %bb.2832:
	v_cndmask_b32_e64 v3, 0, 1, s[20:21]
	s_mov_b64 s[4:5], 0
	global_store_dword v[0:1], v3, off
.LBB78_2833:
	s_andn2_b64 vcc, exec, s[4:5]
	s_cbranch_vccnz .LBB78_2835
; %bb.2834:
	v_cndmask_b32_e64 v3, 0, 1, s[20:21]
	global_store_short v[0:1], v3, off
.LBB78_2835:
	s_mov_b64 s[4:5], 0
.LBB78_2836:
	s_andn2_b64 vcc, exec, s[4:5]
	s_cbranch_vccnz .LBB78_2844
; %bb.2837:
	v_cndmask_b32_e64 v4, 0, 1.0, s[20:21]
	s_mov_b32 s4, 0x43800000
	v_cmp_gt_u32_e32 vcc, s4, v4
	v_mov_b32_e32 v5, 0x80
	s_and_saveexec_b64 s[4:5], vcc
	s_cbranch_execz .LBB78_2843
; %bb.2838:
	s_mov_b32 s10, 0x3bffffff
	v_cmp_lt_u32_e32 vcc, s10, v4
	s_mov_b64 s[10:11], 0
                                        ; implicit-def: $vgpr3
	s_and_saveexec_b64 s[12:13], vcc
	s_xor_b64 s[12:13], exec, s[12:13]
	s_cbranch_execz .LBB78_3134
; %bb.2839:
	v_bfe_u32 v3, v4, 20, 1
	s_mov_b32 s26, 0x487ffff
	v_add3_u32 v3, v4, v3, s26
	s_mov_b64 s[10:11], exec
	v_lshrrev_b32_e32 v3, 20, v3
                                        ; implicit-def: $vgpr4
	s_andn2_saveexec_b64 s[12:13], s[12:13]
	s_cbranch_execnz .LBB78_3135
.LBB78_2840:
	s_or_b64 exec, exec, s[12:13]
	v_mov_b32_e32 v5, 0
	s_and_saveexec_b64 s[12:13], s[10:11]
.LBB78_2841:
	v_mov_b32_e32 v5, v3
.LBB78_2842:
	s_or_b64 exec, exec, s[12:13]
.LBB78_2843:
	s_or_b64 exec, exec, s[4:5]
	global_store_byte v[0:1], v5, off
.LBB78_2844:
	s_mov_b64 s[4:5], -1
.LBB78_2845:
	s_mov_b64 s[10:11], 0
.LBB78_2846:
	s_and_b64 vcc, exec, s[10:11]
	s_cbranch_vccz .LBB78_2886
; %bb.2847:
	s_cmp_gt_i32 s15, 22
	s_mov_b64 s[2:3], -1
	s_cbranch_scc0 .LBB78_2879
; %bb.2848:
	s_cmp_lt_i32 s15, 24
	s_cbranch_scc1 .LBB78_2868
; %bb.2849:
	s_cmp_gt_i32 s15, 24
	s_cbranch_scc0 .LBB78_2857
; %bb.2850:
	v_cndmask_b32_e64 v4, 0, 1.0, s[20:21]
	s_mov_b32 s2, 0x47800000
	v_cmp_gt_u32_e32 vcc, s2, v4
	v_mov_b32_e32 v5, 0x80
	s_and_saveexec_b64 s[2:3], vcc
	s_cbranch_execz .LBB78_2856
; %bb.2851:
	s_mov_b32 s4, 0x37ffffff
	v_cmp_lt_u32_e32 vcc, s4, v4
	s_mov_b64 s[4:5], 0
                                        ; implicit-def: $vgpr3
	s_and_saveexec_b64 s[10:11], vcc
	s_xor_b64 s[10:11], exec, s[10:11]
	s_cbranch_execz .LBB78_3137
; %bb.2852:
	v_bfe_u32 v3, v4, 21, 1
	s_mov_b32 s12, 0x88fffff
	v_add3_u32 v3, v4, v3, s12
	s_mov_b64 s[4:5], exec
	v_lshrrev_b32_e32 v3, 21, v3
                                        ; implicit-def: $vgpr4
	s_andn2_saveexec_b64 s[10:11], s[10:11]
	s_cbranch_execnz .LBB78_3138
.LBB78_2853:
	s_or_b64 exec, exec, s[10:11]
	v_mov_b32_e32 v5, 0
	s_and_saveexec_b64 s[10:11], s[4:5]
.LBB78_2854:
	v_mov_b32_e32 v5, v3
.LBB78_2855:
	s_or_b64 exec, exec, s[10:11]
.LBB78_2856:
	s_or_b64 exec, exec, s[2:3]
	s_mov_b64 s[2:3], 0
	global_store_byte v[0:1], v5, off
.LBB78_2857:
	s_and_b64 vcc, exec, s[2:3]
	s_cbranch_vccz .LBB78_2867
; %bb.2858:
	v_cndmask_b32_e64 v3, 0, 1.0, s[20:21]
	s_mov_b32 s2, 0x43f00000
	v_cmp_gt_u32_e32 vcc, s2, v3
                                        ; implicit-def: $vgpr4
	s_and_saveexec_b64 s[2:3], vcc
	s_xor_b64 s[2:3], exec, s[2:3]
	s_cbranch_execz .LBB78_2864
; %bb.2859:
	s_mov_b32 s4, 0x3c7fffff
	v_cmp_lt_u32_e32 vcc, s4, v3
                                        ; implicit-def: $vgpr4
	s_and_saveexec_b64 s[4:5], vcc
	s_xor_b64 s[4:5], exec, s[4:5]
; %bb.2860:
	v_bfe_u32 v4, v3, 20, 1
	s_mov_b32 s10, 0x407ffff
	v_add3_u32 v3, v3, v4, s10
	v_lshrrev_b32_e32 v4, 20, v3
	v_and_b32_e32 v3, 0xff00000, v3
	s_mov_b32 s10, 0x7f00000
	v_mov_b32_e32 v5, 0x7e
	v_cmp_ne_u32_e32 vcc, s10, v3
	v_cndmask_b32_e32 v4, v5, v4, vcc
                                        ; implicit-def: $vgpr3
; %bb.2861:
	s_andn2_saveexec_b64 s[4:5], s[4:5]
; %bb.2862:
	v_add_f32_e32 v4, 0x46800000, v3
; %bb.2863:
	s_or_b64 exec, exec, s[4:5]
                                        ; implicit-def: $vgpr3
.LBB78_2864:
	s_andn2_saveexec_b64 s[2:3], s[2:3]
; %bb.2865:
	s_mov_b32 s4, 0x7f800000
	v_mov_b32_e32 v4, 0x7e
	v_mov_b32_e32 v5, 0x7f
	v_cmp_lt_u32_e32 vcc, s4, v3
	v_cndmask_b32_e32 v4, v4, v5, vcc
; %bb.2866:
	s_or_b64 exec, exec, s[2:3]
	global_store_byte v[0:1], v4, off
.LBB78_2867:
	s_mov_b64 s[2:3], 0
.LBB78_2868:
	s_andn2_b64 vcc, exec, s[2:3]
	s_cbranch_vccnz .LBB78_2878
; %bb.2869:
	v_cndmask_b32_e64 v3, 0, 1.0, s[20:21]
	s_mov_b32 s2, 0x47800000
	v_cmp_gt_u32_e32 vcc, s2, v3
                                        ; implicit-def: $vgpr4
	s_and_saveexec_b64 s[2:3], vcc
	s_xor_b64 s[2:3], exec, s[2:3]
	s_cbranch_execz .LBB78_2875
; %bb.2870:
	s_mov_b32 s4, 0x387fffff
	v_cmp_lt_u32_e32 vcc, s4, v3
                                        ; implicit-def: $vgpr4
	s_and_saveexec_b64 s[4:5], vcc
	s_xor_b64 s[4:5], exec, s[4:5]
; %bb.2871:
	v_bfe_u32 v4, v3, 21, 1
	s_mov_b32 s10, 0x80fffff
	v_add3_u32 v3, v3, v4, s10
	v_lshrrev_b32_e32 v4, 21, v3
                                        ; implicit-def: $vgpr3
; %bb.2872:
	s_andn2_saveexec_b64 s[4:5], s[4:5]
; %bb.2873:
	v_add_f32_e32 v4, 0x43000000, v3
; %bb.2874:
	s_or_b64 exec, exec, s[4:5]
                                        ; implicit-def: $vgpr3
.LBB78_2875:
	s_andn2_saveexec_b64 s[2:3], s[2:3]
; %bb.2876:
	s_mov_b32 s4, 0x7f800000
	v_mov_b32_e32 v4, 0x7c
	v_mov_b32_e32 v5, 0x7f
	v_cmp_lt_u32_e32 vcc, s4, v3
	v_cndmask_b32_e32 v4, v4, v5, vcc
; %bb.2877:
	s_or_b64 exec, exec, s[2:3]
	global_store_byte v[0:1], v4, off
.LBB78_2878:
	s_mov_b64 s[2:3], 0
	s_mov_b64 s[4:5], -1
.LBB78_2879:
	s_andn2_b64 vcc, exec, s[2:3]
	s_mov_b64 s[2:3], 0
	s_cbranch_vccnz .LBB78_2886
; %bb.2880:
	s_cmp_gt_i32 s15, 14
	s_mov_b64 s[10:11], -1
	s_cbranch_scc0 .LBB78_2884
; %bb.2881:
	s_cmp_eq_u32 s15, 15
	s_mov_b64 s[0:1], -1
	s_cbranch_scc0 .LBB78_2883
; %bb.2882:
	v_cndmask_b32_e64 v3, 0, 1.0, s[20:21]
	v_bfe_u32 v4, v3, 16, 1
	s_movk_i32 s0, 0x7fff
	v_add3_u32 v3, v3, v4, s0
	global_store_short_d16_hi v[0:1], v3, off
	s_mov_b64 s[0:1], 0
	s_mov_b64 s[4:5], -1
.LBB78_2883:
	s_mov_b64 s[10:11], 0
.LBB78_2884:
	s_and_b64 vcc, exec, s[10:11]
	s_cbranch_vccz .LBB78_2886
; %bb.2885:
	s_cmp_lg_u32 s15, 11
	s_mov_b64 s[2:3], -1
	s_cselect_b64 s[0:1], -1, 0
.LBB78_2886:
	s_and_b64 vcc, exec, s[0:1]
	s_cbranch_vccnz .LBB78_3136
; %bb.2887:
	s_andn2_b64 vcc, exec, s[2:3]
	s_cbranch_vccnz .LBB78_2889
.LBB78_2888:
	v_cndmask_b32_e64 v3, 0, 1, s[20:21]
	s_mov_b64 s[4:5], -1
	global_store_byte v[0:1], v3, off
.LBB78_2889:
	s_mov_b64 s[0:1], 0
	s_branch .LBB78_2891
.LBB78_2890:
	s_mov_b64 s[0:1], -1
	s_mov_b64 s[4:5], 0
.LBB78_2891:
	s_and_b64 vcc, exec, s[0:1]
	s_cbranch_vccz .LBB78_2930
; %bb.2892:
	s_and_b32 s2, 0xffff, s28
	s_cmp_lt_i32 s2, 5
	s_mov_b64 s[0:1], -1
	s_cbranch_scc1 .LBB78_2913
; %bb.2893:
	s_cmp_lt_i32 s2, 8
	s_cbranch_scc1 .LBB78_2903
; %bb.2894:
	s_cmp_lt_i32 s2, 9
	s_cbranch_scc1 .LBB78_2900
; %bb.2895:
	s_cmp_gt_i32 s2, 9
	s_cbranch_scc0 .LBB78_2897
; %bb.2896:
	v_cndmask_b32_e64 v3, 0, 1, s[20:21]
	v_cvt_f64_u32_e32 v[3:4], v3
	v_mov_b32_e32 v5, 0
	v_mov_b32_e32 v6, v5
	s_mov_b64 s[0:1], 0
	global_store_dwordx4 v[0:1], v[3:6], off
.LBB78_2897:
	s_andn2_b64 vcc, exec, s[0:1]
	s_cbranch_vccnz .LBB78_2899
; %bb.2898:
	v_cndmask_b32_e64 v3, 0, 1.0, s[20:21]
	v_mov_b32_e32 v4, 0
	global_store_dwordx2 v[0:1], v[3:4], off
.LBB78_2899:
	s_mov_b64 s[0:1], 0
.LBB78_2900:
	s_andn2_b64 vcc, exec, s[0:1]
	s_cbranch_vccnz .LBB78_2902
; %bb.2901:
	v_cndmask_b32_e64 v3, 0, 1.0, s[20:21]
	v_cvt_f16_f32_e32 v3, v3
	global_store_dword v[0:1], v3, off
.LBB78_2902:
	s_mov_b64 s[0:1], 0
.LBB78_2903:
	s_andn2_b64 vcc, exec, s[0:1]
	s_cbranch_vccnz .LBB78_2912
; %bb.2904:
	s_cmp_lt_i32 s2, 6
	s_mov_b64 s[0:1], -1
	s_cbranch_scc1 .LBB78_2910
; %bb.2905:
	s_cmp_gt_i32 s2, 6
	s_cbranch_scc0 .LBB78_2907
; %bb.2906:
	v_cndmask_b32_e64 v3, 0, 1, s[20:21]
	v_cvt_f64_u32_e32 v[3:4], v3
	s_mov_b64 s[0:1], 0
	global_store_dwordx2 v[0:1], v[3:4], off
.LBB78_2907:
	s_andn2_b64 vcc, exec, s[0:1]
	s_cbranch_vccnz .LBB78_2909
; %bb.2908:
	v_cndmask_b32_e64 v3, 0, 1.0, s[20:21]
	global_store_dword v[0:1], v3, off
.LBB78_2909:
	s_mov_b64 s[0:1], 0
.LBB78_2910:
	s_andn2_b64 vcc, exec, s[0:1]
	s_cbranch_vccnz .LBB78_2912
; %bb.2911:
	v_cndmask_b32_e64 v3, 0, 1.0, s[20:21]
	v_cvt_f16_f32_e32 v3, v3
	global_store_short v[0:1], v3, off
.LBB78_2912:
	s_mov_b64 s[0:1], 0
.LBB78_2913:
	s_andn2_b64 vcc, exec, s[0:1]
	s_cbranch_vccnz .LBB78_2929
; %bb.2914:
	s_cmp_lt_i32 s2, 2
	s_mov_b64 s[0:1], -1
	s_cbranch_scc1 .LBB78_2924
; %bb.2915:
	s_cmp_lt_i32 s2, 3
	s_cbranch_scc1 .LBB78_2921
; %bb.2916:
	s_cmp_gt_i32 s2, 3
	s_cbranch_scc0 .LBB78_2918
; %bb.2917:
	s_mov_b32 s0, 0
	v_cndmask_b32_e64 v3, 0, 1, s[20:21]
	v_mov_b32_e32 v4, s0
	global_store_dwordx2 v[0:1], v[3:4], off
	s_mov_b64 s[0:1], 0
.LBB78_2918:
	s_andn2_b64 vcc, exec, s[0:1]
	s_cbranch_vccnz .LBB78_2920
; %bb.2919:
	v_cndmask_b32_e64 v3, 0, 1, s[20:21]
	global_store_dword v[0:1], v3, off
.LBB78_2920:
	s_mov_b64 s[0:1], 0
.LBB78_2921:
	s_andn2_b64 vcc, exec, s[0:1]
	s_cbranch_vccnz .LBB78_2923
; %bb.2922:
	v_cndmask_b32_e64 v3, 0, 1, s[20:21]
	global_store_short v[0:1], v3, off
.LBB78_2923:
	s_mov_b64 s[0:1], 0
.LBB78_2924:
	s_andn2_b64 vcc, exec, s[0:1]
	s_cbranch_vccnz .LBB78_2929
; %bb.2925:
	s_mov_b64 s[0:1], -1
	s_cmp_gt_i32 s2, 0
	v_cndmask_b32_e64 v3, 0, 1, s[20:21]
	s_cbranch_scc0 .LBB78_2927
; %bb.2926:
	global_store_byte v[0:1], v3, off
	s_mov_b64 s[0:1], 0
.LBB78_2927:
	s_andn2_b64 vcc, exec, s[0:1]
	s_cbranch_vccnz .LBB78_2929
; %bb.2928:
	global_store_byte v[0:1], v3, off
.LBB78_2929:
	s_mov_b64 s[4:5], -1
.LBB78_2930:
	s_andn2_b64 vcc, exec, s[4:5]
	s_cbranch_vccnz .LBB78_3126
; %bb.2931:
	v_add_u32_e32 v2, s14, v2
	v_ashrrev_i32_e32 v1, 31, v2
	v_mov_b32_e32 v3, s9
	v_add_co_u32_e32 v0, vcc, s8, v2
	s_cmp_lt_i32 s28, 11
	v_addc_co_u32_e32 v1, vcc, v3, v1, vcc
	s_cbranch_scc1 .LBB78_3009
; %bb.2932:
	s_and_b32 s15, 0xffff, s28
	s_mov_b64 s[10:11], -1
	s_mov_b64 s[2:3], 0
	s_cmp_gt_i32 s15, 25
	s_mov_b64 s[4:5], 0
	s_mov_b64 s[0:1], 0
	s_cbranch_scc0 .LBB78_2965
; %bb.2933:
	s_cmp_gt_i32 s15, 28
	s_cbranch_scc0 .LBB78_2948
; %bb.2934:
	s_cmp_gt_i32 s15, 43
	s_cbranch_scc0 .LBB78_2944
; %bb.2935:
	s_cmp_gt_i32 s15, 45
	s_cbranch_scc0 .LBB78_2938
; %bb.2936:
	s_mov_b64 s[0:1], -1
	s_mov_b64 s[10:11], 0
	s_cmp_eq_u32 s15, 46
	s_cbranch_scc0 .LBB78_2938
; %bb.2937:
	v_cndmask_b32_e64 v3, 0, 1.0, s[22:23]
	v_bfe_u32 v4, v3, 16, 1
	s_movk_i32 s0, 0x7fff
	v_add3_u32 v3, v3, v4, s0
	v_lshrrev_b32_e32 v3, 16, v3
	global_store_dword v[0:1], v3, off
	s_mov_b64 s[0:1], 0
	s_mov_b64 s[4:5], -1
.LBB78_2938:
	s_and_b64 vcc, exec, s[10:11]
	s_cbranch_vccz .LBB78_2943
; %bb.2939:
	s_cmp_eq_u32 s15, 44
	s_mov_b64 s[0:1], -1
	s_cbranch_scc0 .LBB78_2943
; %bb.2940:
	v_cndmask_b32_e64 v4, 0, 1.0, s[22:23]
	v_lshrrev_b32_e32 v3, 23, v4
	s_movk_i32 s0, 0xff
	v_cmp_ne_u32_e32 vcc, s0, v3
	v_mov_b32_e32 v5, 0xff
	s_and_saveexec_b64 s[4:5], vcc
; %bb.2941:
	s_mov_b32 s0, 0x3fffff
	v_and_b32_e32 v5, 0x400000, v4
	v_and_or_b32 v4, v4, s0, v3
	v_cmp_ne_u32_e32 vcc, 0, v5
	v_cmp_ne_u32_e64 s[0:1], 0, v4
	s_and_b64 s[0:1], vcc, s[0:1]
	v_cndmask_b32_e64 v4, 0, 1, s[0:1]
	v_add_u32_e32 v5, v3, v4
; %bb.2942:
	s_or_b64 exec, exec, s[4:5]
	s_mov_b64 s[0:1], 0
	s_mov_b64 s[4:5], -1
	global_store_byte v[0:1], v5, off
.LBB78_2943:
	s_mov_b64 s[10:11], 0
.LBB78_2944:
	s_and_b64 vcc, exec, s[10:11]
	s_cbranch_vccz .LBB78_2947
; %bb.2945:
	s_cmp_eq_u32 s15, 29
	s_mov_b64 s[0:1], -1
	s_cbranch_scc0 .LBB78_2947
; %bb.2946:
	s_mov_b32 s0, 0
	v_cndmask_b32_e64 v3, 0, 1, s[22:23]
	v_mov_b32_e32 v4, s0
	global_store_dwordx2 v[0:1], v[3:4], off
	s_mov_b64 s[0:1], 0
	s_mov_b64 s[4:5], -1
.LBB78_2947:
	s_mov_b64 s[10:11], 0
.LBB78_2948:
	s_and_b64 vcc, exec, s[10:11]
	s_cbranch_vccz .LBB78_2964
; %bb.2949:
	s_cmp_lt_i32 s15, 27
	s_mov_b64 s[4:5], -1
	s_cbranch_scc1 .LBB78_2955
; %bb.2950:
	s_cmp_gt_i32 s15, 27
	s_cbranch_scc0 .LBB78_2952
; %bb.2951:
	v_cndmask_b32_e64 v3, 0, 1, s[22:23]
	s_mov_b64 s[4:5], 0
	global_store_dword v[0:1], v3, off
.LBB78_2952:
	s_andn2_b64 vcc, exec, s[4:5]
	s_cbranch_vccnz .LBB78_2954
; %bb.2953:
	v_cndmask_b32_e64 v3, 0, 1, s[22:23]
	global_store_short v[0:1], v3, off
.LBB78_2954:
	s_mov_b64 s[4:5], 0
.LBB78_2955:
	s_andn2_b64 vcc, exec, s[4:5]
	s_cbranch_vccnz .LBB78_2963
; %bb.2956:
	v_cndmask_b32_e64 v4, 0, 1.0, s[22:23]
	s_mov_b32 s4, 0x43800000
	v_cmp_gt_u32_e32 vcc, s4, v4
	v_mov_b32_e32 v5, 0x80
	s_and_saveexec_b64 s[4:5], vcc
	s_cbranch_execz .LBB78_2962
; %bb.2957:
	s_mov_b32 s10, 0x3bffffff
	v_cmp_lt_u32_e32 vcc, s10, v4
	s_mov_b64 s[10:11], 0
                                        ; implicit-def: $vgpr3
	s_and_saveexec_b64 s[12:13], vcc
	s_xor_b64 s[12:13], exec, s[12:13]
	s_cbranch_execz .LBB78_3139
; %bb.2958:
	v_bfe_u32 v3, v4, 20, 1
	s_mov_b32 s20, 0x487ffff
	v_add3_u32 v3, v4, v3, s20
	s_mov_b64 s[10:11], exec
	v_lshrrev_b32_e32 v3, 20, v3
                                        ; implicit-def: $vgpr4
	s_andn2_saveexec_b64 s[12:13], s[12:13]
	s_cbranch_execnz .LBB78_3140
.LBB78_2959:
	s_or_b64 exec, exec, s[12:13]
	v_mov_b32_e32 v5, 0
	s_and_saveexec_b64 s[12:13], s[10:11]
.LBB78_2960:
	v_mov_b32_e32 v5, v3
.LBB78_2961:
	s_or_b64 exec, exec, s[12:13]
.LBB78_2962:
	s_or_b64 exec, exec, s[4:5]
	global_store_byte v[0:1], v5, off
.LBB78_2963:
	s_mov_b64 s[4:5], -1
.LBB78_2964:
	s_mov_b64 s[10:11], 0
.LBB78_2965:
	s_and_b64 vcc, exec, s[10:11]
	s_cbranch_vccz .LBB78_3005
; %bb.2966:
	s_cmp_gt_i32 s15, 22
	s_mov_b64 s[2:3], -1
	s_cbranch_scc0 .LBB78_2998
; %bb.2967:
	s_cmp_lt_i32 s15, 24
	s_cbranch_scc1 .LBB78_2987
; %bb.2968:
	s_cmp_gt_i32 s15, 24
	s_cbranch_scc0 .LBB78_2976
; %bb.2969:
	v_cndmask_b32_e64 v4, 0, 1.0, s[22:23]
	s_mov_b32 s2, 0x47800000
	v_cmp_gt_u32_e32 vcc, s2, v4
	v_mov_b32_e32 v5, 0x80
	s_and_saveexec_b64 s[2:3], vcc
	s_cbranch_execz .LBB78_2975
; %bb.2970:
	s_mov_b32 s4, 0x37ffffff
	v_cmp_lt_u32_e32 vcc, s4, v4
	s_mov_b64 s[4:5], 0
                                        ; implicit-def: $vgpr3
	s_and_saveexec_b64 s[10:11], vcc
	s_xor_b64 s[10:11], exec, s[10:11]
	s_cbranch_execz .LBB78_3142
; %bb.2971:
	v_bfe_u32 v3, v4, 21, 1
	s_mov_b32 s12, 0x88fffff
	v_add3_u32 v3, v4, v3, s12
	s_mov_b64 s[4:5], exec
	v_lshrrev_b32_e32 v3, 21, v3
                                        ; implicit-def: $vgpr4
	s_andn2_saveexec_b64 s[10:11], s[10:11]
	s_cbranch_execnz .LBB78_3143
.LBB78_2972:
	s_or_b64 exec, exec, s[10:11]
	v_mov_b32_e32 v5, 0
	s_and_saveexec_b64 s[10:11], s[4:5]
.LBB78_2973:
	v_mov_b32_e32 v5, v3
.LBB78_2974:
	s_or_b64 exec, exec, s[10:11]
.LBB78_2975:
	s_or_b64 exec, exec, s[2:3]
	s_mov_b64 s[2:3], 0
	global_store_byte v[0:1], v5, off
.LBB78_2976:
	s_and_b64 vcc, exec, s[2:3]
	s_cbranch_vccz .LBB78_2986
; %bb.2977:
	v_cndmask_b32_e64 v3, 0, 1.0, s[22:23]
	s_mov_b32 s2, 0x43f00000
	v_cmp_gt_u32_e32 vcc, s2, v3
                                        ; implicit-def: $vgpr4
	s_and_saveexec_b64 s[2:3], vcc
	s_xor_b64 s[2:3], exec, s[2:3]
	s_cbranch_execz .LBB78_2983
; %bb.2978:
	s_mov_b32 s4, 0x3c7fffff
	v_cmp_lt_u32_e32 vcc, s4, v3
                                        ; implicit-def: $vgpr4
	s_and_saveexec_b64 s[4:5], vcc
	s_xor_b64 s[4:5], exec, s[4:5]
; %bb.2979:
	v_bfe_u32 v4, v3, 20, 1
	s_mov_b32 s10, 0x407ffff
	v_add3_u32 v3, v3, v4, s10
	v_lshrrev_b32_e32 v4, 20, v3
	v_and_b32_e32 v3, 0xff00000, v3
	s_mov_b32 s10, 0x7f00000
	v_mov_b32_e32 v5, 0x7e
	v_cmp_ne_u32_e32 vcc, s10, v3
	v_cndmask_b32_e32 v4, v5, v4, vcc
                                        ; implicit-def: $vgpr3
; %bb.2980:
	s_andn2_saveexec_b64 s[4:5], s[4:5]
; %bb.2981:
	v_add_f32_e32 v4, 0x46800000, v3
; %bb.2982:
	s_or_b64 exec, exec, s[4:5]
                                        ; implicit-def: $vgpr3
.LBB78_2983:
	s_andn2_saveexec_b64 s[2:3], s[2:3]
; %bb.2984:
	s_mov_b32 s4, 0x7f800000
	v_mov_b32_e32 v4, 0x7e
	v_mov_b32_e32 v5, 0x7f
	v_cmp_lt_u32_e32 vcc, s4, v3
	v_cndmask_b32_e32 v4, v4, v5, vcc
; %bb.2985:
	s_or_b64 exec, exec, s[2:3]
	global_store_byte v[0:1], v4, off
.LBB78_2986:
	s_mov_b64 s[2:3], 0
.LBB78_2987:
	s_andn2_b64 vcc, exec, s[2:3]
	s_cbranch_vccnz .LBB78_2997
; %bb.2988:
	v_cndmask_b32_e64 v3, 0, 1.0, s[22:23]
	s_mov_b32 s2, 0x47800000
	v_cmp_gt_u32_e32 vcc, s2, v3
                                        ; implicit-def: $vgpr4
	s_and_saveexec_b64 s[2:3], vcc
	s_xor_b64 s[2:3], exec, s[2:3]
	s_cbranch_execz .LBB78_2994
; %bb.2989:
	s_mov_b32 s4, 0x387fffff
	v_cmp_lt_u32_e32 vcc, s4, v3
                                        ; implicit-def: $vgpr4
	s_and_saveexec_b64 s[4:5], vcc
	s_xor_b64 s[4:5], exec, s[4:5]
; %bb.2990:
	v_bfe_u32 v4, v3, 21, 1
	s_mov_b32 s10, 0x80fffff
	v_add3_u32 v3, v3, v4, s10
	v_lshrrev_b32_e32 v4, 21, v3
                                        ; implicit-def: $vgpr3
; %bb.2991:
	s_andn2_saveexec_b64 s[4:5], s[4:5]
; %bb.2992:
	v_add_f32_e32 v4, 0x43000000, v3
; %bb.2993:
	s_or_b64 exec, exec, s[4:5]
                                        ; implicit-def: $vgpr3
.LBB78_2994:
	s_andn2_saveexec_b64 s[2:3], s[2:3]
; %bb.2995:
	s_mov_b32 s4, 0x7f800000
	v_mov_b32_e32 v4, 0x7c
	v_mov_b32_e32 v5, 0x7f
	v_cmp_lt_u32_e32 vcc, s4, v3
	v_cndmask_b32_e32 v4, v4, v5, vcc
; %bb.2996:
	s_or_b64 exec, exec, s[2:3]
	global_store_byte v[0:1], v4, off
.LBB78_2997:
	s_mov_b64 s[2:3], 0
	s_mov_b64 s[4:5], -1
.LBB78_2998:
	s_andn2_b64 vcc, exec, s[2:3]
	s_mov_b64 s[2:3], 0
	s_cbranch_vccnz .LBB78_3005
; %bb.2999:
	s_cmp_gt_i32 s15, 14
	s_mov_b64 s[10:11], -1
	s_cbranch_scc0 .LBB78_3003
; %bb.3000:
	s_cmp_eq_u32 s15, 15
	s_mov_b64 s[0:1], -1
	s_cbranch_scc0 .LBB78_3002
; %bb.3001:
	v_cndmask_b32_e64 v3, 0, 1.0, s[22:23]
	v_bfe_u32 v4, v3, 16, 1
	s_movk_i32 s0, 0x7fff
	v_add3_u32 v3, v3, v4, s0
	global_store_short_d16_hi v[0:1], v3, off
	s_mov_b64 s[0:1], 0
	s_mov_b64 s[4:5], -1
.LBB78_3002:
	s_mov_b64 s[10:11], 0
.LBB78_3003:
	s_and_b64 vcc, exec, s[10:11]
	s_cbranch_vccz .LBB78_3005
; %bb.3004:
	s_cmp_lg_u32 s15, 11
	s_mov_b64 s[2:3], -1
	s_cselect_b64 s[0:1], -1, 0
.LBB78_3005:
	s_and_b64 vcc, exec, s[0:1]
	s_cbranch_vccnz .LBB78_3141
; %bb.3006:
	s_andn2_b64 vcc, exec, s[2:3]
	s_cbranch_vccnz .LBB78_3008
.LBB78_3007:
	v_cndmask_b32_e64 v3, 0, 1, s[22:23]
	s_mov_b64 s[4:5], -1
	global_store_byte v[0:1], v3, off
.LBB78_3008:
	s_mov_b64 s[0:1], 0
	s_branch .LBB78_3010
.LBB78_3009:
	s_mov_b64 s[0:1], -1
	s_mov_b64 s[4:5], 0
.LBB78_3010:
	s_and_b64 vcc, exec, s[0:1]
	s_cbranch_vccz .LBB78_3049
; %bb.3011:
	s_and_b32 s2, 0xffff, s28
	s_cmp_lt_i32 s2, 5
	s_mov_b64 s[0:1], -1
	s_cbranch_scc1 .LBB78_3032
; %bb.3012:
	s_cmp_lt_i32 s2, 8
	s_cbranch_scc1 .LBB78_3022
; %bb.3013:
	s_cmp_lt_i32 s2, 9
	s_cbranch_scc1 .LBB78_3019
; %bb.3014:
	s_cmp_gt_i32 s2, 9
	s_cbranch_scc0 .LBB78_3016
; %bb.3015:
	v_cndmask_b32_e64 v3, 0, 1, s[22:23]
	v_cvt_f64_u32_e32 v[3:4], v3
	v_mov_b32_e32 v5, 0
	v_mov_b32_e32 v6, v5
	s_mov_b64 s[0:1], 0
	global_store_dwordx4 v[0:1], v[3:6], off
.LBB78_3016:
	s_andn2_b64 vcc, exec, s[0:1]
	s_cbranch_vccnz .LBB78_3018
; %bb.3017:
	v_cndmask_b32_e64 v3, 0, 1.0, s[22:23]
	v_mov_b32_e32 v4, 0
	global_store_dwordx2 v[0:1], v[3:4], off
.LBB78_3018:
	s_mov_b64 s[0:1], 0
.LBB78_3019:
	s_andn2_b64 vcc, exec, s[0:1]
	s_cbranch_vccnz .LBB78_3021
; %bb.3020:
	v_cndmask_b32_e64 v3, 0, 1.0, s[22:23]
	v_cvt_f16_f32_e32 v3, v3
	global_store_dword v[0:1], v3, off
.LBB78_3021:
	s_mov_b64 s[0:1], 0
.LBB78_3022:
	s_andn2_b64 vcc, exec, s[0:1]
	s_cbranch_vccnz .LBB78_3031
; %bb.3023:
	s_cmp_lt_i32 s2, 6
	s_mov_b64 s[0:1], -1
	s_cbranch_scc1 .LBB78_3029
; %bb.3024:
	s_cmp_gt_i32 s2, 6
	s_cbranch_scc0 .LBB78_3026
; %bb.3025:
	v_cndmask_b32_e64 v3, 0, 1, s[22:23]
	v_cvt_f64_u32_e32 v[3:4], v3
	s_mov_b64 s[0:1], 0
	global_store_dwordx2 v[0:1], v[3:4], off
.LBB78_3026:
	s_andn2_b64 vcc, exec, s[0:1]
	s_cbranch_vccnz .LBB78_3028
; %bb.3027:
	v_cndmask_b32_e64 v3, 0, 1.0, s[22:23]
	global_store_dword v[0:1], v3, off
.LBB78_3028:
	s_mov_b64 s[0:1], 0
.LBB78_3029:
	s_andn2_b64 vcc, exec, s[0:1]
	s_cbranch_vccnz .LBB78_3031
; %bb.3030:
	v_cndmask_b32_e64 v3, 0, 1.0, s[22:23]
	v_cvt_f16_f32_e32 v3, v3
	global_store_short v[0:1], v3, off
.LBB78_3031:
	s_mov_b64 s[0:1], 0
.LBB78_3032:
	s_andn2_b64 vcc, exec, s[0:1]
	s_cbranch_vccnz .LBB78_3048
; %bb.3033:
	s_cmp_lt_i32 s2, 2
	s_mov_b64 s[0:1], -1
	s_cbranch_scc1 .LBB78_3043
; %bb.3034:
	s_cmp_lt_i32 s2, 3
	s_cbranch_scc1 .LBB78_3040
; %bb.3035:
	s_cmp_gt_i32 s2, 3
	s_cbranch_scc0 .LBB78_3037
; %bb.3036:
	s_mov_b32 s0, 0
	v_cndmask_b32_e64 v3, 0, 1, s[22:23]
	v_mov_b32_e32 v4, s0
	global_store_dwordx2 v[0:1], v[3:4], off
	s_mov_b64 s[0:1], 0
.LBB78_3037:
	s_andn2_b64 vcc, exec, s[0:1]
	s_cbranch_vccnz .LBB78_3039
; %bb.3038:
	v_cndmask_b32_e64 v3, 0, 1, s[22:23]
	global_store_dword v[0:1], v3, off
.LBB78_3039:
	s_mov_b64 s[0:1], 0
.LBB78_3040:
	s_andn2_b64 vcc, exec, s[0:1]
	s_cbranch_vccnz .LBB78_3042
; %bb.3041:
	v_cndmask_b32_e64 v3, 0, 1, s[22:23]
	global_store_short v[0:1], v3, off
.LBB78_3042:
	s_mov_b64 s[0:1], 0
.LBB78_3043:
	s_andn2_b64 vcc, exec, s[0:1]
	s_cbranch_vccnz .LBB78_3048
; %bb.3044:
	s_mov_b64 s[0:1], -1
	s_cmp_gt_i32 s2, 0
	v_cndmask_b32_e64 v3, 0, 1, s[22:23]
	s_cbranch_scc0 .LBB78_3046
; %bb.3045:
	global_store_byte v[0:1], v3, off
	s_mov_b64 s[0:1], 0
.LBB78_3046:
	s_andn2_b64 vcc, exec, s[0:1]
	s_cbranch_vccnz .LBB78_3048
; %bb.3047:
	global_store_byte v[0:1], v3, off
.LBB78_3048:
	s_mov_b64 s[4:5], -1
.LBB78_3049:
	s_andn2_b64 vcc, exec, s[4:5]
	s_cbranch_vccnz .LBB78_3126
; %bb.3050:
	v_add_u32_e32 v0, s14, v2
	v_ashrrev_i32_e32 v1, 31, v0
	v_mov_b32_e32 v2, s9
	v_add_co_u32_e32 v0, vcc, s8, v0
	s_cmp_lt_i32 s28, 11
	v_addc_co_u32_e32 v1, vcc, v2, v1, vcc
	s_cbranch_scc1 .LBB78_3127
; %bb.3051:
	s_and_b32 s12, 0xffff, s28
	s_mov_b64 s[4:5], -1
	s_mov_b64 s[2:3], 0
	s_cmp_gt_i32 s12, 25
	s_mov_b64 s[0:1], 0
	s_cbranch_scc0 .LBB78_3084
; %bb.3052:
	s_cmp_gt_i32 s12, 28
	s_cbranch_scc0 .LBB78_3068
; %bb.3053:
	s_cmp_gt_i32 s12, 43
	;; [unrolled: 3-line block ×3, first 2 shown]
	s_cbranch_scc0 .LBB78_3058
; %bb.3055:
	s_cmp_eq_u32 s12, 46
	s_mov_b64 s[0:1], -1
	s_cbranch_scc0 .LBB78_3057
; %bb.3056:
	v_cndmask_b32_e64 v2, 0, 1.0, s[24:25]
	v_bfe_u32 v3, v2, 16, 1
	s_movk_i32 s0, 0x7fff
	v_add3_u32 v2, v2, v3, s0
	v_lshrrev_b32_e32 v2, 16, v2
	global_store_dword v[0:1], v2, off
	s_mov_b64 s[0:1], 0
.LBB78_3057:
	s_mov_b64 s[4:5], 0
.LBB78_3058:
	s_and_b64 vcc, exec, s[4:5]
	s_cbranch_vccz .LBB78_3063
; %bb.3059:
	s_cmp_eq_u32 s12, 44
	s_mov_b64 s[0:1], -1
	s_cbranch_scc0 .LBB78_3063
; %bb.3060:
	v_cndmask_b32_e64 v3, 0, 1.0, s[24:25]
	v_lshrrev_b32_e32 v2, 23, v3
	s_movk_i32 s0, 0xff
	v_cmp_ne_u32_e32 vcc, s0, v2
	v_mov_b32_e32 v4, 0xff
	s_and_saveexec_b64 s[4:5], vcc
; %bb.3061:
	s_mov_b32 s0, 0x3fffff
	v_and_b32_e32 v4, 0x400000, v3
	v_and_or_b32 v3, v3, s0, v2
	v_cmp_ne_u32_e32 vcc, 0, v4
	v_cmp_ne_u32_e64 s[0:1], 0, v3
	s_and_b64 s[0:1], vcc, s[0:1]
	v_cndmask_b32_e64 v3, 0, 1, s[0:1]
	v_add_u32_e32 v4, v2, v3
; %bb.3062:
	s_or_b64 exec, exec, s[4:5]
	s_mov_b64 s[0:1], 0
	global_store_byte v[0:1], v4, off
.LBB78_3063:
	s_mov_b64 s[4:5], 0
.LBB78_3064:
	s_and_b64 vcc, exec, s[4:5]
	s_cbranch_vccz .LBB78_3067
; %bb.3065:
	s_cmp_eq_u32 s12, 29
	s_mov_b64 s[0:1], -1
	s_cbranch_scc0 .LBB78_3067
; %bb.3066:
	s_mov_b32 s0, 0
	v_cndmask_b32_e64 v2, 0, 1, s[24:25]
	v_mov_b32_e32 v3, s0
	global_store_dwordx2 v[0:1], v[2:3], off
	s_mov_b64 s[0:1], 0
.LBB78_3067:
	s_mov_b64 s[4:5], 0
.LBB78_3068:
	s_and_b64 vcc, exec, s[4:5]
	s_cbranch_vccz .LBB78_3083
; %bb.3069:
	s_cmp_lt_i32 s12, 27
	s_mov_b64 s[4:5], -1
	s_cbranch_scc1 .LBB78_3075
; %bb.3070:
	s_cmp_gt_i32 s12, 27
	v_cndmask_b32_e64 v2, 0, 1, s[24:25]
	s_cbranch_scc0 .LBB78_3072
; %bb.3071:
	global_store_dword v[0:1], v2, off
	s_mov_b64 s[4:5], 0
.LBB78_3072:
	s_andn2_b64 vcc, exec, s[4:5]
	s_cbranch_vccnz .LBB78_3074
; %bb.3073:
	global_store_short v[0:1], v2, off
.LBB78_3074:
	s_mov_b64 s[4:5], 0
.LBB78_3075:
	s_andn2_b64 vcc, exec, s[4:5]
	s_cbranch_vccnz .LBB78_3083
; %bb.3076:
	v_cndmask_b32_e64 v3, 0, 1.0, s[24:25]
	s_mov_b32 s4, 0x43800000
	v_cmp_gt_u32_e32 vcc, s4, v3
	v_mov_b32_e32 v4, 0x80
	s_and_saveexec_b64 s[4:5], vcc
	s_cbranch_execz .LBB78_3082
; %bb.3077:
	s_mov_b32 s8, 0x3bffffff
	v_cmp_lt_u32_e32 vcc, s8, v3
	s_mov_b64 s[8:9], 0
                                        ; implicit-def: $vgpr2
	s_and_saveexec_b64 s[10:11], vcc
	s_xor_b64 s[10:11], exec, s[10:11]
	s_cbranch_execz .LBB78_3144
; %bb.3078:
	v_bfe_u32 v2, v3, 20, 1
	s_mov_b32 s13, 0x487ffff
	v_add3_u32 v2, v3, v2, s13
	s_mov_b64 s[8:9], exec
	v_lshrrev_b32_e32 v2, 20, v2
                                        ; implicit-def: $vgpr3
	s_andn2_saveexec_b64 s[10:11], s[10:11]
	s_cbranch_execnz .LBB78_3145
.LBB78_3079:
	s_or_b64 exec, exec, s[10:11]
	v_mov_b32_e32 v4, 0
	s_and_saveexec_b64 s[10:11], s[8:9]
.LBB78_3080:
	v_mov_b32_e32 v4, v2
.LBB78_3081:
	s_or_b64 exec, exec, s[10:11]
.LBB78_3082:
	s_or_b64 exec, exec, s[4:5]
	global_store_byte v[0:1], v4, off
.LBB78_3083:
	s_mov_b64 s[4:5], 0
.LBB78_3084:
	s_and_b64 vcc, exec, s[4:5]
	s_cbranch_vccz .LBB78_3124
; %bb.3085:
	s_cmp_gt_i32 s12, 22
	s_mov_b64 s[2:3], -1
	s_cbranch_scc0 .LBB78_3117
; %bb.3086:
	s_cmp_lt_i32 s12, 24
	s_cbranch_scc1 .LBB78_3106
; %bb.3087:
	s_cmp_gt_i32 s12, 24
	s_cbranch_scc0 .LBB78_3095
; %bb.3088:
	v_cndmask_b32_e64 v3, 0, 1.0, s[24:25]
	s_mov_b32 s2, 0x47800000
	v_cmp_gt_u32_e32 vcc, s2, v3
	v_mov_b32_e32 v4, 0x80
	s_and_saveexec_b64 s[2:3], vcc
	s_cbranch_execz .LBB78_3094
; %bb.3089:
	s_mov_b32 s4, 0x37ffffff
	v_cmp_lt_u32_e32 vcc, s4, v3
	s_mov_b64 s[4:5], 0
                                        ; implicit-def: $vgpr2
	s_and_saveexec_b64 s[8:9], vcc
	s_xor_b64 s[8:9], exec, s[8:9]
	s_cbranch_execz .LBB78_3147
; %bb.3090:
	v_bfe_u32 v2, v3, 21, 1
	s_mov_b32 s10, 0x88fffff
	v_add3_u32 v2, v3, v2, s10
	s_mov_b64 s[4:5], exec
	v_lshrrev_b32_e32 v2, 21, v2
                                        ; implicit-def: $vgpr3
	s_andn2_saveexec_b64 s[8:9], s[8:9]
	s_cbranch_execnz .LBB78_3148
.LBB78_3091:
	s_or_b64 exec, exec, s[8:9]
	v_mov_b32_e32 v4, 0
	s_and_saveexec_b64 s[8:9], s[4:5]
.LBB78_3092:
	v_mov_b32_e32 v4, v2
.LBB78_3093:
	s_or_b64 exec, exec, s[8:9]
.LBB78_3094:
	s_or_b64 exec, exec, s[2:3]
	s_mov_b64 s[2:3], 0
	global_store_byte v[0:1], v4, off
.LBB78_3095:
	s_and_b64 vcc, exec, s[2:3]
	s_cbranch_vccz .LBB78_3105
; %bb.3096:
	v_cndmask_b32_e64 v2, 0, 1.0, s[24:25]
	s_mov_b32 s2, 0x43f00000
	v_cmp_gt_u32_e32 vcc, s2, v2
                                        ; implicit-def: $vgpr3
	s_and_saveexec_b64 s[2:3], vcc
	s_xor_b64 s[2:3], exec, s[2:3]
	s_cbranch_execz .LBB78_3102
; %bb.3097:
	s_mov_b32 s4, 0x3c7fffff
	v_cmp_lt_u32_e32 vcc, s4, v2
                                        ; implicit-def: $vgpr3
	s_and_saveexec_b64 s[4:5], vcc
	s_xor_b64 s[4:5], exec, s[4:5]
; %bb.3098:
	v_bfe_u32 v3, v2, 20, 1
	s_mov_b32 s8, 0x407ffff
	v_add3_u32 v2, v2, v3, s8
	v_lshrrev_b32_e32 v3, 20, v2
	v_and_b32_e32 v2, 0xff00000, v2
	s_mov_b32 s8, 0x7f00000
	v_mov_b32_e32 v4, 0x7e
	v_cmp_ne_u32_e32 vcc, s8, v2
	v_cndmask_b32_e32 v3, v4, v3, vcc
                                        ; implicit-def: $vgpr2
; %bb.3099:
	s_andn2_saveexec_b64 s[4:5], s[4:5]
; %bb.3100:
	v_add_f32_e32 v3, 0x46800000, v2
; %bb.3101:
	s_or_b64 exec, exec, s[4:5]
                                        ; implicit-def: $vgpr2
.LBB78_3102:
	s_andn2_saveexec_b64 s[2:3], s[2:3]
; %bb.3103:
	s_mov_b32 s4, 0x7f800000
	v_mov_b32_e32 v3, 0x7e
	v_mov_b32_e32 v4, 0x7f
	v_cmp_lt_u32_e32 vcc, s4, v2
	v_cndmask_b32_e32 v3, v3, v4, vcc
; %bb.3104:
	s_or_b64 exec, exec, s[2:3]
	global_store_byte v[0:1], v3, off
.LBB78_3105:
	s_mov_b64 s[2:3], 0
.LBB78_3106:
	s_andn2_b64 vcc, exec, s[2:3]
	s_cbranch_vccnz .LBB78_3116
; %bb.3107:
	v_cndmask_b32_e64 v2, 0, 1.0, s[24:25]
	s_mov_b32 s2, 0x47800000
	v_cmp_gt_u32_e32 vcc, s2, v2
                                        ; implicit-def: $vgpr3
	s_and_saveexec_b64 s[2:3], vcc
	s_xor_b64 s[2:3], exec, s[2:3]
	s_cbranch_execz .LBB78_3113
; %bb.3108:
	s_mov_b32 s4, 0x387fffff
	v_cmp_lt_u32_e32 vcc, s4, v2
                                        ; implicit-def: $vgpr3
	s_and_saveexec_b64 s[4:5], vcc
	s_xor_b64 s[4:5], exec, s[4:5]
; %bb.3109:
	v_bfe_u32 v3, v2, 21, 1
	s_mov_b32 s8, 0x80fffff
	v_add3_u32 v2, v2, v3, s8
	v_lshrrev_b32_e32 v3, 21, v2
                                        ; implicit-def: $vgpr2
; %bb.3110:
	s_andn2_saveexec_b64 s[4:5], s[4:5]
; %bb.3111:
	v_add_f32_e32 v3, 0x43000000, v2
; %bb.3112:
	s_or_b64 exec, exec, s[4:5]
                                        ; implicit-def: $vgpr2
.LBB78_3113:
	s_andn2_saveexec_b64 s[2:3], s[2:3]
; %bb.3114:
	s_mov_b32 s4, 0x7f800000
	v_mov_b32_e32 v3, 0x7c
	v_mov_b32_e32 v4, 0x7f
	v_cmp_lt_u32_e32 vcc, s4, v2
	v_cndmask_b32_e32 v3, v3, v4, vcc
; %bb.3115:
	s_or_b64 exec, exec, s[2:3]
	global_store_byte v[0:1], v3, off
.LBB78_3116:
	s_mov_b64 s[2:3], 0
.LBB78_3117:
	s_andn2_b64 vcc, exec, s[2:3]
	s_mov_b64 s[2:3], 0
	s_cbranch_vccnz .LBB78_3124
; %bb.3118:
	s_cmp_gt_i32 s12, 14
	s_mov_b64 s[4:5], -1
	s_cbranch_scc0 .LBB78_3122
; %bb.3119:
	s_cmp_eq_u32 s12, 15
	s_mov_b64 s[0:1], -1
	s_cbranch_scc0 .LBB78_3121
; %bb.3120:
	v_cndmask_b32_e64 v2, 0, 1.0, s[24:25]
	v_bfe_u32 v3, v2, 16, 1
	s_movk_i32 s0, 0x7fff
	v_add3_u32 v2, v2, v3, s0
	global_store_short_d16_hi v[0:1], v2, off
	s_mov_b64 s[0:1], 0
.LBB78_3121:
	s_mov_b64 s[4:5], 0
.LBB78_3122:
	s_and_b64 vcc, exec, s[4:5]
	s_cbranch_vccz .LBB78_3124
; %bb.3123:
	s_cmp_lg_u32 s12, 11
	s_mov_b64 s[2:3], -1
	s_cselect_b64 s[0:1], -1, 0
.LBB78_3124:
	s_and_b64 vcc, exec, s[0:1]
	s_cbranch_vccnz .LBB78_3146
.LBB78_3125:
	s_mov_b64 s[0:1], 0
	s_branch .LBB78_2636
.LBB78_3126:
	s_mov_b64 s[0:1], 0
	s_branch .LBB78_2635
.LBB78_3127:
	s_mov_b64 s[2:3], 0
	s_mov_b64 s[0:1], -1
	s_branch .LBB78_2636
.LBB78_3128:
	s_trap 2
	s_or_b64 s[18:19], s[18:19], exec
	s_cbranch_execz .LBB78_2578
	s_branch .LBB78_2579
.LBB78_3129:
	s_andn2_saveexec_b64 s[26:27], s[26:27]
	s_cbranch_execz .LBB78_2719
.LBB78_3130:
	v_add_f32_e32 v3, 0x46000000, v4
	v_and_b32_e32 v3, 0xff, v3
	v_cmp_ne_u32_e32 vcc, 0, v3
	s_andn2_b64 s[14:15], s[14:15], exec
	s_and_b64 s[30:31], vcc, exec
	s_or_b64 s[14:15], s[14:15], s[30:31]
	s_or_b64 exec, exec, s[26:27]
	v_mov_b32_e32 v5, 0
	s_and_saveexec_b64 s[26:27], s[14:15]
	s_cbranch_execnz .LBB78_2720
	s_branch .LBB78_2721
.LBB78_3131:
	s_trap 2
	s_or_b64 s[18:19], s[18:19], exec
	s_cbranch_execz .LBB78_2767
	s_branch .LBB78_2768
.LBB78_3132:
	s_andn2_saveexec_b64 s[14:15], s[14:15]
	s_cbranch_execz .LBB78_2732
.LBB78_3133:
	v_add_f32_e32 v3, 0x42800000, v4
	v_and_b32_e32 v3, 0xff, v3
	v_cmp_ne_u32_e32 vcc, 0, v3
	s_andn2_b64 s[10:11], s[10:11], exec
	s_and_b64 s[26:27], vcc, exec
	s_or_b64 s[10:11], s[10:11], s[26:27]
	s_or_b64 exec, exec, s[14:15]
	v_mov_b32_e32 v5, 0
	s_and_saveexec_b64 s[14:15], s[10:11]
	s_cbranch_execnz .LBB78_2733
	s_branch .LBB78_2734
.LBB78_3134:
	s_andn2_saveexec_b64 s[12:13], s[12:13]
	s_cbranch_execz .LBB78_2840
.LBB78_3135:
	v_add_f32_e32 v3, 0x46000000, v4
	v_and_b32_e32 v3, 0xff, v3
	v_cmp_ne_u32_e32 vcc, 0, v3
	s_andn2_b64 s[10:11], s[10:11], exec
	s_and_b64 s[26:27], vcc, exec
	s_or_b64 s[10:11], s[10:11], s[26:27]
	s_or_b64 exec, exec, s[12:13]
	v_mov_b32_e32 v5, 0
	s_and_saveexec_b64 s[12:13], s[10:11]
	s_cbranch_execnz .LBB78_2841
	s_branch .LBB78_2842
.LBB78_3136:
	s_trap 2
	s_or_b64 s[18:19], s[18:19], exec
	s_cbranch_execz .LBB78_2888
	s_branch .LBB78_2889
.LBB78_3137:
	s_andn2_saveexec_b64 s[10:11], s[10:11]
	s_cbranch_execz .LBB78_2853
.LBB78_3138:
	v_add_f32_e32 v3, 0x42800000, v4
	v_and_b32_e32 v3, 0xff, v3
	v_cmp_ne_u32_e32 vcc, 0, v3
	s_andn2_b64 s[4:5], s[4:5], exec
	s_and_b64 s[12:13], vcc, exec
	s_or_b64 s[4:5], s[4:5], s[12:13]
	s_or_b64 exec, exec, s[10:11]
	v_mov_b32_e32 v5, 0
	s_and_saveexec_b64 s[10:11], s[4:5]
	s_cbranch_execnz .LBB78_2854
	s_branch .LBB78_2855
.LBB78_3139:
	s_andn2_saveexec_b64 s[12:13], s[12:13]
	s_cbranch_execz .LBB78_2959
.LBB78_3140:
	v_add_f32_e32 v3, 0x46000000, v4
	v_and_b32_e32 v3, 0xff, v3
	v_cmp_ne_u32_e32 vcc, 0, v3
	s_andn2_b64 s[10:11], s[10:11], exec
	s_and_b64 s[20:21], vcc, exec
	s_or_b64 s[10:11], s[10:11], s[20:21]
	s_or_b64 exec, exec, s[12:13]
	v_mov_b32_e32 v5, 0
	s_and_saveexec_b64 s[12:13], s[10:11]
	s_cbranch_execnz .LBB78_2960
	s_branch .LBB78_2961
.LBB78_3141:
	s_trap 2
	s_or_b64 s[18:19], s[18:19], exec
	s_cbranch_execz .LBB78_3007
	s_branch .LBB78_3008
.LBB78_3142:
	s_andn2_saveexec_b64 s[10:11], s[10:11]
	s_cbranch_execz .LBB78_2972
.LBB78_3143:
	v_add_f32_e32 v3, 0x42800000, v4
	v_and_b32_e32 v3, 0xff, v3
	v_cmp_ne_u32_e32 vcc, 0, v3
	s_andn2_b64 s[4:5], s[4:5], exec
	s_and_b64 s[12:13], vcc, exec
	s_or_b64 s[4:5], s[4:5], s[12:13]
	s_or_b64 exec, exec, s[10:11]
	v_mov_b32_e32 v5, 0
	s_and_saveexec_b64 s[10:11], s[4:5]
	s_cbranch_execnz .LBB78_2973
	s_branch .LBB78_2974
.LBB78_3144:
	s_andn2_saveexec_b64 s[10:11], s[10:11]
	s_cbranch_execz .LBB78_3079
.LBB78_3145:
	v_add_f32_e32 v2, 0x46000000, v3
	v_and_b32_e32 v2, 0xff, v2
	v_cmp_ne_u32_e32 vcc, 0, v2
	s_andn2_b64 s[8:9], s[8:9], exec
	s_and_b64 s[14:15], vcc, exec
	s_or_b64 s[8:9], s[8:9], s[14:15]
	s_or_b64 exec, exec, s[10:11]
	v_mov_b32_e32 v4, 0
	s_and_saveexec_b64 s[10:11], s[8:9]
	s_cbranch_execnz .LBB78_3080
	s_branch .LBB78_3081
.LBB78_3146:
	s_mov_b64 s[2:3], 0
	s_or_b64 s[18:19], s[18:19], exec
	s_trap 2
	s_branch .LBB78_3125
.LBB78_3147:
	s_andn2_saveexec_b64 s[8:9], s[8:9]
	s_cbranch_execz .LBB78_3091
.LBB78_3148:
	v_add_f32_e32 v2, 0x42800000, v3
	v_and_b32_e32 v2, 0xff, v2
	v_cmp_ne_u32_e32 vcc, 0, v2
	s_andn2_b64 s[4:5], s[4:5], exec
	s_and_b64 s[10:11], vcc, exec
	s_or_b64 s[4:5], s[4:5], s[10:11]
	s_or_b64 exec, exec, s[8:9]
	v_mov_b32_e32 v4, 0
	s_and_saveexec_b64 s[8:9], s[4:5]
	s_cbranch_execnz .LBB78_3092
	s_branch .LBB78_3093
	.section	.rodata,"a",@progbits
	.p2align	6, 0x0
	.amdhsa_kernel _ZN2at6native32elementwise_kernel_manual_unrollILi128ELi4EZNS0_15gpu_kernel_implINS0_12_GLOBAL__N_114CompareFunctorIsEEEEvRNS_18TensorIteratorBaseERKT_EUlibE_EEviT1_
		.amdhsa_group_segment_fixed_size 0
		.amdhsa_private_segment_fixed_size 0
		.amdhsa_kernarg_size 56
		.amdhsa_user_sgpr_count 6
		.amdhsa_user_sgpr_private_segment_buffer 1
		.amdhsa_user_sgpr_dispatch_ptr 0
		.amdhsa_user_sgpr_queue_ptr 0
		.amdhsa_user_sgpr_kernarg_segment_ptr 1
		.amdhsa_user_sgpr_dispatch_id 0
		.amdhsa_user_sgpr_flat_scratch_init 0
		.amdhsa_user_sgpr_private_segment_size 0
		.amdhsa_uses_dynamic_stack 0
		.amdhsa_system_sgpr_private_segment_wavefront_offset 0
		.amdhsa_system_sgpr_workgroup_id_x 1
		.amdhsa_system_sgpr_workgroup_id_y 0
		.amdhsa_system_sgpr_workgroup_id_z 0
		.amdhsa_system_sgpr_workgroup_info 0
		.amdhsa_system_vgpr_workitem_id 0
		.amdhsa_next_free_vgpr 12
		.amdhsa_next_free_sgpr 57
		.amdhsa_reserve_vcc 1
		.amdhsa_reserve_flat_scratch 0
		.amdhsa_float_round_mode_32 0
		.amdhsa_float_round_mode_16_64 0
		.amdhsa_float_denorm_mode_32 3
		.amdhsa_float_denorm_mode_16_64 3
		.amdhsa_dx10_clamp 1
		.amdhsa_ieee_mode 1
		.amdhsa_fp16_overflow 0
		.amdhsa_exception_fp_ieee_invalid_op 0
		.amdhsa_exception_fp_denorm_src 0
		.amdhsa_exception_fp_ieee_div_zero 0
		.amdhsa_exception_fp_ieee_overflow 0
		.amdhsa_exception_fp_ieee_underflow 0
		.amdhsa_exception_fp_ieee_inexact 0
		.amdhsa_exception_int_div_zero 0
	.end_amdhsa_kernel
	.section	.text._ZN2at6native32elementwise_kernel_manual_unrollILi128ELi4EZNS0_15gpu_kernel_implINS0_12_GLOBAL__N_114CompareFunctorIsEEEEvRNS_18TensorIteratorBaseERKT_EUlibE_EEviT1_,"axG",@progbits,_ZN2at6native32elementwise_kernel_manual_unrollILi128ELi4EZNS0_15gpu_kernel_implINS0_12_GLOBAL__N_114CompareFunctorIsEEEEvRNS_18TensorIteratorBaseERKT_EUlibE_EEviT1_,comdat
.Lfunc_end78:
	.size	_ZN2at6native32elementwise_kernel_manual_unrollILi128ELi4EZNS0_15gpu_kernel_implINS0_12_GLOBAL__N_114CompareFunctorIsEEEEvRNS_18TensorIteratorBaseERKT_EUlibE_EEviT1_, .Lfunc_end78-_ZN2at6native32elementwise_kernel_manual_unrollILi128ELi4EZNS0_15gpu_kernel_implINS0_12_GLOBAL__N_114CompareFunctorIsEEEEvRNS_18TensorIteratorBaseERKT_EUlibE_EEviT1_
                                        ; -- End function
	.set _ZN2at6native32elementwise_kernel_manual_unrollILi128ELi4EZNS0_15gpu_kernel_implINS0_12_GLOBAL__N_114CompareFunctorIsEEEEvRNS_18TensorIteratorBaseERKT_EUlibE_EEviT1_.num_vgpr, 12
	.set _ZN2at6native32elementwise_kernel_manual_unrollILi128ELi4EZNS0_15gpu_kernel_implINS0_12_GLOBAL__N_114CompareFunctorIsEEEEvRNS_18TensorIteratorBaseERKT_EUlibE_EEviT1_.num_agpr, 0
	.set _ZN2at6native32elementwise_kernel_manual_unrollILi128ELi4EZNS0_15gpu_kernel_implINS0_12_GLOBAL__N_114CompareFunctorIsEEEEvRNS_18TensorIteratorBaseERKT_EUlibE_EEviT1_.numbered_sgpr, 57
	.set _ZN2at6native32elementwise_kernel_manual_unrollILi128ELi4EZNS0_15gpu_kernel_implINS0_12_GLOBAL__N_114CompareFunctorIsEEEEvRNS_18TensorIteratorBaseERKT_EUlibE_EEviT1_.num_named_barrier, 0
	.set _ZN2at6native32elementwise_kernel_manual_unrollILi128ELi4EZNS0_15gpu_kernel_implINS0_12_GLOBAL__N_114CompareFunctorIsEEEEvRNS_18TensorIteratorBaseERKT_EUlibE_EEviT1_.private_seg_size, 0
	.set _ZN2at6native32elementwise_kernel_manual_unrollILi128ELi4EZNS0_15gpu_kernel_implINS0_12_GLOBAL__N_114CompareFunctorIsEEEEvRNS_18TensorIteratorBaseERKT_EUlibE_EEviT1_.uses_vcc, 1
	.set _ZN2at6native32elementwise_kernel_manual_unrollILi128ELi4EZNS0_15gpu_kernel_implINS0_12_GLOBAL__N_114CompareFunctorIsEEEEvRNS_18TensorIteratorBaseERKT_EUlibE_EEviT1_.uses_flat_scratch, 0
	.set _ZN2at6native32elementwise_kernel_manual_unrollILi128ELi4EZNS0_15gpu_kernel_implINS0_12_GLOBAL__N_114CompareFunctorIsEEEEvRNS_18TensorIteratorBaseERKT_EUlibE_EEviT1_.has_dyn_sized_stack, 0
	.set _ZN2at6native32elementwise_kernel_manual_unrollILi128ELi4EZNS0_15gpu_kernel_implINS0_12_GLOBAL__N_114CompareFunctorIsEEEEvRNS_18TensorIteratorBaseERKT_EUlibE_EEviT1_.has_recursion, 0
	.set _ZN2at6native32elementwise_kernel_manual_unrollILi128ELi4EZNS0_15gpu_kernel_implINS0_12_GLOBAL__N_114CompareFunctorIsEEEEvRNS_18TensorIteratorBaseERKT_EUlibE_EEviT1_.has_indirect_call, 0
	.section	.AMDGPU.csdata,"",@progbits
; Kernel info:
; codeLenInByte = 45244
; TotalNumSgprs: 61
; NumVgprs: 12
; ScratchSize: 0
; MemoryBound: 1
; FloatMode: 240
; IeeeMode: 1
; LDSByteSize: 0 bytes/workgroup (compile time only)
; SGPRBlocks: 7
; VGPRBlocks: 2
; NumSGPRsForWavesPerEU: 61
; NumVGPRsForWavesPerEU: 12
; Occupancy: 10
; WaveLimiterHint : 0
; COMPUTE_PGM_RSRC2:SCRATCH_EN: 0
; COMPUTE_PGM_RSRC2:USER_SGPR: 6
; COMPUTE_PGM_RSRC2:TRAP_HANDLER: 0
; COMPUTE_PGM_RSRC2:TGID_X_EN: 1
; COMPUTE_PGM_RSRC2:TGID_Y_EN: 0
; COMPUTE_PGM_RSRC2:TGID_Z_EN: 0
; COMPUTE_PGM_RSRC2:TIDIG_COMP_CNT: 0
	.section	.text._ZN2at6native32elementwise_kernel_manual_unrollILi128ELi4EZNS0_15gpu_kernel_implINS0_12_GLOBAL__N_114CompareFunctorIsEEEEvRNS_18TensorIteratorBaseERKT_EUlibE0_EEviT1_,"axG",@progbits,_ZN2at6native32elementwise_kernel_manual_unrollILi128ELi4EZNS0_15gpu_kernel_implINS0_12_GLOBAL__N_114CompareFunctorIsEEEEvRNS_18TensorIteratorBaseERKT_EUlibE0_EEviT1_,comdat
	.globl	_ZN2at6native32elementwise_kernel_manual_unrollILi128ELi4EZNS0_15gpu_kernel_implINS0_12_GLOBAL__N_114CompareFunctorIsEEEEvRNS_18TensorIteratorBaseERKT_EUlibE0_EEviT1_ ; -- Begin function _ZN2at6native32elementwise_kernel_manual_unrollILi128ELi4EZNS0_15gpu_kernel_implINS0_12_GLOBAL__N_114CompareFunctorIsEEEEvRNS_18TensorIteratorBaseERKT_EUlibE0_EEviT1_
	.p2align	8
	.type	_ZN2at6native32elementwise_kernel_manual_unrollILi128ELi4EZNS0_15gpu_kernel_implINS0_12_GLOBAL__N_114CompareFunctorIsEEEEvRNS_18TensorIteratorBaseERKT_EUlibE0_EEviT1_,@function
_ZN2at6native32elementwise_kernel_manual_unrollILi128ELi4EZNS0_15gpu_kernel_implINS0_12_GLOBAL__N_114CompareFunctorIsEEEEvRNS_18TensorIteratorBaseERKT_EUlibE0_EEviT1_: ; @_ZN2at6native32elementwise_kernel_manual_unrollILi128ELi4EZNS0_15gpu_kernel_implINS0_12_GLOBAL__N_114CompareFunctorIsEEEEvRNS_18TensorIteratorBaseERKT_EUlibE0_EEviT1_
; %bb.0:
	s_load_dword s68, s[4:5], 0x0
	s_load_dword s33, s[4:5], 0x8
	s_add_u32 s2, s4, 8
	s_addc_u32 s3, s5, 0
	v_lshl_or_b32 v8, s6, 9, v0
	v_or_b32_e32 v23, 0x180, v8
	s_waitcnt lgkmcnt(0)
	s_add_i32 s70, s33, -1
	s_cmp_gt_u32 s70, 1
	v_cmp_le_i32_e32 vcc, s68, v23
	s_cselect_b64 s[24:25], -1, 0
	s_mov_b64 s[6:7], 0
	s_mov_b64 s[12:13], 0
	s_and_saveexec_b64 s[0:1], vcc
	s_xor_b64 s[26:27], exec, s[0:1]
	s_cbranch_execz .LBB79_1623
; %bb.1:
	s_cmp_lg_u32 s33, 0
	s_load_dwordx4 s[16:19], s[2:3], 0x4
	s_load_dwordx2 s[30:31], s[2:3], 0x14
	s_load_dwordx8 s[8:15], s[2:3], 0x188
	s_load_dwordx4 s[20:23], s[2:3], 0xc4
	s_load_dwordx2 s[28:29], s[2:3], 0xd4
	s_cselect_b64 s[36:37], -1, 0
	s_min_u32 s73, s70, 15
	s_cmp_gt_u32 s33, 1
	s_cselect_b64 s[34:35], -1, 0
	s_waitcnt lgkmcnt(0)
	s_lshr_b32 s72, s15, 8
	s_lshr_b32 s71, s15, 16
	v_cmp_gt_i32_e32 vcc, s68, v8
	s_mov_b64 s[0:1], -1
	s_mov_b64 s[48:49], 0
	s_mov_b64 s[42:43], 0
	;; [unrolled: 1-line block ×4, first 2 shown]
	s_and_saveexec_b64 s[44:45], vcc
	s_cbranch_execz .LBB79_402
; %bb.2:
	s_andn2_b64 vcc, exec, s[24:25]
	s_cbranch_vccnz .LBB79_8
; %bb.3:
	s_andn2_b64 vcc, exec, s[36:37]
	s_cbranch_vccnz .LBB79_9
; %bb.4:
	s_add_i32 s0, s73, 1
	s_and_b32 s38, s0, 30
	s_add_u32 s0, s2, 0xffffffe8
	s_addc_u32 s1, s3, -1
	v_mov_b32_e32 v3, 0
	v_mov_b32_e32 v5, 0
	;; [unrolled: 1-line block ×4, first 2 shown]
.LBB79_5:                               ; =>This Inner Loop Header: Depth=1
	s_load_dwordx4 s[40:43], s[0:1], 0x1c
	s_load_dwordx2 s[46:47], s[0:1], 0x2c
	s_load_dwordx2 s[50:51], s[0:1], 0xec
	s_load_dwordx4 s[52:55], s[0:1], 0xdc
	s_add_u32 s0, s0, 24
	s_waitcnt lgkmcnt(0)
	v_mul_hi_u32 v2, s41, v1
	s_addc_u32 s1, s1, 0
	s_add_i32 s38, s38, -2
	s_cmp_lg_u32 s38, 0
	v_add_u32_e32 v2, v1, v2
	v_lshrrev_b32_e32 v2, s42, v2
	v_mul_lo_u32 v4, v2, s40
	v_mul_hi_u32 v6, s46, v2
	v_sub_u32_e32 v4, v1, v4
	v_add_u32_e32 v1, v2, v6
	v_lshrrev_b32_e32 v1, s47, v1
	v_mul_lo_u32 v9, v1, s43
	v_mul_lo_u32 v6, v4, s52
	;; [unrolled: 1-line block ×4, first 2 shown]
	v_sub_u32_e32 v2, v2, v9
	v_mul_lo_u32 v9, v2, s55
	v_mul_lo_u32 v10, v2, s50
	;; [unrolled: 1-line block ×3, first 2 shown]
	v_add3_u32 v0, v6, v0, v9
	v_add3_u32 v5, v7, v5, v10
	;; [unrolled: 1-line block ×3, first 2 shown]
	s_cbranch_scc1 .LBB79_5
; %bb.6:
	s_bitcmp1_b32 s73, 0
	s_cselect_b64 s[38:39], -1, 0
	s_and_b64 vcc, exec, s[38:39]
	s_cbranch_vccnz .LBB79_10
; %bb.7:
	s_load_dwordx2 s[38:39], s[0:1], 0x1c
	s_load_dword s42, s[0:1], 0x24
	s_load_dwordx2 s[40:41], s[0:1], 0xdc
	s_waitcnt lgkmcnt(0)
	v_mul_hi_u32 v2, s39, v1
	v_add_u32_e32 v2, v1, v2
	v_lshrrev_b32_e32 v2, s42, v2
	v_mul_lo_u32 v2, v2, s38
	s_load_dword s38, s[0:1], 0xe4
	v_sub_u32_e32 v2, v1, v2
	v_mad_u64_u32 v[0:1], s[0:1], v2, s40, v[0:1]
	v_mad_u64_u32 v[5:6], s[0:1], v2, s41, v[5:6]
	s_waitcnt lgkmcnt(0)
	v_mad_u64_u32 v[3:4], s[0:1], v2, s38, v[3:4]
	s_cbranch_execz .LBB79_11
	s_branch .LBB79_13
.LBB79_8:
                                        ; implicit-def: $vgpr0
                                        ; implicit-def: $vgpr5
                                        ; implicit-def: $vgpr3
	s_andn2_b64 vcc, exec, s[0:1]
	s_cbranch_vccz .LBB79_11
	s_branch .LBB79_13
.LBB79_9:
	v_mov_b32_e32 v0, 0
	v_mov_b32_e32 v5, 0
	;; [unrolled: 1-line block ×3, first 2 shown]
.LBB79_10:
	s_cbranch_execnz .LBB79_13
.LBB79_11:
	v_mul_hi_u32 v0, s17, v8
	s_andn2_b64 vcc, exec, s[34:35]
	v_add_u32_e32 v0, v8, v0
	v_lshrrev_b32_e32 v1, s18, v0
	v_mul_lo_u32 v0, v1, s16
	v_sub_u32_e32 v2, v8, v0
	v_mul_lo_u32 v0, v2, s20
	v_mul_lo_u32 v5, v2, s21
	;; [unrolled: 1-line block ×3, first 2 shown]
	s_cbranch_vccnz .LBB79_13
; %bb.12:
	v_mul_hi_u32 v2, s30, v1
	v_add_u32_e32 v2, v1, v2
	v_lshrrev_b32_e32 v2, s31, v2
	v_mul_lo_u32 v2, v2, s19
	v_sub_u32_e32 v2, v1, v2
	v_mad_u64_u32 v[0:1], s[0:1], v2, s23, v[0:1]
	v_mad_u64_u32 v[5:6], s[0:1], v2, s28, v[5:6]
	;; [unrolled: 1-line block ×3, first 2 shown]
.LBB79_13:
	v_mov_b32_e32 v1, s11
	s_and_b32 s40, s72, 0xff
	v_add_co_u32_e32 v4, vcc, s10, v5
	s_cmp_lt_i32 s40, 11
	v_addc_co_u32_e32 v5, vcc, 0, v1, vcc
	s_cbranch_scc1 .LBB79_20
; %bb.14:
	s_and_b32 s41, 0xffff, s40
	s_cmp_gt_i32 s41, 25
	s_cbranch_scc0 .LBB79_29
; %bb.15:
	s_cmp_gt_i32 s41, 28
	s_cbranch_scc0 .LBB79_36
; %bb.16:
	;; [unrolled: 3-line block ×4, first 2 shown]
	s_cmp_eq_u32 s41, 46
	s_mov_b64 s[38:39], 0
	s_cbranch_scc0 .LBB79_64
; %bb.19:
	global_load_dword v1, v[4:5], off
	s_mov_b64 s[0:1], -1
	s_mov_b64 s[42:43], 0
	s_waitcnt vmcnt(0)
	v_lshlrev_b32_e32 v1, 16, v1
	v_cvt_i32_f32_e32 v1, v1
	s_branch .LBB79_66
.LBB79_20:
	s_mov_b64 s[42:43], 0
                                        ; implicit-def: $vgpr1
	s_mov_b64 s[0:1], 0
	s_cbranch_execnz .LBB79_128
.LBB79_21:
	s_andn2_b64 vcc, exec, s[0:1]
	s_cbranch_vccnz .LBB79_175
.LBB79_22:
	v_mov_b32_e32 v4, s13
	s_and_b32 s46, s71, 0xff
	s_waitcnt vmcnt(0)
	v_add_co_u32_e32 v2, vcc, s12, v3
	s_cmp_lt_i32 s46, 11
	v_addc_co_u32_e32 v3, vcc, 0, v4, vcc
	s_cbranch_scc1 .LBB79_30
; %bb.23:
	s_and_b32 s47, 0xffff, s46
	s_cmp_gt_i32 s47, 25
	s_cbranch_scc0 .LBB79_37
; %bb.24:
	s_cmp_gt_i32 s47, 28
	s_cbranch_scc0 .LBB79_42
; %bb.25:
	;; [unrolled: 3-line block ×4, first 2 shown]
	s_cmp_eq_u32 s47, 46
	s_mov_b64 s[38:39], 0
	s_cbranch_scc0 .LBB79_176
; %bb.28:
	global_load_dword v4, v[2:3], off
	s_mov_b64 s[0:1], -1
	s_mov_b64 s[40:41], 0
	s_waitcnt vmcnt(0)
	v_lshlrev_b32_e32 v4, 16, v4
	v_cvt_i32_f32_e32 v4, v4
	s_branch .LBB79_178
.LBB79_29:
	s_mov_b64 s[42:43], 0
	s_mov_b64 s[0:1], 0
                                        ; implicit-def: $vgpr1
	s_cbranch_execnz .LBB79_95
	s_branch .LBB79_127
.LBB79_30:
	s_mov_b64 s[40:41], 0
                                        ; implicit-def: $vgpr4
	s_mov_b64 s[0:1], 0
	s_cbranch_execnz .LBB79_351
.LBB79_31:
	s_andn2_b64 vcc, exec, s[0:1]
	s_cbranch_vccnz .LBB79_399
.LBB79_32:
	s_cmp_lt_i32 s14, 1
	s_mov_b64 s[0:1], 0
	s_cbranch_scc1 .LBB79_38
; %bb.33:
	s_cmp_gt_i32 s14, 1
	s_cbranch_scc0 .LBB79_43
; %bb.34:
	s_cmp_eq_u32 s14, 2
	s_cbranch_scc0 .LBB79_46
; %bb.35:
	s_waitcnt vmcnt(0)
	v_cmp_le_i16_e64 s[38:39], v1, v4
	s_mov_b64 s[46:47], 0
	s_branch .LBB79_47
.LBB79_36:
	s_mov_b64 s[38:39], -1
	s_mov_b64 s[42:43], 0
	s_mov_b64 s[0:1], 0
                                        ; implicit-def: $vgpr1
	s_branch .LBB79_78
.LBB79_37:
	s_mov_b64 s[38:39], -1
	s_mov_b64 s[40:41], 0
	s_mov_b64 s[0:1], 0
                                        ; implicit-def: $vgpr4
	s_branch .LBB79_317
.LBB79_38:
                                        ; implicit-def: $sgpr38_sgpr39
	s_mov_b64 s[46:47], 0
	s_cbranch_execnz .LBB79_51
.LBB79_39:
	s_andn2_b64 vcc, exec, s[46:47]
	s_cbranch_vccnz .LBB79_52
.LBB79_40:
	s_waitcnt vmcnt(0)
	v_cmp_lt_i16_e32 vcc, v1, v4
	s_andn2_b64 s[38:39], s[38:39], exec
	s_and_b64 s[46:47], vcc, exec
	s_or_b64 s[38:39], s[38:39], s[46:47]
	s_cbranch_execz .LBB79_53
	s_branch .LBB79_54
.LBB79_41:
	s_mov_b64 s[38:39], -1
	s_mov_b64 s[42:43], 0
	s_mov_b64 s[0:1], 0
                                        ; implicit-def: $vgpr1
	s_branch .LBB79_73
.LBB79_42:
	s_mov_b64 s[38:39], -1
	s_mov_b64 s[40:41], 0
	s_mov_b64 s[0:1], 0
                                        ; implicit-def: $vgpr4
	s_branch .LBB79_300
.LBB79_43:
	s_mov_b64 s[50:51], -1
	s_mov_b64 s[46:47], 0
                                        ; implicit-def: $sgpr38_sgpr39
	s_branch .LBB79_48
.LBB79_44:
	s_mov_b64 s[38:39], -1
	s_mov_b64 s[42:43], 0
	s_branch .LBB79_65
.LBB79_45:
	s_mov_b64 s[38:39], -1
	s_mov_b64 s[40:41], 0
	s_mov_b64 s[0:1], 0
                                        ; implicit-def: $vgpr4
	s_branch .LBB79_295
.LBB79_46:
	s_mov_b64 s[46:47], -1
                                        ; implicit-def: $sgpr38_sgpr39
.LBB79_47:
	s_mov_b64 s[50:51], 0
.LBB79_48:
	s_and_b64 vcc, exec, s[50:51]
	s_cbranch_vccz .LBB79_50
; %bb.49:
	s_waitcnt vmcnt(0)
	v_cmp_gt_i16_e32 vcc, v1, v4
	s_andn2_b64 s[38:39], s[38:39], exec
	s_and_b64 s[50:51], vcc, exec
	s_or_b64 s[38:39], s[38:39], s[50:51]
.LBB79_50:
	s_branch .LBB79_39
.LBB79_51:
	s_cmp_lg_u32 s14, 0
	s_mov_b64 s[0:1], -1
	s_cselect_b64 s[46:47], -1, 0
	s_andn2_b64 vcc, exec, s[46:47]
	s_cbranch_vccz .LBB79_40
.LBB79_52:
	s_andn2_b64 vcc, exec, s[0:1]
	s_cbranch_vccnz .LBB79_54
.LBB79_53:
	s_waitcnt vmcnt(0)
	v_cmp_ge_i16_e32 vcc, v1, v4
	s_andn2_b64 s[0:1], s[38:39], exec
	s_and_b64 s[38:39], vcc, exec
	s_or_b64 s[38:39], s[0:1], s[38:39]
.LBB79_54:
	v_mov_b32_e32 v1, s9
	s_and_b32 s54, s15, 0xff
	v_add_co_u32_e32 v0, vcc, s8, v0
	s_cmp_lt_i32 s54, 11
	v_addc_co_u32_e32 v1, vcc, 0, v1, vcc
	s_cbranch_scc1 .LBB79_61
; %bb.55:
	s_and_b32 s55, 0xffff, s54
	s_cmp_gt_i32 s55, 25
	s_cbranch_scc0 .LBB79_62
; %bb.56:
	s_cmp_gt_i32 s55, 28
	s_cbranch_scc0 .LBB79_63
; %bb.57:
	;; [unrolled: 3-line block ×4, first 2 shown]
	s_mov_b64 s[50:51], 0
	s_mov_b64 s[0:1], -1
	s_cmp_eq_u32 s55, 46
	s_mov_b64 s[46:47], 0
	s_cbranch_scc0 .LBB79_182
; %bb.60:
	v_cndmask_b32_e64 v2, 0, 1.0, s[38:39]
	v_bfe_u32 v3, v2, 16, 1
	s_movk_i32 s0, 0x7fff
	v_add3_u32 v2, v2, v3, s0
	v_lshrrev_b32_e32 v2, 16, v2
	global_store_dword v[0:1], v2, off
	s_mov_b64 s[46:47], -1
	s_mov_b64 s[0:1], 0
	s_branch .LBB79_182
.LBB79_61:
	s_mov_b64 s[50:51], -1
	s_mov_b64 s[0:1], 0
	s_mov_b64 s[46:47], 0
	s_branch .LBB79_251
.LBB79_62:
	s_mov_b64 s[50:51], -1
	s_mov_b64 s[0:1], 0
	s_mov_b64 s[46:47], 0
	s_branch .LBB79_209
.LBB79_63:
	s_mov_b64 s[50:51], -1
	s_mov_b64 s[0:1], 0
	s_mov_b64 s[46:47], 0
	s_branch .LBB79_192
.LBB79_64:
	s_mov_b64 s[42:43], -1
.LBB79_65:
	s_mov_b64 s[0:1], 0
                                        ; implicit-def: $vgpr1
.LBB79_66:
	s_and_b64 vcc, exec, s[38:39]
	s_cbranch_vccz .LBB79_72
; %bb.67:
	s_cmp_eq_u32 s41, 44
	s_cbranch_scc0 .LBB79_71
; %bb.68:
	global_load_ubyte v1, v[4:5], off
	s_mov_b64 s[0:1], -1
	s_mov_b64 s[42:43], 0
	s_waitcnt vmcnt(0)
	v_lshlrev_b32_e32 v2, 23, v1
	v_cvt_i32_f32_e32 v2, v2
	v_cmp_ne_u32_e32 vcc, 0, v1
	v_cndmask_b32_e32 v1, 0, v2, vcc
	s_branch .LBB79_72
.LBB79_69:
	s_mov_b64 s[38:39], -1
	s_mov_b64 s[40:41], 0
	s_branch .LBB79_177
.LBB79_70:
	s_mov_b64 s[50:51], -1
	s_mov_b64 s[0:1], 0
	s_mov_b64 s[46:47], 0
	s_branch .LBB79_188
.LBB79_71:
	s_mov_b64 s[42:43], -1
                                        ; implicit-def: $vgpr1
.LBB79_72:
	s_mov_b64 s[38:39], 0
.LBB79_73:
	s_and_b64 vcc, exec, s[38:39]
	s_cbranch_vccz .LBB79_77
; %bb.74:
	s_cmp_eq_u32 s41, 29
	s_cbranch_scc0 .LBB79_76
; %bb.75:
	global_load_dwordx2 v[1:2], v[4:5], off
	s_mov_b64 s[0:1], -1
	s_mov_b64 s[42:43], 0
	s_branch .LBB79_77
.LBB79_76:
	s_mov_b64 s[42:43], -1
                                        ; implicit-def: $vgpr1
.LBB79_77:
	s_mov_b64 s[38:39], 0
.LBB79_78:
	s_and_b64 vcc, exec, s[38:39]
	s_cbranch_vccz .LBB79_94
; %bb.79:
	s_cmp_lt_i32 s41, 27
	s_cbranch_scc1 .LBB79_82
; %bb.80:
	s_cmp_gt_i32 s41, 27
	s_cbranch_scc0 .LBB79_83
; %bb.81:
	global_load_dword v1, v[4:5], off
	s_mov_b64 s[0:1], 0
	s_branch .LBB79_84
.LBB79_82:
	s_mov_b64 s[0:1], -1
                                        ; implicit-def: $vgpr1
	s_branch .LBB79_87
.LBB79_83:
	s_mov_b64 s[0:1], -1
                                        ; implicit-def: $vgpr1
.LBB79_84:
	s_andn2_b64 vcc, exec, s[0:1]
	s_cbranch_vccnz .LBB79_86
; %bb.85:
	global_load_ushort v1, v[4:5], off
.LBB79_86:
	s_mov_b64 s[0:1], 0
.LBB79_87:
	s_andn2_b64 vcc, exec, s[0:1]
	s_cbranch_vccnz .LBB79_93
; %bb.88:
	global_load_ubyte v2, v[4:5], off
	s_movk_i32 s0, 0x7f
	s_mov_b64 s[38:39], 0
	s_waitcnt vmcnt(0)
	v_cmp_lt_i16_e32 vcc, s0, v2
	s_and_saveexec_b64 s[0:1], vcc
	s_xor_b64 s[0:1], exec, s[0:1]
	s_cbranch_execz .LBB79_104
; %bb.89:
	s_movk_i32 s38, 0x80
	v_cmp_ne_u16_e32 vcc, s38, v2
	s_and_b64 s[38:39], vcc, exec
	s_andn2_saveexec_b64 s[0:1], s[0:1]
	s_cbranch_execnz .LBB79_105
.LBB79_90:
	s_or_b64 exec, exec, s[0:1]
	v_mov_b32_e32 v1, 0
	s_and_saveexec_b64 s[0:1], s[38:39]
	s_cbranch_execz .LBB79_92
.LBB79_91:
	v_lshlrev_b32_e32 v1, 24, v2
	v_and_b32_e32 v2, 0xffff, v2
	v_and_b32_e32 v6, 7, v2
	v_ffbh_u32_e32 v9, v6
	v_min_u32_e32 v9, 32, v9
	v_subrev_u32_e32 v10, 28, v9
	v_bfe_u32 v7, v2, 3, 4
	v_lshlrev_b32_e32 v2, v10, v2
	v_sub_u32_e32 v9, 29, v9
	v_and_b32_e32 v2, 7, v2
	v_cmp_eq_u32_e32 vcc, 0, v7
	v_cndmask_b32_e32 v7, v7, v9, vcc
	v_cndmask_b32_e32 v2, v6, v2, vcc
	v_mov_b32_e32 v6, 0x3b800000
	v_lshlrev_b32_e32 v2, 20, v2
	v_and_b32_e32 v1, 0x80000000, v1
	v_lshl_add_u32 v6, v7, 23, v6
	v_or3_b32 v1, v1, v6, v2
	v_cvt_i32_f32_e32 v1, v1
.LBB79_92:
	s_or_b64 exec, exec, s[0:1]
.LBB79_93:
	s_mov_b64 s[0:1], -1
.LBB79_94:
	s_branch .LBB79_127
.LBB79_95:
	s_cmp_gt_i32 s41, 22
	s_cbranch_scc0 .LBB79_103
; %bb.96:
	s_cmp_lt_i32 s41, 24
	s_cbranch_scc1 .LBB79_106
; %bb.97:
	s_cmp_gt_i32 s41, 24
	s_cbranch_scc0 .LBB79_107
; %bb.98:
	global_load_ubyte v2, v[4:5], off
	s_movk_i32 s0, 0x7f
	s_mov_b64 s[38:39], 0
	s_waitcnt vmcnt(0)
	v_cmp_lt_i16_e32 vcc, s0, v2
	s_and_saveexec_b64 s[0:1], vcc
	s_xor_b64 s[0:1], exec, s[0:1]
	s_cbranch_execz .LBB79_119
; %bb.99:
	s_movk_i32 s38, 0x80
	v_cmp_ne_u16_e32 vcc, s38, v2
	s_and_b64 s[38:39], vcc, exec
	s_andn2_saveexec_b64 s[0:1], s[0:1]
	s_cbranch_execnz .LBB79_120
.LBB79_100:
	s_or_b64 exec, exec, s[0:1]
	v_mov_b32_e32 v1, 0
	s_and_saveexec_b64 s[0:1], s[38:39]
	s_cbranch_execz .LBB79_102
.LBB79_101:
	v_lshlrev_b32_e32 v1, 24, v2
	v_and_b32_e32 v2, 0xffff, v2
	v_and_b32_e32 v6, 3, v2
	v_ffbh_u32_e32 v9, v6
	v_min_u32_e32 v9, 32, v9
	v_subrev_u32_e32 v10, 29, v9
	v_bfe_u32 v7, v2, 2, 5
	v_lshlrev_b32_e32 v2, v10, v2
	v_sub_u32_e32 v9, 30, v9
	v_and_b32_e32 v2, 3, v2
	v_cmp_eq_u32_e32 vcc, 0, v7
	v_cndmask_b32_e32 v7, v7, v9, vcc
	v_cndmask_b32_e32 v2, v6, v2, vcc
	v_mov_b32_e32 v6, 0x37800000
	v_lshlrev_b32_e32 v2, 21, v2
	v_and_b32_e32 v1, 0x80000000, v1
	v_lshl_add_u32 v6, v7, 23, v6
	v_or3_b32 v1, v1, v6, v2
	v_cvt_i32_f32_e32 v1, v1
.LBB79_102:
	s_or_b64 exec, exec, s[0:1]
	s_mov_b64 s[0:1], 0
	s_branch .LBB79_108
.LBB79_103:
	s_mov_b64 s[38:39], -1
                                        ; implicit-def: $vgpr1
	s_branch .LBB79_114
.LBB79_104:
	s_andn2_saveexec_b64 s[0:1], s[0:1]
	s_cbranch_execz .LBB79_90
.LBB79_105:
	v_cmp_ne_u16_e32 vcc, 0, v2
	s_andn2_b64 s[38:39], s[38:39], exec
	s_and_b64 s[46:47], vcc, exec
	s_or_b64 s[38:39], s[38:39], s[46:47]
	s_or_b64 exec, exec, s[0:1]
	v_mov_b32_e32 v1, 0
	s_and_saveexec_b64 s[0:1], s[38:39]
	s_cbranch_execnz .LBB79_91
	s_branch .LBB79_92
.LBB79_106:
	s_mov_b64 s[0:1], -1
                                        ; implicit-def: $vgpr1
	s_branch .LBB79_111
.LBB79_107:
	s_mov_b64 s[0:1], -1
                                        ; implicit-def: $vgpr1
.LBB79_108:
	s_and_b64 vcc, exec, s[0:1]
	s_cbranch_vccz .LBB79_110
; %bb.109:
	global_load_ubyte v1, v[4:5], off
	s_mov_b32 s0, 0x7f800000
	s_waitcnt vmcnt(0)
	v_lshlrev_b32_e32 v1, 24, v1
	v_and_b32_e32 v2, 0x7f000000, v1
	v_ffbh_u32_e32 v6, v2
	v_min_u32_e32 v6, 32, v6
	v_sub_u32_e64 v6, v6, 4 clamp
	v_lshlrev_b32_e32 v9, v6, v2
	v_lshlrev_b32_e32 v6, 23, v6
	v_lshrrev_b32_e32 v9, 4, v9
	v_add_u32_e32 v7, 0x1000000, v2
	v_sub_u32_e32 v6, v9, v6
	v_ashrrev_i32_e32 v7, 8, v7
	v_add_u32_e32 v6, 0x3c000000, v6
	v_and_or_b32 v6, v7, s0, v6
	v_cmp_ne_u32_e32 vcc, 0, v2
	v_cndmask_b32_e32 v2, 0, v6, vcc
	s_brev_b32 s0, 1
	v_and_or_b32 v1, v1, s0, v2
	v_cvt_i32_f32_e32 v1, v1
.LBB79_110:
	s_mov_b64 s[0:1], 0
.LBB79_111:
	s_andn2_b64 vcc, exec, s[0:1]
	s_cbranch_vccnz .LBB79_113
; %bb.112:
	global_load_ubyte v1, v[4:5], off
	s_movk_i32 s0, 0x7f00
	s_brev_b32 s1, 16
	s_waitcnt vmcnt(0)
	v_lshlrev_b16_e32 v2, 8, v1
	v_lshlrev_b32_e32 v1, 25, v1
	v_lshrrev_b32_e32 v6, 4, v1
	v_and_or_b32 v7, v2, s0, 0.5
	v_or_b32_e32 v6, 0x70000000, v6
	v_add_f32_e32 v7, -0.5, v7
	v_mul_f32_e32 v6, 0x7800000, v6
	v_cmp_gt_u32_e32 vcc, s1, v1
	v_bfe_i32 v2, v2, 0, 16
	v_cndmask_b32_e32 v1, v6, v7, vcc
	s_brev_b32 s0, 1
	v_and_or_b32 v1, v2, s0, v1
	v_cvt_i32_f32_e32 v1, v1
.LBB79_113:
	s_mov_b64 s[38:39], 0
	s_mov_b64 s[0:1], -1
.LBB79_114:
	s_andn2_b64 vcc, exec, s[38:39]
	s_cbranch_vccnz .LBB79_127
; %bb.115:
	s_cmp_gt_i32 s41, 14
	s_cbranch_scc0 .LBB79_118
; %bb.116:
	s_cmp_eq_u32 s41, 15
	s_cbranch_scc0 .LBB79_121
; %bb.117:
	global_load_ushort v1, v[4:5], off
	s_mov_b64 s[0:1], -1
	s_mov_b64 s[42:43], 0
	s_waitcnt vmcnt(0)
	v_lshlrev_b32_e32 v1, 16, v1
	v_cvt_i32_f32_e32 v1, v1
	s_branch .LBB79_122
.LBB79_118:
	s_mov_b64 s[38:39], -1
                                        ; implicit-def: $vgpr1
	s_branch .LBB79_123
.LBB79_119:
	s_andn2_saveexec_b64 s[0:1], s[0:1]
	s_cbranch_execz .LBB79_100
.LBB79_120:
	v_cmp_ne_u16_e32 vcc, 0, v2
	s_andn2_b64 s[38:39], s[38:39], exec
	s_and_b64 s[46:47], vcc, exec
	s_or_b64 s[38:39], s[38:39], s[46:47]
	s_or_b64 exec, exec, s[0:1]
	v_mov_b32_e32 v1, 0
	s_and_saveexec_b64 s[0:1], s[38:39]
	s_cbranch_execnz .LBB79_101
	s_branch .LBB79_102
.LBB79_121:
	s_mov_b64 s[42:43], -1
                                        ; implicit-def: $vgpr1
.LBB79_122:
	s_mov_b64 s[38:39], 0
.LBB79_123:
	s_and_b64 vcc, exec, s[38:39]
	s_cbranch_vccz .LBB79_127
; %bb.124:
	s_cmp_eq_u32 s41, 11
	s_cbranch_scc0 .LBB79_126
; %bb.125:
	global_load_ubyte v1, v[4:5], off
	s_mov_b64 s[0:1], -1
	s_mov_b64 s[42:43], 0
	s_waitcnt vmcnt(0)
	v_cmp_ne_u16_e32 vcc, 0, v1
	v_cndmask_b32_e64 v1, 0, 1, vcc
	s_branch .LBB79_127
.LBB79_126:
	s_mov_b64 s[42:43], -1
                                        ; implicit-def: $vgpr1
.LBB79_127:
	s_branch .LBB79_21
.LBB79_128:
	s_and_b32 s38, 0xffff, s40
	s_cmp_lt_i32 s38, 5
	s_cbranch_scc1 .LBB79_133
; %bb.129:
	s_cmp_lt_i32 s38, 8
	s_cbranch_scc1 .LBB79_134
; %bb.130:
	;; [unrolled: 3-line block ×3, first 2 shown]
	s_cmp_gt_i32 s38, 9
	s_cbranch_scc0 .LBB79_136
; %bb.132:
	global_load_dwordx2 v[1:2], v[4:5], off
	s_mov_b64 s[0:1], 0
	s_waitcnt vmcnt(0)
	v_cvt_i32_f64_e32 v1, v[1:2]
	s_branch .LBB79_137
.LBB79_133:
                                        ; implicit-def: $vgpr1
	s_branch .LBB79_155
.LBB79_134:
	s_mov_b64 s[0:1], -1
                                        ; implicit-def: $vgpr1
	s_branch .LBB79_143
.LBB79_135:
	s_mov_b64 s[0:1], -1
                                        ; implicit-def: $vgpr1
	s_branch .LBB79_140
.LBB79_136:
	s_mov_b64 s[0:1], -1
                                        ; implicit-def: $vgpr1
.LBB79_137:
	s_andn2_b64 vcc, exec, s[0:1]
	s_cbranch_vccnz .LBB79_139
; %bb.138:
	global_load_dword v1, v[4:5], off
	s_waitcnt vmcnt(0)
	v_cvt_i32_f32_e32 v1, v1
.LBB79_139:
	s_mov_b64 s[0:1], 0
.LBB79_140:
	s_andn2_b64 vcc, exec, s[0:1]
	s_cbranch_vccnz .LBB79_142
; %bb.141:
	global_load_dword v1, v[4:5], off
	s_waitcnt vmcnt(0)
	v_cvt_i16_f16_e32 v1, v1
.LBB79_142:
	s_mov_b64 s[0:1], 0
.LBB79_143:
	s_andn2_b64 vcc, exec, s[0:1]
	s_cbranch_vccnz .LBB79_154
; %bb.144:
	s_cmp_lt_i32 s38, 6
	s_cbranch_scc1 .LBB79_147
; %bb.145:
	s_cmp_gt_i32 s38, 6
	s_cbranch_scc0 .LBB79_148
; %bb.146:
	global_load_dwordx2 v[1:2], v[4:5], off
	s_mov_b64 s[0:1], 0
	s_waitcnt vmcnt(0)
	v_cvt_i32_f64_e32 v1, v[1:2]
	s_branch .LBB79_149
.LBB79_147:
	s_mov_b64 s[0:1], -1
                                        ; implicit-def: $vgpr1
	s_branch .LBB79_152
.LBB79_148:
	s_mov_b64 s[0:1], -1
                                        ; implicit-def: $vgpr1
.LBB79_149:
	s_andn2_b64 vcc, exec, s[0:1]
	s_cbranch_vccnz .LBB79_151
; %bb.150:
	global_load_dword v1, v[4:5], off
	s_waitcnt vmcnt(0)
	v_cvt_i32_f32_e32 v1, v1
.LBB79_151:
	s_mov_b64 s[0:1], 0
.LBB79_152:
	s_andn2_b64 vcc, exec, s[0:1]
	s_cbranch_vccnz .LBB79_154
; %bb.153:
	global_load_ushort v1, v[4:5], off
	s_waitcnt vmcnt(0)
	v_cvt_i16_f16_e32 v1, v1
.LBB79_154:
	s_cbranch_execnz .LBB79_174
.LBB79_155:
	s_cmp_lt_i32 s38, 2
	s_cbranch_scc1 .LBB79_159
; %bb.156:
	s_cmp_lt_i32 s38, 3
	s_cbranch_scc1 .LBB79_160
; %bb.157:
	s_cmp_gt_i32 s38, 3
	s_cbranch_scc0 .LBB79_161
; %bb.158:
	global_load_dwordx2 v[1:2], v[4:5], off
	s_mov_b64 s[0:1], 0
	s_branch .LBB79_162
.LBB79_159:
	s_mov_b64 s[0:1], -1
                                        ; implicit-def: $vgpr1
	s_branch .LBB79_168
.LBB79_160:
	s_mov_b64 s[0:1], -1
                                        ; implicit-def: $vgpr1
	s_branch .LBB79_165
.LBB79_161:
	s_mov_b64 s[0:1], -1
                                        ; implicit-def: $vgpr1
.LBB79_162:
	s_andn2_b64 vcc, exec, s[0:1]
	s_cbranch_vccnz .LBB79_164
; %bb.163:
	global_load_dword v1, v[4:5], off
.LBB79_164:
	s_mov_b64 s[0:1], 0
.LBB79_165:
	s_andn2_b64 vcc, exec, s[0:1]
	s_cbranch_vccnz .LBB79_167
; %bb.166:
	global_load_ushort v1, v[4:5], off
.LBB79_167:
	s_mov_b64 s[0:1], 0
.LBB79_168:
	s_andn2_b64 vcc, exec, s[0:1]
	s_cbranch_vccnz .LBB79_174
; %bb.169:
	s_cmp_gt_i32 s38, 0
	s_cbranch_scc0 .LBB79_171
; %bb.170:
	global_load_sbyte v1, v[4:5], off
	s_mov_b64 s[0:1], 0
	s_branch .LBB79_172
.LBB79_171:
	s_mov_b64 s[0:1], -1
                                        ; implicit-def: $vgpr1
.LBB79_172:
	s_andn2_b64 vcc, exec, s[0:1]
	s_cbranch_vccnz .LBB79_174
; %bb.173:
	global_load_ubyte v1, v[4:5], off
.LBB79_174:
	s_branch .LBB79_22
.LBB79_175:
	s_mov_b64 s[0:1], 0
	s_mov_b64 s[40:41], 0
	s_branch .LBB79_400
.LBB79_176:
	s_mov_b64 s[40:41], -1
.LBB79_177:
	s_mov_b64 s[0:1], 0
                                        ; implicit-def: $vgpr4
.LBB79_178:
	s_and_b64 vcc, exec, s[38:39]
	s_cbranch_vccz .LBB79_294
; %bb.179:
	s_cmp_eq_u32 s47, 44
	s_cbranch_scc0 .LBB79_293
; %bb.180:
	global_load_ubyte v4, v[2:3], off
	s_mov_b64 s[0:1], -1
	s_mov_b64 s[40:41], 0
	s_waitcnt vmcnt(0)
	v_lshlrev_b32_e32 v5, 23, v4
	v_cvt_i32_f32_e32 v5, v5
	v_cmp_ne_u32_e32 vcc, 0, v4
	v_cndmask_b32_e32 v4, 0, v5, vcc
	s_branch .LBB79_294
.LBB79_181:
	s_mov_b64 s[50:51], -1
	s_mov_b64 s[0:1], 0
	s_mov_b64 s[46:47], 0
.LBB79_182:
	s_and_b64 vcc, exec, s[50:51]
	s_cbranch_vccz .LBB79_187
; %bb.183:
	s_cmp_eq_u32 s55, 44
	s_mov_b64 s[0:1], -1
	s_cbranch_scc0 .LBB79_187
; %bb.184:
	v_cndmask_b32_e64 v3, 0, 1.0, s[38:39]
	v_lshrrev_b32_e32 v2, 23, v3
	s_movk_i32 s0, 0xff
	v_cmp_ne_u32_e32 vcc, s0, v2
	s_waitcnt vmcnt(0)
	v_mov_b32_e32 v4, 0xff
	s_and_saveexec_b64 s[46:47], vcc
; %bb.185:
	s_mov_b32 s0, 0x3fffff
	v_and_b32_e32 v4, 0x400000, v3
	v_and_or_b32 v3, v3, s0, v2
	v_cmp_ne_u32_e32 vcc, 0, v4
	v_cmp_ne_u32_e64 s[0:1], 0, v3
	s_and_b64 s[0:1], vcc, s[0:1]
	v_cndmask_b32_e64 v3, 0, 1, s[0:1]
	v_add_u32_e32 v4, v2, v3
; %bb.186:
	s_or_b64 exec, exec, s[46:47]
	s_mov_b64 s[46:47], -1
	s_mov_b64 s[0:1], 0
	global_store_byte v[0:1], v4, off
.LBB79_187:
	s_mov_b64 s[50:51], 0
.LBB79_188:
	s_and_b64 vcc, exec, s[50:51]
	s_cbranch_vccz .LBB79_191
; %bb.189:
	s_cmp_eq_u32 s55, 29
	s_mov_b64 s[0:1], -1
	s_cbranch_scc0 .LBB79_191
; %bb.190:
	s_mov_b32 s0, 0
	v_cndmask_b32_e64 v2, 0, 1, s[38:39]
	v_mov_b32_e32 v3, s0
	global_store_dwordx2 v[0:1], v[2:3], off
	s_mov_b64 s[46:47], -1
	s_mov_b64 s[0:1], 0
.LBB79_191:
	s_mov_b64 s[50:51], 0
.LBB79_192:
	s_and_b64 vcc, exec, s[50:51]
	s_cbranch_vccz .LBB79_208
; %bb.193:
	s_cmp_lt_i32 s55, 27
	s_mov_b64 s[46:47], -1
	s_cbranch_scc1 .LBB79_199
; %bb.194:
	s_cmp_gt_i32 s55, 27
	s_cbranch_scc0 .LBB79_196
; %bb.195:
	v_cndmask_b32_e64 v2, 0, 1, s[38:39]
	s_mov_b64 s[46:47], 0
	global_store_dword v[0:1], v2, off
.LBB79_196:
	s_andn2_b64 vcc, exec, s[46:47]
	s_cbranch_vccnz .LBB79_198
; %bb.197:
	v_cndmask_b32_e64 v2, 0, 1, s[38:39]
	global_store_short v[0:1], v2, off
.LBB79_198:
	s_mov_b64 s[46:47], 0
.LBB79_199:
	s_andn2_b64 vcc, exec, s[46:47]
	s_cbranch_vccnz .LBB79_207
; %bb.200:
	v_cndmask_b32_e64 v3, 0, 1.0, s[38:39]
	s_mov_b32 s46, 0x43800000
	v_cmp_gt_u32_e32 vcc, s46, v3
	s_waitcnt vmcnt(0)
	v_mov_b32_e32 v4, 0x80
	s_and_saveexec_b64 s[46:47], vcc
	s_cbranch_execz .LBB79_206
; %bb.201:
	s_mov_b32 s50, 0x3bffffff
	v_cmp_lt_u32_e32 vcc, s50, v3
	s_mov_b64 s[50:51], 0
                                        ; implicit-def: $vgpr2
	s_and_saveexec_b64 s[52:53], vcc
	s_xor_b64 s[52:53], exec, s[52:53]
	s_cbranch_execz .LBB79_442
; %bb.202:
	v_bfe_u32 v2, v3, 20, 1
	s_mov_b32 s56, 0x487ffff
	v_add3_u32 v2, v3, v2, s56
	s_mov_b64 s[50:51], exec
	v_lshrrev_b32_e32 v2, 20, v2
                                        ; implicit-def: $vgpr3
	s_andn2_saveexec_b64 s[52:53], s[52:53]
	s_cbranch_execnz .LBB79_443
.LBB79_203:
	s_or_b64 exec, exec, s[52:53]
	v_mov_b32_e32 v4, 0
	s_and_saveexec_b64 s[52:53], s[50:51]
.LBB79_204:
	v_mov_b32_e32 v4, v2
.LBB79_205:
	s_or_b64 exec, exec, s[52:53]
.LBB79_206:
	s_or_b64 exec, exec, s[46:47]
	global_store_byte v[0:1], v4, off
.LBB79_207:
	s_mov_b64 s[46:47], -1
.LBB79_208:
	s_mov_b64 s[50:51], 0
.LBB79_209:
	s_and_b64 vcc, exec, s[50:51]
	s_cbranch_vccz .LBB79_250
; %bb.210:
	s_cmp_gt_i32 s55, 22
	s_mov_b64 s[50:51], -1
	s_cbranch_scc0 .LBB79_242
; %bb.211:
	s_cmp_lt_i32 s55, 24
	s_mov_b64 s[46:47], -1
	s_cbranch_scc1 .LBB79_231
; %bb.212:
	s_cmp_gt_i32 s55, 24
	s_cbranch_scc0 .LBB79_220
; %bb.213:
	v_cndmask_b32_e64 v3, 0, 1.0, s[38:39]
	s_mov_b32 s46, 0x47800000
	v_cmp_gt_u32_e32 vcc, s46, v3
	s_waitcnt vmcnt(0)
	v_mov_b32_e32 v4, 0x80
	s_and_saveexec_b64 s[46:47], vcc
	s_cbranch_execz .LBB79_219
; %bb.214:
	s_mov_b32 s50, 0x37ffffff
	v_cmp_lt_u32_e32 vcc, s50, v3
	s_mov_b64 s[50:51], 0
                                        ; implicit-def: $vgpr2
	s_and_saveexec_b64 s[52:53], vcc
	s_xor_b64 s[52:53], exec, s[52:53]
	s_cbranch_execz .LBB79_557
; %bb.215:
	v_bfe_u32 v2, v3, 21, 1
	s_mov_b32 s56, 0x88fffff
	v_add3_u32 v2, v3, v2, s56
	s_mov_b64 s[50:51], exec
	v_lshrrev_b32_e32 v2, 21, v2
                                        ; implicit-def: $vgpr3
	s_andn2_saveexec_b64 s[52:53], s[52:53]
	s_cbranch_execnz .LBB79_558
.LBB79_216:
	s_or_b64 exec, exec, s[52:53]
	v_mov_b32_e32 v4, 0
	s_and_saveexec_b64 s[52:53], s[50:51]
.LBB79_217:
	v_mov_b32_e32 v4, v2
.LBB79_218:
	s_or_b64 exec, exec, s[52:53]
.LBB79_219:
	s_or_b64 exec, exec, s[46:47]
	s_mov_b64 s[46:47], 0
	global_store_byte v[0:1], v4, off
.LBB79_220:
	s_and_b64 vcc, exec, s[46:47]
	s_cbranch_vccz .LBB79_230
; %bb.221:
	v_cndmask_b32_e64 v2, 0, 1.0, s[38:39]
	s_mov_b32 s46, 0x43f00000
	v_cmp_gt_u32_e32 vcc, s46, v2
                                        ; implicit-def: $vgpr3
	s_and_saveexec_b64 s[46:47], vcc
	s_xor_b64 s[46:47], exec, s[46:47]
	s_cbranch_execz .LBB79_227
; %bb.222:
	s_mov_b32 s50, 0x3c7fffff
	v_cmp_lt_u32_e32 vcc, s50, v2
                                        ; implicit-def: $vgpr3
	s_and_saveexec_b64 s[50:51], vcc
	s_xor_b64 s[50:51], exec, s[50:51]
	s_cbranch_execz .LBB79_224
; %bb.223:
	v_bfe_u32 v3, v2, 20, 1
	s_mov_b32 s52, 0x407ffff
	v_add3_u32 v2, v2, v3, s52
	v_lshrrev_b32_e32 v3, 20, v2
	v_and_b32_e32 v2, 0xff00000, v2
	s_mov_b32 s52, 0x7f00000
	s_waitcnt vmcnt(0)
	v_mov_b32_e32 v4, 0x7e
	v_cmp_ne_u32_e32 vcc, s52, v2
	v_cndmask_b32_e32 v3, v4, v3, vcc
                                        ; implicit-def: $vgpr2
.LBB79_224:
	s_andn2_saveexec_b64 s[50:51], s[50:51]
; %bb.225:
	v_add_f32_e32 v3, 0x46800000, v2
; %bb.226:
	s_or_b64 exec, exec, s[50:51]
                                        ; implicit-def: $vgpr2
.LBB79_227:
	s_andn2_saveexec_b64 s[46:47], s[46:47]
	s_cbranch_execz .LBB79_229
; %bb.228:
	s_mov_b32 s50, 0x7f800000
	v_mov_b32_e32 v3, 0x7e
	s_waitcnt vmcnt(0)
	v_mov_b32_e32 v4, 0x7f
	v_cmp_lt_u32_e32 vcc, s50, v2
	v_cndmask_b32_e32 v3, v3, v4, vcc
.LBB79_229:
	s_or_b64 exec, exec, s[46:47]
	global_store_byte v[0:1], v3, off
.LBB79_230:
	s_mov_b64 s[46:47], 0
.LBB79_231:
	s_andn2_b64 vcc, exec, s[46:47]
	s_cbranch_vccnz .LBB79_241
; %bb.232:
	v_cndmask_b32_e64 v2, 0, 1.0, s[38:39]
	s_mov_b32 s46, 0x47800000
	v_cmp_gt_u32_e32 vcc, s46, v2
                                        ; implicit-def: $vgpr3
	s_and_saveexec_b64 s[46:47], vcc
	s_xor_b64 s[46:47], exec, s[46:47]
	s_cbranch_execz .LBB79_238
; %bb.233:
	s_mov_b32 s50, 0x387fffff
	v_cmp_lt_u32_e32 vcc, s50, v2
                                        ; implicit-def: $vgpr3
	s_and_saveexec_b64 s[50:51], vcc
	s_xor_b64 s[50:51], exec, s[50:51]
; %bb.234:
	v_bfe_u32 v3, v2, 21, 1
	s_mov_b32 s52, 0x80fffff
	v_add3_u32 v2, v2, v3, s52
	v_lshrrev_b32_e32 v3, 21, v2
                                        ; implicit-def: $vgpr2
; %bb.235:
	s_andn2_saveexec_b64 s[50:51], s[50:51]
; %bb.236:
	v_add_f32_e32 v3, 0x43000000, v2
; %bb.237:
	s_or_b64 exec, exec, s[50:51]
                                        ; implicit-def: $vgpr2
.LBB79_238:
	s_andn2_saveexec_b64 s[46:47], s[46:47]
	s_cbranch_execz .LBB79_240
; %bb.239:
	s_mov_b32 s50, 0x7f800000
	v_mov_b32_e32 v3, 0x7c
	s_waitcnt vmcnt(0)
	v_mov_b32_e32 v4, 0x7f
	v_cmp_lt_u32_e32 vcc, s50, v2
	v_cndmask_b32_e32 v3, v3, v4, vcc
.LBB79_240:
	s_or_b64 exec, exec, s[46:47]
	global_store_byte v[0:1], v3, off
.LBB79_241:
	s_mov_b64 s[50:51], 0
	s_mov_b64 s[46:47], -1
.LBB79_242:
	s_andn2_b64 vcc, exec, s[50:51]
	s_cbranch_vccnz .LBB79_250
; %bb.243:
	s_cmp_gt_i32 s55, 14
	s_mov_b64 s[50:51], -1
	s_cbranch_scc0 .LBB79_247
; %bb.244:
	s_cmp_eq_u32 s55, 15
	s_mov_b64 s[0:1], -1
	s_cbranch_scc0 .LBB79_246
; %bb.245:
	v_cndmask_b32_e64 v2, 0, 1.0, s[38:39]
	v_bfe_u32 v3, v2, 16, 1
	s_movk_i32 s0, 0x7fff
	v_add3_u32 v2, v2, v3, s0
	global_store_short_d16_hi v[0:1], v2, off
	s_mov_b64 s[46:47], -1
	s_mov_b64 s[0:1], 0
.LBB79_246:
	s_mov_b64 s[50:51], 0
.LBB79_247:
	s_and_b64 vcc, exec, s[50:51]
	s_cbranch_vccz .LBB79_250
; %bb.248:
	s_cmp_eq_u32 s55, 11
	s_mov_b64 s[0:1], -1
	s_cbranch_scc0 .LBB79_250
; %bb.249:
	v_cndmask_b32_e64 v2, 0, 1, s[38:39]
	s_mov_b64 s[46:47], -1
	s_mov_b64 s[0:1], 0
	global_store_byte v[0:1], v2, off
.LBB79_250:
	s_mov_b64 s[50:51], 0
.LBB79_251:
	s_and_b64 vcc, exec, s[50:51]
	s_cbranch_vccz .LBB79_290
; %bb.252:
	s_and_b32 s50, 0xffff, s54
	s_cmp_lt_i32 s50, 5
	s_mov_b64 s[46:47], -1
	s_cbranch_scc1 .LBB79_273
; %bb.253:
	s_cmp_lt_i32 s50, 8
	s_cbranch_scc1 .LBB79_263
; %bb.254:
	s_cmp_lt_i32 s50, 9
	s_cbranch_scc1 .LBB79_260
; %bb.255:
	s_cmp_gt_i32 s50, 9
	s_cbranch_scc0 .LBB79_257
; %bb.256:
	v_cndmask_b32_e64 v2, 0, 1, s[38:39]
	v_cvt_f64_u32_e32 v[2:3], v2
	s_waitcnt vmcnt(0)
	v_mov_b32_e32 v4, 0
	v_mov_b32_e32 v5, v4
	s_mov_b64 s[46:47], 0
	global_store_dwordx4 v[0:1], v[2:5], off
.LBB79_257:
	s_andn2_b64 vcc, exec, s[46:47]
	s_cbranch_vccnz .LBB79_259
; %bb.258:
	v_cndmask_b32_e64 v2, 0, 1.0, s[38:39]
	v_mov_b32_e32 v3, 0
	global_store_dwordx2 v[0:1], v[2:3], off
.LBB79_259:
	s_mov_b64 s[46:47], 0
.LBB79_260:
	s_andn2_b64 vcc, exec, s[46:47]
	s_cbranch_vccnz .LBB79_262
; %bb.261:
	v_cndmask_b32_e64 v2, 0, 1.0, s[38:39]
	v_cvt_f16_f32_e32 v2, v2
	global_store_dword v[0:1], v2, off
.LBB79_262:
	s_mov_b64 s[46:47], 0
.LBB79_263:
	s_andn2_b64 vcc, exec, s[46:47]
	s_cbranch_vccnz .LBB79_272
; %bb.264:
	s_cmp_lt_i32 s50, 6
	s_mov_b64 s[46:47], -1
	s_cbranch_scc1 .LBB79_270
; %bb.265:
	s_cmp_gt_i32 s50, 6
	s_cbranch_scc0 .LBB79_267
; %bb.266:
	v_cndmask_b32_e64 v2, 0, 1, s[38:39]
	v_cvt_f64_u32_e32 v[2:3], v2
	s_mov_b64 s[46:47], 0
	global_store_dwordx2 v[0:1], v[2:3], off
.LBB79_267:
	s_andn2_b64 vcc, exec, s[46:47]
	s_cbranch_vccnz .LBB79_269
; %bb.268:
	v_cndmask_b32_e64 v2, 0, 1.0, s[38:39]
	global_store_dword v[0:1], v2, off
.LBB79_269:
	s_mov_b64 s[46:47], 0
.LBB79_270:
	s_andn2_b64 vcc, exec, s[46:47]
	s_cbranch_vccnz .LBB79_272
; %bb.271:
	v_cndmask_b32_e64 v2, 0, 1.0, s[38:39]
	v_cvt_f16_f32_e32 v2, v2
	global_store_short v[0:1], v2, off
.LBB79_272:
	s_mov_b64 s[46:47], 0
.LBB79_273:
	s_andn2_b64 vcc, exec, s[46:47]
	s_cbranch_vccnz .LBB79_289
; %bb.274:
	s_cmp_lt_i32 s50, 2
	s_mov_b64 s[46:47], -1
	s_cbranch_scc1 .LBB79_284
; %bb.275:
	s_cmp_lt_i32 s50, 3
	s_cbranch_scc1 .LBB79_281
; %bb.276:
	s_cmp_gt_i32 s50, 3
	s_cbranch_scc0 .LBB79_278
; %bb.277:
	s_mov_b32 s46, 0
	v_cndmask_b32_e64 v2, 0, 1, s[38:39]
	v_mov_b32_e32 v3, s46
	global_store_dwordx2 v[0:1], v[2:3], off
	s_mov_b64 s[46:47], 0
.LBB79_278:
	s_andn2_b64 vcc, exec, s[46:47]
	s_cbranch_vccnz .LBB79_280
; %bb.279:
	v_cndmask_b32_e64 v2, 0, 1, s[38:39]
	global_store_dword v[0:1], v2, off
.LBB79_280:
	s_mov_b64 s[46:47], 0
.LBB79_281:
	s_andn2_b64 vcc, exec, s[46:47]
	s_cbranch_vccnz .LBB79_283
; %bb.282:
	v_cndmask_b32_e64 v2, 0, 1, s[38:39]
	global_store_short v[0:1], v2, off
.LBB79_283:
	s_mov_b64 s[46:47], 0
.LBB79_284:
	s_andn2_b64 vcc, exec, s[46:47]
	s_cbranch_vccnz .LBB79_289
; %bb.285:
	s_cmp_gt_i32 s50, 0
	s_mov_b64 s[46:47], -1
	s_cbranch_scc0 .LBB79_287
; %bb.286:
	v_cndmask_b32_e64 v2, 0, 1, s[38:39]
	global_store_byte v[0:1], v2, off
	s_mov_b64 s[46:47], 0
.LBB79_287:
	s_andn2_b64 vcc, exec, s[46:47]
	s_cbranch_vccnz .LBB79_289
; %bb.288:
	v_cndmask_b32_e64 v2, 0, 1, s[38:39]
	global_store_byte v[0:1], v2, off
.LBB79_289:
	s_mov_b64 s[46:47], -1
.LBB79_290:
	s_andn2_b64 vcc, exec, s[46:47]
	s_cbranch_vccnz .LBB79_292
; %bb.291:
	v_add_u32_e32 v8, 0x80, v8
	s_mov_b64 s[46:47], -1
	s_branch .LBB79_401
.LBB79_292:
	s_mov_b64 s[46:47], 0
                                        ; implicit-def: $vgpr8
	s_branch .LBB79_401
.LBB79_293:
	s_mov_b64 s[40:41], -1
                                        ; implicit-def: $vgpr4
.LBB79_294:
	s_mov_b64 s[38:39], 0
.LBB79_295:
	s_and_b64 vcc, exec, s[38:39]
	s_cbranch_vccz .LBB79_299
; %bb.296:
	s_cmp_eq_u32 s47, 29
	s_cbranch_scc0 .LBB79_298
; %bb.297:
	global_load_dwordx2 v[4:5], v[2:3], off
	s_mov_b64 s[0:1], -1
	s_mov_b64 s[40:41], 0
	s_branch .LBB79_299
.LBB79_298:
	s_mov_b64 s[40:41], -1
                                        ; implicit-def: $vgpr4
.LBB79_299:
	s_mov_b64 s[38:39], 0
.LBB79_300:
	s_and_b64 vcc, exec, s[38:39]
	s_cbranch_vccz .LBB79_316
; %bb.301:
	s_cmp_lt_i32 s47, 27
	s_cbranch_scc1 .LBB79_304
; %bb.302:
	s_cmp_gt_i32 s47, 27
	s_cbranch_scc0 .LBB79_305
; %bb.303:
	global_load_dword v4, v[2:3], off
	s_mov_b64 s[0:1], 0
	s_branch .LBB79_306
.LBB79_304:
	s_mov_b64 s[0:1], -1
                                        ; implicit-def: $vgpr4
	s_branch .LBB79_309
.LBB79_305:
	s_mov_b64 s[0:1], -1
                                        ; implicit-def: $vgpr4
.LBB79_306:
	s_andn2_b64 vcc, exec, s[0:1]
	s_cbranch_vccnz .LBB79_308
; %bb.307:
	global_load_ushort v4, v[2:3], off
.LBB79_308:
	s_mov_b64 s[0:1], 0
.LBB79_309:
	s_andn2_b64 vcc, exec, s[0:1]
	s_cbranch_vccnz .LBB79_315
; %bb.310:
	global_load_ubyte v5, v[2:3], off
	s_movk_i32 s0, 0x7f
	s_mov_b64 s[38:39], 0
	s_waitcnt vmcnt(0)
	v_cmp_lt_i16_e32 vcc, s0, v5
	s_and_saveexec_b64 s[0:1], vcc
	s_xor_b64 s[0:1], exec, s[0:1]
	s_cbranch_execz .LBB79_327
; %bb.311:
	s_movk_i32 s38, 0x80
	v_cmp_ne_u16_e32 vcc, s38, v5
	s_and_b64 s[38:39], vcc, exec
	s_andn2_saveexec_b64 s[0:1], s[0:1]
	s_cbranch_execnz .LBB79_328
.LBB79_312:
	s_or_b64 exec, exec, s[0:1]
	v_mov_b32_e32 v4, 0
	s_and_saveexec_b64 s[0:1], s[38:39]
	s_cbranch_execz .LBB79_314
.LBB79_313:
	v_lshlrev_b32_e32 v4, 24, v5
	v_and_b32_e32 v5, 0xffff, v5
	v_and_b32_e32 v6, 7, v5
	v_ffbh_u32_e32 v9, v6
	v_min_u32_e32 v9, 32, v9
	v_subrev_u32_e32 v10, 28, v9
	v_bfe_u32 v7, v5, 3, 4
	v_lshlrev_b32_e32 v5, v10, v5
	v_sub_u32_e32 v9, 29, v9
	v_and_b32_e32 v5, 7, v5
	v_cmp_eq_u32_e32 vcc, 0, v7
	v_cndmask_b32_e32 v7, v7, v9, vcc
	v_cndmask_b32_e32 v5, v6, v5, vcc
	v_mov_b32_e32 v6, 0x3b800000
	v_lshlrev_b32_e32 v5, 20, v5
	v_and_b32_e32 v4, 0x80000000, v4
	v_lshl_add_u32 v6, v7, 23, v6
	v_or3_b32 v4, v4, v6, v5
	v_cvt_i32_f32_e32 v4, v4
.LBB79_314:
	s_or_b64 exec, exec, s[0:1]
.LBB79_315:
	s_mov_b64 s[0:1], -1
.LBB79_316:
	s_mov_b64 s[38:39], 0
.LBB79_317:
	s_and_b64 vcc, exec, s[38:39]
	s_cbranch_vccz .LBB79_350
; %bb.318:
	s_cmp_gt_i32 s47, 22
	s_cbranch_scc0 .LBB79_326
; %bb.319:
	s_cmp_lt_i32 s47, 24
	s_cbranch_scc1 .LBB79_329
; %bb.320:
	s_cmp_gt_i32 s47, 24
	s_cbranch_scc0 .LBB79_330
; %bb.321:
	global_load_ubyte v5, v[2:3], off
	s_movk_i32 s0, 0x7f
	s_mov_b64 s[38:39], 0
	s_waitcnt vmcnt(0)
	v_cmp_lt_i16_e32 vcc, s0, v5
	s_and_saveexec_b64 s[0:1], vcc
	s_xor_b64 s[0:1], exec, s[0:1]
	s_cbranch_execz .LBB79_342
; %bb.322:
	s_movk_i32 s38, 0x80
	v_cmp_ne_u16_e32 vcc, s38, v5
	s_and_b64 s[38:39], vcc, exec
	s_andn2_saveexec_b64 s[0:1], s[0:1]
	s_cbranch_execnz .LBB79_343
.LBB79_323:
	s_or_b64 exec, exec, s[0:1]
	v_mov_b32_e32 v4, 0
	s_and_saveexec_b64 s[0:1], s[38:39]
	s_cbranch_execz .LBB79_325
.LBB79_324:
	v_lshlrev_b32_e32 v4, 24, v5
	v_and_b32_e32 v5, 0xffff, v5
	v_and_b32_e32 v6, 3, v5
	v_ffbh_u32_e32 v9, v6
	v_min_u32_e32 v9, 32, v9
	v_subrev_u32_e32 v10, 29, v9
	v_bfe_u32 v7, v5, 2, 5
	v_lshlrev_b32_e32 v5, v10, v5
	v_sub_u32_e32 v9, 30, v9
	v_and_b32_e32 v5, 3, v5
	v_cmp_eq_u32_e32 vcc, 0, v7
	v_cndmask_b32_e32 v7, v7, v9, vcc
	v_cndmask_b32_e32 v5, v6, v5, vcc
	v_mov_b32_e32 v6, 0x37800000
	v_lshlrev_b32_e32 v5, 21, v5
	v_and_b32_e32 v4, 0x80000000, v4
	v_lshl_add_u32 v6, v7, 23, v6
	v_or3_b32 v4, v4, v6, v5
	v_cvt_i32_f32_e32 v4, v4
.LBB79_325:
	s_or_b64 exec, exec, s[0:1]
	s_mov_b64 s[0:1], 0
	s_branch .LBB79_331
.LBB79_326:
	s_mov_b64 s[38:39], -1
                                        ; implicit-def: $vgpr4
	s_branch .LBB79_337
.LBB79_327:
	s_andn2_saveexec_b64 s[0:1], s[0:1]
	s_cbranch_execz .LBB79_312
.LBB79_328:
	v_cmp_ne_u16_e32 vcc, 0, v5
	s_andn2_b64 s[38:39], s[38:39], exec
	s_and_b64 s[50:51], vcc, exec
	s_or_b64 s[38:39], s[38:39], s[50:51]
	s_or_b64 exec, exec, s[0:1]
	v_mov_b32_e32 v4, 0
	s_and_saveexec_b64 s[0:1], s[38:39]
	s_cbranch_execnz .LBB79_313
	s_branch .LBB79_314
.LBB79_329:
	s_mov_b64 s[0:1], -1
                                        ; implicit-def: $vgpr4
	s_branch .LBB79_334
.LBB79_330:
	s_mov_b64 s[0:1], -1
                                        ; implicit-def: $vgpr4
.LBB79_331:
	s_and_b64 vcc, exec, s[0:1]
	s_cbranch_vccz .LBB79_333
; %bb.332:
	global_load_ubyte v4, v[2:3], off
	s_mov_b32 s0, 0x7f800000
	s_waitcnt vmcnt(0)
	v_lshlrev_b32_e32 v4, 24, v4
	v_and_b32_e32 v5, 0x7f000000, v4
	v_ffbh_u32_e32 v6, v5
	v_min_u32_e32 v6, 32, v6
	v_sub_u32_e64 v6, v6, 4 clamp
	v_lshlrev_b32_e32 v9, v6, v5
	v_lshlrev_b32_e32 v6, 23, v6
	v_lshrrev_b32_e32 v9, 4, v9
	v_add_u32_e32 v7, 0x1000000, v5
	v_sub_u32_e32 v6, v9, v6
	v_ashrrev_i32_e32 v7, 8, v7
	v_add_u32_e32 v6, 0x3c000000, v6
	v_and_or_b32 v6, v7, s0, v6
	v_cmp_ne_u32_e32 vcc, 0, v5
	v_cndmask_b32_e32 v5, 0, v6, vcc
	s_brev_b32 s0, 1
	v_and_or_b32 v4, v4, s0, v5
	v_cvt_i32_f32_e32 v4, v4
.LBB79_333:
	s_mov_b64 s[0:1], 0
.LBB79_334:
	s_andn2_b64 vcc, exec, s[0:1]
	s_cbranch_vccnz .LBB79_336
; %bb.335:
	global_load_ubyte v4, v[2:3], off
	s_movk_i32 s0, 0x7f00
	s_brev_b32 s1, 16
	s_waitcnt vmcnt(0)
	v_lshlrev_b16_e32 v5, 8, v4
	v_lshlrev_b32_e32 v4, 25, v4
	v_lshrrev_b32_e32 v6, 4, v4
	v_and_or_b32 v7, v5, s0, 0.5
	v_or_b32_e32 v6, 0x70000000, v6
	v_add_f32_e32 v7, -0.5, v7
	v_mul_f32_e32 v6, 0x7800000, v6
	v_cmp_gt_u32_e32 vcc, s1, v4
	v_bfe_i32 v5, v5, 0, 16
	v_cndmask_b32_e32 v4, v6, v7, vcc
	s_brev_b32 s0, 1
	v_and_or_b32 v4, v5, s0, v4
	v_cvt_i32_f32_e32 v4, v4
.LBB79_336:
	s_mov_b64 s[38:39], 0
	s_mov_b64 s[0:1], -1
.LBB79_337:
	s_andn2_b64 vcc, exec, s[38:39]
	s_cbranch_vccnz .LBB79_350
; %bb.338:
	s_cmp_gt_i32 s47, 14
	s_cbranch_scc0 .LBB79_341
; %bb.339:
	s_cmp_eq_u32 s47, 15
	s_cbranch_scc0 .LBB79_344
; %bb.340:
	global_load_ushort v4, v[2:3], off
	s_mov_b64 s[0:1], -1
	s_mov_b64 s[40:41], 0
	s_waitcnt vmcnt(0)
	v_lshlrev_b32_e32 v4, 16, v4
	v_cvt_i32_f32_e32 v4, v4
	s_branch .LBB79_345
.LBB79_341:
	s_mov_b64 s[38:39], -1
                                        ; implicit-def: $vgpr4
	s_branch .LBB79_346
.LBB79_342:
	s_andn2_saveexec_b64 s[0:1], s[0:1]
	s_cbranch_execz .LBB79_323
.LBB79_343:
	v_cmp_ne_u16_e32 vcc, 0, v5
	s_andn2_b64 s[38:39], s[38:39], exec
	s_and_b64 s[50:51], vcc, exec
	s_or_b64 s[38:39], s[38:39], s[50:51]
	s_or_b64 exec, exec, s[0:1]
	v_mov_b32_e32 v4, 0
	s_and_saveexec_b64 s[0:1], s[38:39]
	s_cbranch_execnz .LBB79_324
	s_branch .LBB79_325
.LBB79_344:
	s_mov_b64 s[40:41], -1
                                        ; implicit-def: $vgpr4
.LBB79_345:
	s_mov_b64 s[38:39], 0
.LBB79_346:
	s_and_b64 vcc, exec, s[38:39]
	s_cbranch_vccz .LBB79_350
; %bb.347:
	s_cmp_eq_u32 s47, 11
	s_cbranch_scc0 .LBB79_349
; %bb.348:
	global_load_ubyte v4, v[2:3], off
	s_mov_b64 s[0:1], -1
	s_mov_b64 s[40:41], 0
	s_waitcnt vmcnt(0)
	v_cmp_ne_u16_e32 vcc, 0, v4
	v_cndmask_b32_e64 v4, 0, 1, vcc
	s_branch .LBB79_350
.LBB79_349:
	s_mov_b64 s[40:41], -1
                                        ; implicit-def: $vgpr4
.LBB79_350:
	s_branch .LBB79_31
.LBB79_351:
	s_and_b32 s38, 0xffff, s46
	s_cmp_lt_i32 s38, 5
	s_cbranch_scc1 .LBB79_356
; %bb.352:
	s_cmp_lt_i32 s38, 8
	s_cbranch_scc1 .LBB79_357
; %bb.353:
	;; [unrolled: 3-line block ×3, first 2 shown]
	s_cmp_gt_i32 s38, 9
	s_cbranch_scc0 .LBB79_359
; %bb.355:
	global_load_dwordx2 v[4:5], v[2:3], off
	s_mov_b64 s[0:1], 0
	s_waitcnt vmcnt(0)
	v_cvt_i32_f64_e32 v4, v[4:5]
	s_branch .LBB79_360
.LBB79_356:
	s_mov_b64 s[0:1], -1
                                        ; implicit-def: $vgpr4
	s_branch .LBB79_378
.LBB79_357:
	s_mov_b64 s[0:1], -1
                                        ; implicit-def: $vgpr4
	s_branch .LBB79_366
.LBB79_358:
	s_mov_b64 s[0:1], -1
                                        ; implicit-def: $vgpr4
	s_branch .LBB79_363
.LBB79_359:
	s_mov_b64 s[0:1], -1
                                        ; implicit-def: $vgpr4
.LBB79_360:
	s_andn2_b64 vcc, exec, s[0:1]
	s_cbranch_vccnz .LBB79_362
; %bb.361:
	global_load_dword v4, v[2:3], off
	s_waitcnt vmcnt(0)
	v_cvt_i32_f32_e32 v4, v4
.LBB79_362:
	s_mov_b64 s[0:1], 0
.LBB79_363:
	s_andn2_b64 vcc, exec, s[0:1]
	s_cbranch_vccnz .LBB79_365
; %bb.364:
	global_load_dword v4, v[2:3], off
	s_waitcnt vmcnt(0)
	v_cvt_i16_f16_e32 v4, v4
.LBB79_365:
	s_mov_b64 s[0:1], 0
.LBB79_366:
	s_andn2_b64 vcc, exec, s[0:1]
	s_cbranch_vccnz .LBB79_377
; %bb.367:
	s_cmp_lt_i32 s38, 6
	s_cbranch_scc1 .LBB79_370
; %bb.368:
	s_cmp_gt_i32 s38, 6
	s_cbranch_scc0 .LBB79_371
; %bb.369:
	global_load_dwordx2 v[4:5], v[2:3], off
	s_mov_b64 s[0:1], 0
	s_waitcnt vmcnt(0)
	v_cvt_i32_f64_e32 v4, v[4:5]
	s_branch .LBB79_372
.LBB79_370:
	s_mov_b64 s[0:1], -1
                                        ; implicit-def: $vgpr4
	s_branch .LBB79_375
.LBB79_371:
	s_mov_b64 s[0:1], -1
                                        ; implicit-def: $vgpr4
.LBB79_372:
	s_andn2_b64 vcc, exec, s[0:1]
	s_cbranch_vccnz .LBB79_374
; %bb.373:
	global_load_dword v4, v[2:3], off
	s_waitcnt vmcnt(0)
	v_cvt_i32_f32_e32 v4, v4
.LBB79_374:
	s_mov_b64 s[0:1], 0
.LBB79_375:
	s_andn2_b64 vcc, exec, s[0:1]
	s_cbranch_vccnz .LBB79_377
; %bb.376:
	global_load_ushort v4, v[2:3], off
	s_waitcnt vmcnt(0)
	v_cvt_i16_f16_e32 v4, v4
.LBB79_377:
	s_mov_b64 s[0:1], 0
.LBB79_378:
	s_andn2_b64 vcc, exec, s[0:1]
	s_cbranch_vccnz .LBB79_398
; %bb.379:
	s_cmp_lt_i32 s38, 2
	s_cbranch_scc1 .LBB79_383
; %bb.380:
	s_cmp_lt_i32 s38, 3
	s_cbranch_scc1 .LBB79_384
; %bb.381:
	s_cmp_gt_i32 s38, 3
	s_cbranch_scc0 .LBB79_385
; %bb.382:
	global_load_dwordx2 v[4:5], v[2:3], off
	s_mov_b64 s[0:1], 0
	s_branch .LBB79_386
.LBB79_383:
	s_mov_b64 s[0:1], -1
                                        ; implicit-def: $vgpr4
	s_branch .LBB79_392
.LBB79_384:
	s_mov_b64 s[0:1], -1
                                        ; implicit-def: $vgpr4
	s_branch .LBB79_389
.LBB79_385:
	s_mov_b64 s[0:1], -1
                                        ; implicit-def: $vgpr4
.LBB79_386:
	s_andn2_b64 vcc, exec, s[0:1]
	s_cbranch_vccnz .LBB79_388
; %bb.387:
	global_load_dword v4, v[2:3], off
.LBB79_388:
	s_mov_b64 s[0:1], 0
.LBB79_389:
	s_andn2_b64 vcc, exec, s[0:1]
	s_cbranch_vccnz .LBB79_391
; %bb.390:
	global_load_ushort v4, v[2:3], off
.LBB79_391:
	s_mov_b64 s[0:1], 0
.LBB79_392:
	s_andn2_b64 vcc, exec, s[0:1]
	s_cbranch_vccnz .LBB79_398
; %bb.393:
	s_cmp_gt_i32 s38, 0
	s_cbranch_scc0 .LBB79_395
; %bb.394:
	global_load_sbyte v4, v[2:3], off
	s_mov_b64 s[0:1], 0
	s_branch .LBB79_396
.LBB79_395:
	s_mov_b64 s[0:1], -1
                                        ; implicit-def: $vgpr4
.LBB79_396:
	s_andn2_b64 vcc, exec, s[0:1]
	s_cbranch_vccnz .LBB79_398
; %bb.397:
	global_load_ubyte v4, v[2:3], off
.LBB79_398:
	s_branch .LBB79_32
.LBB79_399:
	s_mov_b64 s[0:1], 0
.LBB79_400:
                                        ; implicit-def: $vgpr8
	s_mov_b64 s[46:47], 0
.LBB79_401:
	s_and_b64 s[38:39], s[0:1], exec
	s_and_b64 s[40:41], s[40:41], exec
	;; [unrolled: 1-line block ×3, first 2 shown]
	s_orn2_b64 s[0:1], s[46:47], exec
.LBB79_402:
	s_or_b64 exec, exec, s[44:45]
	s_mov_b64 s[52:53], 0
	s_mov_b64 s[50:51], 0
                                        ; implicit-def: $sgpr74
                                        ; implicit-def: $vgpr4_vgpr5
                                        ; implicit-def: $vgpr0
                                        ; implicit-def: $vgpr3
                                        ; implicit-def: $vgpr1
	s_and_saveexec_b64 s[44:45], s[0:1]
	s_cbranch_execz .LBB79_410
; %bb.403:
	v_cmp_gt_i32_e32 vcc, s68, v8
	s_mov_b64 s[0:1], -1
	s_mov_b64 s[46:47], s[42:43]
	s_mov_b64 s[48:49], s[40:41]
	;; [unrolled: 1-line block ×3, first 2 shown]
	s_and_saveexec_b64 s[52:53], vcc
	s_cbranch_execz .LBB79_812
; %bb.404:
	s_andn2_b64 vcc, exec, s[24:25]
	s_cbranch_vccnz .LBB79_413
; %bb.405:
	s_andn2_b64 vcc, exec, s[36:37]
	s_cbranch_vccnz .LBB79_414
; %bb.406:
	s_add_i32 s0, s73, 1
	s_and_b32 s46, s0, 30
	s_add_u32 s0, s2, 0xffffffe8
	s_addc_u32 s1, s3, -1
	v_mov_b32_e32 v3, 0
	s_waitcnt vmcnt(0)
	v_mov_b32_e32 v5, 0
	v_mov_b32_e32 v0, 0
	;; [unrolled: 1-line block ×3, first 2 shown]
.LBB79_407:                             ; =>This Inner Loop Header: Depth=1
	s_load_dwordx4 s[48:51], s[0:1], 0x1c
	s_load_dwordx2 s[54:55], s[0:1], 0x2c
	s_load_dwordx2 s[60:61], s[0:1], 0xec
	s_load_dwordx4 s[56:59], s[0:1], 0xdc
	s_add_u32 s0, s0, 24
	s_waitcnt lgkmcnt(0)
	v_mul_hi_u32 v2, s49, v1
	s_addc_u32 s1, s1, 0
	s_add_i32 s46, s46, -2
	s_cmp_eq_u32 s46, 0
	v_add_u32_e32 v2, v1, v2
	v_lshrrev_b32_e32 v2, s50, v2
	v_mul_lo_u32 v4, v2, s48
	v_mul_hi_u32 v6, s54, v2
	v_sub_u32_e32 v4, v1, v4
	v_add_u32_e32 v1, v2, v6
	v_lshrrev_b32_e32 v1, s55, v1
	v_mul_lo_u32 v9, v1, s51
	v_mul_lo_u32 v6, v4, s56
	;; [unrolled: 1-line block ×4, first 2 shown]
	v_sub_u32_e32 v2, v2, v9
	v_mul_lo_u32 v9, v2, s59
	v_mul_lo_u32 v10, v2, s60
	;; [unrolled: 1-line block ×3, first 2 shown]
	v_add3_u32 v0, v6, v0, v9
	v_add3_u32 v5, v7, v5, v10
	;; [unrolled: 1-line block ×3, first 2 shown]
	s_cbranch_scc0 .LBB79_407
; %bb.408:
	s_bitcmp1_b32 s73, 0
	s_cselect_b64 s[46:47], -1, 0
	s_and_b64 vcc, exec, s[46:47]
	s_cbranch_vccnz .LBB79_415
; %bb.409:
	s_load_dwordx2 s[46:47], s[0:1], 0x1c
	s_load_dword s50, s[0:1], 0x24
	s_load_dwordx2 s[48:49], s[0:1], 0xdc
	s_waitcnt lgkmcnt(0)
	v_mul_hi_u32 v2, s47, v1
	v_add_u32_e32 v2, v1, v2
	v_lshrrev_b32_e32 v2, s50, v2
	v_mul_lo_u32 v2, v2, s46
	s_load_dword s46, s[0:1], 0xe4
	v_sub_u32_e32 v2, v1, v2
	v_mad_u64_u32 v[0:1], s[0:1], v2, s48, v[0:1]
	v_mad_u64_u32 v[5:6], s[0:1], v2, s49, v[5:6]
	s_waitcnt lgkmcnt(0)
	v_mad_u64_u32 v[3:4], s[0:1], v2, s46, v[3:4]
	s_branch .LBB79_415
.LBB79_410:
	s_or_b64 exec, exec, s[44:45]
	s_mov_b64 s[10:11], 0
	s_and_saveexec_b64 s[0:1], s[42:43]
	s_cbranch_execnz .LBB79_1315
.LBB79_411:
	s_or_b64 exec, exec, s[0:1]
	s_and_saveexec_b64 s[0:1], s[48:49]
	s_xor_b64 s[0:1], exec, s[0:1]
	s_cbranch_execz .LBB79_1316
.LBB79_412:
	s_waitcnt vmcnt(0)
	global_load_ubyte v1, v[4:5], off
	s_or_b64 s[50:51], s[50:51], exec
	s_waitcnt vmcnt(0)
	v_cmp_ne_u16_e32 vcc, 0, v1
	v_cndmask_b32_e64 v1, 0, 1, vcc
	s_or_b64 exec, exec, s[0:1]
	s_and_saveexec_b64 s[0:1], s[52:53]
	s_cbranch_execz .LBB79_1362
	s_branch .LBB79_1317
.LBB79_413:
                                        ; implicit-def: $vgpr0
                                        ; implicit-def: $vgpr5
                                        ; implicit-def: $vgpr3
	s_andn2_b64 vcc, exec, s[0:1]
	s_cbranch_vccz .LBB79_416
	s_branch .LBB79_418
.LBB79_414:
	v_mov_b32_e32 v0, 0
	s_waitcnt vmcnt(0)
	v_mov_b32_e32 v5, 0
	v_mov_b32_e32 v3, 0
.LBB79_415:
	s_cbranch_execnz .LBB79_418
.LBB79_416:
	v_mul_hi_u32 v0, s17, v8
	s_andn2_b64 vcc, exec, s[34:35]
	v_add_u32_e32 v0, v8, v0
	s_waitcnt vmcnt(0)
	v_lshrrev_b32_e32 v1, s18, v0
	v_mul_lo_u32 v0, v1, s16
	v_sub_u32_e32 v2, v8, v0
	v_mul_lo_u32 v0, v2, s20
	v_mul_lo_u32 v5, v2, s21
	;; [unrolled: 1-line block ×3, first 2 shown]
	s_cbranch_vccnz .LBB79_418
; %bb.417:
	v_mul_hi_u32 v2, s30, v1
	v_add_u32_e32 v2, v1, v2
	v_lshrrev_b32_e32 v2, s31, v2
	v_mul_lo_u32 v2, v2, s19
	v_sub_u32_e32 v2, v1, v2
	v_mad_u64_u32 v[0:1], s[0:1], v2, s23, v[0:1]
	v_mad_u64_u32 v[5:6], s[0:1], v2, s28, v[5:6]
	;; [unrolled: 1-line block ×3, first 2 shown]
.LBB79_418:
	s_waitcnt vmcnt(0)
	v_mov_b32_e32 v1, s11
	s_and_b32 s50, s72, 0xff
	v_add_co_u32_e32 v4, vcc, s10, v5
	s_cmp_lt_i32 s50, 11
	v_addc_co_u32_e32 v5, vcc, 0, v1, vcc
	s_cbranch_scc1 .LBB79_425
; %bb.419:
	s_and_b32 s51, 0xffff, s50
	s_cmp_gt_i32 s51, 25
	s_cbranch_scc0 .LBB79_434
; %bb.420:
	s_cmp_gt_i32 s51, 28
	s_cbranch_scc0 .LBB79_436
; %bb.421:
	;; [unrolled: 3-line block ×4, first 2 shown]
	s_cmp_eq_u32 s51, 46
	s_mov_b64 s[48:49], 0
	s_cbranch_scc0 .LBB79_444
; %bb.424:
	global_load_dword v1, v[4:5], off
	s_mov_b64 s[0:1], -1
	s_mov_b64 s[46:47], 0
	s_waitcnt vmcnt(0)
	v_lshlrev_b32_e32 v1, 16, v1
	v_cvt_i32_f32_e32 v1, v1
	s_branch .LBB79_445
.LBB79_425:
	s_mov_b64 s[0:1], 0
                                        ; implicit-def: $vgpr1
	s_mov_b64 s[46:47], s[42:43]
	s_cbranch_execnz .LBB79_507
.LBB79_426:
	s_andn2_b64 vcc, exec, s[0:1]
	s_cbranch_vccnz .LBB79_555
.LBB79_427:
	v_mov_b32_e32 v4, s13
	s_and_b32 s54, s71, 0xff
	s_waitcnt vmcnt(0)
	v_add_co_u32_e32 v2, vcc, s12, v3
	s_cmp_lt_i32 s54, 11
	v_addc_co_u32_e32 v3, vcc, 0, v4, vcc
	s_cbranch_scc1 .LBB79_435
; %bb.428:
	s_and_b32 s55, 0xffff, s54
	s_cmp_gt_i32 s55, 25
	s_cbranch_scc0 .LBB79_437
; %bb.429:
	s_cmp_gt_i32 s55, 28
	s_cbranch_scc0 .LBB79_439
; %bb.430:
	;; [unrolled: 3-line block ×4, first 2 shown]
	s_cmp_eq_u32 s55, 46
	s_mov_b64 s[50:51], 0
	s_cbranch_scc0 .LBB79_559
; %bb.433:
	global_load_dword v4, v[2:3], off
	s_mov_b64 s[0:1], -1
	s_mov_b64 s[48:49], 0
	s_waitcnt vmcnt(0)
	v_lshlrev_b32_e32 v4, 16, v4
	v_cvt_i32_f32_e32 v4, v4
	s_branch .LBB79_560
.LBB79_434:
	s_mov_b64 s[48:49], -1
	s_mov_b64 s[0:1], 0
	s_mov_b64 s[46:47], s[42:43]
                                        ; implicit-def: $vgpr1
	s_branch .LBB79_473
.LBB79_435:
	s_mov_b64 s[50:51], -1
	s_mov_b64 s[0:1], 0
                                        ; implicit-def: $vgpr4
	s_mov_b64 s[48:49], s[40:41]
	s_branch .LBB79_621
.LBB79_436:
	s_mov_b64 s[48:49], -1
	s_mov_b64 s[0:1], 0
	s_mov_b64 s[46:47], s[42:43]
                                        ; implicit-def: $vgpr1
	s_branch .LBB79_456
.LBB79_437:
	s_mov_b64 s[50:51], -1
	s_mov_b64 s[0:1], 0
	s_mov_b64 s[48:49], s[40:41]
                                        ; implicit-def: $vgpr4
	s_branch .LBB79_587
.LBB79_438:
	s_mov_b64 s[48:49], -1
	s_mov_b64 s[0:1], 0
	s_mov_b64 s[46:47], s[42:43]
                                        ; implicit-def: $vgpr1
	s_branch .LBB79_451
.LBB79_439:
	s_mov_b64 s[50:51], -1
	s_mov_b64 s[0:1], 0
	s_mov_b64 s[48:49], s[40:41]
                                        ; implicit-def: $vgpr4
	s_branch .LBB79_570
.LBB79_440:
	s_mov_b64 s[48:49], -1
	s_mov_b64 s[0:1], 0
	s_mov_b64 s[46:47], s[42:43]
                                        ; implicit-def: $vgpr1
	s_branch .LBB79_445
.LBB79_441:
	s_mov_b64 s[50:51], -1
	s_mov_b64 s[0:1], 0
	s_mov_b64 s[48:49], s[40:41]
                                        ; implicit-def: $vgpr4
	s_branch .LBB79_565
.LBB79_442:
	s_andn2_saveexec_b64 s[52:53], s[52:53]
	s_cbranch_execz .LBB79_203
.LBB79_443:
	v_add_f32_e32 v2, 0x46000000, v3
	v_and_b32_e32 v2, 0xff, v2
	v_cmp_ne_u32_e32 vcc, 0, v2
	s_andn2_b64 s[50:51], s[50:51], exec
	s_and_b64 s[56:57], vcc, exec
	s_or_b64 s[50:51], s[50:51], s[56:57]
	s_or_b64 exec, exec, s[52:53]
	v_mov_b32_e32 v4, 0
	s_and_saveexec_b64 s[52:53], s[50:51]
	s_cbranch_execnz .LBB79_204
	s_branch .LBB79_205
.LBB79_444:
	s_mov_b64 s[46:47], -1
                                        ; implicit-def: $vgpr1
	s_mov_b64 s[0:1], 0
.LBB79_445:
	s_and_b64 vcc, exec, s[48:49]
	s_cbranch_vccz .LBB79_450
; %bb.446:
	s_cmp_eq_u32 s51, 44
	s_cbranch_scc0 .LBB79_449
; %bb.447:
	global_load_ubyte v1, v[4:5], off
	s_mov_b64 s[0:1], -1
	s_mov_b64 s[46:47], 0
	s_waitcnt vmcnt(0)
	v_lshlrev_b32_e32 v2, 23, v1
	v_cvt_i32_f32_e32 v2, v2
	v_cmp_ne_u32_e32 vcc, 0, v1
	v_cndmask_b32_e32 v1, 0, v2, vcc
	s_branch .LBB79_450
.LBB79_448:
	s_mov_b64 s[50:51], -1
	s_mov_b64 s[0:1], 0
	s_mov_b64 s[48:49], s[40:41]
                                        ; implicit-def: $vgpr4
	s_branch .LBB79_560
.LBB79_449:
	s_mov_b64 s[46:47], -1
                                        ; implicit-def: $vgpr1
.LBB79_450:
	s_mov_b64 s[48:49], 0
.LBB79_451:
	s_and_b64 vcc, exec, s[48:49]
	s_cbranch_vccz .LBB79_455
; %bb.452:
	s_cmp_eq_u32 s51, 29
	s_cbranch_scc0 .LBB79_454
; %bb.453:
	global_load_dwordx2 v[1:2], v[4:5], off
	s_mov_b64 s[0:1], -1
	s_mov_b64 s[46:47], 0
	s_branch .LBB79_455
.LBB79_454:
	s_mov_b64 s[46:47], -1
                                        ; implicit-def: $vgpr1
.LBB79_455:
	s_mov_b64 s[48:49], 0
.LBB79_456:
	s_and_b64 vcc, exec, s[48:49]
	s_cbranch_vccz .LBB79_472
; %bb.457:
	s_cmp_lt_i32 s51, 27
	s_cbranch_scc1 .LBB79_460
; %bb.458:
	s_cmp_gt_i32 s51, 27
	s_cbranch_scc0 .LBB79_461
; %bb.459:
	global_load_dword v1, v[4:5], off
	s_mov_b64 s[0:1], 0
	s_branch .LBB79_462
.LBB79_460:
	s_mov_b64 s[0:1], -1
                                        ; implicit-def: $vgpr1
	s_branch .LBB79_465
.LBB79_461:
	s_mov_b64 s[0:1], -1
                                        ; implicit-def: $vgpr1
.LBB79_462:
	s_andn2_b64 vcc, exec, s[0:1]
	s_cbranch_vccnz .LBB79_464
; %bb.463:
	global_load_ushort v1, v[4:5], off
.LBB79_464:
	s_mov_b64 s[0:1], 0
.LBB79_465:
	s_andn2_b64 vcc, exec, s[0:1]
	s_cbranch_vccnz .LBB79_471
; %bb.466:
	global_load_ubyte v2, v[4:5], off
	s_movk_i32 s0, 0x7f
	s_mov_b64 s[48:49], 0
	s_waitcnt vmcnt(0)
	v_cmp_lt_i16_e32 vcc, s0, v2
	s_and_saveexec_b64 s[0:1], vcc
	s_xor_b64 s[0:1], exec, s[0:1]
	s_cbranch_execz .LBB79_483
; %bb.467:
	s_movk_i32 s48, 0x80
	v_cmp_ne_u16_e32 vcc, s48, v2
	s_and_b64 s[48:49], vcc, exec
	s_andn2_saveexec_b64 s[0:1], s[0:1]
	s_cbranch_execnz .LBB79_484
.LBB79_468:
	s_or_b64 exec, exec, s[0:1]
	v_mov_b32_e32 v1, 0
	s_and_saveexec_b64 s[0:1], s[48:49]
	s_cbranch_execz .LBB79_470
.LBB79_469:
	v_lshlrev_b32_e32 v1, 24, v2
	v_and_b32_e32 v2, 0xffff, v2
	v_and_b32_e32 v6, 7, v2
	v_ffbh_u32_e32 v9, v6
	v_min_u32_e32 v9, 32, v9
	v_subrev_u32_e32 v10, 28, v9
	v_bfe_u32 v7, v2, 3, 4
	v_lshlrev_b32_e32 v2, v10, v2
	v_sub_u32_e32 v9, 29, v9
	v_and_b32_e32 v2, 7, v2
	v_cmp_eq_u32_e32 vcc, 0, v7
	v_cndmask_b32_e32 v7, v7, v9, vcc
	v_cndmask_b32_e32 v2, v6, v2, vcc
	v_mov_b32_e32 v6, 0x3b800000
	v_lshlrev_b32_e32 v2, 20, v2
	v_and_b32_e32 v1, 0x80000000, v1
	v_lshl_add_u32 v6, v7, 23, v6
	v_or3_b32 v1, v1, v6, v2
	v_cvt_i32_f32_e32 v1, v1
.LBB79_470:
	s_or_b64 exec, exec, s[0:1]
.LBB79_471:
	s_mov_b64 s[0:1], -1
.LBB79_472:
	s_mov_b64 s[48:49], 0
.LBB79_473:
	s_and_b64 vcc, exec, s[48:49]
	s_cbranch_vccz .LBB79_506
; %bb.474:
	s_cmp_gt_i32 s51, 22
	s_cbranch_scc0 .LBB79_482
; %bb.475:
	s_cmp_lt_i32 s51, 24
	s_cbranch_scc1 .LBB79_485
; %bb.476:
	s_cmp_gt_i32 s51, 24
	s_cbranch_scc0 .LBB79_486
; %bb.477:
	global_load_ubyte v2, v[4:5], off
	s_movk_i32 s0, 0x7f
	s_mov_b64 s[48:49], 0
	s_waitcnt vmcnt(0)
	v_cmp_lt_i16_e32 vcc, s0, v2
	s_and_saveexec_b64 s[0:1], vcc
	s_xor_b64 s[0:1], exec, s[0:1]
	s_cbranch_execz .LBB79_498
; %bb.478:
	s_movk_i32 s48, 0x80
	v_cmp_ne_u16_e32 vcc, s48, v2
	s_and_b64 s[48:49], vcc, exec
	s_andn2_saveexec_b64 s[0:1], s[0:1]
	s_cbranch_execnz .LBB79_499
.LBB79_479:
	s_or_b64 exec, exec, s[0:1]
	v_mov_b32_e32 v1, 0
	s_and_saveexec_b64 s[0:1], s[48:49]
	s_cbranch_execz .LBB79_481
.LBB79_480:
	v_lshlrev_b32_e32 v1, 24, v2
	v_and_b32_e32 v2, 0xffff, v2
	v_and_b32_e32 v6, 3, v2
	v_ffbh_u32_e32 v9, v6
	v_min_u32_e32 v9, 32, v9
	v_subrev_u32_e32 v10, 29, v9
	v_bfe_u32 v7, v2, 2, 5
	v_lshlrev_b32_e32 v2, v10, v2
	v_sub_u32_e32 v9, 30, v9
	v_and_b32_e32 v2, 3, v2
	v_cmp_eq_u32_e32 vcc, 0, v7
	v_cndmask_b32_e32 v7, v7, v9, vcc
	v_cndmask_b32_e32 v2, v6, v2, vcc
	v_mov_b32_e32 v6, 0x37800000
	v_lshlrev_b32_e32 v2, 21, v2
	v_and_b32_e32 v1, 0x80000000, v1
	v_lshl_add_u32 v6, v7, 23, v6
	v_or3_b32 v1, v1, v6, v2
	v_cvt_i32_f32_e32 v1, v1
.LBB79_481:
	s_or_b64 exec, exec, s[0:1]
	s_mov_b64 s[0:1], 0
	s_branch .LBB79_487
.LBB79_482:
	s_mov_b64 s[48:49], -1
                                        ; implicit-def: $vgpr1
	s_branch .LBB79_493
.LBB79_483:
	s_andn2_saveexec_b64 s[0:1], s[0:1]
	s_cbranch_execz .LBB79_468
.LBB79_484:
	v_cmp_ne_u16_e32 vcc, 0, v2
	s_andn2_b64 s[48:49], s[48:49], exec
	s_and_b64 s[54:55], vcc, exec
	s_or_b64 s[48:49], s[48:49], s[54:55]
	s_or_b64 exec, exec, s[0:1]
	v_mov_b32_e32 v1, 0
	s_and_saveexec_b64 s[0:1], s[48:49]
	s_cbranch_execnz .LBB79_469
	s_branch .LBB79_470
.LBB79_485:
	s_mov_b64 s[0:1], -1
                                        ; implicit-def: $vgpr1
	s_branch .LBB79_490
.LBB79_486:
	s_mov_b64 s[0:1], -1
                                        ; implicit-def: $vgpr1
.LBB79_487:
	s_and_b64 vcc, exec, s[0:1]
	s_cbranch_vccz .LBB79_489
; %bb.488:
	global_load_ubyte v1, v[4:5], off
	s_mov_b32 s0, 0x7f800000
	s_waitcnt vmcnt(0)
	v_lshlrev_b32_e32 v1, 24, v1
	v_and_b32_e32 v2, 0x7f000000, v1
	v_ffbh_u32_e32 v6, v2
	v_min_u32_e32 v6, 32, v6
	v_sub_u32_e64 v6, v6, 4 clamp
	v_lshlrev_b32_e32 v9, v6, v2
	v_lshlrev_b32_e32 v6, 23, v6
	v_lshrrev_b32_e32 v9, 4, v9
	v_add_u32_e32 v7, 0x1000000, v2
	v_sub_u32_e32 v6, v9, v6
	v_ashrrev_i32_e32 v7, 8, v7
	v_add_u32_e32 v6, 0x3c000000, v6
	v_and_or_b32 v6, v7, s0, v6
	v_cmp_ne_u32_e32 vcc, 0, v2
	v_cndmask_b32_e32 v2, 0, v6, vcc
	s_brev_b32 s0, 1
	v_and_or_b32 v1, v1, s0, v2
	v_cvt_i32_f32_e32 v1, v1
.LBB79_489:
	s_mov_b64 s[0:1], 0
.LBB79_490:
	s_andn2_b64 vcc, exec, s[0:1]
	s_cbranch_vccnz .LBB79_492
; %bb.491:
	global_load_ubyte v1, v[4:5], off
	s_movk_i32 s0, 0x7f00
	s_brev_b32 s1, 16
	s_waitcnt vmcnt(0)
	v_lshlrev_b16_e32 v2, 8, v1
	v_lshlrev_b32_e32 v1, 25, v1
	v_lshrrev_b32_e32 v6, 4, v1
	v_and_or_b32 v7, v2, s0, 0.5
	v_or_b32_e32 v6, 0x70000000, v6
	v_add_f32_e32 v7, -0.5, v7
	v_mul_f32_e32 v6, 0x7800000, v6
	v_cmp_gt_u32_e32 vcc, s1, v1
	v_bfe_i32 v2, v2, 0, 16
	v_cndmask_b32_e32 v1, v6, v7, vcc
	s_brev_b32 s0, 1
	v_and_or_b32 v1, v2, s0, v1
	v_cvt_i32_f32_e32 v1, v1
.LBB79_492:
	s_mov_b64 s[48:49], 0
	s_mov_b64 s[0:1], -1
.LBB79_493:
	s_andn2_b64 vcc, exec, s[48:49]
	s_cbranch_vccnz .LBB79_506
; %bb.494:
	s_cmp_gt_i32 s51, 14
	s_cbranch_scc0 .LBB79_497
; %bb.495:
	s_cmp_eq_u32 s51, 15
	s_cbranch_scc0 .LBB79_500
; %bb.496:
	global_load_ushort v1, v[4:5], off
	s_mov_b64 s[0:1], -1
	s_mov_b64 s[46:47], 0
	s_waitcnt vmcnt(0)
	v_lshlrev_b32_e32 v1, 16, v1
	v_cvt_i32_f32_e32 v1, v1
	s_branch .LBB79_501
.LBB79_497:
	s_mov_b64 s[48:49], -1
                                        ; implicit-def: $vgpr1
	s_branch .LBB79_502
.LBB79_498:
	s_andn2_saveexec_b64 s[0:1], s[0:1]
	s_cbranch_execz .LBB79_479
.LBB79_499:
	v_cmp_ne_u16_e32 vcc, 0, v2
	s_andn2_b64 s[48:49], s[48:49], exec
	s_and_b64 s[54:55], vcc, exec
	s_or_b64 s[48:49], s[48:49], s[54:55]
	s_or_b64 exec, exec, s[0:1]
	v_mov_b32_e32 v1, 0
	s_and_saveexec_b64 s[0:1], s[48:49]
	s_cbranch_execnz .LBB79_480
	s_branch .LBB79_481
.LBB79_500:
	s_mov_b64 s[46:47], -1
                                        ; implicit-def: $vgpr1
.LBB79_501:
	s_mov_b64 s[48:49], 0
.LBB79_502:
	s_and_b64 vcc, exec, s[48:49]
	s_cbranch_vccz .LBB79_506
; %bb.503:
	s_cmp_eq_u32 s51, 11
	s_cbranch_scc0 .LBB79_505
; %bb.504:
	global_load_ubyte v1, v[4:5], off
	s_mov_b64 s[0:1], -1
	s_mov_b64 s[46:47], 0
	s_waitcnt vmcnt(0)
	v_cmp_ne_u16_e32 vcc, 0, v1
	v_cndmask_b32_e64 v1, 0, 1, vcc
	s_branch .LBB79_506
.LBB79_505:
	s_mov_b64 s[46:47], -1
                                        ; implicit-def: $vgpr1
.LBB79_506:
	s_branch .LBB79_426
.LBB79_507:
	s_and_b32 s48, 0xffff, s50
	s_cmp_lt_i32 s48, 5
	s_cbranch_scc1 .LBB79_512
; %bb.508:
	s_cmp_lt_i32 s48, 8
	s_cbranch_scc1 .LBB79_513
; %bb.509:
	;; [unrolled: 3-line block ×3, first 2 shown]
	s_cmp_gt_i32 s48, 9
	s_cbranch_scc0 .LBB79_515
; %bb.511:
	global_load_dwordx2 v[1:2], v[4:5], off
	s_mov_b64 s[0:1], 0
	s_waitcnt vmcnt(0)
	v_cvt_i32_f64_e32 v1, v[1:2]
	s_branch .LBB79_516
.LBB79_512:
	s_mov_b64 s[0:1], -1
                                        ; implicit-def: $vgpr1
	s_branch .LBB79_534
.LBB79_513:
	s_mov_b64 s[0:1], -1
                                        ; implicit-def: $vgpr1
	s_branch .LBB79_522
.LBB79_514:
	s_mov_b64 s[0:1], -1
                                        ; implicit-def: $vgpr1
	s_branch .LBB79_519
.LBB79_515:
	s_mov_b64 s[0:1], -1
                                        ; implicit-def: $vgpr1
.LBB79_516:
	s_andn2_b64 vcc, exec, s[0:1]
	s_cbranch_vccnz .LBB79_518
; %bb.517:
	global_load_dword v1, v[4:5], off
	s_waitcnt vmcnt(0)
	v_cvt_i32_f32_e32 v1, v1
.LBB79_518:
	s_mov_b64 s[0:1], 0
.LBB79_519:
	s_andn2_b64 vcc, exec, s[0:1]
	s_cbranch_vccnz .LBB79_521
; %bb.520:
	global_load_dword v1, v[4:5], off
	s_waitcnt vmcnt(0)
	v_cvt_i16_f16_e32 v1, v1
.LBB79_521:
	s_mov_b64 s[0:1], 0
.LBB79_522:
	s_andn2_b64 vcc, exec, s[0:1]
	s_cbranch_vccnz .LBB79_533
; %bb.523:
	s_cmp_lt_i32 s48, 6
	s_cbranch_scc1 .LBB79_526
; %bb.524:
	s_cmp_gt_i32 s48, 6
	s_cbranch_scc0 .LBB79_527
; %bb.525:
	global_load_dwordx2 v[1:2], v[4:5], off
	s_mov_b64 s[0:1], 0
	s_waitcnt vmcnt(0)
	v_cvt_i32_f64_e32 v1, v[1:2]
	s_branch .LBB79_528
.LBB79_526:
	s_mov_b64 s[0:1], -1
                                        ; implicit-def: $vgpr1
	s_branch .LBB79_531
.LBB79_527:
	s_mov_b64 s[0:1], -1
                                        ; implicit-def: $vgpr1
.LBB79_528:
	s_andn2_b64 vcc, exec, s[0:1]
	s_cbranch_vccnz .LBB79_530
; %bb.529:
	global_load_dword v1, v[4:5], off
	s_waitcnt vmcnt(0)
	v_cvt_i32_f32_e32 v1, v1
.LBB79_530:
	s_mov_b64 s[0:1], 0
.LBB79_531:
	s_andn2_b64 vcc, exec, s[0:1]
	s_cbranch_vccnz .LBB79_533
; %bb.532:
	global_load_ushort v1, v[4:5], off
	s_waitcnt vmcnt(0)
	v_cvt_i16_f16_e32 v1, v1
.LBB79_533:
	s_mov_b64 s[0:1], 0
.LBB79_534:
	s_andn2_b64 vcc, exec, s[0:1]
	s_cbranch_vccnz .LBB79_554
; %bb.535:
	s_cmp_lt_i32 s48, 2
	s_cbranch_scc1 .LBB79_539
; %bb.536:
	s_cmp_lt_i32 s48, 3
	s_cbranch_scc1 .LBB79_540
; %bb.537:
	s_cmp_gt_i32 s48, 3
	s_cbranch_scc0 .LBB79_541
; %bb.538:
	global_load_dwordx2 v[1:2], v[4:5], off
	s_mov_b64 s[0:1], 0
	s_branch .LBB79_542
.LBB79_539:
	s_mov_b64 s[0:1], -1
                                        ; implicit-def: $vgpr1
	s_branch .LBB79_548
.LBB79_540:
	s_mov_b64 s[0:1], -1
                                        ; implicit-def: $vgpr1
	s_branch .LBB79_545
.LBB79_541:
	s_mov_b64 s[0:1], -1
                                        ; implicit-def: $vgpr1
.LBB79_542:
	s_andn2_b64 vcc, exec, s[0:1]
	s_cbranch_vccnz .LBB79_544
; %bb.543:
	global_load_dword v1, v[4:5], off
.LBB79_544:
	s_mov_b64 s[0:1], 0
.LBB79_545:
	s_andn2_b64 vcc, exec, s[0:1]
	s_cbranch_vccnz .LBB79_547
; %bb.546:
	global_load_ushort v1, v[4:5], off
.LBB79_547:
	s_mov_b64 s[0:1], 0
.LBB79_548:
	s_andn2_b64 vcc, exec, s[0:1]
	s_cbranch_vccnz .LBB79_554
; %bb.549:
	s_cmp_gt_i32 s48, 0
	s_cbranch_scc0 .LBB79_551
; %bb.550:
	global_load_sbyte v1, v[4:5], off
	s_mov_b64 s[0:1], 0
	s_branch .LBB79_552
.LBB79_551:
	s_mov_b64 s[0:1], -1
                                        ; implicit-def: $vgpr1
.LBB79_552:
	s_andn2_b64 vcc, exec, s[0:1]
	s_cbranch_vccnz .LBB79_554
; %bb.553:
	global_load_ubyte v1, v[4:5], off
.LBB79_554:
	s_branch .LBB79_427
.LBB79_555:
	s_mov_b64 s[54:55], 0
	s_mov_b64 s[0:1], s[38:39]
	;; [unrolled: 1-line block ×3, first 2 shown]
.LBB79_556:
                                        ; implicit-def: $vgpr8
	s_branch .LBB79_811
.LBB79_557:
	s_andn2_saveexec_b64 s[52:53], s[52:53]
	s_cbranch_execz .LBB79_216
.LBB79_558:
	v_add_f32_e32 v2, 0x42800000, v3
	v_and_b32_e32 v2, 0xff, v2
	v_cmp_ne_u32_e32 vcc, 0, v2
	s_andn2_b64 s[50:51], s[50:51], exec
	s_and_b64 s[56:57], vcc, exec
	s_or_b64 s[50:51], s[50:51], s[56:57]
	s_or_b64 exec, exec, s[52:53]
	v_mov_b32_e32 v4, 0
	s_and_saveexec_b64 s[52:53], s[50:51]
	s_cbranch_execnz .LBB79_217
	s_branch .LBB79_218
.LBB79_559:
	s_mov_b64 s[48:49], -1
                                        ; implicit-def: $vgpr4
	s_mov_b64 s[0:1], 0
.LBB79_560:
	s_and_b64 vcc, exec, s[50:51]
	s_cbranch_vccz .LBB79_564
; %bb.561:
	s_cmp_eq_u32 s55, 44
	s_cbranch_scc0 .LBB79_563
; %bb.562:
	global_load_ubyte v4, v[2:3], off
	s_mov_b64 s[0:1], -1
	s_mov_b64 s[48:49], 0
	s_waitcnt vmcnt(0)
	v_lshlrev_b32_e32 v5, 23, v4
	v_cvt_i32_f32_e32 v5, v5
	v_cmp_ne_u32_e32 vcc, 0, v4
	v_cndmask_b32_e32 v4, 0, v5, vcc
	s_branch .LBB79_564
.LBB79_563:
	s_mov_b64 s[48:49], -1
                                        ; implicit-def: $vgpr4
.LBB79_564:
	s_mov_b64 s[50:51], 0
.LBB79_565:
	s_and_b64 vcc, exec, s[50:51]
	s_cbranch_vccz .LBB79_569
; %bb.566:
	s_cmp_eq_u32 s55, 29
	s_cbranch_scc0 .LBB79_568
; %bb.567:
	global_load_dwordx2 v[4:5], v[2:3], off
	s_mov_b64 s[0:1], -1
	s_mov_b64 s[48:49], 0
	s_branch .LBB79_569
.LBB79_568:
	s_mov_b64 s[48:49], -1
                                        ; implicit-def: $vgpr4
.LBB79_569:
	s_mov_b64 s[50:51], 0
.LBB79_570:
	s_and_b64 vcc, exec, s[50:51]
	s_cbranch_vccz .LBB79_586
; %bb.571:
	s_cmp_lt_i32 s55, 27
	s_cbranch_scc1 .LBB79_574
; %bb.572:
	s_cmp_gt_i32 s55, 27
	s_cbranch_scc0 .LBB79_575
; %bb.573:
	global_load_dword v4, v[2:3], off
	s_mov_b64 s[0:1], 0
	s_branch .LBB79_576
.LBB79_574:
	s_mov_b64 s[0:1], -1
                                        ; implicit-def: $vgpr4
	s_branch .LBB79_579
.LBB79_575:
	s_mov_b64 s[0:1], -1
                                        ; implicit-def: $vgpr4
.LBB79_576:
	s_andn2_b64 vcc, exec, s[0:1]
	s_cbranch_vccnz .LBB79_578
; %bb.577:
	global_load_ushort v4, v[2:3], off
.LBB79_578:
	s_mov_b64 s[0:1], 0
.LBB79_579:
	s_andn2_b64 vcc, exec, s[0:1]
	s_cbranch_vccnz .LBB79_585
; %bb.580:
	global_load_ubyte v5, v[2:3], off
	s_movk_i32 s0, 0x7f
	s_mov_b64 s[50:51], 0
	s_waitcnt vmcnt(0)
	v_cmp_lt_i16_e32 vcc, s0, v5
	s_and_saveexec_b64 s[0:1], vcc
	s_xor_b64 s[0:1], exec, s[0:1]
	s_cbranch_execz .LBB79_597
; %bb.581:
	s_movk_i32 s50, 0x80
	v_cmp_ne_u16_e32 vcc, s50, v5
	s_and_b64 s[50:51], vcc, exec
	s_andn2_saveexec_b64 s[0:1], s[0:1]
	s_cbranch_execnz .LBB79_598
.LBB79_582:
	s_or_b64 exec, exec, s[0:1]
	v_mov_b32_e32 v4, 0
	s_and_saveexec_b64 s[0:1], s[50:51]
	s_cbranch_execz .LBB79_584
.LBB79_583:
	v_lshlrev_b32_e32 v4, 24, v5
	v_and_b32_e32 v5, 0xffff, v5
	v_and_b32_e32 v6, 7, v5
	v_ffbh_u32_e32 v9, v6
	v_min_u32_e32 v9, 32, v9
	v_subrev_u32_e32 v10, 28, v9
	v_bfe_u32 v7, v5, 3, 4
	v_lshlrev_b32_e32 v5, v10, v5
	v_sub_u32_e32 v9, 29, v9
	v_and_b32_e32 v5, 7, v5
	v_cmp_eq_u32_e32 vcc, 0, v7
	v_cndmask_b32_e32 v7, v7, v9, vcc
	v_cndmask_b32_e32 v5, v6, v5, vcc
	v_mov_b32_e32 v6, 0x3b800000
	v_lshlrev_b32_e32 v5, 20, v5
	v_and_b32_e32 v4, 0x80000000, v4
	v_lshl_add_u32 v6, v7, 23, v6
	v_or3_b32 v4, v4, v6, v5
	v_cvt_i32_f32_e32 v4, v4
.LBB79_584:
	s_or_b64 exec, exec, s[0:1]
.LBB79_585:
	s_mov_b64 s[0:1], -1
.LBB79_586:
	s_mov_b64 s[50:51], 0
.LBB79_587:
	s_and_b64 vcc, exec, s[50:51]
	s_cbranch_vccz .LBB79_620
; %bb.588:
	s_cmp_gt_i32 s55, 22
	s_cbranch_scc0 .LBB79_596
; %bb.589:
	s_cmp_lt_i32 s55, 24
	s_cbranch_scc1 .LBB79_599
; %bb.590:
	s_cmp_gt_i32 s55, 24
	s_cbranch_scc0 .LBB79_600
; %bb.591:
	global_load_ubyte v5, v[2:3], off
	s_movk_i32 s0, 0x7f
	s_mov_b64 s[50:51], 0
	s_waitcnt vmcnt(0)
	v_cmp_lt_i16_e32 vcc, s0, v5
	s_and_saveexec_b64 s[0:1], vcc
	s_xor_b64 s[0:1], exec, s[0:1]
	s_cbranch_execz .LBB79_612
; %bb.592:
	s_movk_i32 s50, 0x80
	v_cmp_ne_u16_e32 vcc, s50, v5
	s_and_b64 s[50:51], vcc, exec
	s_andn2_saveexec_b64 s[0:1], s[0:1]
	s_cbranch_execnz .LBB79_613
.LBB79_593:
	s_or_b64 exec, exec, s[0:1]
	v_mov_b32_e32 v4, 0
	s_and_saveexec_b64 s[0:1], s[50:51]
	s_cbranch_execz .LBB79_595
.LBB79_594:
	v_lshlrev_b32_e32 v4, 24, v5
	v_and_b32_e32 v5, 0xffff, v5
	v_and_b32_e32 v6, 3, v5
	v_ffbh_u32_e32 v9, v6
	v_min_u32_e32 v9, 32, v9
	v_subrev_u32_e32 v10, 29, v9
	v_bfe_u32 v7, v5, 2, 5
	v_lshlrev_b32_e32 v5, v10, v5
	v_sub_u32_e32 v9, 30, v9
	v_and_b32_e32 v5, 3, v5
	v_cmp_eq_u32_e32 vcc, 0, v7
	v_cndmask_b32_e32 v7, v7, v9, vcc
	v_cndmask_b32_e32 v5, v6, v5, vcc
	v_mov_b32_e32 v6, 0x37800000
	v_lshlrev_b32_e32 v5, 21, v5
	v_and_b32_e32 v4, 0x80000000, v4
	v_lshl_add_u32 v6, v7, 23, v6
	v_or3_b32 v4, v4, v6, v5
	v_cvt_i32_f32_e32 v4, v4
.LBB79_595:
	s_or_b64 exec, exec, s[0:1]
	s_mov_b64 s[0:1], 0
	s_branch .LBB79_601
.LBB79_596:
	s_mov_b64 s[50:51], -1
                                        ; implicit-def: $vgpr4
	s_branch .LBB79_607
.LBB79_597:
	s_andn2_saveexec_b64 s[0:1], s[0:1]
	s_cbranch_execz .LBB79_582
.LBB79_598:
	v_cmp_ne_u16_e32 vcc, 0, v5
	s_andn2_b64 s[50:51], s[50:51], exec
	s_and_b64 s[56:57], vcc, exec
	s_or_b64 s[50:51], s[50:51], s[56:57]
	s_or_b64 exec, exec, s[0:1]
	v_mov_b32_e32 v4, 0
	s_and_saveexec_b64 s[0:1], s[50:51]
	s_cbranch_execnz .LBB79_583
	s_branch .LBB79_584
.LBB79_599:
	s_mov_b64 s[0:1], -1
                                        ; implicit-def: $vgpr4
	s_branch .LBB79_604
.LBB79_600:
	s_mov_b64 s[0:1], -1
                                        ; implicit-def: $vgpr4
.LBB79_601:
	s_and_b64 vcc, exec, s[0:1]
	s_cbranch_vccz .LBB79_603
; %bb.602:
	global_load_ubyte v4, v[2:3], off
	s_mov_b32 s0, 0x7f800000
	s_waitcnt vmcnt(0)
	v_lshlrev_b32_e32 v4, 24, v4
	v_and_b32_e32 v5, 0x7f000000, v4
	v_ffbh_u32_e32 v6, v5
	v_min_u32_e32 v6, 32, v6
	v_sub_u32_e64 v6, v6, 4 clamp
	v_lshlrev_b32_e32 v9, v6, v5
	v_lshlrev_b32_e32 v6, 23, v6
	v_lshrrev_b32_e32 v9, 4, v9
	v_add_u32_e32 v7, 0x1000000, v5
	v_sub_u32_e32 v6, v9, v6
	v_ashrrev_i32_e32 v7, 8, v7
	v_add_u32_e32 v6, 0x3c000000, v6
	v_and_or_b32 v6, v7, s0, v6
	v_cmp_ne_u32_e32 vcc, 0, v5
	v_cndmask_b32_e32 v5, 0, v6, vcc
	s_brev_b32 s0, 1
	v_and_or_b32 v4, v4, s0, v5
	v_cvt_i32_f32_e32 v4, v4
.LBB79_603:
	s_mov_b64 s[0:1], 0
.LBB79_604:
	s_andn2_b64 vcc, exec, s[0:1]
	s_cbranch_vccnz .LBB79_606
; %bb.605:
	global_load_ubyte v4, v[2:3], off
	s_movk_i32 s0, 0x7f00
	s_brev_b32 s1, 16
	s_waitcnt vmcnt(0)
	v_lshlrev_b16_e32 v5, 8, v4
	v_lshlrev_b32_e32 v4, 25, v4
	v_lshrrev_b32_e32 v6, 4, v4
	v_and_or_b32 v7, v5, s0, 0.5
	v_or_b32_e32 v6, 0x70000000, v6
	v_add_f32_e32 v7, -0.5, v7
	v_mul_f32_e32 v6, 0x7800000, v6
	v_cmp_gt_u32_e32 vcc, s1, v4
	v_bfe_i32 v5, v5, 0, 16
	v_cndmask_b32_e32 v4, v6, v7, vcc
	s_brev_b32 s0, 1
	v_and_or_b32 v4, v5, s0, v4
	v_cvt_i32_f32_e32 v4, v4
.LBB79_606:
	s_mov_b64 s[50:51], 0
	s_mov_b64 s[0:1], -1
.LBB79_607:
	s_andn2_b64 vcc, exec, s[50:51]
	s_cbranch_vccnz .LBB79_620
; %bb.608:
	s_cmp_gt_i32 s55, 14
	s_cbranch_scc0 .LBB79_611
; %bb.609:
	s_cmp_eq_u32 s55, 15
	s_cbranch_scc0 .LBB79_614
; %bb.610:
	global_load_ushort v4, v[2:3], off
	s_mov_b64 s[0:1], -1
	s_mov_b64 s[48:49], 0
	s_waitcnt vmcnt(0)
	v_lshlrev_b32_e32 v4, 16, v4
	v_cvt_i32_f32_e32 v4, v4
	s_branch .LBB79_615
.LBB79_611:
	s_mov_b64 s[50:51], -1
                                        ; implicit-def: $vgpr4
	s_branch .LBB79_616
.LBB79_612:
	s_andn2_saveexec_b64 s[0:1], s[0:1]
	s_cbranch_execz .LBB79_593
.LBB79_613:
	v_cmp_ne_u16_e32 vcc, 0, v5
	s_andn2_b64 s[50:51], s[50:51], exec
	s_and_b64 s[56:57], vcc, exec
	s_or_b64 s[50:51], s[50:51], s[56:57]
	s_or_b64 exec, exec, s[0:1]
	v_mov_b32_e32 v4, 0
	s_and_saveexec_b64 s[0:1], s[50:51]
	s_cbranch_execnz .LBB79_594
	s_branch .LBB79_595
.LBB79_614:
	s_mov_b64 s[48:49], -1
                                        ; implicit-def: $vgpr4
.LBB79_615:
	s_mov_b64 s[50:51], 0
.LBB79_616:
	s_and_b64 vcc, exec, s[50:51]
	s_cbranch_vccz .LBB79_620
; %bb.617:
	s_cmp_eq_u32 s55, 11
	s_cbranch_scc0 .LBB79_619
; %bb.618:
	global_load_ubyte v4, v[2:3], off
	s_mov_b64 s[0:1], -1
	s_mov_b64 s[48:49], 0
	s_waitcnt vmcnt(0)
	v_cmp_ne_u16_e32 vcc, 0, v4
	v_cndmask_b32_e64 v4, 0, 1, vcc
	s_branch .LBB79_620
.LBB79_619:
	s_mov_b64 s[48:49], -1
                                        ; implicit-def: $vgpr4
.LBB79_620:
	s_mov_b64 s[50:51], 0
.LBB79_621:
	s_and_b64 vcc, exec, s[50:51]
	s_cbranch_vccz .LBB79_670
; %bb.622:
	s_and_b32 s50, 0xffff, s54
	s_cmp_lt_i32 s50, 5
	s_cbranch_scc1 .LBB79_627
; %bb.623:
	s_cmp_lt_i32 s50, 8
	s_cbranch_scc1 .LBB79_628
; %bb.624:
	;; [unrolled: 3-line block ×3, first 2 shown]
	s_cmp_gt_i32 s50, 9
	s_cbranch_scc0 .LBB79_630
; %bb.626:
	global_load_dwordx2 v[4:5], v[2:3], off
	s_mov_b64 s[0:1], 0
	s_waitcnt vmcnt(0)
	v_cvt_i32_f64_e32 v4, v[4:5]
	s_branch .LBB79_631
.LBB79_627:
	s_mov_b64 s[0:1], -1
                                        ; implicit-def: $vgpr4
	s_branch .LBB79_649
.LBB79_628:
	s_mov_b64 s[0:1], -1
                                        ; implicit-def: $vgpr4
	s_branch .LBB79_637
.LBB79_629:
	s_mov_b64 s[0:1], -1
                                        ; implicit-def: $vgpr4
	s_branch .LBB79_634
.LBB79_630:
	s_mov_b64 s[0:1], -1
                                        ; implicit-def: $vgpr4
.LBB79_631:
	s_andn2_b64 vcc, exec, s[0:1]
	s_cbranch_vccnz .LBB79_633
; %bb.632:
	global_load_dword v4, v[2:3], off
	s_waitcnt vmcnt(0)
	v_cvt_i32_f32_e32 v4, v4
.LBB79_633:
	s_mov_b64 s[0:1], 0
.LBB79_634:
	s_andn2_b64 vcc, exec, s[0:1]
	s_cbranch_vccnz .LBB79_636
; %bb.635:
	global_load_dword v4, v[2:3], off
	s_waitcnt vmcnt(0)
	v_cvt_i16_f16_e32 v4, v4
.LBB79_636:
	s_mov_b64 s[0:1], 0
.LBB79_637:
	s_andn2_b64 vcc, exec, s[0:1]
	s_cbranch_vccnz .LBB79_648
; %bb.638:
	s_cmp_lt_i32 s50, 6
	s_cbranch_scc1 .LBB79_641
; %bb.639:
	s_cmp_gt_i32 s50, 6
	s_cbranch_scc0 .LBB79_642
; %bb.640:
	global_load_dwordx2 v[4:5], v[2:3], off
	s_mov_b64 s[0:1], 0
	s_waitcnt vmcnt(0)
	v_cvt_i32_f64_e32 v4, v[4:5]
	s_branch .LBB79_643
.LBB79_641:
	s_mov_b64 s[0:1], -1
                                        ; implicit-def: $vgpr4
	s_branch .LBB79_646
.LBB79_642:
	s_mov_b64 s[0:1], -1
                                        ; implicit-def: $vgpr4
.LBB79_643:
	s_andn2_b64 vcc, exec, s[0:1]
	s_cbranch_vccnz .LBB79_645
; %bb.644:
	global_load_dword v4, v[2:3], off
	s_waitcnt vmcnt(0)
	v_cvt_i32_f32_e32 v4, v4
.LBB79_645:
	s_mov_b64 s[0:1], 0
.LBB79_646:
	s_andn2_b64 vcc, exec, s[0:1]
	s_cbranch_vccnz .LBB79_648
; %bb.647:
	global_load_ushort v4, v[2:3], off
	s_waitcnt vmcnt(0)
	v_cvt_i16_f16_e32 v4, v4
.LBB79_648:
	s_mov_b64 s[0:1], 0
.LBB79_649:
	s_andn2_b64 vcc, exec, s[0:1]
	s_cbranch_vccnz .LBB79_669
; %bb.650:
	s_cmp_lt_i32 s50, 2
	s_cbranch_scc1 .LBB79_654
; %bb.651:
	s_cmp_lt_i32 s50, 3
	s_cbranch_scc1 .LBB79_655
; %bb.652:
	s_cmp_gt_i32 s50, 3
	s_cbranch_scc0 .LBB79_656
; %bb.653:
	global_load_dwordx2 v[4:5], v[2:3], off
	s_mov_b64 s[0:1], 0
	s_branch .LBB79_657
.LBB79_654:
	s_mov_b64 s[0:1], -1
                                        ; implicit-def: $vgpr4
	s_branch .LBB79_663
.LBB79_655:
	s_mov_b64 s[0:1], -1
                                        ; implicit-def: $vgpr4
	s_branch .LBB79_660
.LBB79_656:
	s_mov_b64 s[0:1], -1
                                        ; implicit-def: $vgpr4
.LBB79_657:
	s_andn2_b64 vcc, exec, s[0:1]
	s_cbranch_vccnz .LBB79_659
; %bb.658:
	global_load_dword v4, v[2:3], off
.LBB79_659:
	s_mov_b64 s[0:1], 0
.LBB79_660:
	s_andn2_b64 vcc, exec, s[0:1]
	s_cbranch_vccnz .LBB79_662
; %bb.661:
	global_load_ushort v4, v[2:3], off
.LBB79_662:
	s_mov_b64 s[0:1], 0
.LBB79_663:
	s_andn2_b64 vcc, exec, s[0:1]
	s_cbranch_vccnz .LBB79_669
; %bb.664:
	s_cmp_gt_i32 s50, 0
	s_cbranch_scc0 .LBB79_666
; %bb.665:
	global_load_sbyte v4, v[2:3], off
	s_mov_b64 s[0:1], 0
	s_branch .LBB79_667
.LBB79_666:
	s_mov_b64 s[0:1], -1
                                        ; implicit-def: $vgpr4
.LBB79_667:
	s_andn2_b64 vcc, exec, s[0:1]
	s_cbranch_vccnz .LBB79_669
; %bb.668:
	global_load_ubyte v4, v[2:3], off
.LBB79_669:
	s_mov_b64 s[0:1], -1
.LBB79_670:
	s_andn2_b64 vcc, exec, s[0:1]
	s_cbranch_vccnz .LBB79_675
; %bb.671:
	s_cmp_lt_i32 s14, 1
	s_mov_b64 s[0:1], 0
	s_cbranch_scc1 .LBB79_676
; %bb.672:
	s_cmp_gt_i32 s14, 1
	s_cbranch_scc0 .LBB79_677
; %bb.673:
	s_cmp_eq_u32 s14, 2
	s_cbranch_scc0 .LBB79_678
; %bb.674:
	s_waitcnt vmcnt(0)
	v_cmp_le_i16_e64 s[50:51], v1, v4
	s_mov_b64 s[54:55], 0
	s_branch .LBB79_679
.LBB79_675:
	s_mov_b64 s[54:55], 0
                                        ; implicit-def: $vgpr8
	s_mov_b64 s[0:1], s[38:39]
	s_branch .LBB79_811
.LBB79_676:
	s_mov_b64 s[56:57], -1
                                        ; implicit-def: $sgpr50_sgpr51
	s_mov_b64 s[54:55], 0
	s_branch .LBB79_683
.LBB79_677:
	s_mov_b64 s[56:57], -1
	s_mov_b64 s[54:55], 0
                                        ; implicit-def: $sgpr50_sgpr51
	s_branch .LBB79_680
.LBB79_678:
	s_mov_b64 s[54:55], -1
                                        ; implicit-def: $sgpr50_sgpr51
.LBB79_679:
	s_mov_b64 s[56:57], 0
.LBB79_680:
	s_and_b64 vcc, exec, s[56:57]
	s_cbranch_vccz .LBB79_682
; %bb.681:
	s_waitcnt vmcnt(0)
	v_cmp_gt_i16_e32 vcc, v1, v4
	s_andn2_b64 s[50:51], s[50:51], exec
	s_and_b64 s[56:57], vcc, exec
	s_or_b64 s[50:51], s[50:51], s[56:57]
.LBB79_682:
	s_mov_b64 s[56:57], 0
.LBB79_683:
	s_and_b64 vcc, exec, s[56:57]
	s_cbranch_vccz .LBB79_694
; %bb.684:
	s_cmp_lg_u32 s14, 0
	s_mov_b64 s[0:1], -1
	s_cselect_b64 s[54:55], -1, 0
	s_andn2_b64 vcc, exec, s[54:55]
	s_cbranch_vccz .LBB79_695
.LBB79_685:
	s_andn2_b64 vcc, exec, s[0:1]
	s_cbranch_vccnz .LBB79_687
.LBB79_686:
	s_waitcnt vmcnt(0)
	v_cmp_ge_i16_e32 vcc, v1, v4
	s_andn2_b64 s[0:1], s[50:51], exec
	s_and_b64 s[50:51], vcc, exec
	s_or_b64 s[50:51], s[0:1], s[50:51]
.LBB79_687:
	v_mov_b32_e32 v1, s9
	s_and_b32 s60, s15, 0xff
	v_add_co_u32_e32 v0, vcc, s8, v0
	s_cmp_lt_i32 s60, 11
	v_addc_co_u32_e32 v1, vcc, 0, v1, vcc
	s_cbranch_scc1 .LBB79_696
; %bb.688:
	s_and_b32 s61, 0xffff, s60
	s_cmp_gt_i32 s61, 25
	s_cbranch_scc0 .LBB79_697
; %bb.689:
	s_cmp_gt_i32 s61, 28
	s_cbranch_scc0 .LBB79_698
; %bb.690:
	;; [unrolled: 3-line block ×4, first 2 shown]
	s_mov_b64 s[56:57], 0
	s_mov_b64 s[0:1], -1
	s_cmp_eq_u32 s61, 46
	s_mov_b64 s[54:55], 0
	s_cbranch_scc0 .LBB79_701
; %bb.693:
	v_cndmask_b32_e64 v2, 0, 1.0, s[50:51]
	v_bfe_u32 v3, v2, 16, 1
	s_movk_i32 s0, 0x7fff
	v_add3_u32 v2, v2, v3, s0
	v_lshrrev_b32_e32 v2, 16, v2
	global_store_dword v[0:1], v2, off
	s_mov_b64 s[54:55], -1
	s_mov_b64 s[0:1], 0
	s_branch .LBB79_701
.LBB79_694:
	s_andn2_b64 vcc, exec, s[54:55]
	s_cbranch_vccnz .LBB79_685
.LBB79_695:
	s_waitcnt vmcnt(0)
	v_cmp_lt_i16_e32 vcc, v1, v4
	s_andn2_b64 s[50:51], s[50:51], exec
	s_and_b64 s[54:55], vcc, exec
	s_or_b64 s[50:51], s[50:51], s[54:55]
	s_cbranch_execz .LBB79_686
	s_branch .LBB79_687
.LBB79_696:
	s_mov_b64 s[56:57], -1
	s_mov_b64 s[54:55], 0
	s_mov_b64 s[0:1], s[38:39]
	s_branch .LBB79_770
.LBB79_697:
	s_mov_b64 s[56:57], -1
	s_mov_b64 s[54:55], 0
	s_mov_b64 s[0:1], s[38:39]
	s_branch .LBB79_728
.LBB79_698:
	s_mov_b64 s[56:57], -1
	s_mov_b64 s[54:55], 0
	s_mov_b64 s[0:1], s[38:39]
	s_branch .LBB79_711
.LBB79_699:
	s_mov_b64 s[56:57], -1
	s_mov_b64 s[54:55], 0
	s_mov_b64 s[0:1], s[38:39]
	s_branch .LBB79_707
.LBB79_700:
	s_mov_b64 s[56:57], -1
	s_mov_b64 s[54:55], 0
	s_mov_b64 s[0:1], s[38:39]
.LBB79_701:
	s_and_b64 vcc, exec, s[56:57]
	s_cbranch_vccz .LBB79_706
; %bb.702:
	s_cmp_eq_u32 s61, 44
	s_mov_b64 s[0:1], -1
	s_cbranch_scc0 .LBB79_706
; %bb.703:
	v_cndmask_b32_e64 v3, 0, 1.0, s[50:51]
	v_lshrrev_b32_e32 v2, 23, v3
	s_movk_i32 s0, 0xff
	v_cmp_ne_u32_e32 vcc, s0, v2
	s_waitcnt vmcnt(0)
	v_mov_b32_e32 v4, 0xff
	s_and_saveexec_b64 s[54:55], vcc
; %bb.704:
	s_mov_b32 s0, 0x3fffff
	v_and_b32_e32 v4, 0x400000, v3
	v_and_or_b32 v3, v3, s0, v2
	v_cmp_ne_u32_e32 vcc, 0, v4
	v_cmp_ne_u32_e64 s[0:1], 0, v3
	s_and_b64 s[0:1], vcc, s[0:1]
	v_cndmask_b32_e64 v3, 0, 1, s[0:1]
	v_add_u32_e32 v4, v2, v3
; %bb.705:
	s_or_b64 exec, exec, s[54:55]
	s_mov_b64 s[54:55], -1
	s_mov_b64 s[0:1], 0
	global_store_byte v[0:1], v4, off
.LBB79_706:
	s_mov_b64 s[56:57], 0
.LBB79_707:
	s_and_b64 vcc, exec, s[56:57]
	s_cbranch_vccz .LBB79_710
; %bb.708:
	s_cmp_eq_u32 s61, 29
	s_mov_b64 s[0:1], -1
	s_cbranch_scc0 .LBB79_710
; %bb.709:
	s_mov_b32 s0, 0
	v_cndmask_b32_e64 v2, 0, 1, s[50:51]
	v_mov_b32_e32 v3, s0
	global_store_dwordx2 v[0:1], v[2:3], off
	s_mov_b64 s[54:55], -1
	s_mov_b64 s[0:1], 0
.LBB79_710:
	s_mov_b64 s[56:57], 0
.LBB79_711:
	s_and_b64 vcc, exec, s[56:57]
	s_cbranch_vccz .LBB79_727
; %bb.712:
	s_cmp_lt_i32 s61, 27
	s_mov_b64 s[54:55], -1
	s_cbranch_scc1 .LBB79_718
; %bb.713:
	s_cmp_gt_i32 s61, 27
	s_cbranch_scc0 .LBB79_715
; %bb.714:
	v_cndmask_b32_e64 v2, 0, 1, s[50:51]
	s_mov_b64 s[54:55], 0
	global_store_dword v[0:1], v2, off
.LBB79_715:
	s_andn2_b64 vcc, exec, s[54:55]
	s_cbranch_vccnz .LBB79_717
; %bb.716:
	v_cndmask_b32_e64 v2, 0, 1, s[50:51]
	global_store_short v[0:1], v2, off
.LBB79_717:
	s_mov_b64 s[54:55], 0
.LBB79_718:
	s_andn2_b64 vcc, exec, s[54:55]
	s_cbranch_vccnz .LBB79_726
; %bb.719:
	v_cndmask_b32_e64 v3, 0, 1.0, s[50:51]
	s_mov_b32 s54, 0x43800000
	v_cmp_gt_u32_e32 vcc, s54, v3
	s_waitcnt vmcnt(0)
	v_mov_b32_e32 v4, 0x80
	s_and_saveexec_b64 s[54:55], vcc
	s_cbranch_execz .LBB79_725
; %bb.720:
	s_mov_b32 s56, 0x3bffffff
	v_cmp_lt_u32_e32 vcc, s56, v3
	s_mov_b64 s[56:57], 0
                                        ; implicit-def: $vgpr2
	s_and_saveexec_b64 s[58:59], vcc
	s_xor_b64 s[58:59], exec, s[58:59]
	s_cbranch_execz .LBB79_839
; %bb.721:
	v_bfe_u32 v2, v3, 20, 1
	s_mov_b32 s62, 0x487ffff
	v_add3_u32 v2, v3, v2, s62
	s_mov_b64 s[56:57], exec
	v_lshrrev_b32_e32 v2, 20, v2
                                        ; implicit-def: $vgpr3
	s_andn2_saveexec_b64 s[58:59], s[58:59]
	s_cbranch_execnz .LBB79_840
.LBB79_722:
	s_or_b64 exec, exec, s[58:59]
	v_mov_b32_e32 v4, 0
	s_and_saveexec_b64 s[58:59], s[56:57]
.LBB79_723:
	v_mov_b32_e32 v4, v2
.LBB79_724:
	s_or_b64 exec, exec, s[58:59]
.LBB79_725:
	s_or_b64 exec, exec, s[54:55]
	global_store_byte v[0:1], v4, off
.LBB79_726:
	s_mov_b64 s[54:55], -1
.LBB79_727:
	s_mov_b64 s[56:57], 0
.LBB79_728:
	s_and_b64 vcc, exec, s[56:57]
	s_cbranch_vccz .LBB79_769
; %bb.729:
	s_cmp_gt_i32 s61, 22
	s_mov_b64 s[56:57], -1
	s_cbranch_scc0 .LBB79_761
; %bb.730:
	s_cmp_lt_i32 s61, 24
	s_mov_b64 s[54:55], -1
	s_cbranch_scc1 .LBB79_750
; %bb.731:
	s_cmp_gt_i32 s61, 24
	s_cbranch_scc0 .LBB79_739
; %bb.732:
	v_cndmask_b32_e64 v3, 0, 1.0, s[50:51]
	s_mov_b32 s54, 0x47800000
	v_cmp_gt_u32_e32 vcc, s54, v3
	s_waitcnt vmcnt(0)
	v_mov_b32_e32 v4, 0x80
	s_and_saveexec_b64 s[54:55], vcc
	s_cbranch_execz .LBB79_738
; %bb.733:
	s_mov_b32 s56, 0x37ffffff
	v_cmp_lt_u32_e32 vcc, s56, v3
	s_mov_b64 s[56:57], 0
                                        ; implicit-def: $vgpr2
	s_and_saveexec_b64 s[58:59], vcc
	s_xor_b64 s[58:59], exec, s[58:59]
	s_cbranch_execz .LBB79_967
; %bb.734:
	v_bfe_u32 v2, v3, 21, 1
	s_mov_b32 s62, 0x88fffff
	v_add3_u32 v2, v3, v2, s62
	s_mov_b64 s[56:57], exec
	v_lshrrev_b32_e32 v2, 21, v2
                                        ; implicit-def: $vgpr3
	s_andn2_saveexec_b64 s[58:59], s[58:59]
	s_cbranch_execnz .LBB79_968
.LBB79_735:
	s_or_b64 exec, exec, s[58:59]
	v_mov_b32_e32 v4, 0
	s_and_saveexec_b64 s[58:59], s[56:57]
.LBB79_736:
	v_mov_b32_e32 v4, v2
.LBB79_737:
	s_or_b64 exec, exec, s[58:59]
.LBB79_738:
	s_or_b64 exec, exec, s[54:55]
	s_mov_b64 s[54:55], 0
	global_store_byte v[0:1], v4, off
.LBB79_739:
	s_and_b64 vcc, exec, s[54:55]
	s_cbranch_vccz .LBB79_749
; %bb.740:
	v_cndmask_b32_e64 v2, 0, 1.0, s[50:51]
	s_mov_b32 s54, 0x43f00000
	v_cmp_gt_u32_e32 vcc, s54, v2
                                        ; implicit-def: $vgpr3
	s_and_saveexec_b64 s[54:55], vcc
	s_xor_b64 s[54:55], exec, s[54:55]
	s_cbranch_execz .LBB79_746
; %bb.741:
	s_mov_b32 s56, 0x3c7fffff
	v_cmp_lt_u32_e32 vcc, s56, v2
                                        ; implicit-def: $vgpr3
	s_and_saveexec_b64 s[56:57], vcc
	s_xor_b64 s[56:57], exec, s[56:57]
	s_cbranch_execz .LBB79_743
; %bb.742:
	v_bfe_u32 v3, v2, 20, 1
	s_mov_b32 s58, 0x407ffff
	v_add3_u32 v2, v2, v3, s58
	v_lshrrev_b32_e32 v3, 20, v2
	v_and_b32_e32 v2, 0xff00000, v2
	s_mov_b32 s58, 0x7f00000
	s_waitcnt vmcnt(0)
	v_mov_b32_e32 v4, 0x7e
	v_cmp_ne_u32_e32 vcc, s58, v2
	v_cndmask_b32_e32 v3, v4, v3, vcc
                                        ; implicit-def: $vgpr2
.LBB79_743:
	s_andn2_saveexec_b64 s[56:57], s[56:57]
; %bb.744:
	v_add_f32_e32 v3, 0x46800000, v2
; %bb.745:
	s_or_b64 exec, exec, s[56:57]
                                        ; implicit-def: $vgpr2
.LBB79_746:
	s_andn2_saveexec_b64 s[54:55], s[54:55]
	s_cbranch_execz .LBB79_748
; %bb.747:
	s_mov_b32 s56, 0x7f800000
	v_mov_b32_e32 v3, 0x7e
	s_waitcnt vmcnt(0)
	v_mov_b32_e32 v4, 0x7f
	v_cmp_lt_u32_e32 vcc, s56, v2
	v_cndmask_b32_e32 v3, v3, v4, vcc
.LBB79_748:
	s_or_b64 exec, exec, s[54:55]
	global_store_byte v[0:1], v3, off
.LBB79_749:
	s_mov_b64 s[54:55], 0
.LBB79_750:
	s_andn2_b64 vcc, exec, s[54:55]
	s_cbranch_vccnz .LBB79_760
; %bb.751:
	v_cndmask_b32_e64 v2, 0, 1.0, s[50:51]
	s_mov_b32 s54, 0x47800000
	v_cmp_gt_u32_e32 vcc, s54, v2
                                        ; implicit-def: $vgpr3
	s_and_saveexec_b64 s[54:55], vcc
	s_xor_b64 s[54:55], exec, s[54:55]
	s_cbranch_execz .LBB79_757
; %bb.752:
	s_mov_b32 s56, 0x387fffff
	v_cmp_lt_u32_e32 vcc, s56, v2
                                        ; implicit-def: $vgpr3
	s_and_saveexec_b64 s[56:57], vcc
	s_xor_b64 s[56:57], exec, s[56:57]
; %bb.753:
	v_bfe_u32 v3, v2, 21, 1
	s_mov_b32 s58, 0x80fffff
	v_add3_u32 v2, v2, v3, s58
	v_lshrrev_b32_e32 v3, 21, v2
                                        ; implicit-def: $vgpr2
; %bb.754:
	s_andn2_saveexec_b64 s[56:57], s[56:57]
; %bb.755:
	v_add_f32_e32 v3, 0x43000000, v2
; %bb.756:
	s_or_b64 exec, exec, s[56:57]
                                        ; implicit-def: $vgpr2
.LBB79_757:
	s_andn2_saveexec_b64 s[54:55], s[54:55]
	s_cbranch_execz .LBB79_759
; %bb.758:
	s_mov_b32 s56, 0x7f800000
	v_mov_b32_e32 v3, 0x7c
	s_waitcnt vmcnt(0)
	v_mov_b32_e32 v4, 0x7f
	v_cmp_lt_u32_e32 vcc, s56, v2
	v_cndmask_b32_e32 v3, v3, v4, vcc
.LBB79_759:
	s_or_b64 exec, exec, s[54:55]
	global_store_byte v[0:1], v3, off
.LBB79_760:
	s_mov_b64 s[56:57], 0
	s_mov_b64 s[54:55], -1
.LBB79_761:
	s_andn2_b64 vcc, exec, s[56:57]
	s_cbranch_vccnz .LBB79_769
; %bb.762:
	s_cmp_gt_i32 s61, 14
	s_mov_b64 s[56:57], -1
	s_cbranch_scc0 .LBB79_766
; %bb.763:
	s_cmp_eq_u32 s61, 15
	s_mov_b64 s[0:1], -1
	s_cbranch_scc0 .LBB79_765
; %bb.764:
	v_cndmask_b32_e64 v2, 0, 1.0, s[50:51]
	v_bfe_u32 v3, v2, 16, 1
	s_movk_i32 s0, 0x7fff
	v_add3_u32 v2, v2, v3, s0
	global_store_short_d16_hi v[0:1], v2, off
	s_mov_b64 s[54:55], -1
	s_mov_b64 s[0:1], 0
.LBB79_765:
	s_mov_b64 s[56:57], 0
.LBB79_766:
	s_and_b64 vcc, exec, s[56:57]
	s_cbranch_vccz .LBB79_769
; %bb.767:
	s_cmp_eq_u32 s61, 11
	s_mov_b64 s[0:1], -1
	s_cbranch_scc0 .LBB79_769
; %bb.768:
	v_cndmask_b32_e64 v2, 0, 1, s[50:51]
	s_mov_b64 s[54:55], -1
	s_mov_b64 s[0:1], 0
	global_store_byte v[0:1], v2, off
.LBB79_769:
	s_mov_b64 s[56:57], 0
.LBB79_770:
	s_and_b64 vcc, exec, s[56:57]
	s_cbranch_vccz .LBB79_809
; %bb.771:
	s_and_b32 s56, 0xffff, s60
	s_cmp_lt_i32 s56, 5
	s_mov_b64 s[54:55], -1
	s_cbranch_scc1 .LBB79_792
; %bb.772:
	s_cmp_lt_i32 s56, 8
	s_cbranch_scc1 .LBB79_782
; %bb.773:
	s_cmp_lt_i32 s56, 9
	s_cbranch_scc1 .LBB79_779
; %bb.774:
	s_cmp_gt_i32 s56, 9
	s_cbranch_scc0 .LBB79_776
; %bb.775:
	v_cndmask_b32_e64 v2, 0, 1, s[50:51]
	v_cvt_f64_u32_e32 v[2:3], v2
	s_waitcnt vmcnt(0)
	v_mov_b32_e32 v4, 0
	v_mov_b32_e32 v5, v4
	s_mov_b64 s[54:55], 0
	global_store_dwordx4 v[0:1], v[2:5], off
.LBB79_776:
	s_andn2_b64 vcc, exec, s[54:55]
	s_cbranch_vccnz .LBB79_778
; %bb.777:
	v_cndmask_b32_e64 v2, 0, 1.0, s[50:51]
	v_mov_b32_e32 v3, 0
	global_store_dwordx2 v[0:1], v[2:3], off
.LBB79_778:
	s_mov_b64 s[54:55], 0
.LBB79_779:
	s_andn2_b64 vcc, exec, s[54:55]
	s_cbranch_vccnz .LBB79_781
; %bb.780:
	v_cndmask_b32_e64 v2, 0, 1.0, s[50:51]
	v_cvt_f16_f32_e32 v2, v2
	global_store_dword v[0:1], v2, off
.LBB79_781:
	s_mov_b64 s[54:55], 0
.LBB79_782:
	s_andn2_b64 vcc, exec, s[54:55]
	s_cbranch_vccnz .LBB79_791
; %bb.783:
	s_cmp_lt_i32 s56, 6
	s_mov_b64 s[54:55], -1
	s_cbranch_scc1 .LBB79_789
; %bb.784:
	s_cmp_gt_i32 s56, 6
	s_cbranch_scc0 .LBB79_786
; %bb.785:
	v_cndmask_b32_e64 v2, 0, 1, s[50:51]
	v_cvt_f64_u32_e32 v[2:3], v2
	s_mov_b64 s[54:55], 0
	global_store_dwordx2 v[0:1], v[2:3], off
.LBB79_786:
	s_andn2_b64 vcc, exec, s[54:55]
	s_cbranch_vccnz .LBB79_788
; %bb.787:
	v_cndmask_b32_e64 v2, 0, 1.0, s[50:51]
	global_store_dword v[0:1], v2, off
.LBB79_788:
	s_mov_b64 s[54:55], 0
.LBB79_789:
	s_andn2_b64 vcc, exec, s[54:55]
	s_cbranch_vccnz .LBB79_791
; %bb.790:
	v_cndmask_b32_e64 v2, 0, 1.0, s[50:51]
	v_cvt_f16_f32_e32 v2, v2
	global_store_short v[0:1], v2, off
.LBB79_791:
	s_mov_b64 s[54:55], 0
.LBB79_792:
	s_andn2_b64 vcc, exec, s[54:55]
	s_cbranch_vccnz .LBB79_808
; %bb.793:
	s_cmp_lt_i32 s56, 2
	s_mov_b64 s[54:55], -1
	s_cbranch_scc1 .LBB79_803
; %bb.794:
	s_cmp_lt_i32 s56, 3
	s_cbranch_scc1 .LBB79_800
; %bb.795:
	s_cmp_gt_i32 s56, 3
	s_cbranch_scc0 .LBB79_797
; %bb.796:
	s_mov_b32 s54, 0
	v_cndmask_b32_e64 v2, 0, 1, s[50:51]
	v_mov_b32_e32 v3, s54
	s_mov_b64 s[54:55], 0
	global_store_dwordx2 v[0:1], v[2:3], off
.LBB79_797:
	s_andn2_b64 vcc, exec, s[54:55]
	s_cbranch_vccnz .LBB79_799
; %bb.798:
	v_cndmask_b32_e64 v2, 0, 1, s[50:51]
	global_store_dword v[0:1], v2, off
.LBB79_799:
	s_mov_b64 s[54:55], 0
.LBB79_800:
	s_andn2_b64 vcc, exec, s[54:55]
	s_cbranch_vccnz .LBB79_802
; %bb.801:
	v_cndmask_b32_e64 v2, 0, 1, s[50:51]
	global_store_short v[0:1], v2, off
.LBB79_802:
	s_mov_b64 s[54:55], 0
.LBB79_803:
	s_andn2_b64 vcc, exec, s[54:55]
	s_cbranch_vccnz .LBB79_808
; %bb.804:
	s_mov_b64 s[54:55], -1
	s_cmp_gt_i32 s56, 0
	v_cndmask_b32_e64 v2, 0, 1, s[50:51]
	s_cbranch_scc0 .LBB79_806
; %bb.805:
	s_mov_b64 s[54:55], 0
	global_store_byte v[0:1], v2, off
.LBB79_806:
	s_andn2_b64 vcc, exec, s[54:55]
	s_cbranch_vccnz .LBB79_808
; %bb.807:
	global_store_byte v[0:1], v2, off
.LBB79_808:
	s_mov_b64 s[54:55], -1
.LBB79_809:
	s_andn2_b64 vcc, exec, s[54:55]
	s_cbranch_vccnz .LBB79_821
; %bb.810:
	v_add_u32_e32 v8, 0x80, v8
	s_mov_b64 s[54:55], -1
.LBB79_811:
	s_andn2_b64 s[50:51], s[38:39], exec
	s_and_b64 s[0:1], s[0:1], exec
	s_or_b64 s[50:51], s[50:51], s[0:1]
	s_andn2_b64 s[0:1], s[40:41], exec
	s_and_b64 s[48:49], s[48:49], exec
	s_or_b64 s[48:49], s[0:1], s[48:49]
	;; [unrolled: 3-line block ×3, first 2 shown]
	s_orn2_b64 s[0:1], s[54:55], exec
.LBB79_812:
	s_or_b64 exec, exec, s[52:53]
	s_mov_b64 s[54:55], 0
	s_mov_b64 s[56:57], 0
	s_mov_b64 s[58:59], 0
                                        ; implicit-def: $sgpr74
                                        ; implicit-def: $vgpr4_vgpr5
                                        ; implicit-def: $vgpr0
                                        ; implicit-def: $vgpr3
                                        ; implicit-def: $vgpr1
	s_and_saveexec_b64 s[52:53], s[0:1]
	s_cbranch_execz .LBB79_1314
; %bb.813:
	v_cmp_gt_i32_e32 vcc, s68, v8
	s_mov_b64 s[66:67], -1
	s_mov_b64 s[0:1], s[46:47]
	s_mov_b64 s[58:59], s[48:49]
	s_mov_b64 s[60:61], s[50:51]
	s_and_saveexec_b64 s[54:55], vcc
	s_cbranch_execz .LBB79_1222
; %bb.814:
	s_andn2_b64 vcc, exec, s[24:25]
	s_cbranch_vccnz .LBB79_820
; %bb.815:
	s_andn2_b64 vcc, exec, s[36:37]
	s_cbranch_vccnz .LBB79_822
; %bb.816:
	s_add_i32 s0, s73, 1
	s_and_b32 s56, s0, 30
	s_add_u32 s0, s2, 0xffffffe8
	s_addc_u32 s1, s3, -1
	v_mov_b32_e32 v3, 0
	s_waitcnt vmcnt(0)
	v_mov_b32_e32 v5, 0
	v_mov_b32_e32 v0, 0
	;; [unrolled: 1-line block ×3, first 2 shown]
.LBB79_817:                             ; =>This Inner Loop Header: Depth=1
	s_load_dwordx4 s[60:63], s[0:1], 0x1c
	s_load_dwordx2 s[58:59], s[0:1], 0x2c
	s_load_dwordx2 s[74:75], s[0:1], 0xec
	s_load_dwordx4 s[64:67], s[0:1], 0xdc
	s_add_u32 s0, s0, 24
	s_waitcnt lgkmcnt(0)
	v_mul_hi_u32 v2, s61, v1
	s_addc_u32 s1, s1, 0
	s_add_i32 s56, s56, -2
	s_cmp_eq_u32 s56, 0
	v_add_u32_e32 v2, v1, v2
	v_lshrrev_b32_e32 v2, s62, v2
	v_mul_lo_u32 v4, v2, s60
	v_mul_hi_u32 v6, s58, v2
	v_sub_u32_e32 v4, v1, v4
	v_add_u32_e32 v1, v2, v6
	v_lshrrev_b32_e32 v1, s59, v1
	v_mul_lo_u32 v9, v1, s63
	v_mul_lo_u32 v6, v4, s64
	;; [unrolled: 1-line block ×4, first 2 shown]
	v_sub_u32_e32 v2, v2, v9
	v_mul_lo_u32 v9, v2, s67
	v_mul_lo_u32 v10, v2, s74
	;; [unrolled: 1-line block ×3, first 2 shown]
	v_add3_u32 v0, v6, v0, v9
	v_add3_u32 v5, v7, v5, v10
	;; [unrolled: 1-line block ×3, first 2 shown]
	s_cbranch_scc0 .LBB79_817
; %bb.818:
	s_bitcmp1_b32 s73, 0
	s_cselect_b64 s[56:57], -1, 0
	s_and_b64 vcc, exec, s[56:57]
	s_cbranch_vccnz .LBB79_823
; %bb.819:
	s_load_dwordx2 s[56:57], s[0:1], 0x1c
	s_load_dword s60, s[0:1], 0x24
	s_load_dwordx2 s[58:59], s[0:1], 0xdc
	s_waitcnt lgkmcnt(0)
	v_mul_hi_u32 v2, s57, v1
	v_add_u32_e32 v2, v1, v2
	v_lshrrev_b32_e32 v2, s60, v2
	v_mul_lo_u32 v2, v2, s56
	s_load_dword s56, s[0:1], 0xe4
	v_sub_u32_e32 v2, v1, v2
	v_mad_u64_u32 v[0:1], s[0:1], v2, s58, v[0:1]
	v_mad_u64_u32 v[5:6], s[0:1], v2, s59, v[5:6]
	s_waitcnt lgkmcnt(0)
	v_mad_u64_u32 v[3:4], s[0:1], v2, s56, v[3:4]
	s_branch .LBB79_823
.LBB79_820:
	s_mov_b64 s[0:1], -1
                                        ; implicit-def: $vgpr0
                                        ; implicit-def: $vgpr5
                                        ; implicit-def: $vgpr3
	s_branch .LBB79_824
.LBB79_821:
	s_mov_b64 s[54:55], 0
	s_branch .LBB79_556
.LBB79_822:
	v_mov_b32_e32 v0, 0
	s_waitcnt vmcnt(0)
	v_mov_b32_e32 v5, 0
	v_mov_b32_e32 v3, 0
.LBB79_823:
	s_mov_b64 s[0:1], 0
.LBB79_824:
	s_andn2_b64 vcc, exec, s[0:1]
	s_cbranch_vccnz .LBB79_827
; %bb.825:
	v_mul_hi_u32 v0, s17, v8
	s_andn2_b64 vcc, exec, s[34:35]
	v_add_u32_e32 v0, v8, v0
	s_waitcnt vmcnt(0)
	v_lshrrev_b32_e32 v1, s18, v0
	v_mul_lo_u32 v0, v1, s16
	v_sub_u32_e32 v2, v8, v0
	v_mul_lo_u32 v0, v2, s20
	v_mul_lo_u32 v5, v2, s21
	;; [unrolled: 1-line block ×3, first 2 shown]
	s_cbranch_vccnz .LBB79_827
; %bb.826:
	v_mul_hi_u32 v2, s30, v1
	v_add_u32_e32 v2, v1, v2
	v_lshrrev_b32_e32 v2, s31, v2
	v_mul_lo_u32 v2, v2, s19
	v_sub_u32_e32 v2, v1, v2
	v_mad_u64_u32 v[0:1], s[0:1], v2, s23, v[0:1]
	v_mad_u64_u32 v[5:6], s[0:1], v2, s28, v[5:6]
	;; [unrolled: 1-line block ×3, first 2 shown]
.LBB79_827:
	s_waitcnt vmcnt(0)
	v_mov_b32_e32 v1, s11
	s_and_b32 s60, s72, 0xff
	v_add_co_u32_e32 v4, vcc, s10, v5
	s_cmp_lt_i32 s60, 11
	v_addc_co_u32_e32 v5, vcc, 0, v1, vcc
	s_cbranch_scc1 .LBB79_834
; %bb.828:
	s_and_b32 s61, 0xffff, s60
	s_cmp_gt_i32 s61, 25
	s_cbranch_scc0 .LBB79_835
; %bb.829:
	s_cmp_gt_i32 s61, 28
	s_cbranch_scc0 .LBB79_836
; %bb.830:
	;; [unrolled: 3-line block ×4, first 2 shown]
	s_cmp_eq_u32 s61, 46
	s_mov_b64 s[58:59], 0
	s_cbranch_scc0 .LBB79_841
; %bb.833:
	global_load_dword v1, v[4:5], off
	s_mov_b64 s[0:1], -1
	s_mov_b64 s[56:57], 0
	s_waitcnt vmcnt(0)
	v_lshlrev_b32_e32 v1, 16, v1
	v_cvt_i32_f32_e32 v1, v1
	s_branch .LBB79_842
.LBB79_834:
	s_mov_b64 s[58:59], -1
	s_mov_b64 s[0:1], 0
                                        ; implicit-def: $vgpr1
	s_mov_b64 s[56:57], s[46:47]
	s_branch .LBB79_903
.LBB79_835:
	s_mov_b64 s[58:59], -1
	s_mov_b64 s[0:1], 0
	s_mov_b64 s[56:57], s[46:47]
                                        ; implicit-def: $vgpr1
	s_branch .LBB79_869
.LBB79_836:
	s_mov_b64 s[58:59], -1
	s_mov_b64 s[0:1], 0
	s_mov_b64 s[56:57], s[46:47]
                                        ; implicit-def: $vgpr1
	s_branch .LBB79_852
.LBB79_837:
	s_mov_b64 s[58:59], -1
	s_mov_b64 s[0:1], 0
	s_mov_b64 s[56:57], s[46:47]
                                        ; implicit-def: $vgpr1
	s_branch .LBB79_847
.LBB79_838:
	s_mov_b64 s[58:59], -1
	s_mov_b64 s[0:1], 0
	s_mov_b64 s[56:57], s[46:47]
                                        ; implicit-def: $vgpr1
	s_branch .LBB79_842
.LBB79_839:
	s_andn2_saveexec_b64 s[58:59], s[58:59]
	s_cbranch_execz .LBB79_722
.LBB79_840:
	v_add_f32_e32 v2, 0x46000000, v3
	v_and_b32_e32 v2, 0xff, v2
	v_cmp_ne_u32_e32 vcc, 0, v2
	s_andn2_b64 s[56:57], s[56:57], exec
	s_and_b64 s[62:63], vcc, exec
	s_or_b64 s[56:57], s[56:57], s[62:63]
	s_or_b64 exec, exec, s[58:59]
	v_mov_b32_e32 v4, 0
	s_and_saveexec_b64 s[58:59], s[56:57]
	s_cbranch_execnz .LBB79_723
	s_branch .LBB79_724
.LBB79_841:
	s_mov_b64 s[56:57], -1
                                        ; implicit-def: $vgpr1
	s_mov_b64 s[0:1], 0
.LBB79_842:
	s_and_b64 vcc, exec, s[58:59]
	s_cbranch_vccz .LBB79_846
; %bb.843:
	s_cmp_eq_u32 s61, 44
	s_cbranch_scc0 .LBB79_845
; %bb.844:
	global_load_ubyte v1, v[4:5], off
	s_mov_b64 s[0:1], -1
	s_mov_b64 s[56:57], 0
	s_waitcnt vmcnt(0)
	v_lshlrev_b32_e32 v2, 23, v1
	v_cvt_i32_f32_e32 v2, v2
	v_cmp_ne_u32_e32 vcc, 0, v1
	v_cndmask_b32_e32 v1, 0, v2, vcc
	s_branch .LBB79_846
.LBB79_845:
	s_mov_b64 s[56:57], -1
                                        ; implicit-def: $vgpr1
.LBB79_846:
	s_mov_b64 s[58:59], 0
.LBB79_847:
	s_and_b64 vcc, exec, s[58:59]
	s_cbranch_vccz .LBB79_851
; %bb.848:
	s_cmp_eq_u32 s61, 29
	s_cbranch_scc0 .LBB79_850
; %bb.849:
	global_load_dwordx2 v[1:2], v[4:5], off
	s_mov_b64 s[0:1], -1
	s_mov_b64 s[56:57], 0
	s_branch .LBB79_851
.LBB79_850:
	s_mov_b64 s[56:57], -1
                                        ; implicit-def: $vgpr1
.LBB79_851:
	s_mov_b64 s[58:59], 0
.LBB79_852:
	s_and_b64 vcc, exec, s[58:59]
	s_cbranch_vccz .LBB79_868
; %bb.853:
	s_cmp_lt_i32 s61, 27
	s_cbranch_scc1 .LBB79_856
; %bb.854:
	s_cmp_gt_i32 s61, 27
	s_cbranch_scc0 .LBB79_857
; %bb.855:
	global_load_dword v1, v[4:5], off
	s_mov_b64 s[0:1], 0
	s_branch .LBB79_858
.LBB79_856:
	s_mov_b64 s[0:1], -1
                                        ; implicit-def: $vgpr1
	s_branch .LBB79_861
.LBB79_857:
	s_mov_b64 s[0:1], -1
                                        ; implicit-def: $vgpr1
.LBB79_858:
	s_andn2_b64 vcc, exec, s[0:1]
	s_cbranch_vccnz .LBB79_860
; %bb.859:
	global_load_ushort v1, v[4:5], off
.LBB79_860:
	s_mov_b64 s[0:1], 0
.LBB79_861:
	s_andn2_b64 vcc, exec, s[0:1]
	s_cbranch_vccnz .LBB79_867
; %bb.862:
	global_load_ubyte v2, v[4:5], off
	s_movk_i32 s0, 0x7f
	s_mov_b64 s[58:59], 0
	s_waitcnt vmcnt(0)
	v_cmp_lt_i16_e32 vcc, s0, v2
	s_and_saveexec_b64 s[0:1], vcc
	s_xor_b64 s[0:1], exec, s[0:1]
	s_cbranch_execz .LBB79_879
; %bb.863:
	s_movk_i32 s58, 0x80
	v_cmp_ne_u16_e32 vcc, s58, v2
	s_and_b64 s[58:59], vcc, exec
	s_andn2_saveexec_b64 s[0:1], s[0:1]
	s_cbranch_execnz .LBB79_880
.LBB79_864:
	s_or_b64 exec, exec, s[0:1]
	v_mov_b32_e32 v1, 0
	s_and_saveexec_b64 s[0:1], s[58:59]
	s_cbranch_execz .LBB79_866
.LBB79_865:
	v_lshlrev_b32_e32 v1, 24, v2
	v_and_b32_e32 v2, 0xffff, v2
	v_and_b32_e32 v6, 7, v2
	v_ffbh_u32_e32 v9, v6
	v_min_u32_e32 v9, 32, v9
	v_subrev_u32_e32 v10, 28, v9
	v_bfe_u32 v7, v2, 3, 4
	v_lshlrev_b32_e32 v2, v10, v2
	v_sub_u32_e32 v9, 29, v9
	v_and_b32_e32 v2, 7, v2
	v_cmp_eq_u32_e32 vcc, 0, v7
	v_cndmask_b32_e32 v7, v7, v9, vcc
	v_cndmask_b32_e32 v2, v6, v2, vcc
	v_mov_b32_e32 v6, 0x3b800000
	v_lshlrev_b32_e32 v2, 20, v2
	v_and_b32_e32 v1, 0x80000000, v1
	v_lshl_add_u32 v6, v7, 23, v6
	v_or3_b32 v1, v1, v6, v2
	v_cvt_i32_f32_e32 v1, v1
.LBB79_866:
	s_or_b64 exec, exec, s[0:1]
.LBB79_867:
	s_mov_b64 s[0:1], -1
.LBB79_868:
	s_mov_b64 s[58:59], 0
.LBB79_869:
	s_and_b64 vcc, exec, s[58:59]
	s_cbranch_vccz .LBB79_902
; %bb.870:
	s_cmp_gt_i32 s61, 22
	s_cbranch_scc0 .LBB79_878
; %bb.871:
	s_cmp_lt_i32 s61, 24
	s_cbranch_scc1 .LBB79_881
; %bb.872:
	s_cmp_gt_i32 s61, 24
	s_cbranch_scc0 .LBB79_882
; %bb.873:
	global_load_ubyte v2, v[4:5], off
	s_movk_i32 s0, 0x7f
	s_mov_b64 s[58:59], 0
	s_waitcnt vmcnt(0)
	v_cmp_lt_i16_e32 vcc, s0, v2
	s_and_saveexec_b64 s[0:1], vcc
	s_xor_b64 s[0:1], exec, s[0:1]
	s_cbranch_execz .LBB79_894
; %bb.874:
	s_movk_i32 s58, 0x80
	v_cmp_ne_u16_e32 vcc, s58, v2
	s_and_b64 s[58:59], vcc, exec
	s_andn2_saveexec_b64 s[0:1], s[0:1]
	s_cbranch_execnz .LBB79_895
.LBB79_875:
	s_or_b64 exec, exec, s[0:1]
	v_mov_b32_e32 v1, 0
	s_and_saveexec_b64 s[0:1], s[58:59]
	s_cbranch_execz .LBB79_877
.LBB79_876:
	v_lshlrev_b32_e32 v1, 24, v2
	v_and_b32_e32 v2, 0xffff, v2
	v_and_b32_e32 v6, 3, v2
	v_ffbh_u32_e32 v9, v6
	v_min_u32_e32 v9, 32, v9
	v_subrev_u32_e32 v10, 29, v9
	v_bfe_u32 v7, v2, 2, 5
	v_lshlrev_b32_e32 v2, v10, v2
	v_sub_u32_e32 v9, 30, v9
	v_and_b32_e32 v2, 3, v2
	v_cmp_eq_u32_e32 vcc, 0, v7
	v_cndmask_b32_e32 v7, v7, v9, vcc
	v_cndmask_b32_e32 v2, v6, v2, vcc
	v_mov_b32_e32 v6, 0x37800000
	v_lshlrev_b32_e32 v2, 21, v2
	v_and_b32_e32 v1, 0x80000000, v1
	v_lshl_add_u32 v6, v7, 23, v6
	v_or3_b32 v1, v1, v6, v2
	v_cvt_i32_f32_e32 v1, v1
.LBB79_877:
	s_or_b64 exec, exec, s[0:1]
	s_mov_b64 s[0:1], 0
	s_branch .LBB79_883
.LBB79_878:
	s_mov_b64 s[58:59], -1
                                        ; implicit-def: $vgpr1
	s_branch .LBB79_889
.LBB79_879:
	s_andn2_saveexec_b64 s[0:1], s[0:1]
	s_cbranch_execz .LBB79_864
.LBB79_880:
	v_cmp_ne_u16_e32 vcc, 0, v2
	s_andn2_b64 s[58:59], s[58:59], exec
	s_and_b64 s[62:63], vcc, exec
	s_or_b64 s[58:59], s[58:59], s[62:63]
	s_or_b64 exec, exec, s[0:1]
	v_mov_b32_e32 v1, 0
	s_and_saveexec_b64 s[0:1], s[58:59]
	s_cbranch_execnz .LBB79_865
	s_branch .LBB79_866
.LBB79_881:
	s_mov_b64 s[0:1], -1
                                        ; implicit-def: $vgpr1
	s_branch .LBB79_886
.LBB79_882:
	s_mov_b64 s[0:1], -1
                                        ; implicit-def: $vgpr1
.LBB79_883:
	s_and_b64 vcc, exec, s[0:1]
	s_cbranch_vccz .LBB79_885
; %bb.884:
	global_load_ubyte v1, v[4:5], off
	s_mov_b32 s0, 0x7f800000
	s_waitcnt vmcnt(0)
	v_lshlrev_b32_e32 v1, 24, v1
	v_and_b32_e32 v2, 0x7f000000, v1
	v_ffbh_u32_e32 v6, v2
	v_min_u32_e32 v6, 32, v6
	v_sub_u32_e64 v6, v6, 4 clamp
	v_lshlrev_b32_e32 v9, v6, v2
	v_lshlrev_b32_e32 v6, 23, v6
	v_lshrrev_b32_e32 v9, 4, v9
	v_add_u32_e32 v7, 0x1000000, v2
	v_sub_u32_e32 v6, v9, v6
	v_ashrrev_i32_e32 v7, 8, v7
	v_add_u32_e32 v6, 0x3c000000, v6
	v_and_or_b32 v6, v7, s0, v6
	v_cmp_ne_u32_e32 vcc, 0, v2
	v_cndmask_b32_e32 v2, 0, v6, vcc
	s_brev_b32 s0, 1
	v_and_or_b32 v1, v1, s0, v2
	v_cvt_i32_f32_e32 v1, v1
.LBB79_885:
	s_mov_b64 s[0:1], 0
.LBB79_886:
	s_andn2_b64 vcc, exec, s[0:1]
	s_cbranch_vccnz .LBB79_888
; %bb.887:
	global_load_ubyte v1, v[4:5], off
	s_movk_i32 s0, 0x7f00
	s_brev_b32 s1, 16
	s_waitcnt vmcnt(0)
	v_lshlrev_b16_e32 v2, 8, v1
	v_lshlrev_b32_e32 v1, 25, v1
	v_lshrrev_b32_e32 v6, 4, v1
	v_and_or_b32 v7, v2, s0, 0.5
	v_or_b32_e32 v6, 0x70000000, v6
	v_add_f32_e32 v7, -0.5, v7
	v_mul_f32_e32 v6, 0x7800000, v6
	v_cmp_gt_u32_e32 vcc, s1, v1
	v_bfe_i32 v2, v2, 0, 16
	v_cndmask_b32_e32 v1, v6, v7, vcc
	s_brev_b32 s0, 1
	v_and_or_b32 v1, v2, s0, v1
	v_cvt_i32_f32_e32 v1, v1
.LBB79_888:
	s_mov_b64 s[58:59], 0
	s_mov_b64 s[0:1], -1
.LBB79_889:
	s_andn2_b64 vcc, exec, s[58:59]
	s_cbranch_vccnz .LBB79_902
; %bb.890:
	s_cmp_gt_i32 s61, 14
	s_cbranch_scc0 .LBB79_893
; %bb.891:
	s_cmp_eq_u32 s61, 15
	s_cbranch_scc0 .LBB79_896
; %bb.892:
	global_load_ushort v1, v[4:5], off
	s_mov_b64 s[0:1], -1
	s_mov_b64 s[56:57], 0
	s_waitcnt vmcnt(0)
	v_lshlrev_b32_e32 v1, 16, v1
	v_cvt_i32_f32_e32 v1, v1
	s_branch .LBB79_897
.LBB79_893:
	s_mov_b64 s[58:59], -1
                                        ; implicit-def: $vgpr1
	s_branch .LBB79_898
.LBB79_894:
	s_andn2_saveexec_b64 s[0:1], s[0:1]
	s_cbranch_execz .LBB79_875
.LBB79_895:
	v_cmp_ne_u16_e32 vcc, 0, v2
	s_andn2_b64 s[58:59], s[58:59], exec
	s_and_b64 s[62:63], vcc, exec
	s_or_b64 s[58:59], s[58:59], s[62:63]
	s_or_b64 exec, exec, s[0:1]
	v_mov_b32_e32 v1, 0
	s_and_saveexec_b64 s[0:1], s[58:59]
	s_cbranch_execnz .LBB79_876
	s_branch .LBB79_877
.LBB79_896:
	s_mov_b64 s[56:57], -1
                                        ; implicit-def: $vgpr1
.LBB79_897:
	s_mov_b64 s[58:59], 0
.LBB79_898:
	s_and_b64 vcc, exec, s[58:59]
	s_cbranch_vccz .LBB79_902
; %bb.899:
	s_cmp_eq_u32 s61, 11
	s_cbranch_scc0 .LBB79_901
; %bb.900:
	global_load_ubyte v1, v[4:5], off
	s_mov_b64 s[0:1], -1
	s_mov_b64 s[56:57], 0
	s_waitcnt vmcnt(0)
	v_cmp_ne_u16_e32 vcc, 0, v1
	v_cndmask_b32_e64 v1, 0, 1, vcc
	s_branch .LBB79_902
.LBB79_901:
	s_mov_b64 s[56:57], -1
                                        ; implicit-def: $vgpr1
.LBB79_902:
	s_mov_b64 s[58:59], 0
.LBB79_903:
	s_and_b64 vcc, exec, s[58:59]
	s_cbranch_vccz .LBB79_952
; %bb.904:
	s_and_b32 s58, 0xffff, s60
	s_cmp_lt_i32 s58, 5
	s_cbranch_scc1 .LBB79_909
; %bb.905:
	s_cmp_lt_i32 s58, 8
	s_cbranch_scc1 .LBB79_910
; %bb.906:
	;; [unrolled: 3-line block ×3, first 2 shown]
	s_cmp_gt_i32 s58, 9
	s_cbranch_scc0 .LBB79_912
; %bb.908:
	global_load_dwordx2 v[1:2], v[4:5], off
	s_mov_b64 s[0:1], 0
	s_waitcnt vmcnt(0)
	v_cvt_i32_f64_e32 v1, v[1:2]
	s_branch .LBB79_913
.LBB79_909:
	s_mov_b64 s[0:1], -1
                                        ; implicit-def: $vgpr1
	s_branch .LBB79_931
.LBB79_910:
	s_mov_b64 s[0:1], -1
                                        ; implicit-def: $vgpr1
	s_branch .LBB79_919
.LBB79_911:
	s_mov_b64 s[0:1], -1
                                        ; implicit-def: $vgpr1
	s_branch .LBB79_916
.LBB79_912:
	s_mov_b64 s[0:1], -1
                                        ; implicit-def: $vgpr1
.LBB79_913:
	s_andn2_b64 vcc, exec, s[0:1]
	s_cbranch_vccnz .LBB79_915
; %bb.914:
	global_load_dword v1, v[4:5], off
	s_waitcnt vmcnt(0)
	v_cvt_i32_f32_e32 v1, v1
.LBB79_915:
	s_mov_b64 s[0:1], 0
.LBB79_916:
	s_andn2_b64 vcc, exec, s[0:1]
	s_cbranch_vccnz .LBB79_918
; %bb.917:
	global_load_dword v1, v[4:5], off
	s_waitcnt vmcnt(0)
	v_cvt_i16_f16_e32 v1, v1
.LBB79_918:
	s_mov_b64 s[0:1], 0
.LBB79_919:
	s_andn2_b64 vcc, exec, s[0:1]
	s_cbranch_vccnz .LBB79_930
; %bb.920:
	s_cmp_lt_i32 s58, 6
	s_cbranch_scc1 .LBB79_923
; %bb.921:
	s_cmp_gt_i32 s58, 6
	s_cbranch_scc0 .LBB79_924
; %bb.922:
	global_load_dwordx2 v[1:2], v[4:5], off
	s_mov_b64 s[0:1], 0
	s_waitcnt vmcnt(0)
	v_cvt_i32_f64_e32 v1, v[1:2]
	s_branch .LBB79_925
.LBB79_923:
	s_mov_b64 s[0:1], -1
                                        ; implicit-def: $vgpr1
	s_branch .LBB79_928
.LBB79_924:
	s_mov_b64 s[0:1], -1
                                        ; implicit-def: $vgpr1
.LBB79_925:
	s_andn2_b64 vcc, exec, s[0:1]
	s_cbranch_vccnz .LBB79_927
; %bb.926:
	global_load_dword v1, v[4:5], off
	s_waitcnt vmcnt(0)
	v_cvt_i32_f32_e32 v1, v1
.LBB79_927:
	s_mov_b64 s[0:1], 0
.LBB79_928:
	s_andn2_b64 vcc, exec, s[0:1]
	s_cbranch_vccnz .LBB79_930
; %bb.929:
	global_load_ushort v1, v[4:5], off
	s_waitcnt vmcnt(0)
	v_cvt_i16_f16_e32 v1, v1
.LBB79_930:
	s_mov_b64 s[0:1], 0
.LBB79_931:
	s_andn2_b64 vcc, exec, s[0:1]
	s_cbranch_vccnz .LBB79_951
; %bb.932:
	s_cmp_lt_i32 s58, 2
	s_cbranch_scc1 .LBB79_936
; %bb.933:
	s_cmp_lt_i32 s58, 3
	s_cbranch_scc1 .LBB79_937
; %bb.934:
	s_cmp_gt_i32 s58, 3
	s_cbranch_scc0 .LBB79_938
; %bb.935:
	global_load_dwordx2 v[1:2], v[4:5], off
	s_mov_b64 s[0:1], 0
	s_branch .LBB79_939
.LBB79_936:
	s_mov_b64 s[0:1], -1
                                        ; implicit-def: $vgpr1
	s_branch .LBB79_945
.LBB79_937:
	s_mov_b64 s[0:1], -1
                                        ; implicit-def: $vgpr1
	s_branch .LBB79_942
.LBB79_938:
	s_mov_b64 s[0:1], -1
                                        ; implicit-def: $vgpr1
.LBB79_939:
	s_andn2_b64 vcc, exec, s[0:1]
	s_cbranch_vccnz .LBB79_941
; %bb.940:
	global_load_dword v1, v[4:5], off
.LBB79_941:
	s_mov_b64 s[0:1], 0
.LBB79_942:
	s_andn2_b64 vcc, exec, s[0:1]
	s_cbranch_vccnz .LBB79_944
; %bb.943:
	global_load_ushort v1, v[4:5], off
.LBB79_944:
	s_mov_b64 s[0:1], 0
.LBB79_945:
	s_andn2_b64 vcc, exec, s[0:1]
	s_cbranch_vccnz .LBB79_951
; %bb.946:
	s_cmp_gt_i32 s58, 0
	s_cbranch_scc0 .LBB79_948
; %bb.947:
	global_load_sbyte v1, v[4:5], off
	s_mov_b64 s[0:1], 0
	s_branch .LBB79_949
.LBB79_948:
	s_mov_b64 s[0:1], -1
                                        ; implicit-def: $vgpr1
.LBB79_949:
	s_andn2_b64 vcc, exec, s[0:1]
	s_cbranch_vccnz .LBB79_951
; %bb.950:
	global_load_ubyte v1, v[4:5], off
.LBB79_951:
	s_mov_b64 s[0:1], -1
.LBB79_952:
	s_andn2_b64 vcc, exec, s[0:1]
	s_cbranch_vccnz .LBB79_960
; %bb.953:
	v_mov_b32_e32 v4, s13
	s_and_b32 s62, s71, 0xff
	s_waitcnt vmcnt(0)
	v_add_co_u32_e32 v2, vcc, s12, v3
	s_cmp_lt_i32 s62, 11
	v_addc_co_u32_e32 v3, vcc, 0, v4, vcc
	s_cbranch_scc1 .LBB79_962
; %bb.954:
	s_and_b32 s63, 0xffff, s62
	s_cmp_gt_i32 s63, 25
	s_cbranch_scc0 .LBB79_963
; %bb.955:
	s_cmp_gt_i32 s63, 28
	s_cbranch_scc0 .LBB79_964
; %bb.956:
	;; [unrolled: 3-line block ×4, first 2 shown]
	s_cmp_eq_u32 s63, 46
	s_mov_b64 s[60:61], 0
	s_cbranch_scc0 .LBB79_969
; %bb.959:
	global_load_dword v4, v[2:3], off
	s_mov_b64 s[0:1], -1
	s_mov_b64 s[58:59], 0
	s_waitcnt vmcnt(0)
	v_lshlrev_b32_e32 v4, 16, v4
	v_cvt_i32_f32_e32 v4, v4
	s_branch .LBB79_970
.LBB79_960:
	s_mov_b64 s[62:63], 0
	s_mov_b64 s[0:1], s[50:51]
	;; [unrolled: 1-line block ×3, first 2 shown]
.LBB79_961:
                                        ; implicit-def: $vgpr8
	s_branch .LBB79_1221
.LBB79_962:
	s_mov_b64 s[60:61], -1
	s_mov_b64 s[0:1], 0
                                        ; implicit-def: $vgpr4
	s_mov_b64 s[58:59], s[48:49]
	s_branch .LBB79_1031
.LBB79_963:
	s_mov_b64 s[60:61], -1
	s_mov_b64 s[0:1], 0
	s_mov_b64 s[58:59], s[48:49]
                                        ; implicit-def: $vgpr4
	s_branch .LBB79_997
.LBB79_964:
	s_mov_b64 s[60:61], -1
	s_mov_b64 s[0:1], 0
	s_mov_b64 s[58:59], s[48:49]
                                        ; implicit-def: $vgpr4
	s_branch .LBB79_980
.LBB79_965:
	s_mov_b64 s[60:61], -1
	s_mov_b64 s[0:1], 0
	s_mov_b64 s[58:59], s[48:49]
                                        ; implicit-def: $vgpr4
	s_branch .LBB79_975
.LBB79_966:
	s_mov_b64 s[60:61], -1
	s_mov_b64 s[0:1], 0
	s_mov_b64 s[58:59], s[48:49]
                                        ; implicit-def: $vgpr4
	s_branch .LBB79_970
.LBB79_967:
	s_andn2_saveexec_b64 s[58:59], s[58:59]
	s_cbranch_execz .LBB79_735
.LBB79_968:
	v_add_f32_e32 v2, 0x42800000, v3
	v_and_b32_e32 v2, 0xff, v2
	v_cmp_ne_u32_e32 vcc, 0, v2
	s_andn2_b64 s[56:57], s[56:57], exec
	s_and_b64 s[62:63], vcc, exec
	s_or_b64 s[56:57], s[56:57], s[62:63]
	s_or_b64 exec, exec, s[58:59]
	v_mov_b32_e32 v4, 0
	s_and_saveexec_b64 s[58:59], s[56:57]
	s_cbranch_execnz .LBB79_736
	s_branch .LBB79_737
.LBB79_969:
	s_mov_b64 s[58:59], -1
                                        ; implicit-def: $vgpr4
	s_mov_b64 s[0:1], 0
.LBB79_970:
	s_and_b64 vcc, exec, s[60:61]
	s_cbranch_vccz .LBB79_974
; %bb.971:
	s_cmp_eq_u32 s63, 44
	s_cbranch_scc0 .LBB79_973
; %bb.972:
	global_load_ubyte v4, v[2:3], off
	s_mov_b64 s[0:1], -1
	s_mov_b64 s[58:59], 0
	s_waitcnt vmcnt(0)
	v_lshlrev_b32_e32 v5, 23, v4
	v_cvt_i32_f32_e32 v5, v5
	v_cmp_ne_u32_e32 vcc, 0, v4
	v_cndmask_b32_e32 v4, 0, v5, vcc
	s_branch .LBB79_974
.LBB79_973:
	s_mov_b64 s[58:59], -1
                                        ; implicit-def: $vgpr4
.LBB79_974:
	s_mov_b64 s[60:61], 0
.LBB79_975:
	s_and_b64 vcc, exec, s[60:61]
	s_cbranch_vccz .LBB79_979
; %bb.976:
	s_cmp_eq_u32 s63, 29
	s_cbranch_scc0 .LBB79_978
; %bb.977:
	global_load_dwordx2 v[4:5], v[2:3], off
	s_mov_b64 s[0:1], -1
	s_mov_b64 s[58:59], 0
	s_branch .LBB79_979
.LBB79_978:
	s_mov_b64 s[58:59], -1
                                        ; implicit-def: $vgpr4
.LBB79_979:
	s_mov_b64 s[60:61], 0
.LBB79_980:
	s_and_b64 vcc, exec, s[60:61]
	s_cbranch_vccz .LBB79_996
; %bb.981:
	s_cmp_lt_i32 s63, 27
	s_cbranch_scc1 .LBB79_984
; %bb.982:
	s_cmp_gt_i32 s63, 27
	s_cbranch_scc0 .LBB79_985
; %bb.983:
	global_load_dword v4, v[2:3], off
	s_mov_b64 s[0:1], 0
	s_branch .LBB79_986
.LBB79_984:
	s_mov_b64 s[0:1], -1
                                        ; implicit-def: $vgpr4
	s_branch .LBB79_989
.LBB79_985:
	s_mov_b64 s[0:1], -1
                                        ; implicit-def: $vgpr4
.LBB79_986:
	s_andn2_b64 vcc, exec, s[0:1]
	s_cbranch_vccnz .LBB79_988
; %bb.987:
	global_load_ushort v4, v[2:3], off
.LBB79_988:
	s_mov_b64 s[0:1], 0
.LBB79_989:
	s_andn2_b64 vcc, exec, s[0:1]
	s_cbranch_vccnz .LBB79_995
; %bb.990:
	global_load_ubyte v5, v[2:3], off
	s_movk_i32 s0, 0x7f
	s_mov_b64 s[60:61], 0
	s_waitcnt vmcnt(0)
	v_cmp_lt_i16_e32 vcc, s0, v5
	s_and_saveexec_b64 s[0:1], vcc
	s_xor_b64 s[0:1], exec, s[0:1]
	s_cbranch_execz .LBB79_1007
; %bb.991:
	s_movk_i32 s60, 0x80
	v_cmp_ne_u16_e32 vcc, s60, v5
	s_and_b64 s[60:61], vcc, exec
	s_andn2_saveexec_b64 s[0:1], s[0:1]
	s_cbranch_execnz .LBB79_1008
.LBB79_992:
	s_or_b64 exec, exec, s[0:1]
	v_mov_b32_e32 v4, 0
	s_and_saveexec_b64 s[0:1], s[60:61]
	s_cbranch_execz .LBB79_994
.LBB79_993:
	v_lshlrev_b32_e32 v4, 24, v5
	v_and_b32_e32 v5, 0xffff, v5
	v_and_b32_e32 v6, 7, v5
	v_ffbh_u32_e32 v9, v6
	v_min_u32_e32 v9, 32, v9
	v_subrev_u32_e32 v10, 28, v9
	v_bfe_u32 v7, v5, 3, 4
	v_lshlrev_b32_e32 v5, v10, v5
	v_sub_u32_e32 v9, 29, v9
	v_and_b32_e32 v5, 7, v5
	v_cmp_eq_u32_e32 vcc, 0, v7
	v_cndmask_b32_e32 v7, v7, v9, vcc
	v_cndmask_b32_e32 v5, v6, v5, vcc
	v_mov_b32_e32 v6, 0x3b800000
	v_lshlrev_b32_e32 v5, 20, v5
	v_and_b32_e32 v4, 0x80000000, v4
	v_lshl_add_u32 v6, v7, 23, v6
	v_or3_b32 v4, v4, v6, v5
	v_cvt_i32_f32_e32 v4, v4
.LBB79_994:
	s_or_b64 exec, exec, s[0:1]
.LBB79_995:
	s_mov_b64 s[0:1], -1
.LBB79_996:
	s_mov_b64 s[60:61], 0
.LBB79_997:
	s_and_b64 vcc, exec, s[60:61]
	s_cbranch_vccz .LBB79_1030
; %bb.998:
	s_cmp_gt_i32 s63, 22
	s_cbranch_scc0 .LBB79_1006
; %bb.999:
	s_cmp_lt_i32 s63, 24
	s_cbranch_scc1 .LBB79_1009
; %bb.1000:
	s_cmp_gt_i32 s63, 24
	s_cbranch_scc0 .LBB79_1010
; %bb.1001:
	global_load_ubyte v5, v[2:3], off
	s_movk_i32 s0, 0x7f
	s_mov_b64 s[60:61], 0
	s_waitcnt vmcnt(0)
	v_cmp_lt_i16_e32 vcc, s0, v5
	s_and_saveexec_b64 s[0:1], vcc
	s_xor_b64 s[0:1], exec, s[0:1]
	s_cbranch_execz .LBB79_1022
; %bb.1002:
	s_movk_i32 s60, 0x80
	v_cmp_ne_u16_e32 vcc, s60, v5
	s_and_b64 s[60:61], vcc, exec
	s_andn2_saveexec_b64 s[0:1], s[0:1]
	s_cbranch_execnz .LBB79_1023
.LBB79_1003:
	s_or_b64 exec, exec, s[0:1]
	v_mov_b32_e32 v4, 0
	s_and_saveexec_b64 s[0:1], s[60:61]
	s_cbranch_execz .LBB79_1005
.LBB79_1004:
	v_lshlrev_b32_e32 v4, 24, v5
	v_and_b32_e32 v5, 0xffff, v5
	v_and_b32_e32 v6, 3, v5
	v_ffbh_u32_e32 v9, v6
	v_min_u32_e32 v9, 32, v9
	v_subrev_u32_e32 v10, 29, v9
	v_bfe_u32 v7, v5, 2, 5
	v_lshlrev_b32_e32 v5, v10, v5
	v_sub_u32_e32 v9, 30, v9
	v_and_b32_e32 v5, 3, v5
	v_cmp_eq_u32_e32 vcc, 0, v7
	v_cndmask_b32_e32 v7, v7, v9, vcc
	v_cndmask_b32_e32 v5, v6, v5, vcc
	v_mov_b32_e32 v6, 0x37800000
	v_lshlrev_b32_e32 v5, 21, v5
	v_and_b32_e32 v4, 0x80000000, v4
	v_lshl_add_u32 v6, v7, 23, v6
	v_or3_b32 v4, v4, v6, v5
	v_cvt_i32_f32_e32 v4, v4
.LBB79_1005:
	s_or_b64 exec, exec, s[0:1]
	s_mov_b64 s[0:1], 0
	s_branch .LBB79_1011
.LBB79_1006:
	s_mov_b64 s[60:61], -1
                                        ; implicit-def: $vgpr4
	s_branch .LBB79_1017
.LBB79_1007:
	s_andn2_saveexec_b64 s[0:1], s[0:1]
	s_cbranch_execz .LBB79_992
.LBB79_1008:
	v_cmp_ne_u16_e32 vcc, 0, v5
	s_andn2_b64 s[60:61], s[60:61], exec
	s_and_b64 s[64:65], vcc, exec
	s_or_b64 s[60:61], s[60:61], s[64:65]
	s_or_b64 exec, exec, s[0:1]
	v_mov_b32_e32 v4, 0
	s_and_saveexec_b64 s[0:1], s[60:61]
	s_cbranch_execnz .LBB79_993
	s_branch .LBB79_994
.LBB79_1009:
	s_mov_b64 s[0:1], -1
                                        ; implicit-def: $vgpr4
	s_branch .LBB79_1014
.LBB79_1010:
	s_mov_b64 s[0:1], -1
                                        ; implicit-def: $vgpr4
.LBB79_1011:
	s_and_b64 vcc, exec, s[0:1]
	s_cbranch_vccz .LBB79_1013
; %bb.1012:
	global_load_ubyte v4, v[2:3], off
	s_mov_b32 s0, 0x7f800000
	s_waitcnt vmcnt(0)
	v_lshlrev_b32_e32 v4, 24, v4
	v_and_b32_e32 v5, 0x7f000000, v4
	v_ffbh_u32_e32 v6, v5
	v_min_u32_e32 v6, 32, v6
	v_sub_u32_e64 v6, v6, 4 clamp
	v_lshlrev_b32_e32 v9, v6, v5
	v_lshlrev_b32_e32 v6, 23, v6
	v_lshrrev_b32_e32 v9, 4, v9
	v_add_u32_e32 v7, 0x1000000, v5
	v_sub_u32_e32 v6, v9, v6
	v_ashrrev_i32_e32 v7, 8, v7
	v_add_u32_e32 v6, 0x3c000000, v6
	v_and_or_b32 v6, v7, s0, v6
	v_cmp_ne_u32_e32 vcc, 0, v5
	v_cndmask_b32_e32 v5, 0, v6, vcc
	s_brev_b32 s0, 1
	v_and_or_b32 v4, v4, s0, v5
	v_cvt_i32_f32_e32 v4, v4
.LBB79_1013:
	s_mov_b64 s[0:1], 0
.LBB79_1014:
	s_andn2_b64 vcc, exec, s[0:1]
	s_cbranch_vccnz .LBB79_1016
; %bb.1015:
	global_load_ubyte v4, v[2:3], off
	s_movk_i32 s0, 0x7f00
	s_brev_b32 s1, 16
	s_waitcnt vmcnt(0)
	v_lshlrev_b16_e32 v5, 8, v4
	v_lshlrev_b32_e32 v4, 25, v4
	v_lshrrev_b32_e32 v6, 4, v4
	v_and_or_b32 v7, v5, s0, 0.5
	v_or_b32_e32 v6, 0x70000000, v6
	v_add_f32_e32 v7, -0.5, v7
	v_mul_f32_e32 v6, 0x7800000, v6
	v_cmp_gt_u32_e32 vcc, s1, v4
	v_bfe_i32 v5, v5, 0, 16
	v_cndmask_b32_e32 v4, v6, v7, vcc
	s_brev_b32 s0, 1
	v_and_or_b32 v4, v5, s0, v4
	v_cvt_i32_f32_e32 v4, v4
.LBB79_1016:
	s_mov_b64 s[60:61], 0
	s_mov_b64 s[0:1], -1
.LBB79_1017:
	s_andn2_b64 vcc, exec, s[60:61]
	s_cbranch_vccnz .LBB79_1030
; %bb.1018:
	s_cmp_gt_i32 s63, 14
	s_cbranch_scc0 .LBB79_1021
; %bb.1019:
	s_cmp_eq_u32 s63, 15
	s_cbranch_scc0 .LBB79_1024
; %bb.1020:
	global_load_ushort v4, v[2:3], off
	s_mov_b64 s[0:1], -1
	s_mov_b64 s[58:59], 0
	s_waitcnt vmcnt(0)
	v_lshlrev_b32_e32 v4, 16, v4
	v_cvt_i32_f32_e32 v4, v4
	s_branch .LBB79_1025
.LBB79_1021:
	s_mov_b64 s[60:61], -1
                                        ; implicit-def: $vgpr4
	s_branch .LBB79_1026
.LBB79_1022:
	s_andn2_saveexec_b64 s[0:1], s[0:1]
	s_cbranch_execz .LBB79_1003
.LBB79_1023:
	v_cmp_ne_u16_e32 vcc, 0, v5
	s_andn2_b64 s[60:61], s[60:61], exec
	s_and_b64 s[64:65], vcc, exec
	s_or_b64 s[60:61], s[60:61], s[64:65]
	s_or_b64 exec, exec, s[0:1]
	v_mov_b32_e32 v4, 0
	s_and_saveexec_b64 s[0:1], s[60:61]
	s_cbranch_execnz .LBB79_1004
	s_branch .LBB79_1005
.LBB79_1024:
	s_mov_b64 s[58:59], -1
                                        ; implicit-def: $vgpr4
.LBB79_1025:
	s_mov_b64 s[60:61], 0
.LBB79_1026:
	s_and_b64 vcc, exec, s[60:61]
	s_cbranch_vccz .LBB79_1030
; %bb.1027:
	s_cmp_eq_u32 s63, 11
	s_cbranch_scc0 .LBB79_1029
; %bb.1028:
	global_load_ubyte v4, v[2:3], off
	s_mov_b64 s[0:1], -1
	s_mov_b64 s[58:59], 0
	s_waitcnt vmcnt(0)
	v_cmp_ne_u16_e32 vcc, 0, v4
	v_cndmask_b32_e64 v4, 0, 1, vcc
	s_branch .LBB79_1030
.LBB79_1029:
	s_mov_b64 s[58:59], -1
                                        ; implicit-def: $vgpr4
.LBB79_1030:
	s_mov_b64 s[60:61], 0
.LBB79_1031:
	s_and_b64 vcc, exec, s[60:61]
	s_cbranch_vccz .LBB79_1080
; %bb.1032:
	s_and_b32 s60, 0xffff, s62
	s_cmp_lt_i32 s60, 5
	s_cbranch_scc1 .LBB79_1037
; %bb.1033:
	s_cmp_lt_i32 s60, 8
	s_cbranch_scc1 .LBB79_1038
; %bb.1034:
	;; [unrolled: 3-line block ×3, first 2 shown]
	s_cmp_gt_i32 s60, 9
	s_cbranch_scc0 .LBB79_1040
; %bb.1036:
	global_load_dwordx2 v[4:5], v[2:3], off
	s_mov_b64 s[0:1], 0
	s_waitcnt vmcnt(0)
	v_cvt_i32_f64_e32 v4, v[4:5]
	s_branch .LBB79_1041
.LBB79_1037:
	s_mov_b64 s[0:1], -1
                                        ; implicit-def: $vgpr4
	s_branch .LBB79_1059
.LBB79_1038:
	s_mov_b64 s[0:1], -1
                                        ; implicit-def: $vgpr4
	s_branch .LBB79_1047
.LBB79_1039:
	s_mov_b64 s[0:1], -1
                                        ; implicit-def: $vgpr4
	s_branch .LBB79_1044
.LBB79_1040:
	s_mov_b64 s[0:1], -1
                                        ; implicit-def: $vgpr4
.LBB79_1041:
	s_andn2_b64 vcc, exec, s[0:1]
	s_cbranch_vccnz .LBB79_1043
; %bb.1042:
	global_load_dword v4, v[2:3], off
	s_waitcnt vmcnt(0)
	v_cvt_i32_f32_e32 v4, v4
.LBB79_1043:
	s_mov_b64 s[0:1], 0
.LBB79_1044:
	s_andn2_b64 vcc, exec, s[0:1]
	s_cbranch_vccnz .LBB79_1046
; %bb.1045:
	global_load_dword v4, v[2:3], off
	s_waitcnt vmcnt(0)
	v_cvt_i16_f16_e32 v4, v4
.LBB79_1046:
	s_mov_b64 s[0:1], 0
.LBB79_1047:
	s_andn2_b64 vcc, exec, s[0:1]
	s_cbranch_vccnz .LBB79_1058
; %bb.1048:
	s_cmp_lt_i32 s60, 6
	s_cbranch_scc1 .LBB79_1051
; %bb.1049:
	s_cmp_gt_i32 s60, 6
	s_cbranch_scc0 .LBB79_1052
; %bb.1050:
	global_load_dwordx2 v[4:5], v[2:3], off
	s_mov_b64 s[0:1], 0
	s_waitcnt vmcnt(0)
	v_cvt_i32_f64_e32 v4, v[4:5]
	s_branch .LBB79_1053
.LBB79_1051:
	s_mov_b64 s[0:1], -1
                                        ; implicit-def: $vgpr4
	s_branch .LBB79_1056
.LBB79_1052:
	s_mov_b64 s[0:1], -1
                                        ; implicit-def: $vgpr4
.LBB79_1053:
	s_andn2_b64 vcc, exec, s[0:1]
	s_cbranch_vccnz .LBB79_1055
; %bb.1054:
	global_load_dword v4, v[2:3], off
	s_waitcnt vmcnt(0)
	v_cvt_i32_f32_e32 v4, v4
.LBB79_1055:
	s_mov_b64 s[0:1], 0
.LBB79_1056:
	s_andn2_b64 vcc, exec, s[0:1]
	s_cbranch_vccnz .LBB79_1058
; %bb.1057:
	global_load_ushort v4, v[2:3], off
	s_waitcnt vmcnt(0)
	v_cvt_i16_f16_e32 v4, v4
.LBB79_1058:
	s_mov_b64 s[0:1], 0
.LBB79_1059:
	s_andn2_b64 vcc, exec, s[0:1]
	s_cbranch_vccnz .LBB79_1079
; %bb.1060:
	s_cmp_lt_i32 s60, 2
	s_cbranch_scc1 .LBB79_1064
; %bb.1061:
	s_cmp_lt_i32 s60, 3
	s_cbranch_scc1 .LBB79_1065
; %bb.1062:
	s_cmp_gt_i32 s60, 3
	s_cbranch_scc0 .LBB79_1066
; %bb.1063:
	global_load_dwordx2 v[4:5], v[2:3], off
	s_mov_b64 s[0:1], 0
	s_branch .LBB79_1067
.LBB79_1064:
	s_mov_b64 s[0:1], -1
                                        ; implicit-def: $vgpr4
	s_branch .LBB79_1073
.LBB79_1065:
	s_mov_b64 s[0:1], -1
                                        ; implicit-def: $vgpr4
	s_branch .LBB79_1070
.LBB79_1066:
	s_mov_b64 s[0:1], -1
                                        ; implicit-def: $vgpr4
.LBB79_1067:
	s_andn2_b64 vcc, exec, s[0:1]
	s_cbranch_vccnz .LBB79_1069
; %bb.1068:
	global_load_dword v4, v[2:3], off
.LBB79_1069:
	s_mov_b64 s[0:1], 0
.LBB79_1070:
	s_andn2_b64 vcc, exec, s[0:1]
	s_cbranch_vccnz .LBB79_1072
; %bb.1071:
	global_load_ushort v4, v[2:3], off
.LBB79_1072:
	s_mov_b64 s[0:1], 0
.LBB79_1073:
	s_andn2_b64 vcc, exec, s[0:1]
	s_cbranch_vccnz .LBB79_1079
; %bb.1074:
	s_cmp_gt_i32 s60, 0
	s_cbranch_scc0 .LBB79_1076
; %bb.1075:
	global_load_sbyte v4, v[2:3], off
	s_mov_b64 s[0:1], 0
	s_branch .LBB79_1077
.LBB79_1076:
	s_mov_b64 s[0:1], -1
                                        ; implicit-def: $vgpr4
.LBB79_1077:
	s_andn2_b64 vcc, exec, s[0:1]
	s_cbranch_vccnz .LBB79_1079
; %bb.1078:
	global_load_ubyte v4, v[2:3], off
.LBB79_1079:
	s_mov_b64 s[0:1], -1
.LBB79_1080:
	s_andn2_b64 vcc, exec, s[0:1]
	s_cbranch_vccnz .LBB79_1085
; %bb.1081:
	s_cmp_lt_i32 s14, 1
	s_mov_b64 s[0:1], 0
	s_cbranch_scc1 .LBB79_1086
; %bb.1082:
	s_cmp_gt_i32 s14, 1
	s_cbranch_scc0 .LBB79_1087
; %bb.1083:
	s_cmp_eq_u32 s14, 2
	s_cbranch_scc0 .LBB79_1088
; %bb.1084:
	s_waitcnt vmcnt(0)
	v_cmp_le_i16_e64 s[60:61], v1, v4
	s_mov_b64 s[62:63], 0
	s_branch .LBB79_1089
.LBB79_1085:
	s_mov_b64 s[62:63], 0
                                        ; implicit-def: $vgpr8
	s_mov_b64 s[0:1], s[50:51]
	s_branch .LBB79_1221
.LBB79_1086:
	s_mov_b64 s[64:65], -1
                                        ; implicit-def: $sgpr60_sgpr61
	s_mov_b64 s[62:63], 0
	s_branch .LBB79_1093
.LBB79_1087:
	s_mov_b64 s[64:65], -1
	s_mov_b64 s[62:63], 0
                                        ; implicit-def: $sgpr60_sgpr61
	s_branch .LBB79_1090
.LBB79_1088:
	s_mov_b64 s[62:63], -1
                                        ; implicit-def: $sgpr60_sgpr61
.LBB79_1089:
	s_mov_b64 s[64:65], 0
.LBB79_1090:
	s_and_b64 vcc, exec, s[64:65]
	s_cbranch_vccz .LBB79_1092
; %bb.1091:
	s_waitcnt vmcnt(0)
	v_cmp_gt_i16_e32 vcc, v1, v4
	s_andn2_b64 s[60:61], s[60:61], exec
	s_and_b64 s[64:65], vcc, exec
	s_or_b64 s[60:61], s[60:61], s[64:65]
.LBB79_1092:
	s_mov_b64 s[64:65], 0
.LBB79_1093:
	s_and_b64 vcc, exec, s[64:65]
	s_cbranch_vccz .LBB79_1104
; %bb.1094:
	s_cmp_lg_u32 s14, 0
	s_mov_b64 s[0:1], -1
	s_cselect_b64 s[62:63], -1, 0
	s_andn2_b64 vcc, exec, s[62:63]
	s_cbranch_vccz .LBB79_1105
.LBB79_1095:
	s_andn2_b64 vcc, exec, s[0:1]
	s_cbranch_vccnz .LBB79_1097
.LBB79_1096:
	s_waitcnt vmcnt(0)
	v_cmp_ge_i16_e32 vcc, v1, v4
	s_andn2_b64 s[0:1], s[60:61], exec
	s_and_b64 s[60:61], vcc, exec
	s_or_b64 s[60:61], s[0:1], s[60:61]
.LBB79_1097:
	v_mov_b32_e32 v1, s9
	s_and_b32 s69, s15, 0xff
	v_add_co_u32_e32 v0, vcc, s8, v0
	s_cmp_lt_i32 s69, 11
	v_addc_co_u32_e32 v1, vcc, 0, v1, vcc
	s_cbranch_scc1 .LBB79_1106
; %bb.1098:
	s_and_b32 s74, 0xffff, s69
	s_cmp_gt_i32 s74, 25
	s_cbranch_scc0 .LBB79_1107
; %bb.1099:
	s_cmp_gt_i32 s74, 28
	s_cbranch_scc0 .LBB79_1108
; %bb.1100:
	;; [unrolled: 3-line block ×4, first 2 shown]
	s_mov_b64 s[64:65], 0
	s_mov_b64 s[0:1], -1
	s_cmp_eq_u32 s74, 46
	s_mov_b64 s[62:63], 0
	s_cbranch_scc0 .LBB79_1111
; %bb.1103:
	v_cndmask_b32_e64 v2, 0, 1.0, s[60:61]
	v_bfe_u32 v3, v2, 16, 1
	s_movk_i32 s0, 0x7fff
	v_add3_u32 v2, v2, v3, s0
	v_lshrrev_b32_e32 v2, 16, v2
	global_store_dword v[0:1], v2, off
	s_mov_b64 s[62:63], -1
	s_mov_b64 s[0:1], 0
	s_branch .LBB79_1111
.LBB79_1104:
	s_andn2_b64 vcc, exec, s[62:63]
	s_cbranch_vccnz .LBB79_1095
.LBB79_1105:
	s_waitcnt vmcnt(0)
	v_cmp_lt_i16_e32 vcc, v1, v4
	s_andn2_b64 s[60:61], s[60:61], exec
	s_and_b64 s[62:63], vcc, exec
	s_or_b64 s[60:61], s[60:61], s[62:63]
	s_cbranch_execz .LBB79_1096
	s_branch .LBB79_1097
.LBB79_1106:
	s_mov_b64 s[64:65], -1
	s_mov_b64 s[62:63], 0
	s_mov_b64 s[0:1], s[50:51]
	s_branch .LBB79_1180
.LBB79_1107:
	s_mov_b64 s[64:65], -1
	s_mov_b64 s[62:63], 0
	s_mov_b64 s[0:1], s[50:51]
	s_branch .LBB79_1138
.LBB79_1108:
	s_mov_b64 s[64:65], -1
	s_mov_b64 s[62:63], 0
	s_mov_b64 s[0:1], s[50:51]
	s_branch .LBB79_1121
.LBB79_1109:
	s_mov_b64 s[64:65], -1
	s_mov_b64 s[62:63], 0
	s_mov_b64 s[0:1], s[50:51]
	s_branch .LBB79_1117
.LBB79_1110:
	s_mov_b64 s[64:65], -1
	s_mov_b64 s[62:63], 0
	s_mov_b64 s[0:1], s[50:51]
.LBB79_1111:
	s_and_b64 vcc, exec, s[64:65]
	s_cbranch_vccz .LBB79_1116
; %bb.1112:
	s_cmp_eq_u32 s74, 44
	s_mov_b64 s[0:1], -1
	s_cbranch_scc0 .LBB79_1116
; %bb.1113:
	v_cndmask_b32_e64 v3, 0, 1.0, s[60:61]
	v_lshrrev_b32_e32 v2, 23, v3
	s_movk_i32 s0, 0xff
	v_cmp_ne_u32_e32 vcc, s0, v2
	s_waitcnt vmcnt(0)
	v_mov_b32_e32 v4, 0xff
	s_and_saveexec_b64 s[62:63], vcc
; %bb.1114:
	s_mov_b32 s0, 0x3fffff
	v_and_b32_e32 v4, 0x400000, v3
	v_and_or_b32 v3, v3, s0, v2
	v_cmp_ne_u32_e32 vcc, 0, v4
	v_cmp_ne_u32_e64 s[0:1], 0, v3
	s_and_b64 s[0:1], vcc, s[0:1]
	v_cndmask_b32_e64 v3, 0, 1, s[0:1]
	v_add_u32_e32 v4, v2, v3
; %bb.1115:
	s_or_b64 exec, exec, s[62:63]
	s_mov_b64 s[62:63], -1
	s_mov_b64 s[0:1], 0
	global_store_byte v[0:1], v4, off
.LBB79_1116:
	s_mov_b64 s[64:65], 0
.LBB79_1117:
	s_and_b64 vcc, exec, s[64:65]
	s_cbranch_vccz .LBB79_1120
; %bb.1118:
	s_cmp_eq_u32 s74, 29
	s_mov_b64 s[0:1], -1
	s_cbranch_scc0 .LBB79_1120
; %bb.1119:
	s_mov_b32 s0, 0
	v_cndmask_b32_e64 v2, 0, 1, s[60:61]
	v_mov_b32_e32 v3, s0
	global_store_dwordx2 v[0:1], v[2:3], off
	s_mov_b64 s[62:63], -1
	s_mov_b64 s[0:1], 0
.LBB79_1120:
	s_mov_b64 s[64:65], 0
.LBB79_1121:
	s_and_b64 vcc, exec, s[64:65]
	s_cbranch_vccz .LBB79_1137
; %bb.1122:
	s_cmp_lt_i32 s74, 27
	s_mov_b64 s[62:63], -1
	s_cbranch_scc1 .LBB79_1128
; %bb.1123:
	s_cmp_gt_i32 s74, 27
	s_cbranch_scc0 .LBB79_1125
; %bb.1124:
	v_cndmask_b32_e64 v2, 0, 1, s[60:61]
	s_mov_b64 s[62:63], 0
	global_store_dword v[0:1], v2, off
.LBB79_1125:
	s_andn2_b64 vcc, exec, s[62:63]
	s_cbranch_vccnz .LBB79_1127
; %bb.1126:
	v_cndmask_b32_e64 v2, 0, 1, s[60:61]
	global_store_short v[0:1], v2, off
.LBB79_1127:
	s_mov_b64 s[62:63], 0
.LBB79_1128:
	s_andn2_b64 vcc, exec, s[62:63]
	s_cbranch_vccnz .LBB79_1136
; %bb.1129:
	v_cndmask_b32_e64 v3, 0, 1.0, s[60:61]
	s_mov_b32 s62, 0x43800000
	v_cmp_gt_u32_e32 vcc, s62, v3
	s_waitcnt vmcnt(0)
	v_mov_b32_e32 v4, 0x80
	s_and_saveexec_b64 s[62:63], vcc
	s_cbranch_execz .LBB79_1135
; %bb.1130:
	s_mov_b32 s64, 0x3bffffff
	v_cmp_lt_u32_e32 vcc, s64, v3
	s_mov_b64 s[64:65], 0
                                        ; implicit-def: $vgpr2
	s_and_saveexec_b64 s[66:67], vcc
	s_xor_b64 s[66:67], exec, s[66:67]
	s_cbranch_execz .LBB79_1249
; %bb.1131:
	v_bfe_u32 v2, v3, 20, 1
	s_mov_b32 s75, 0x487ffff
	v_add3_u32 v2, v3, v2, s75
	s_mov_b64 s[64:65], exec
	v_lshrrev_b32_e32 v2, 20, v2
                                        ; implicit-def: $vgpr3
	s_andn2_saveexec_b64 s[66:67], s[66:67]
	s_cbranch_execnz .LBB79_1250
.LBB79_1132:
	s_or_b64 exec, exec, s[66:67]
	v_mov_b32_e32 v4, 0
	s_and_saveexec_b64 s[66:67], s[64:65]
.LBB79_1133:
	v_mov_b32_e32 v4, v2
.LBB79_1134:
	s_or_b64 exec, exec, s[66:67]
.LBB79_1135:
	s_or_b64 exec, exec, s[62:63]
	global_store_byte v[0:1], v4, off
.LBB79_1136:
	s_mov_b64 s[62:63], -1
.LBB79_1137:
	s_mov_b64 s[64:65], 0
.LBB79_1138:
	s_and_b64 vcc, exec, s[64:65]
	s_cbranch_vccz .LBB79_1179
; %bb.1139:
	s_cmp_gt_i32 s74, 22
	s_mov_b64 s[64:65], -1
	s_cbranch_scc0 .LBB79_1171
; %bb.1140:
	s_cmp_lt_i32 s74, 24
	s_mov_b64 s[62:63], -1
	s_cbranch_scc1 .LBB79_1160
; %bb.1141:
	s_cmp_gt_i32 s74, 24
	s_cbranch_scc0 .LBB79_1149
; %bb.1142:
	v_cndmask_b32_e64 v3, 0, 1.0, s[60:61]
	s_mov_b32 s62, 0x47800000
	v_cmp_gt_u32_e32 vcc, s62, v3
	s_waitcnt vmcnt(0)
	v_mov_b32_e32 v4, 0x80
	s_and_saveexec_b64 s[62:63], vcc
	s_cbranch_execz .LBB79_1148
; %bb.1143:
	s_mov_b32 s64, 0x37ffffff
	v_cmp_lt_u32_e32 vcc, s64, v3
	s_mov_b64 s[64:65], 0
                                        ; implicit-def: $vgpr2
	s_and_saveexec_b64 s[66:67], vcc
	s_xor_b64 s[66:67], exec, s[66:67]
	s_cbranch_execz .LBB79_2335
; %bb.1144:
	v_bfe_u32 v2, v3, 21, 1
	s_mov_b32 s75, 0x88fffff
	v_add3_u32 v2, v3, v2, s75
	s_mov_b64 s[64:65], exec
	v_lshrrev_b32_e32 v2, 21, v2
                                        ; implicit-def: $vgpr3
	s_andn2_saveexec_b64 s[66:67], s[66:67]
	s_cbranch_execnz .LBB79_2336
.LBB79_1145:
	s_or_b64 exec, exec, s[66:67]
	v_mov_b32_e32 v4, 0
	s_and_saveexec_b64 s[66:67], s[64:65]
.LBB79_1146:
	v_mov_b32_e32 v4, v2
.LBB79_1147:
	s_or_b64 exec, exec, s[66:67]
.LBB79_1148:
	s_or_b64 exec, exec, s[62:63]
	s_mov_b64 s[62:63], 0
	global_store_byte v[0:1], v4, off
.LBB79_1149:
	s_and_b64 vcc, exec, s[62:63]
	s_cbranch_vccz .LBB79_1159
; %bb.1150:
	v_cndmask_b32_e64 v2, 0, 1.0, s[60:61]
	s_mov_b32 s62, 0x43f00000
	v_cmp_gt_u32_e32 vcc, s62, v2
                                        ; implicit-def: $vgpr3
	s_and_saveexec_b64 s[62:63], vcc
	s_xor_b64 s[62:63], exec, s[62:63]
	s_cbranch_execz .LBB79_1156
; %bb.1151:
	s_mov_b32 s64, 0x3c7fffff
	v_cmp_lt_u32_e32 vcc, s64, v2
                                        ; implicit-def: $vgpr3
	s_and_saveexec_b64 s[64:65], vcc
	s_xor_b64 s[64:65], exec, s[64:65]
	s_cbranch_execz .LBB79_1153
; %bb.1152:
	v_bfe_u32 v3, v2, 20, 1
	s_mov_b32 s66, 0x407ffff
	v_add3_u32 v2, v2, v3, s66
	v_lshrrev_b32_e32 v3, 20, v2
	v_and_b32_e32 v2, 0xff00000, v2
	s_mov_b32 s66, 0x7f00000
	s_waitcnt vmcnt(0)
	v_mov_b32_e32 v4, 0x7e
	v_cmp_ne_u32_e32 vcc, s66, v2
	v_cndmask_b32_e32 v3, v4, v3, vcc
                                        ; implicit-def: $vgpr2
.LBB79_1153:
	s_andn2_saveexec_b64 s[64:65], s[64:65]
; %bb.1154:
	v_add_f32_e32 v3, 0x46800000, v2
; %bb.1155:
	s_or_b64 exec, exec, s[64:65]
                                        ; implicit-def: $vgpr2
.LBB79_1156:
	s_andn2_saveexec_b64 s[62:63], s[62:63]
	s_cbranch_execz .LBB79_1158
; %bb.1157:
	s_mov_b32 s64, 0x7f800000
	v_mov_b32_e32 v3, 0x7e
	s_waitcnt vmcnt(0)
	v_mov_b32_e32 v4, 0x7f
	v_cmp_lt_u32_e32 vcc, s64, v2
	v_cndmask_b32_e32 v3, v3, v4, vcc
.LBB79_1158:
	s_or_b64 exec, exec, s[62:63]
	global_store_byte v[0:1], v3, off
.LBB79_1159:
	s_mov_b64 s[62:63], 0
.LBB79_1160:
	s_andn2_b64 vcc, exec, s[62:63]
	s_cbranch_vccnz .LBB79_1170
; %bb.1161:
	v_cndmask_b32_e64 v2, 0, 1.0, s[60:61]
	s_mov_b32 s62, 0x47800000
	v_cmp_gt_u32_e32 vcc, s62, v2
                                        ; implicit-def: $vgpr3
	s_and_saveexec_b64 s[62:63], vcc
	s_xor_b64 s[62:63], exec, s[62:63]
	s_cbranch_execz .LBB79_1167
; %bb.1162:
	s_mov_b32 s64, 0x387fffff
	v_cmp_lt_u32_e32 vcc, s64, v2
                                        ; implicit-def: $vgpr3
	s_and_saveexec_b64 s[64:65], vcc
	s_xor_b64 s[64:65], exec, s[64:65]
; %bb.1163:
	v_bfe_u32 v3, v2, 21, 1
	s_mov_b32 s66, 0x80fffff
	v_add3_u32 v2, v2, v3, s66
	v_lshrrev_b32_e32 v3, 21, v2
                                        ; implicit-def: $vgpr2
; %bb.1164:
	s_andn2_saveexec_b64 s[64:65], s[64:65]
; %bb.1165:
	v_add_f32_e32 v3, 0x43000000, v2
; %bb.1166:
	s_or_b64 exec, exec, s[64:65]
                                        ; implicit-def: $vgpr2
.LBB79_1167:
	s_andn2_saveexec_b64 s[62:63], s[62:63]
	s_cbranch_execz .LBB79_1169
; %bb.1168:
	s_mov_b32 s64, 0x7f800000
	v_mov_b32_e32 v3, 0x7c
	s_waitcnt vmcnt(0)
	v_mov_b32_e32 v4, 0x7f
	v_cmp_lt_u32_e32 vcc, s64, v2
	v_cndmask_b32_e32 v3, v3, v4, vcc
.LBB79_1169:
	s_or_b64 exec, exec, s[62:63]
	global_store_byte v[0:1], v3, off
.LBB79_1170:
	s_mov_b64 s[64:65], 0
	s_mov_b64 s[62:63], -1
.LBB79_1171:
	s_andn2_b64 vcc, exec, s[64:65]
	s_cbranch_vccnz .LBB79_1179
; %bb.1172:
	s_cmp_gt_i32 s74, 14
	s_mov_b64 s[64:65], -1
	s_cbranch_scc0 .LBB79_1176
; %bb.1173:
	s_cmp_eq_u32 s74, 15
	s_mov_b64 s[0:1], -1
	s_cbranch_scc0 .LBB79_1175
; %bb.1174:
	v_cndmask_b32_e64 v2, 0, 1.0, s[60:61]
	v_bfe_u32 v3, v2, 16, 1
	s_movk_i32 s0, 0x7fff
	v_add3_u32 v2, v2, v3, s0
	global_store_short_d16_hi v[0:1], v2, off
	s_mov_b64 s[62:63], -1
	s_mov_b64 s[0:1], 0
.LBB79_1175:
	s_mov_b64 s[64:65], 0
.LBB79_1176:
	s_and_b64 vcc, exec, s[64:65]
	s_cbranch_vccz .LBB79_1179
; %bb.1177:
	s_cmp_eq_u32 s74, 11
	s_mov_b64 s[0:1], -1
	s_cbranch_scc0 .LBB79_1179
; %bb.1178:
	v_cndmask_b32_e64 v2, 0, 1, s[60:61]
	s_mov_b64 s[62:63], -1
	s_mov_b64 s[0:1], 0
	global_store_byte v[0:1], v2, off
.LBB79_1179:
	s_mov_b64 s[64:65], 0
.LBB79_1180:
	s_and_b64 vcc, exec, s[64:65]
	s_cbranch_vccz .LBB79_1219
; %bb.1181:
	s_and_b32 s64, 0xffff, s69
	s_cmp_lt_i32 s64, 5
	s_mov_b64 s[62:63], -1
	s_cbranch_scc1 .LBB79_1202
; %bb.1182:
	s_cmp_lt_i32 s64, 8
	s_cbranch_scc1 .LBB79_1192
; %bb.1183:
	s_cmp_lt_i32 s64, 9
	s_cbranch_scc1 .LBB79_1189
; %bb.1184:
	s_cmp_gt_i32 s64, 9
	s_cbranch_scc0 .LBB79_1186
; %bb.1185:
	v_cndmask_b32_e64 v2, 0, 1, s[60:61]
	v_cvt_f64_u32_e32 v[2:3], v2
	s_waitcnt vmcnt(0)
	v_mov_b32_e32 v4, 0
	v_mov_b32_e32 v5, v4
	s_mov_b64 s[62:63], 0
	global_store_dwordx4 v[0:1], v[2:5], off
.LBB79_1186:
	s_andn2_b64 vcc, exec, s[62:63]
	s_cbranch_vccnz .LBB79_1188
; %bb.1187:
	v_cndmask_b32_e64 v2, 0, 1.0, s[60:61]
	v_mov_b32_e32 v3, 0
	global_store_dwordx2 v[0:1], v[2:3], off
.LBB79_1188:
	s_mov_b64 s[62:63], 0
.LBB79_1189:
	s_andn2_b64 vcc, exec, s[62:63]
	s_cbranch_vccnz .LBB79_1191
; %bb.1190:
	v_cndmask_b32_e64 v2, 0, 1.0, s[60:61]
	v_cvt_f16_f32_e32 v2, v2
	global_store_dword v[0:1], v2, off
.LBB79_1191:
	s_mov_b64 s[62:63], 0
.LBB79_1192:
	s_andn2_b64 vcc, exec, s[62:63]
	s_cbranch_vccnz .LBB79_1201
; %bb.1193:
	s_cmp_lt_i32 s64, 6
	s_mov_b64 s[62:63], -1
	s_cbranch_scc1 .LBB79_1199
; %bb.1194:
	s_cmp_gt_i32 s64, 6
	s_cbranch_scc0 .LBB79_1196
; %bb.1195:
	v_cndmask_b32_e64 v2, 0, 1, s[60:61]
	v_cvt_f64_u32_e32 v[2:3], v2
	s_mov_b64 s[62:63], 0
	global_store_dwordx2 v[0:1], v[2:3], off
.LBB79_1196:
	s_andn2_b64 vcc, exec, s[62:63]
	s_cbranch_vccnz .LBB79_1198
; %bb.1197:
	v_cndmask_b32_e64 v2, 0, 1.0, s[60:61]
	global_store_dword v[0:1], v2, off
.LBB79_1198:
	s_mov_b64 s[62:63], 0
.LBB79_1199:
	s_andn2_b64 vcc, exec, s[62:63]
	s_cbranch_vccnz .LBB79_1201
; %bb.1200:
	v_cndmask_b32_e64 v2, 0, 1.0, s[60:61]
	v_cvt_f16_f32_e32 v2, v2
	global_store_short v[0:1], v2, off
.LBB79_1201:
	s_mov_b64 s[62:63], 0
.LBB79_1202:
	s_andn2_b64 vcc, exec, s[62:63]
	s_cbranch_vccnz .LBB79_1218
; %bb.1203:
	s_cmp_lt_i32 s64, 2
	s_mov_b64 s[62:63], -1
	s_cbranch_scc1 .LBB79_1213
; %bb.1204:
	s_cmp_lt_i32 s64, 3
	s_cbranch_scc1 .LBB79_1210
; %bb.1205:
	s_cmp_gt_i32 s64, 3
	s_cbranch_scc0 .LBB79_1207
; %bb.1206:
	s_mov_b32 s62, 0
	v_cndmask_b32_e64 v2, 0, 1, s[60:61]
	v_mov_b32_e32 v3, s62
	s_mov_b64 s[62:63], 0
	global_store_dwordx2 v[0:1], v[2:3], off
.LBB79_1207:
	s_andn2_b64 vcc, exec, s[62:63]
	s_cbranch_vccnz .LBB79_1209
; %bb.1208:
	v_cndmask_b32_e64 v2, 0, 1, s[60:61]
	global_store_dword v[0:1], v2, off
.LBB79_1209:
	s_mov_b64 s[62:63], 0
.LBB79_1210:
	s_andn2_b64 vcc, exec, s[62:63]
	s_cbranch_vccnz .LBB79_1212
; %bb.1211:
	v_cndmask_b32_e64 v2, 0, 1, s[60:61]
	global_store_short v[0:1], v2, off
.LBB79_1212:
	s_mov_b64 s[62:63], 0
.LBB79_1213:
	s_andn2_b64 vcc, exec, s[62:63]
	s_cbranch_vccnz .LBB79_1218
; %bb.1214:
	s_mov_b64 s[62:63], -1
	s_cmp_gt_i32 s64, 0
	v_cndmask_b32_e64 v2, 0, 1, s[60:61]
	s_cbranch_scc0 .LBB79_1216
; %bb.1215:
	s_mov_b64 s[62:63], 0
	global_store_byte v[0:1], v2, off
.LBB79_1216:
	s_andn2_b64 vcc, exec, s[62:63]
	s_cbranch_vccnz .LBB79_1218
; %bb.1217:
	global_store_byte v[0:1], v2, off
.LBB79_1218:
	s_mov_b64 s[62:63], -1
.LBB79_1219:
	s_andn2_b64 vcc, exec, s[62:63]
	s_cbranch_vccnz .LBB79_1231
; %bb.1220:
	v_add_u32_e32 v8, 0x80, v8
	s_mov_b64 s[62:63], -1
.LBB79_1221:
	s_andn2_b64 s[60:61], s[50:51], exec
	s_and_b64 s[0:1], s[0:1], exec
	s_or_b64 s[60:61], s[60:61], s[0:1]
	s_andn2_b64 s[0:1], s[48:49], exec
	s_and_b64 s[58:59], s[58:59], exec
	s_or_b64 s[58:59], s[0:1], s[58:59]
	;; [unrolled: 3-line block ×3, first 2 shown]
	s_orn2_b64 s[66:67], s[62:63], exec
.LBB79_1222:
	s_or_b64 exec, exec, s[54:55]
	s_mov_b64 s[62:63], 0
	s_mov_b64 s[56:57], 0
	;; [unrolled: 1-line block ×3, first 2 shown]
                                        ; implicit-def: $sgpr74
                                        ; implicit-def: $vgpr4_vgpr5
                                        ; implicit-def: $vgpr0
                                        ; implicit-def: $vgpr3
                                        ; implicit-def: $vgpr1
	s_and_saveexec_b64 s[54:55], s[66:67]
	s_cbranch_execz .LBB79_1313
; %bb.1223:
	v_cmp_gt_i32_e32 vcc, s68, v8
	s_mov_b64 s[66:67], s[0:1]
	s_mov_b64 s[68:69], 0
                                        ; implicit-def: $sgpr74
                                        ; implicit-def: $vgpr4_vgpr5
                                        ; implicit-def: $vgpr0
                                        ; implicit-def: $vgpr3
                                        ; implicit-def: $vgpr1
	s_and_saveexec_b64 s[56:57], vcc
	s_cbranch_execz .LBB79_1312
; %bb.1224:
	s_andn2_b64 vcc, exec, s[24:25]
	s_cbranch_vccnz .LBB79_1230
; %bb.1225:
	s_andn2_b64 vcc, exec, s[36:37]
	s_cbranch_vccnz .LBB79_1232
; %bb.1226:
	s_add_i32 s36, s73, 1
	s_and_b32 s62, s36, 30
	s_add_u32 s36, s2, 0xffffffe8
	s_addc_u32 s37, s3, -1
	v_mov_b32_e32 v3, 0
	s_waitcnt vmcnt(0)
	v_mov_b32_e32 v5, 0
	v_mov_b32_e32 v0, 0
	;; [unrolled: 1-line block ×3, first 2 shown]
.LBB79_1227:                            ; =>This Inner Loop Header: Depth=1
	s_load_dwordx4 s[64:67], s[36:37], 0x1c
	s_load_dwordx2 s[68:69], s[36:37], 0x2c
	s_load_dwordx2 s[74:75], s[36:37], 0xec
	s_load_dwordx4 s[76:79], s[36:37], 0xdc
	s_add_u32 s36, s36, 24
	s_waitcnt lgkmcnt(0)
	v_mul_hi_u32 v2, s65, v1
	s_addc_u32 s37, s37, 0
	s_add_i32 s62, s62, -2
	s_cmp_eq_u32 s62, 0
	v_add_u32_e32 v2, v1, v2
	v_lshrrev_b32_e32 v2, s66, v2
	v_mul_lo_u32 v4, v2, s64
	v_mul_hi_u32 v6, s68, v2
	v_sub_u32_e32 v4, v1, v4
	v_add_u32_e32 v1, v2, v6
	v_lshrrev_b32_e32 v1, s69, v1
	v_mul_lo_u32 v9, v1, s67
	v_mul_lo_u32 v6, v4, s76
	;; [unrolled: 1-line block ×4, first 2 shown]
	v_sub_u32_e32 v2, v2, v9
	v_mul_lo_u32 v9, v2, s79
	v_mul_lo_u32 v10, v2, s74
	;; [unrolled: 1-line block ×3, first 2 shown]
	v_add3_u32 v0, v6, v0, v9
	v_add3_u32 v5, v7, v5, v10
	;; [unrolled: 1-line block ×3, first 2 shown]
	s_cbranch_scc0 .LBB79_1227
; %bb.1228:
	s_bitcmp1_b32 s73, 0
	s_cselect_b64 s[62:63], -1, 0
	s_and_b64 vcc, exec, s[62:63]
	s_cbranch_vccnz .LBB79_1233
; %bb.1229:
	s_load_dwordx2 s[62:63], s[36:37], 0x1c
	s_load_dword s66, s[36:37], 0x24
	s_load_dwordx2 s[64:65], s[36:37], 0xdc
	s_waitcnt lgkmcnt(0)
	v_mul_hi_u32 v2, s63, v1
	v_add_u32_e32 v2, v1, v2
	v_lshrrev_b32_e32 v2, s66, v2
	v_mul_lo_u32 v2, v2, s62
	s_load_dword s62, s[36:37], 0xe4
	v_sub_u32_e32 v2, v1, v2
	v_mad_u64_u32 v[0:1], s[36:37], v2, s64, v[0:1]
	v_mad_u64_u32 v[5:6], s[36:37], v2, s65, v[5:6]
	s_waitcnt lgkmcnt(0)
	v_mad_u64_u32 v[3:4], s[36:37], v2, s62, v[3:4]
	s_branch .LBB79_1233
.LBB79_1230:
	s_mov_b64 s[36:37], -1
                                        ; implicit-def: $vgpr0
                                        ; implicit-def: $vgpr5
                                        ; implicit-def: $vgpr3
	s_branch .LBB79_1234
.LBB79_1231:
	s_mov_b64 s[62:63], 0
	s_branch .LBB79_961
.LBB79_1232:
	v_mov_b32_e32 v0, 0
	s_waitcnt vmcnt(0)
	v_mov_b32_e32 v5, 0
	v_mov_b32_e32 v3, 0
.LBB79_1233:
	s_mov_b64 s[36:37], 0
.LBB79_1234:
	s_andn2_b64 vcc, exec, s[36:37]
	s_cbranch_vccnz .LBB79_1237
; %bb.1235:
	v_mul_hi_u32 v0, s17, v8
	s_andn2_b64 vcc, exec, s[34:35]
	v_add_u32_e32 v0, v8, v0
	s_waitcnt vmcnt(0)
	v_lshrrev_b32_e32 v1, s18, v0
	v_mul_lo_u32 v0, v1, s16
	v_sub_u32_e32 v2, v8, v0
	v_mul_lo_u32 v0, v2, s20
	v_mul_lo_u32 v5, v2, s21
	;; [unrolled: 1-line block ×3, first 2 shown]
	s_cbranch_vccnz .LBB79_1237
; %bb.1236:
	v_mul_hi_u32 v2, s30, v1
	v_add_u32_e32 v2, v1, v2
	v_lshrrev_b32_e32 v2, s31, v2
	v_mul_lo_u32 v2, v2, s19
	v_sub_u32_e32 v2, v1, v2
	v_mad_u64_u32 v[0:1], s[16:17], v2, s23, v[0:1]
	v_mad_u64_u32 v[5:6], s[16:17], v2, s28, v[5:6]
	;; [unrolled: 1-line block ×3, first 2 shown]
.LBB79_1237:
	s_waitcnt vmcnt(0)
	v_mov_b32_e32 v1, s11
	s_and_b32 s74, s72, 0xff
	v_add_co_u32_e32 v4, vcc, s10, v5
	s_cmp_lt_i32 s74, 11
	v_addc_co_u32_e32 v5, vcc, 0, v1, vcc
	s_cbranch_scc1 .LBB79_1244
; %bb.1238:
	s_and_b32 s22, 0xffff, s74
	s_cmp_gt_i32 s22, 25
	s_mov_b64 s[16:17], 0
	s_cbranch_scc0 .LBB79_1245
; %bb.1239:
	s_cmp_gt_i32 s22, 28
	s_cbranch_scc0 .LBB79_1246
; %bb.1240:
	s_cmp_gt_i32 s22, 43
	;; [unrolled: 3-line block ×3, first 2 shown]
	s_cbranch_scc0 .LBB79_1248
; %bb.1242:
	s_cmp_eq_u32 s22, 46
	s_mov_b64 s[20:21], 0
	s_cbranch_scc0 .LBB79_1251
; %bb.1243:
	global_load_dword v1, v[4:5], off
	s_mov_b64 s[10:11], 0
	s_mov_b64 s[18:19], -1
	s_waitcnt vmcnt(0)
	v_lshlrev_b32_e32 v1, 16, v1
	v_cvt_i32_f32_e32 v1, v1
	s_branch .LBB79_1252
.LBB79_1244:
	s_mov_b64 s[20:21], -1
	s_mov_b64 s[18:19], 0
	s_mov_b64 s[16:17], 0
	;; [unrolled: 1-line block ×3, first 2 shown]
                                        ; implicit-def: $vgpr1
	s_branch .LBB79_1311
.LBB79_1245:
	s_mov_b64 s[20:21], -1
	s_mov_b64 s[18:19], 0
	s_mov_b64 s[10:11], s[0:1]
                                        ; implicit-def: $vgpr1
	s_branch .LBB79_1279
.LBB79_1246:
	s_mov_b64 s[20:21], -1
	s_mov_b64 s[18:19], 0
	s_mov_b64 s[10:11], s[0:1]
                                        ; implicit-def: $vgpr1
	s_branch .LBB79_1262
.LBB79_1247:
	s_mov_b64 s[20:21], -1
	s_mov_b64 s[18:19], 0
	s_mov_b64 s[10:11], s[0:1]
                                        ; implicit-def: $vgpr1
	s_branch .LBB79_1257
.LBB79_1248:
	s_mov_b64 s[20:21], -1
	s_mov_b64 s[18:19], 0
	s_mov_b64 s[10:11], s[0:1]
                                        ; implicit-def: $vgpr1
	s_branch .LBB79_1252
.LBB79_1249:
	s_andn2_saveexec_b64 s[66:67], s[66:67]
	s_cbranch_execz .LBB79_1132
.LBB79_1250:
	v_add_f32_e32 v2, 0x46000000, v3
	v_and_b32_e32 v2, 0xff, v2
	v_cmp_ne_u32_e32 vcc, 0, v2
	s_andn2_b64 s[64:65], s[64:65], exec
	s_and_b64 s[76:77], vcc, exec
	s_or_b64 s[64:65], s[64:65], s[76:77]
	s_or_b64 exec, exec, s[66:67]
	v_mov_b32_e32 v4, 0
	s_and_saveexec_b64 s[66:67], s[64:65]
	s_cbranch_execnz .LBB79_1133
	s_branch .LBB79_1134
.LBB79_1251:
	s_mov_b64 s[10:11], -1
                                        ; implicit-def: $vgpr1
	s_mov_b64 s[18:19], 0
.LBB79_1252:
	s_and_b64 vcc, exec, s[20:21]
	s_cbranch_vccz .LBB79_1256
; %bb.1253:
	s_cmp_eq_u32 s22, 44
	s_cbranch_scc0 .LBB79_1255
; %bb.1254:
	global_load_ubyte v1, v[4:5], off
	s_mov_b64 s[10:11], 0
	s_mov_b64 s[18:19], -1
	s_waitcnt vmcnt(0)
	v_lshlrev_b32_e32 v2, 23, v1
	v_cvt_i32_f32_e32 v2, v2
	v_cmp_ne_u32_e32 vcc, 0, v1
	v_cndmask_b32_e32 v1, 0, v2, vcc
	s_branch .LBB79_1256
.LBB79_1255:
	s_mov_b64 s[10:11], -1
                                        ; implicit-def: $vgpr1
.LBB79_1256:
	s_mov_b64 s[20:21], 0
.LBB79_1257:
	s_and_b64 vcc, exec, s[20:21]
	s_cbranch_vccz .LBB79_1261
; %bb.1258:
	s_cmp_eq_u32 s22, 29
	s_cbranch_scc0 .LBB79_1260
; %bb.1259:
	global_load_dwordx2 v[1:2], v[4:5], off
	s_mov_b64 s[10:11], 0
	s_mov_b64 s[18:19], -1
	s_branch .LBB79_1261
.LBB79_1260:
	s_mov_b64 s[10:11], -1
                                        ; implicit-def: $vgpr1
.LBB79_1261:
	s_mov_b64 s[20:21], 0
.LBB79_1262:
	s_and_b64 vcc, exec, s[20:21]
	s_cbranch_vccz .LBB79_1278
; %bb.1263:
	s_cmp_lt_i32 s22, 27
	s_cbranch_scc1 .LBB79_1266
; %bb.1264:
	s_cmp_gt_i32 s22, 27
	s_cbranch_scc0 .LBB79_1267
; %bb.1265:
	global_load_dword v1, v[4:5], off
	s_mov_b64 s[18:19], 0
	s_branch .LBB79_1268
.LBB79_1266:
	s_mov_b64 s[18:19], -1
                                        ; implicit-def: $vgpr1
	s_branch .LBB79_1271
.LBB79_1267:
	s_mov_b64 s[18:19], -1
                                        ; implicit-def: $vgpr1
.LBB79_1268:
	s_andn2_b64 vcc, exec, s[18:19]
	s_cbranch_vccnz .LBB79_1270
; %bb.1269:
	global_load_ushort v1, v[4:5], off
.LBB79_1270:
	s_mov_b64 s[18:19], 0
.LBB79_1271:
	s_andn2_b64 vcc, exec, s[18:19]
	s_cbranch_vccnz .LBB79_1277
; %bb.1272:
	global_load_ubyte v2, v[4:5], off
	s_movk_i32 s18, 0x7f
	s_mov_b64 s[20:21], 0
	s_waitcnt vmcnt(0)
	v_cmp_lt_i16_e32 vcc, s18, v2
	s_and_saveexec_b64 s[18:19], vcc
	s_xor_b64 s[18:19], exec, s[18:19]
	s_cbranch_execz .LBB79_1289
; %bb.1273:
	s_movk_i32 s20, 0x80
	v_cmp_ne_u16_e32 vcc, s20, v2
	s_and_b64 s[20:21], vcc, exec
	s_andn2_saveexec_b64 s[18:19], s[18:19]
	s_cbranch_execnz .LBB79_1290
.LBB79_1274:
	s_or_b64 exec, exec, s[18:19]
	v_mov_b32_e32 v1, 0
	s_and_saveexec_b64 s[18:19], s[20:21]
	s_cbranch_execz .LBB79_1276
.LBB79_1275:
	v_lshlrev_b32_e32 v1, 24, v2
	v_and_b32_e32 v2, 0xffff, v2
	v_and_b32_e32 v6, 7, v2
	v_ffbh_u32_e32 v8, v6
	v_min_u32_e32 v8, 32, v8
	v_subrev_u32_e32 v9, 28, v8
	v_bfe_u32 v7, v2, 3, 4
	v_lshlrev_b32_e32 v2, v9, v2
	v_sub_u32_e32 v8, 29, v8
	v_and_b32_e32 v2, 7, v2
	v_cmp_eq_u32_e32 vcc, 0, v7
	v_cndmask_b32_e32 v7, v7, v8, vcc
	v_cndmask_b32_e32 v2, v6, v2, vcc
	v_mov_b32_e32 v6, 0x3b800000
	v_lshlrev_b32_e32 v2, 20, v2
	v_and_b32_e32 v1, 0x80000000, v1
	v_lshl_add_u32 v6, v7, 23, v6
	v_or3_b32 v1, v1, v6, v2
	v_cvt_i32_f32_e32 v1, v1
.LBB79_1276:
	s_or_b64 exec, exec, s[18:19]
.LBB79_1277:
	s_mov_b64 s[18:19], -1
.LBB79_1278:
	s_mov_b64 s[20:21], 0
.LBB79_1279:
	s_and_b64 vcc, exec, s[20:21]
	s_cbranch_vccz .LBB79_1310
; %bb.1280:
	s_cmp_gt_i32 s22, 22
	s_cbranch_scc0 .LBB79_1288
; %bb.1281:
	s_cmp_lt_i32 s22, 24
	s_cbranch_scc1 .LBB79_1291
; %bb.1282:
	s_cmp_gt_i32 s22, 24
	s_cbranch_scc0 .LBB79_1292
; %bb.1283:
	global_load_ubyte v2, v[4:5], off
	s_movk_i32 s16, 0x7f
	s_mov_b64 s[18:19], 0
	s_waitcnt vmcnt(0)
	v_cmp_lt_i16_e32 vcc, s16, v2
	s_and_saveexec_b64 s[16:17], vcc
	s_xor_b64 s[16:17], exec, s[16:17]
	s_cbranch_execz .LBB79_1304
; %bb.1284:
	s_movk_i32 s18, 0x80
	v_cmp_ne_u16_e32 vcc, s18, v2
	s_and_b64 s[18:19], vcc, exec
	s_andn2_saveexec_b64 s[16:17], s[16:17]
	s_cbranch_execnz .LBB79_1305
.LBB79_1285:
	s_or_b64 exec, exec, s[16:17]
	v_mov_b32_e32 v1, 0
	s_and_saveexec_b64 s[16:17], s[18:19]
	s_cbranch_execz .LBB79_1287
.LBB79_1286:
	v_lshlrev_b32_e32 v1, 24, v2
	v_and_b32_e32 v2, 0xffff, v2
	v_and_b32_e32 v6, 3, v2
	v_ffbh_u32_e32 v8, v6
	v_min_u32_e32 v8, 32, v8
	v_subrev_u32_e32 v9, 29, v8
	v_bfe_u32 v7, v2, 2, 5
	v_lshlrev_b32_e32 v2, v9, v2
	v_sub_u32_e32 v8, 30, v8
	v_and_b32_e32 v2, 3, v2
	v_cmp_eq_u32_e32 vcc, 0, v7
	v_cndmask_b32_e32 v7, v7, v8, vcc
	v_cndmask_b32_e32 v2, v6, v2, vcc
	v_mov_b32_e32 v6, 0x37800000
	v_lshlrev_b32_e32 v2, 21, v2
	v_and_b32_e32 v1, 0x80000000, v1
	v_lshl_add_u32 v6, v7, 23, v6
	v_or3_b32 v1, v1, v6, v2
	v_cvt_i32_f32_e32 v1, v1
.LBB79_1287:
	s_or_b64 exec, exec, s[16:17]
	s_mov_b64 s[16:17], 0
	s_branch .LBB79_1293
.LBB79_1288:
	s_mov_b64 s[16:17], -1
                                        ; implicit-def: $vgpr1
	s_branch .LBB79_1299
.LBB79_1289:
	s_andn2_saveexec_b64 s[18:19], s[18:19]
	s_cbranch_execz .LBB79_1274
.LBB79_1290:
	v_cmp_ne_u16_e32 vcc, 0, v2
	s_andn2_b64 s[20:21], s[20:21], exec
	s_and_b64 s[28:29], vcc, exec
	s_or_b64 s[20:21], s[20:21], s[28:29]
	s_or_b64 exec, exec, s[18:19]
	v_mov_b32_e32 v1, 0
	s_and_saveexec_b64 s[18:19], s[20:21]
	s_cbranch_execnz .LBB79_1275
	s_branch .LBB79_1276
.LBB79_1291:
	s_mov_b64 s[16:17], -1
                                        ; implicit-def: $vgpr1
	s_branch .LBB79_1296
.LBB79_1292:
	s_mov_b64 s[16:17], -1
                                        ; implicit-def: $vgpr1
.LBB79_1293:
	s_and_b64 vcc, exec, s[16:17]
	s_cbranch_vccz .LBB79_1295
; %bb.1294:
	global_load_ubyte v1, v[4:5], off
	s_mov_b32 s16, 0x7f800000
	s_waitcnt vmcnt(0)
	v_lshlrev_b32_e32 v1, 24, v1
	v_and_b32_e32 v2, 0x7f000000, v1
	v_ffbh_u32_e32 v6, v2
	v_min_u32_e32 v6, 32, v6
	v_sub_u32_e64 v6, v6, 4 clamp
	v_lshlrev_b32_e32 v8, v6, v2
	v_lshlrev_b32_e32 v6, 23, v6
	v_lshrrev_b32_e32 v8, 4, v8
	v_add_u32_e32 v7, 0x1000000, v2
	v_sub_u32_e32 v6, v8, v6
	v_ashrrev_i32_e32 v7, 8, v7
	v_add_u32_e32 v6, 0x3c000000, v6
	v_and_or_b32 v6, v7, s16, v6
	v_cmp_ne_u32_e32 vcc, 0, v2
	v_cndmask_b32_e32 v2, 0, v6, vcc
	s_brev_b32 s16, 1
	v_and_or_b32 v1, v1, s16, v2
	v_cvt_i32_f32_e32 v1, v1
.LBB79_1295:
	s_mov_b64 s[16:17], 0
.LBB79_1296:
	s_andn2_b64 vcc, exec, s[16:17]
	s_cbranch_vccnz .LBB79_1298
; %bb.1297:
	global_load_ubyte v1, v[4:5], off
	s_movk_i32 s16, 0x7f00
	s_brev_b32 s17, 16
	s_waitcnt vmcnt(0)
	v_lshlrev_b16_e32 v2, 8, v1
	v_lshlrev_b32_e32 v1, 25, v1
	v_lshrrev_b32_e32 v6, 4, v1
	v_and_or_b32 v7, v2, s16, 0.5
	v_or_b32_e32 v6, 0x70000000, v6
	v_add_f32_e32 v7, -0.5, v7
	v_mul_f32_e32 v6, 0x7800000, v6
	v_cmp_gt_u32_e32 vcc, s17, v1
	v_bfe_i32 v2, v2, 0, 16
	v_cndmask_b32_e32 v1, v6, v7, vcc
	s_brev_b32 s16, 1
	v_and_or_b32 v1, v2, s16, v1
	v_cvt_i32_f32_e32 v1, v1
.LBB79_1298:
	s_mov_b64 s[16:17], 0
	s_mov_b64 s[18:19], -1
.LBB79_1299:
	s_andn2_b64 vcc, exec, s[16:17]
	s_mov_b64 s[16:17], 0
	s_cbranch_vccnz .LBB79_1310
; %bb.1300:
	s_cmp_gt_i32 s22, 14
	s_cbranch_scc0 .LBB79_1303
; %bb.1301:
	s_cmp_eq_u32 s22, 15
	s_cbranch_scc0 .LBB79_1306
; %bb.1302:
	global_load_ushort v1, v[4:5], off
	s_mov_b64 s[10:11], 0
	s_mov_b64 s[18:19], -1
	s_waitcnt vmcnt(0)
	v_lshlrev_b32_e32 v1, 16, v1
	v_cvt_i32_f32_e32 v1, v1
	s_branch .LBB79_1307
.LBB79_1303:
	s_mov_b64 s[20:21], -1
                                        ; implicit-def: $vgpr1
	s_branch .LBB79_1308
.LBB79_1304:
	s_andn2_saveexec_b64 s[16:17], s[16:17]
	s_cbranch_execz .LBB79_1285
.LBB79_1305:
	v_cmp_ne_u16_e32 vcc, 0, v2
	s_andn2_b64 s[18:19], s[18:19], exec
	s_and_b64 s[20:21], vcc, exec
	s_or_b64 s[18:19], s[18:19], s[20:21]
	s_or_b64 exec, exec, s[16:17]
	v_mov_b32_e32 v1, 0
	s_and_saveexec_b64 s[16:17], s[18:19]
	s_cbranch_execnz .LBB79_1286
	s_branch .LBB79_1287
.LBB79_1306:
	s_mov_b64 s[10:11], -1
                                        ; implicit-def: $vgpr1
.LBB79_1307:
	s_mov_b64 s[20:21], 0
.LBB79_1308:
	s_and_b64 vcc, exec, s[20:21]
	s_cbranch_vccz .LBB79_1310
; %bb.1309:
	s_cmp_lg_u32 s22, 11
	s_cselect_b64 s[20:21], -1, 0
	s_andn2_b64 s[10:11], s[10:11], exec
	s_and_b64 s[20:21], s[20:21], exec
	s_mov_b64 s[16:17], -1
	s_or_b64 s[10:11], s[10:11], s[20:21]
.LBB79_1310:
	s_mov_b64 s[20:21], 0
.LBB79_1311:
	s_and_b64 s[62:63], s[16:17], exec
	s_andn2_b64 s[16:17], s[0:1], exec
	s_and_b64 s[10:11], s[10:11], exec
	s_and_b64 s[64:65], s[18:19], exec
	s_and_b64 s[68:69], s[20:21], exec
	s_or_b64 s[66:67], s[16:17], s[10:11]
.LBB79_1312:
	s_or_b64 exec, exec, s[56:57]
	s_andn2_b64 s[0:1], s[0:1], exec
	s_and_b64 s[10:11], s[66:67], exec
	s_and_b64 s[64:65], s[64:65], exec
	;; [unrolled: 1-line block ×4, first 2 shown]
	s_or_b64 s[0:1], s[0:1], s[10:11]
.LBB79_1313:
	s_or_b64 exec, exec, s[54:55]
	s_andn2_b64 s[10:11], s[50:51], exec
	s_and_b64 s[16:17], s[60:61], exec
	s_or_b64 s[50:51], s[10:11], s[16:17]
	s_andn2_b64 s[10:11], s[48:49], exec
	s_and_b64 s[16:17], s[58:59], exec
	s_or_b64 s[48:49], s[10:11], s[16:17]
	s_andn2_b64 s[10:11], s[46:47], exec
	s_and_b64 s[0:1], s[0:1], exec
	s_and_b64 s[58:59], s[64:65], exec
	;; [unrolled: 1-line block ×4, first 2 shown]
	s_or_b64 s[46:47], s[10:11], s[0:1]
.LBB79_1314:
	s_or_b64 exec, exec, s[52:53]
	s_andn2_b64 s[0:1], s[38:39], exec
	s_and_b64 s[10:11], s[50:51], exec
	s_or_b64 s[38:39], s[0:1], s[10:11]
	s_andn2_b64 s[0:1], s[40:41], exec
	s_and_b64 s[10:11], s[48:49], exec
	s_or_b64 s[40:41], s[0:1], s[10:11]
	s_andn2_b64 s[0:1], s[42:43], exec
	s_and_b64 s[10:11], s[46:47], exec
	s_and_b64 s[50:51], s[58:59], exec
	;; [unrolled: 1-line block ×4, first 2 shown]
	s_or_b64 s[42:43], s[0:1], s[10:11]
	s_or_b64 exec, exec, s[44:45]
	s_mov_b64 s[10:11], 0
	s_and_saveexec_b64 s[0:1], s[42:43]
	s_cbranch_execz .LBB79_411
.LBB79_1315:
	s_mov_b64 s[10:11], exec
	s_andn2_b64 s[48:49], s[48:49], exec
	s_trap 2
	s_or_b64 exec, exec, s[0:1]
	s_and_saveexec_b64 s[0:1], s[48:49]
	s_xor_b64 s[0:1], exec, s[0:1]
	s_cbranch_execnz .LBB79_412
.LBB79_1316:
	s_or_b64 exec, exec, s[0:1]
	s_and_saveexec_b64 s[0:1], s[52:53]
	s_cbranch_execz .LBB79_1362
.LBB79_1317:
	s_sext_i32_i16 s16, s74
	s_cmp_lt_i32 s16, 5
	s_cbranch_scc1 .LBB79_1322
; %bb.1318:
	s_cmp_lt_i32 s16, 8
	s_cbranch_scc1 .LBB79_1323
; %bb.1319:
	;; [unrolled: 3-line block ×3, first 2 shown]
	s_cmp_gt_i32 s16, 9
	s_cbranch_scc0 .LBB79_1325
; %bb.1321:
	s_waitcnt vmcnt(0)
	global_load_dwordx2 v[1:2], v[4:5], off
	s_mov_b64 s[16:17], 0
	s_waitcnt vmcnt(0)
	v_cvt_i32_f64_e32 v1, v[1:2]
	s_branch .LBB79_1326
.LBB79_1322:
                                        ; implicit-def: $vgpr1
	s_branch .LBB79_1343
.LBB79_1323:
                                        ; implicit-def: $vgpr1
	s_branch .LBB79_1332
.LBB79_1324:
	s_mov_b64 s[16:17], -1
                                        ; implicit-def: $vgpr1
	s_branch .LBB79_1329
.LBB79_1325:
	s_mov_b64 s[16:17], -1
                                        ; implicit-def: $vgpr1
.LBB79_1326:
	s_andn2_b64 vcc, exec, s[16:17]
	s_cbranch_vccnz .LBB79_1328
; %bb.1327:
	s_waitcnt vmcnt(0)
	global_load_dword v1, v[4:5], off
	s_waitcnt vmcnt(0)
	v_cvt_i32_f32_e32 v1, v1
.LBB79_1328:
	s_mov_b64 s[16:17], 0
.LBB79_1329:
	s_andn2_b64 vcc, exec, s[16:17]
	s_cbranch_vccnz .LBB79_1331
; %bb.1330:
	s_waitcnt vmcnt(0)
	global_load_dword v1, v[4:5], off
	s_waitcnt vmcnt(0)
	v_cvt_i16_f16_e32 v1, v1
.LBB79_1331:
	s_cbranch_execnz .LBB79_1342
.LBB79_1332:
	s_sext_i32_i16 s16, s74
	s_cmp_lt_i32 s16, 6
	s_cbranch_scc1 .LBB79_1335
; %bb.1333:
	s_cmp_gt_i32 s16, 6
	s_cbranch_scc0 .LBB79_1336
; %bb.1334:
	s_waitcnt vmcnt(0)
	global_load_dwordx2 v[1:2], v[4:5], off
	s_mov_b64 s[16:17], 0
	s_waitcnt vmcnt(0)
	v_cvt_i32_f64_e32 v1, v[1:2]
	s_branch .LBB79_1337
.LBB79_1335:
	s_mov_b64 s[16:17], -1
                                        ; implicit-def: $vgpr1
	s_branch .LBB79_1340
.LBB79_1336:
	s_mov_b64 s[16:17], -1
                                        ; implicit-def: $vgpr1
.LBB79_1337:
	s_andn2_b64 vcc, exec, s[16:17]
	s_cbranch_vccnz .LBB79_1339
; %bb.1338:
	s_waitcnt vmcnt(0)
	global_load_dword v1, v[4:5], off
	s_waitcnt vmcnt(0)
	v_cvt_i32_f32_e32 v1, v1
.LBB79_1339:
	s_mov_b64 s[16:17], 0
.LBB79_1340:
	s_andn2_b64 vcc, exec, s[16:17]
	s_cbranch_vccnz .LBB79_1342
; %bb.1341:
	s_waitcnt vmcnt(0)
	global_load_ushort v1, v[4:5], off
	s_waitcnt vmcnt(0)
	v_cvt_i16_f16_e32 v1, v1
.LBB79_1342:
	s_cbranch_execnz .LBB79_1361
.LBB79_1343:
	s_sext_i32_i16 s16, s74
	s_cmp_lt_i32 s16, 2
	s_cbranch_scc1 .LBB79_1347
; %bb.1344:
	s_cmp_lt_i32 s16, 3
	s_cbranch_scc1 .LBB79_1348
; %bb.1345:
	s_cmp_gt_i32 s16, 3
	s_cbranch_scc0 .LBB79_1349
; %bb.1346:
	s_waitcnt vmcnt(0)
	global_load_dwordx2 v[1:2], v[4:5], off
	s_mov_b64 s[16:17], 0
	s_branch .LBB79_1350
.LBB79_1347:
                                        ; implicit-def: $vgpr1
	s_branch .LBB79_1356
.LBB79_1348:
	s_mov_b64 s[16:17], -1
                                        ; implicit-def: $vgpr1
	s_branch .LBB79_1353
.LBB79_1349:
	s_mov_b64 s[16:17], -1
                                        ; implicit-def: $vgpr1
.LBB79_1350:
	s_andn2_b64 vcc, exec, s[16:17]
	s_cbranch_vccnz .LBB79_1352
; %bb.1351:
	s_waitcnt vmcnt(0)
	global_load_dword v1, v[4:5], off
.LBB79_1352:
	s_mov_b64 s[16:17], 0
.LBB79_1353:
	s_andn2_b64 vcc, exec, s[16:17]
	s_cbranch_vccnz .LBB79_1355
; %bb.1354:
	s_waitcnt vmcnt(0)
	global_load_ushort v1, v[4:5], off
.LBB79_1355:
	s_cbranch_execnz .LBB79_1361
.LBB79_1356:
	s_sext_i32_i16 s16, s74
	s_cmp_gt_i32 s16, 0
	s_cbranch_scc0 .LBB79_1358
; %bb.1357:
	s_waitcnt vmcnt(0)
	global_load_sbyte v1, v[4:5], off
	s_mov_b64 s[16:17], 0
	s_branch .LBB79_1359
.LBB79_1358:
	s_mov_b64 s[16:17], -1
                                        ; implicit-def: $vgpr1
.LBB79_1359:
	s_andn2_b64 vcc, exec, s[16:17]
	s_cbranch_vccnz .LBB79_1361
; %bb.1360:
	s_waitcnt vmcnt(0)
	global_load_ubyte v1, v[4:5], off
.LBB79_1361:
	s_or_b64 s[50:51], s[50:51], exec
.LBB79_1362:
	s_or_b64 exec, exec, s[0:1]
	s_mov_b64 s[16:17], 0
	s_mov_b64 s[20:21], 0
	;; [unrolled: 1-line block ×3, first 2 shown]
                                        ; implicit-def: $sgpr22
                                        ; implicit-def: $vgpr4_vgpr5
                                        ; implicit-def: $vgpr6
	s_and_saveexec_b64 s[0:1], s[50:51]
	s_cbranch_execz .LBB79_1370
; %bb.1363:
	s_waitcnt vmcnt(0)
	v_mov_b32_e32 v2, s13
	s_and_b32 s22, s71, 0xff
	v_add_co_u32_e32 v4, vcc, s12, v3
	s_cmp_lt_i32 s22, 11
	v_addc_co_u32_e32 v5, vcc, 0, v2, vcc
	s_cbranch_scc1 .LBB79_1373
; %bb.1364:
	s_and_b32 s23, 0xffff, s22
	s_cmp_gt_i32 s23, 25
	s_cbranch_scc0 .LBB79_1374
; %bb.1365:
	s_cmp_gt_i32 s23, 28
	s_cbranch_scc0 .LBB79_1375
; %bb.1366:
	;; [unrolled: 3-line block ×4, first 2 shown]
	s_cmp_eq_u32 s23, 46
	s_cbranch_scc0 .LBB79_1378
; %bb.1369:
	global_load_dword v2, v[4:5], off
	s_mov_b64 s[12:13], 0
	s_mov_b64 s[18:19], -1
	s_waitcnt vmcnt(0)
	v_lshlrev_b32_e32 v2, 16, v2
	v_cvt_i32_f32_e32 v6, v2
	s_branch .LBB79_1380
.LBB79_1370:
	s_or_b64 exec, exec, s[0:1]
	s_and_saveexec_b64 s[0:1], s[40:41]
	s_cbranch_execnz .LBB79_1439
.LBB79_1371:
	s_or_b64 exec, exec, s[0:1]
	s_and_saveexec_b64 s[0:1], s[16:17]
	s_xor_b64 s[0:1], exec, s[0:1]
	s_cbranch_execz .LBB79_1440
.LBB79_1372:
	s_waitcnt vmcnt(0)
	global_load_ubyte v2, v[4:5], off
	s_or_b64 s[18:19], s[18:19], exec
	s_waitcnt vmcnt(0)
	v_cmp_ne_u16_e32 vcc, 0, v2
	v_cndmask_b32_e64 v6, 0, 1, vcc
	s_or_b64 exec, exec, s[0:1]
	s_and_saveexec_b64 s[0:1], s[20:21]
	s_cbranch_execz .LBB79_1486
	s_branch .LBB79_1441
.LBB79_1373:
	s_mov_b64 s[20:21], -1
                                        ; implicit-def: $vgpr6
	s_mov_b64 s[12:13], s[40:41]
	s_branch .LBB79_1438
.LBB79_1374:
	s_mov_b64 s[12:13], s[40:41]
                                        ; implicit-def: $vgpr6
	s_cbranch_execnz .LBB79_1407
	s_branch .LBB79_1437
.LBB79_1375:
	s_mov_b64 s[20:21], -1
	s_mov_b64 s[12:13], s[40:41]
                                        ; implicit-def: $vgpr6
	s_branch .LBB79_1390
.LBB79_1376:
	s_mov_b64 s[20:21], -1
	s_mov_b64 s[12:13], s[40:41]
                                        ; implicit-def: $vgpr6
	s_branch .LBB79_1385
.LBB79_1377:
	s_mov_b64 s[20:21], -1
	s_mov_b64 s[12:13], s[40:41]
	s_branch .LBB79_1379
.LBB79_1378:
	s_mov_b64 s[12:13], -1
.LBB79_1379:
                                        ; implicit-def: $vgpr6
.LBB79_1380:
	s_and_b64 vcc, exec, s[20:21]
	s_cbranch_vccz .LBB79_1384
; %bb.1381:
	s_cmp_eq_u32 s23, 44
	s_cbranch_scc0 .LBB79_1383
; %bb.1382:
	global_load_ubyte v2, v[4:5], off
	s_mov_b64 s[12:13], 0
	s_mov_b64 s[18:19], -1
	s_waitcnt vmcnt(0)
	v_lshlrev_b32_e32 v3, 23, v2
	v_cvt_i32_f32_e32 v3, v3
	v_cmp_ne_u32_e32 vcc, 0, v2
	v_cndmask_b32_e32 v6, 0, v3, vcc
	s_branch .LBB79_1384
.LBB79_1383:
	s_mov_b64 s[12:13], -1
                                        ; implicit-def: $vgpr6
.LBB79_1384:
	s_mov_b64 s[20:21], 0
.LBB79_1385:
	s_and_b64 vcc, exec, s[20:21]
	s_cbranch_vccz .LBB79_1389
; %bb.1386:
	s_cmp_eq_u32 s23, 29
	s_cbranch_scc0 .LBB79_1388
; %bb.1387:
	global_load_dwordx2 v[6:7], v[4:5], off
	s_mov_b64 s[12:13], 0
	s_mov_b64 s[18:19], -1
	s_branch .LBB79_1389
.LBB79_1388:
	s_mov_b64 s[12:13], -1
                                        ; implicit-def: $vgpr6
.LBB79_1389:
	s_mov_b64 s[20:21], 0
.LBB79_1390:
	s_and_b64 vcc, exec, s[20:21]
	s_cbranch_vccz .LBB79_1406
; %bb.1391:
	s_cmp_lt_i32 s23, 27
	s_cbranch_scc1 .LBB79_1394
; %bb.1392:
	s_cmp_gt_i32 s23, 27
	s_cbranch_scc0 .LBB79_1395
; %bb.1393:
	global_load_dword v6, v[4:5], off
	s_mov_b64 s[18:19], 0
	s_branch .LBB79_1396
.LBB79_1394:
	s_mov_b64 s[18:19], -1
                                        ; implicit-def: $vgpr6
	s_branch .LBB79_1399
.LBB79_1395:
	s_mov_b64 s[18:19], -1
                                        ; implicit-def: $vgpr6
.LBB79_1396:
	s_andn2_b64 vcc, exec, s[18:19]
	s_cbranch_vccnz .LBB79_1398
; %bb.1397:
	global_load_ushort v6, v[4:5], off
.LBB79_1398:
	s_mov_b64 s[18:19], 0
.LBB79_1399:
	s_andn2_b64 vcc, exec, s[18:19]
	s_cbranch_vccnz .LBB79_1405
; %bb.1400:
	global_load_ubyte v2, v[4:5], off
	s_movk_i32 s18, 0x7f
	s_mov_b64 s[20:21], 0
	s_waitcnt vmcnt(0)
	v_cmp_lt_i16_e32 vcc, s18, v2
	s_and_saveexec_b64 s[18:19], vcc
	s_xor_b64 s[18:19], exec, s[18:19]
	s_cbranch_execz .LBB79_1416
; %bb.1401:
	s_movk_i32 s20, 0x80
	v_cmp_ne_u16_e32 vcc, s20, v2
	s_and_b64 s[20:21], vcc, exec
	s_andn2_saveexec_b64 s[18:19], s[18:19]
	s_cbranch_execnz .LBB79_1417
.LBB79_1402:
	s_or_b64 exec, exec, s[18:19]
	v_mov_b32_e32 v6, 0
	s_and_saveexec_b64 s[18:19], s[20:21]
	s_cbranch_execz .LBB79_1404
.LBB79_1403:
	v_lshlrev_b32_e32 v3, 24, v2
	v_and_b32_e32 v2, 0xffff, v2
	v_and_b32_e32 v6, 7, v2
	v_ffbh_u32_e32 v8, v6
	v_min_u32_e32 v8, 32, v8
	v_subrev_u32_e32 v9, 28, v8
	v_bfe_u32 v7, v2, 3, 4
	v_lshlrev_b32_e32 v2, v9, v2
	v_sub_u32_e32 v8, 29, v8
	v_and_b32_e32 v2, 7, v2
	v_cmp_eq_u32_e32 vcc, 0, v7
	v_cndmask_b32_e32 v7, v7, v8, vcc
	v_cndmask_b32_e32 v2, v6, v2, vcc
	v_mov_b32_e32 v6, 0x3b800000
	v_lshlrev_b32_e32 v2, 20, v2
	v_and_b32_e32 v3, 0x80000000, v3
	v_lshl_add_u32 v6, v7, 23, v6
	v_or3_b32 v2, v3, v6, v2
	v_cvt_i32_f32_e32 v6, v2
.LBB79_1404:
	s_or_b64 exec, exec, s[18:19]
.LBB79_1405:
	s_mov_b64 s[18:19], -1
.LBB79_1406:
	s_branch .LBB79_1437
.LBB79_1407:
	s_cmp_gt_i32 s23, 22
	s_cbranch_scc0 .LBB79_1415
; %bb.1408:
	s_cmp_lt_i32 s23, 24
	s_cbranch_scc1 .LBB79_1418
; %bb.1409:
	s_cmp_gt_i32 s23, 24
	s_cbranch_scc0 .LBB79_1419
; %bb.1410:
	global_load_ubyte v2, v[4:5], off
	s_movk_i32 s16, 0x7f
	s_mov_b64 s[18:19], 0
	s_waitcnt vmcnt(0)
	v_cmp_lt_i16_e32 vcc, s16, v2
	s_and_saveexec_b64 s[16:17], vcc
	s_xor_b64 s[16:17], exec, s[16:17]
	s_cbranch_execz .LBB79_1431
; %bb.1411:
	s_movk_i32 s18, 0x80
	v_cmp_ne_u16_e32 vcc, s18, v2
	s_and_b64 s[18:19], vcc, exec
	s_andn2_saveexec_b64 s[16:17], s[16:17]
	s_cbranch_execnz .LBB79_1432
.LBB79_1412:
	s_or_b64 exec, exec, s[16:17]
	v_mov_b32_e32 v6, 0
	s_and_saveexec_b64 s[16:17], s[18:19]
	s_cbranch_execz .LBB79_1414
.LBB79_1413:
	v_lshlrev_b32_e32 v3, 24, v2
	v_and_b32_e32 v2, 0xffff, v2
	v_and_b32_e32 v6, 3, v2
	v_ffbh_u32_e32 v8, v6
	v_min_u32_e32 v8, 32, v8
	v_subrev_u32_e32 v9, 29, v8
	v_bfe_u32 v7, v2, 2, 5
	v_lshlrev_b32_e32 v2, v9, v2
	v_sub_u32_e32 v8, 30, v8
	v_and_b32_e32 v2, 3, v2
	v_cmp_eq_u32_e32 vcc, 0, v7
	v_cndmask_b32_e32 v7, v7, v8, vcc
	v_cndmask_b32_e32 v2, v6, v2, vcc
	v_mov_b32_e32 v6, 0x37800000
	v_lshlrev_b32_e32 v2, 21, v2
	v_and_b32_e32 v3, 0x80000000, v3
	v_lshl_add_u32 v6, v7, 23, v6
	v_or3_b32 v2, v3, v6, v2
	v_cvt_i32_f32_e32 v6, v2
.LBB79_1414:
	s_or_b64 exec, exec, s[16:17]
	s_mov_b64 s[16:17], 0
	s_branch .LBB79_1420
.LBB79_1415:
	s_mov_b64 s[16:17], -1
                                        ; implicit-def: $vgpr6
	s_branch .LBB79_1426
.LBB79_1416:
	s_andn2_saveexec_b64 s[18:19], s[18:19]
	s_cbranch_execz .LBB79_1402
.LBB79_1417:
	v_cmp_ne_u16_e32 vcc, 0, v2
	s_andn2_b64 s[20:21], s[20:21], exec
	s_and_b64 s[28:29], vcc, exec
	s_or_b64 s[20:21], s[20:21], s[28:29]
	s_or_b64 exec, exec, s[18:19]
	v_mov_b32_e32 v6, 0
	s_and_saveexec_b64 s[18:19], s[20:21]
	s_cbranch_execnz .LBB79_1403
	s_branch .LBB79_1404
.LBB79_1418:
	s_mov_b64 s[16:17], -1
                                        ; implicit-def: $vgpr6
	s_branch .LBB79_1423
.LBB79_1419:
	s_mov_b64 s[16:17], -1
                                        ; implicit-def: $vgpr6
.LBB79_1420:
	s_and_b64 vcc, exec, s[16:17]
	s_cbranch_vccz .LBB79_1422
; %bb.1421:
	global_load_ubyte v2, v[4:5], off
	s_mov_b32 s16, 0x7f800000
	s_waitcnt vmcnt(0)
	v_lshlrev_b32_e32 v2, 24, v2
	v_and_b32_e32 v3, 0x7f000000, v2
	v_ffbh_u32_e32 v6, v3
	v_min_u32_e32 v6, 32, v6
	v_sub_u32_e64 v6, v6, 4 clamp
	v_lshlrev_b32_e32 v8, v6, v3
	v_lshlrev_b32_e32 v6, 23, v6
	v_lshrrev_b32_e32 v8, 4, v8
	v_add_u32_e32 v7, 0x1000000, v3
	v_sub_u32_e32 v6, v8, v6
	v_ashrrev_i32_e32 v7, 8, v7
	v_add_u32_e32 v6, 0x3c000000, v6
	v_and_or_b32 v6, v7, s16, v6
	v_cmp_ne_u32_e32 vcc, 0, v3
	v_cndmask_b32_e32 v3, 0, v6, vcc
	s_brev_b32 s16, 1
	v_and_or_b32 v2, v2, s16, v3
	v_cvt_i32_f32_e32 v6, v2
.LBB79_1422:
	s_mov_b64 s[16:17], 0
.LBB79_1423:
	s_andn2_b64 vcc, exec, s[16:17]
	s_cbranch_vccnz .LBB79_1425
; %bb.1424:
	global_load_ubyte v2, v[4:5], off
	s_movk_i32 s16, 0x7f00
	s_brev_b32 s17, 16
	s_waitcnt vmcnt(0)
	v_lshlrev_b16_e32 v3, 8, v2
	v_lshlrev_b32_e32 v2, 25, v2
	v_lshrrev_b32_e32 v6, 4, v2
	v_and_or_b32 v7, v3, s16, 0.5
	v_or_b32_e32 v6, 0x70000000, v6
	v_add_f32_e32 v7, -0.5, v7
	v_mul_f32_e32 v6, 0x7800000, v6
	v_cmp_gt_u32_e32 vcc, s17, v2
	v_bfe_i32 v3, v3, 0, 16
	v_cndmask_b32_e32 v2, v6, v7, vcc
	s_brev_b32 s16, 1
	v_and_or_b32 v2, v3, s16, v2
	v_cvt_i32_f32_e32 v6, v2
.LBB79_1425:
	s_mov_b64 s[16:17], 0
	s_mov_b64 s[18:19], -1
.LBB79_1426:
	s_andn2_b64 vcc, exec, s[16:17]
	s_mov_b64 s[16:17], 0
	s_cbranch_vccnz .LBB79_1437
; %bb.1427:
	s_cmp_gt_i32 s23, 14
	s_cbranch_scc0 .LBB79_1430
; %bb.1428:
	s_cmp_eq_u32 s23, 15
	s_cbranch_scc0 .LBB79_1433
; %bb.1429:
	global_load_ushort v2, v[4:5], off
	s_mov_b64 s[12:13], 0
	s_mov_b64 s[18:19], -1
	s_waitcnt vmcnt(0)
	v_lshlrev_b32_e32 v2, 16, v2
	v_cvt_i32_f32_e32 v6, v2
	s_branch .LBB79_1434
.LBB79_1430:
	s_mov_b64 s[20:21], -1
                                        ; implicit-def: $vgpr6
	s_branch .LBB79_1435
.LBB79_1431:
	s_andn2_saveexec_b64 s[16:17], s[16:17]
	s_cbranch_execz .LBB79_1412
.LBB79_1432:
	v_cmp_ne_u16_e32 vcc, 0, v2
	s_andn2_b64 s[18:19], s[18:19], exec
	s_and_b64 s[20:21], vcc, exec
	s_or_b64 s[18:19], s[18:19], s[20:21]
	s_or_b64 exec, exec, s[16:17]
	v_mov_b32_e32 v6, 0
	s_and_saveexec_b64 s[16:17], s[18:19]
	s_cbranch_execnz .LBB79_1413
	s_branch .LBB79_1414
.LBB79_1433:
	s_mov_b64 s[12:13], -1
                                        ; implicit-def: $vgpr6
.LBB79_1434:
	s_mov_b64 s[20:21], 0
.LBB79_1435:
	s_and_b64 vcc, exec, s[20:21]
	s_cbranch_vccz .LBB79_1437
; %bb.1436:
	s_cmp_lg_u32 s23, 11
	s_cselect_b64 s[20:21], -1, 0
	s_andn2_b64 s[12:13], s[12:13], exec
	s_and_b64 s[20:21], s[20:21], exec
	s_mov_b64 s[16:17], -1
	s_or_b64 s[12:13], s[12:13], s[20:21]
.LBB79_1437:
	s_mov_b64 s[20:21], 0
.LBB79_1438:
	s_andn2_b64 s[28:29], s[40:41], exec
	s_and_b64 s[12:13], s[12:13], exec
	s_and_b64 s[18:19], s[18:19], exec
	;; [unrolled: 1-line block ×4, first 2 shown]
	s_or_b64 s[40:41], s[28:29], s[12:13]
	s_or_b64 exec, exec, s[0:1]
	s_and_saveexec_b64 s[0:1], s[40:41]
	s_cbranch_execz .LBB79_1371
.LBB79_1439:
	s_or_b64 s[10:11], s[10:11], exec
	s_andn2_b64 s[16:17], s[16:17], exec
	s_trap 2
	s_or_b64 exec, exec, s[0:1]
	s_and_saveexec_b64 s[0:1], s[16:17]
	s_xor_b64 s[0:1], exec, s[0:1]
	s_cbranch_execnz .LBB79_1372
.LBB79_1440:
	s_or_b64 exec, exec, s[0:1]
	s_and_saveexec_b64 s[0:1], s[20:21]
	s_cbranch_execz .LBB79_1486
.LBB79_1441:
	s_sext_i32_i16 s12, s22
	s_cmp_lt_i32 s12, 5
	s_cbranch_scc1 .LBB79_1446
; %bb.1442:
	s_cmp_lt_i32 s12, 8
	s_cbranch_scc1 .LBB79_1447
; %bb.1443:
	;; [unrolled: 3-line block ×3, first 2 shown]
	s_cmp_gt_i32 s12, 9
	s_cbranch_scc0 .LBB79_1449
; %bb.1445:
	s_waitcnt vmcnt(0)
	global_load_dwordx2 v[2:3], v[4:5], off
	s_mov_b64 s[12:13], 0
	s_waitcnt vmcnt(0)
	v_cvt_i32_f64_e32 v6, v[2:3]
	s_branch .LBB79_1450
.LBB79_1446:
                                        ; implicit-def: $vgpr6
	s_branch .LBB79_1467
.LBB79_1447:
                                        ; implicit-def: $vgpr6
	s_branch .LBB79_1456
.LBB79_1448:
	s_mov_b64 s[12:13], -1
                                        ; implicit-def: $vgpr6
	s_branch .LBB79_1453
.LBB79_1449:
	s_mov_b64 s[12:13], -1
                                        ; implicit-def: $vgpr6
.LBB79_1450:
	s_andn2_b64 vcc, exec, s[12:13]
	s_cbranch_vccnz .LBB79_1452
; %bb.1451:
	s_waitcnt vmcnt(0)
	global_load_dword v2, v[4:5], off
	s_waitcnt vmcnt(0)
	v_cvt_i32_f32_e32 v6, v2
.LBB79_1452:
	s_mov_b64 s[12:13], 0
.LBB79_1453:
	s_andn2_b64 vcc, exec, s[12:13]
	s_cbranch_vccnz .LBB79_1455
; %bb.1454:
	s_waitcnt vmcnt(0)
	global_load_dword v2, v[4:5], off
	s_waitcnt vmcnt(0)
	v_cvt_i16_f16_e32 v6, v2
.LBB79_1455:
	s_cbranch_execnz .LBB79_1466
.LBB79_1456:
	s_sext_i32_i16 s12, s22
	s_cmp_lt_i32 s12, 6
	s_cbranch_scc1 .LBB79_1459
; %bb.1457:
	s_cmp_gt_i32 s12, 6
	s_cbranch_scc0 .LBB79_1460
; %bb.1458:
	s_waitcnt vmcnt(0)
	global_load_dwordx2 v[2:3], v[4:5], off
	s_mov_b64 s[12:13], 0
	s_waitcnt vmcnt(0)
	v_cvt_i32_f64_e32 v6, v[2:3]
	s_branch .LBB79_1461
.LBB79_1459:
	s_mov_b64 s[12:13], -1
                                        ; implicit-def: $vgpr6
	s_branch .LBB79_1464
.LBB79_1460:
	s_mov_b64 s[12:13], -1
                                        ; implicit-def: $vgpr6
.LBB79_1461:
	s_andn2_b64 vcc, exec, s[12:13]
	s_cbranch_vccnz .LBB79_1463
; %bb.1462:
	s_waitcnt vmcnt(0)
	global_load_dword v2, v[4:5], off
	s_waitcnt vmcnt(0)
	v_cvt_i32_f32_e32 v6, v2
.LBB79_1463:
	s_mov_b64 s[12:13], 0
.LBB79_1464:
	s_andn2_b64 vcc, exec, s[12:13]
	s_cbranch_vccnz .LBB79_1466
; %bb.1465:
	s_waitcnt vmcnt(0)
	global_load_ushort v2, v[4:5], off
	s_waitcnt vmcnt(0)
	v_cvt_i16_f16_e32 v6, v2
.LBB79_1466:
	s_cbranch_execnz .LBB79_1485
.LBB79_1467:
	s_sext_i32_i16 s12, s22
	s_cmp_lt_i32 s12, 2
	s_cbranch_scc1 .LBB79_1471
; %bb.1468:
	s_cmp_lt_i32 s12, 3
	s_cbranch_scc1 .LBB79_1472
; %bb.1469:
	s_cmp_gt_i32 s12, 3
	s_cbranch_scc0 .LBB79_1473
; %bb.1470:
	s_waitcnt vmcnt(0)
	global_load_dwordx2 v[6:7], v[4:5], off
	s_mov_b64 s[12:13], 0
	s_branch .LBB79_1474
.LBB79_1471:
                                        ; implicit-def: $vgpr6
	s_branch .LBB79_1480
.LBB79_1472:
	s_mov_b64 s[12:13], -1
                                        ; implicit-def: $vgpr6
	s_branch .LBB79_1477
.LBB79_1473:
	s_mov_b64 s[12:13], -1
                                        ; implicit-def: $vgpr6
.LBB79_1474:
	s_andn2_b64 vcc, exec, s[12:13]
	s_cbranch_vccnz .LBB79_1476
; %bb.1475:
	s_waitcnt vmcnt(0)
	global_load_dword v6, v[4:5], off
.LBB79_1476:
	s_mov_b64 s[12:13], 0
.LBB79_1477:
	s_andn2_b64 vcc, exec, s[12:13]
	s_cbranch_vccnz .LBB79_1479
; %bb.1478:
	s_waitcnt vmcnt(0)
	global_load_ushort v6, v[4:5], off
.LBB79_1479:
	s_cbranch_execnz .LBB79_1485
.LBB79_1480:
	s_sext_i32_i16 s12, s22
	s_cmp_gt_i32 s12, 0
	s_cbranch_scc0 .LBB79_1482
; %bb.1481:
	s_waitcnt vmcnt(0)
	global_load_sbyte v6, v[4:5], off
	s_mov_b64 s[12:13], 0
	s_branch .LBB79_1483
.LBB79_1482:
	s_mov_b64 s[12:13], -1
                                        ; implicit-def: $vgpr6
.LBB79_1483:
	s_andn2_b64 vcc, exec, s[12:13]
	s_cbranch_vccnz .LBB79_1485
; %bb.1484:
	s_waitcnt vmcnt(0)
	global_load_ubyte v6, v[4:5], off
.LBB79_1485:
	s_or_b64 s[18:19], s[18:19], exec
.LBB79_1486:
	s_or_b64 exec, exec, s[0:1]
	s_mov_b64 s[22:23], 0
	s_mov_b64 s[20:21], 0
                                        ; implicit-def: $sgpr12_sgpr13
                                        ; implicit-def: $sgpr28
                                        ; implicit-def: $vgpr2_vgpr3
	s_and_saveexec_b64 s[16:17], s[18:19]
	s_cbranch_execz .LBB79_1491
; %bb.1487:
	s_cmp_lt_i32 s14, 1
	s_mov_b64 s[0:1], 0
	s_cbranch_scc1 .LBB79_1494
; %bb.1488:
	s_cmp_gt_i32 s14, 1
	s_cbranch_scc0 .LBB79_1495
; %bb.1489:
	s_cmp_eq_u32 s14, 2
	s_cbranch_scc0 .LBB79_1496
; %bb.1490:
	s_waitcnt vmcnt(0)
	v_cmp_le_i16_e64 s[12:13], v1, v6
	s_mov_b64 s[18:19], 0
	s_branch .LBB79_1498
.LBB79_1491:
	s_or_b64 exec, exec, s[16:17]
	s_and_saveexec_b64 s[0:1], s[38:39]
	s_cbranch_execnz .LBB79_1583
.LBB79_1492:
	s_or_b64 exec, exec, s[0:1]
	s_and_saveexec_b64 s[0:1], s[22:23]
	s_xor_b64 s[0:1], exec, s[0:1]
	s_cbranch_execz .LBB79_1584
.LBB79_1493:
	v_cndmask_b32_e64 v0, 0, 1, s[12:13]
	s_waitcnt vmcnt(0)
	global_store_byte v[2:3], v0, off
	s_or_b64 exec, exec, s[0:1]
	s_and_saveexec_b64 s[0:1], s[20:21]
	s_xor_b64 s[0:1], exec, s[0:1]
	s_cbranch_execz .LBB79_1622
	s_branch .LBB79_1585
.LBB79_1494:
                                        ; implicit-def: $sgpr12_sgpr13
	s_mov_b64 s[18:19], 0
	s_cbranch_execnz .LBB79_1501
	s_branch .LBB79_1502
.LBB79_1495:
	s_mov_b64 s[20:21], -1
	s_mov_b64 s[18:19], 0
	s_branch .LBB79_1497
.LBB79_1496:
	s_mov_b64 s[18:19], -1
.LBB79_1497:
                                        ; implicit-def: $sgpr12_sgpr13
.LBB79_1498:
	s_and_b64 vcc, exec, s[20:21]
	s_cbranch_vccz .LBB79_1500
; %bb.1499:
	s_waitcnt vmcnt(0)
	v_cmp_gt_i16_e32 vcc, v1, v6
	s_andn2_b64 s[12:13], s[12:13], exec
	s_and_b64 s[20:21], vcc, exec
	s_or_b64 s[12:13], s[12:13], s[20:21]
.LBB79_1500:
	s_branch .LBB79_1502
.LBB79_1501:
	s_cmp_lg_u32 s14, 0
	s_mov_b64 s[0:1], -1
	s_cselect_b64 s[18:19], -1, 0
.LBB79_1502:
	s_andn2_b64 vcc, exec, s[18:19]
	s_cbranch_vccnz .LBB79_1504
; %bb.1503:
	s_waitcnt vmcnt(0)
	v_cmp_lt_i16_e32 vcc, v1, v6
	s_andn2_b64 s[12:13], s[12:13], exec
	s_and_b64 s[18:19], vcc, exec
	s_or_b64 s[12:13], s[12:13], s[18:19]
	s_cbranch_execz .LBB79_1505
	s_branch .LBB79_1506
.LBB79_1504:
	s_andn2_b64 vcc, exec, s[0:1]
	s_cbranch_vccnz .LBB79_1506
.LBB79_1505:
	s_waitcnt vmcnt(0)
	v_cmp_ge_i16_e32 vcc, v1, v6
	s_andn2_b64 s[0:1], s[12:13], exec
	s_and_b64 s[12:13], vcc, exec
	s_or_b64 s[12:13], s[0:1], s[12:13]
.LBB79_1506:
	s_waitcnt vmcnt(0)
	v_mov_b32_e32 v1, s9
	s_and_b32 s28, s15, 0xff
	v_add_co_u32_e32 v2, vcc, s8, v0
	s_cmp_lt_i32 s28, 11
	v_addc_co_u32_e32 v3, vcc, 0, v1, vcc
	s_cbranch_scc1 .LBB79_1580
; %bb.1507:
	s_and_b32 s22, 0xffff, s28
	s_mov_b64 s[14:15], -1
	s_cmp_gt_i32 s22, 25
	s_mov_b64 s[0:1], s[38:39]
	s_cbranch_scc0 .LBB79_1540
; %bb.1508:
	s_mov_b64 s[8:9], -1
	s_cmp_gt_i32 s22, 28
	s_mov_b64 s[0:1], s[38:39]
	s_cbranch_scc0 .LBB79_1524
; %bb.1509:
	s_cmp_gt_i32 s22, 43
	s_mov_b64 s[0:1], s[38:39]
	s_cbranch_scc0 .LBB79_1520
; %bb.1510:
	;; [unrolled: 4-line block ×3, first 2 shown]
	s_cmp_eq_u32 s22, 46
	s_mov_b64 s[0:1], -1
	s_cbranch_scc0 .LBB79_1513
; %bb.1512:
	v_cndmask_b32_e64 v0, 0, 1.0, s[12:13]
	v_bfe_u32 v1, v0, 16, 1
	s_movk_i32 s0, 0x7fff
	v_add3_u32 v0, v0, v1, s0
	v_lshrrev_b32_e32 v0, 16, v0
	global_store_dword v[2:3], v0, off
	s_mov_b64 s[0:1], 0
.LBB79_1513:
	s_mov_b64 s[8:9], 0
.LBB79_1514:
	s_and_b64 vcc, exec, s[8:9]
	s_cbranch_vccz .LBB79_1519
; %bb.1515:
	s_cmp_eq_u32 s22, 44
	s_mov_b64 s[0:1], -1
	s_cbranch_scc0 .LBB79_1519
; %bb.1516:
	v_cndmask_b32_e64 v1, 0, 1.0, s[12:13]
	v_lshrrev_b32_e32 v0, 23, v1
	s_movk_i32 s0, 0xff
	v_cmp_ne_u32_e32 vcc, s0, v0
	v_mov_b32_e32 v4, 0xff
	s_and_saveexec_b64 s[8:9], vcc
; %bb.1517:
	s_mov_b32 s0, 0x3fffff
	v_and_b32_e32 v4, 0x400000, v1
	v_and_or_b32 v1, v1, s0, v0
	v_cmp_ne_u32_e32 vcc, 0, v4
	v_cmp_ne_u32_e64 s[0:1], 0, v1
	s_and_b64 s[0:1], vcc, s[0:1]
	v_cndmask_b32_e64 v1, 0, 1, s[0:1]
	v_add_u32_e32 v4, v0, v1
; %bb.1518:
	s_or_b64 exec, exec, s[8:9]
	s_mov_b64 s[0:1], 0
	global_store_byte v[2:3], v4, off
.LBB79_1519:
	s_mov_b64 s[8:9], 0
.LBB79_1520:
	s_and_b64 vcc, exec, s[8:9]
	s_cbranch_vccz .LBB79_1523
; %bb.1521:
	s_cmp_eq_u32 s22, 29
	s_mov_b64 s[0:1], -1
	s_cbranch_scc0 .LBB79_1523
; %bb.1522:
	s_mov_b32 s0, 0
	v_cndmask_b32_e64 v0, 0, 1, s[12:13]
	v_mov_b32_e32 v1, s0
	global_store_dwordx2 v[2:3], v[0:1], off
	s_mov_b64 s[0:1], 0
.LBB79_1523:
	s_mov_b64 s[8:9], 0
.LBB79_1524:
	s_and_b64 vcc, exec, s[8:9]
	s_cbranch_vccz .LBB79_1539
; %bb.1525:
	s_cmp_lt_i32 s22, 27
	s_mov_b64 s[8:9], -1
	s_cbranch_scc1 .LBB79_1531
; %bb.1526:
	s_cmp_gt_i32 s22, 27
	s_cbranch_scc0 .LBB79_1528
; %bb.1527:
	v_cndmask_b32_e64 v0, 0, 1, s[12:13]
	s_mov_b64 s[8:9], 0
	global_store_dword v[2:3], v0, off
.LBB79_1528:
	s_andn2_b64 vcc, exec, s[8:9]
	s_cbranch_vccnz .LBB79_1530
; %bb.1529:
	v_cndmask_b32_e64 v0, 0, 1, s[12:13]
	global_store_short v[2:3], v0, off
.LBB79_1530:
	s_mov_b64 s[8:9], 0
.LBB79_1531:
	s_andn2_b64 vcc, exec, s[8:9]
	s_cbranch_vccnz .LBB79_1539
; %bb.1532:
	v_cndmask_b32_e64 v1, 0, 1.0, s[12:13]
	s_mov_b32 s8, 0x43800000
	v_cmp_gt_u32_e32 vcc, s8, v1
	v_mov_b32_e32 v4, 0x80
	s_and_saveexec_b64 s[8:9], vcc
	s_cbranch_execz .LBB79_1538
; %bb.1533:
	s_mov_b32 s14, 0x3bffffff
	v_cmp_lt_u32_e32 vcc, s14, v1
	s_mov_b64 s[14:15], 0
                                        ; implicit-def: $vgpr0
	s_and_saveexec_b64 s[18:19], vcc
	s_xor_b64 s[18:19], exec, s[18:19]
	s_cbranch_execz .LBB79_1681
; %bb.1534:
	v_bfe_u32 v0, v1, 20, 1
	s_mov_b32 s20, 0x487ffff
	v_add3_u32 v0, v1, v0, s20
	s_mov_b64 s[14:15], exec
	v_lshrrev_b32_e32 v0, 20, v0
                                        ; implicit-def: $vgpr1
	s_andn2_saveexec_b64 s[18:19], s[18:19]
	s_cbranch_execnz .LBB79_1682
.LBB79_1535:
	s_or_b64 exec, exec, s[18:19]
	v_mov_b32_e32 v4, 0
	s_and_saveexec_b64 s[18:19], s[14:15]
.LBB79_1536:
	v_mov_b32_e32 v4, v0
.LBB79_1537:
	s_or_b64 exec, exec, s[18:19]
.LBB79_1538:
	s_or_b64 exec, exec, s[8:9]
	global_store_byte v[2:3], v4, off
.LBB79_1539:
	s_mov_b64 s[14:15], 0
.LBB79_1540:
	s_mov_b64 s[8:9], 0
	s_and_b64 vcc, exec, s[14:15]
	s_cbranch_vccz .LBB79_1581
; %bb.1541:
	s_cmp_gt_i32 s22, 22
	s_mov_b64 s[14:15], -1
	s_cbranch_scc0 .LBB79_1573
; %bb.1542:
	s_cmp_lt_i32 s22, 24
	s_cbranch_scc1 .LBB79_1562
; %bb.1543:
	s_cmp_gt_i32 s22, 24
	s_cbranch_scc0 .LBB79_1551
; %bb.1544:
	v_cndmask_b32_e64 v1, 0, 1.0, s[12:13]
	s_mov_b32 s14, 0x47800000
	v_cmp_gt_u32_e32 vcc, s14, v1
	v_mov_b32_e32 v4, 0x80
	s_and_saveexec_b64 s[14:15], vcc
	s_cbranch_execz .LBB79_1550
; %bb.1545:
	s_mov_b32 s18, 0x37ffffff
	v_cmp_lt_u32_e32 vcc, s18, v1
	s_mov_b64 s[18:19], 0
                                        ; implicit-def: $vgpr0
	s_and_saveexec_b64 s[20:21], vcc
	s_xor_b64 s[20:21], exec, s[20:21]
	s_cbranch_execz .LBB79_1801
; %bb.1546:
	v_bfe_u32 v0, v1, 21, 1
	s_mov_b32 s23, 0x88fffff
	v_add3_u32 v0, v1, v0, s23
	s_mov_b64 s[18:19], exec
	v_lshrrev_b32_e32 v0, 21, v0
                                        ; implicit-def: $vgpr1
	s_andn2_saveexec_b64 s[20:21], s[20:21]
	s_cbranch_execnz .LBB79_1802
.LBB79_1547:
	s_or_b64 exec, exec, s[20:21]
	v_mov_b32_e32 v4, 0
	s_and_saveexec_b64 s[20:21], s[18:19]
.LBB79_1548:
	v_mov_b32_e32 v4, v0
.LBB79_1549:
	s_or_b64 exec, exec, s[20:21]
.LBB79_1550:
	s_or_b64 exec, exec, s[14:15]
	s_mov_b64 s[14:15], 0
	global_store_byte v[2:3], v4, off
.LBB79_1551:
	s_and_b64 vcc, exec, s[14:15]
	s_cbranch_vccz .LBB79_1561
; %bb.1552:
	v_cndmask_b32_e64 v0, 0, 1.0, s[12:13]
	s_mov_b32 s14, 0x43f00000
	v_cmp_gt_u32_e32 vcc, s14, v0
                                        ; implicit-def: $vgpr1
	s_and_saveexec_b64 s[14:15], vcc
	s_xor_b64 s[14:15], exec, s[14:15]
	s_cbranch_execz .LBB79_1558
; %bb.1553:
	s_mov_b32 s18, 0x3c7fffff
	v_cmp_lt_u32_e32 vcc, s18, v0
                                        ; implicit-def: $vgpr1
	s_and_saveexec_b64 s[18:19], vcc
	s_xor_b64 s[18:19], exec, s[18:19]
; %bb.1554:
	v_bfe_u32 v1, v0, 20, 1
	s_mov_b32 s20, 0x407ffff
	v_add3_u32 v0, v0, v1, s20
	v_lshrrev_b32_e32 v1, 20, v0
	v_and_b32_e32 v0, 0xff00000, v0
	s_mov_b32 s20, 0x7f00000
	v_mov_b32_e32 v4, 0x7e
	v_cmp_ne_u32_e32 vcc, s20, v0
	v_cndmask_b32_e32 v1, v4, v1, vcc
                                        ; implicit-def: $vgpr0
; %bb.1555:
	s_andn2_saveexec_b64 s[18:19], s[18:19]
; %bb.1556:
	v_add_f32_e32 v1, 0x46800000, v0
; %bb.1557:
	s_or_b64 exec, exec, s[18:19]
                                        ; implicit-def: $vgpr0
.LBB79_1558:
	s_andn2_saveexec_b64 s[14:15], s[14:15]
; %bb.1559:
	s_mov_b32 s18, 0x7f800000
	v_mov_b32_e32 v1, 0x7e
	v_mov_b32_e32 v4, 0x7f
	v_cmp_lt_u32_e32 vcc, s18, v0
	v_cndmask_b32_e32 v1, v1, v4, vcc
; %bb.1560:
	s_or_b64 exec, exec, s[14:15]
	global_store_byte v[2:3], v1, off
.LBB79_1561:
	s_mov_b64 s[14:15], 0
.LBB79_1562:
	s_andn2_b64 vcc, exec, s[14:15]
	s_cbranch_vccnz .LBB79_1572
; %bb.1563:
	v_cndmask_b32_e64 v0, 0, 1.0, s[12:13]
	s_mov_b32 s14, 0x47800000
	v_cmp_gt_u32_e32 vcc, s14, v0
                                        ; implicit-def: $vgpr1
	s_and_saveexec_b64 s[14:15], vcc
	s_xor_b64 s[14:15], exec, s[14:15]
	s_cbranch_execz .LBB79_1569
; %bb.1564:
	s_mov_b32 s18, 0x387fffff
	v_cmp_lt_u32_e32 vcc, s18, v0
                                        ; implicit-def: $vgpr1
	s_and_saveexec_b64 s[18:19], vcc
	s_xor_b64 s[18:19], exec, s[18:19]
; %bb.1565:
	v_bfe_u32 v1, v0, 21, 1
	s_mov_b32 s20, 0x80fffff
	v_add3_u32 v0, v0, v1, s20
	v_lshrrev_b32_e32 v1, 21, v0
                                        ; implicit-def: $vgpr0
; %bb.1566:
	s_andn2_saveexec_b64 s[18:19], s[18:19]
; %bb.1567:
	v_add_f32_e32 v1, 0x43000000, v0
; %bb.1568:
	s_or_b64 exec, exec, s[18:19]
                                        ; implicit-def: $vgpr0
.LBB79_1569:
	s_andn2_saveexec_b64 s[14:15], s[14:15]
; %bb.1570:
	s_mov_b32 s18, 0x7f800000
	v_mov_b32_e32 v1, 0x7c
	v_mov_b32_e32 v4, 0x7f
	v_cmp_lt_u32_e32 vcc, s18, v0
	v_cndmask_b32_e32 v1, v1, v4, vcc
; %bb.1571:
	s_or_b64 exec, exec, s[14:15]
	global_store_byte v[2:3], v1, off
.LBB79_1572:
	s_mov_b64 s[14:15], 0
.LBB79_1573:
	s_andn2_b64 vcc, exec, s[14:15]
	s_mov_b64 s[14:15], 0
	s_cbranch_vccnz .LBB79_1582
; %bb.1574:
	s_cmp_gt_i32 s22, 14
	s_mov_b64 s[18:19], -1
	s_cbranch_scc0 .LBB79_1578
; %bb.1575:
	s_cmp_eq_u32 s22, 15
	s_mov_b64 s[0:1], -1
	s_cbranch_scc0 .LBB79_1577
; %bb.1576:
	v_cndmask_b32_e64 v0, 0, 1.0, s[12:13]
	v_bfe_u32 v1, v0, 16, 1
	s_movk_i32 s0, 0x7fff
	v_add3_u32 v0, v0, v1, s0
	global_store_short_d16_hi v[2:3], v0, off
	s_mov_b64 s[0:1], 0
.LBB79_1577:
	s_mov_b64 s[18:19], 0
.LBB79_1578:
	s_and_b64 vcc, exec, s[18:19]
	s_cbranch_vccz .LBB79_1582
; %bb.1579:
	s_cmp_lg_u32 s22, 11
	s_cselect_b64 s[18:19], -1, 0
	s_andn2_b64 s[0:1], s[0:1], exec
	s_and_b64 s[18:19], s[18:19], exec
	s_mov_b64 s[14:15], -1
	s_or_b64 s[0:1], s[0:1], s[18:19]
	s_branch .LBB79_1582
.LBB79_1580:
	s_mov_b64 s[14:15], 0
	s_mov_b64 s[8:9], -1
	s_mov_b64 s[0:1], s[38:39]
	s_branch .LBB79_1582
.LBB79_1581:
	s_mov_b64 s[14:15], 0
.LBB79_1582:
	s_and_b64 s[20:21], s[8:9], exec
	s_andn2_b64 s[8:9], s[38:39], exec
	s_and_b64 s[0:1], s[0:1], exec
	s_and_b64 s[22:23], s[14:15], exec
	s_or_b64 s[38:39], s[8:9], s[0:1]
	s_or_b64 exec, exec, s[16:17]
	s_and_saveexec_b64 s[0:1], s[38:39]
	s_cbranch_execz .LBB79_1492
.LBB79_1583:
	s_or_b64 s[10:11], s[10:11], exec
	s_andn2_b64 s[22:23], s[22:23], exec
	s_trap 2
	s_or_b64 exec, exec, s[0:1]
	s_and_saveexec_b64 s[0:1], s[22:23]
	s_xor_b64 s[0:1], exec, s[0:1]
	s_cbranch_execnz .LBB79_1493
.LBB79_1584:
	s_or_b64 exec, exec, s[0:1]
	s_and_saveexec_b64 s[0:1], s[20:21]
	s_xor_b64 s[0:1], exec, s[0:1]
	s_cbranch_execz .LBB79_1622
.LBB79_1585:
	s_sext_i32_i16 s14, s28
	s_cmp_lt_i32 s14, 5
	s_mov_b64 s[8:9], -1
	s_cbranch_scc1 .LBB79_1606
; %bb.1586:
	s_cmp_lt_i32 s14, 8
	s_cbranch_scc1 .LBB79_1596
; %bb.1587:
	s_cmp_lt_i32 s14, 9
	s_cbranch_scc1 .LBB79_1593
; %bb.1588:
	s_cmp_gt_i32 s14, 9
	s_cbranch_scc0 .LBB79_1590
; %bb.1589:
	v_cndmask_b32_e64 v0, 0, 1, s[12:13]
	s_waitcnt vmcnt(0)
	v_cvt_f64_u32_e32 v[4:5], v0
	v_mov_b32_e32 v6, 0
	v_mov_b32_e32 v7, v6
	s_mov_b64 s[8:9], 0
	global_store_dwordx4 v[2:3], v[4:7], off
.LBB79_1590:
	s_andn2_b64 vcc, exec, s[8:9]
	s_cbranch_vccnz .LBB79_1592
; %bb.1591:
	v_cndmask_b32_e64 v0, 0, 1.0, s[12:13]
	s_waitcnt vmcnt(0)
	v_mov_b32_e32 v1, 0
	global_store_dwordx2 v[2:3], v[0:1], off
.LBB79_1592:
	s_mov_b64 s[8:9], 0
.LBB79_1593:
	s_andn2_b64 vcc, exec, s[8:9]
	s_cbranch_vccnz .LBB79_1595
; %bb.1594:
	v_cndmask_b32_e64 v0, 0, 1.0, s[12:13]
	v_cvt_f16_f32_e32 v0, v0
	s_waitcnt vmcnt(0)
	global_store_dword v[2:3], v0, off
.LBB79_1595:
	s_mov_b64 s[8:9], 0
.LBB79_1596:
	s_andn2_b64 vcc, exec, s[8:9]
	s_cbranch_vccnz .LBB79_1605
; %bb.1597:
	s_sext_i32_i16 s14, s28
	s_cmp_lt_i32 s14, 6
	s_mov_b64 s[8:9], -1
	s_cbranch_scc1 .LBB79_1603
; %bb.1598:
	s_cmp_gt_i32 s14, 6
	s_cbranch_scc0 .LBB79_1600
; %bb.1599:
	v_cndmask_b32_e64 v0, 0, 1, s[12:13]
	s_waitcnt vmcnt(0)
	v_cvt_f64_u32_e32 v[0:1], v0
	s_mov_b64 s[8:9], 0
	global_store_dwordx2 v[2:3], v[0:1], off
.LBB79_1600:
	s_andn2_b64 vcc, exec, s[8:9]
	s_cbranch_vccnz .LBB79_1602
; %bb.1601:
	v_cndmask_b32_e64 v0, 0, 1.0, s[12:13]
	s_waitcnt vmcnt(0)
	global_store_dword v[2:3], v0, off
.LBB79_1602:
	s_mov_b64 s[8:9], 0
.LBB79_1603:
	s_andn2_b64 vcc, exec, s[8:9]
	s_cbranch_vccnz .LBB79_1605
; %bb.1604:
	v_cndmask_b32_e64 v0, 0, 1.0, s[12:13]
	v_cvt_f16_f32_e32 v0, v0
	s_waitcnt vmcnt(0)
	global_store_short v[2:3], v0, off
.LBB79_1605:
	s_mov_b64 s[8:9], 0
.LBB79_1606:
	s_andn2_b64 vcc, exec, s[8:9]
	s_cbranch_vccnz .LBB79_1622
; %bb.1607:
	s_sext_i32_i16 s14, s28
	s_cmp_lt_i32 s14, 2
	s_mov_b64 s[8:9], -1
	s_cbranch_scc1 .LBB79_1617
; %bb.1608:
	s_cmp_lt_i32 s14, 3
	s_cbranch_scc1 .LBB79_1614
; %bb.1609:
	s_cmp_gt_i32 s14, 3
	s_cbranch_scc0 .LBB79_1611
; %bb.1610:
	s_mov_b32 s8, 0
	v_cndmask_b32_e64 v0, 0, 1, s[12:13]
	s_waitcnt vmcnt(0)
	v_mov_b32_e32 v1, s8
	s_mov_b64 s[8:9], 0
	global_store_dwordx2 v[2:3], v[0:1], off
.LBB79_1611:
	s_andn2_b64 vcc, exec, s[8:9]
	s_cbranch_vccnz .LBB79_1613
; %bb.1612:
	v_cndmask_b32_e64 v0, 0, 1, s[12:13]
	s_waitcnt vmcnt(0)
	global_store_dword v[2:3], v0, off
.LBB79_1613:
	s_mov_b64 s[8:9], 0
.LBB79_1614:
	s_andn2_b64 vcc, exec, s[8:9]
	s_cbranch_vccnz .LBB79_1616
; %bb.1615:
	v_cndmask_b32_e64 v0, 0, 1, s[12:13]
	s_waitcnt vmcnt(0)
	global_store_short v[2:3], v0, off
.LBB79_1616:
	s_mov_b64 s[8:9], 0
.LBB79_1617:
	s_andn2_b64 vcc, exec, s[8:9]
	s_cbranch_vccnz .LBB79_1622
; %bb.1618:
	s_sext_i32_i16 s14, s28
	s_mov_b64 s[8:9], -1
	s_cmp_gt_i32 s14, 0
	v_cndmask_b32_e64 v0, 0, 1, s[12:13]
	s_cbranch_scc0 .LBB79_1620
; %bb.1619:
	s_mov_b64 s[8:9], 0
	s_waitcnt vmcnt(0)
	global_store_byte v[2:3], v0, off
.LBB79_1620:
	s_andn2_b64 vcc, exec, s[8:9]
	s_cbranch_vccnz .LBB79_1622
; %bb.1621:
	s_waitcnt vmcnt(0)
	global_store_byte v[2:3], v0, off
.LBB79_1622:
	s_or_b64 exec, exec, s[0:1]
	s_and_b64 s[12:13], s[10:11], exec
                                        ; implicit-def: $vgpr23
                                        ; implicit-def: $vgpr8
.LBB79_1623:
	s_or_saveexec_b64 s[14:15], s[26:27]
	s_mov_b64 s[0:1], 0
                                        ; implicit-def: $sgpr10_sgpr11
                                        ; implicit-def: $vgpr0_vgpr1
                                        ; implicit-def: $sgpr26
	s_xor_b64 exec, exec, s[14:15]
	s_cbranch_execz .LBB79_2726
; %bb.1624:
	v_cndmask_b32_e64 v0, 0, 1, s[24:25]
	v_cmp_ne_u32_e64 s[0:1], 1, v0
	s_andn2_b64 vcc, exec, s[24:25]
	s_cbranch_vccnz .LBB79_1630
; %bb.1625:
	s_cmp_lg_u32 s33, 0
	s_cbranch_scc0 .LBB79_1631
; %bb.1626:
	s_min_u32 s8, s70, 15
	s_add_i32 s6, s8, 1
	s_and_b32 s9, s6, 30
	s_add_u32 s6, s2, 0xffffffe8
	s_addc_u32 s7, s3, -1
	v_mov_b32_e32 v19, 0
	v_mov_b32_e32 v21, 0
	s_waitcnt vmcnt(0)
	v_mov_b32_e32 v6, 0
	v_mov_b32_e32 v0, v8
.LBB79_1627:                            ; =>This Inner Loop Header: Depth=1
	s_load_dwordx4 s[16:19], s[6:7], 0x1c
	s_load_dwordx2 s[10:11], s[6:7], 0x2c
	s_load_dwordx2 s[24:25], s[6:7], 0xec
	s_load_dwordx4 s[20:23], s[6:7], 0xdc
	s_add_u32 s6, s6, 24
	s_waitcnt lgkmcnt(0)
	v_mul_hi_u32 v1, s17, v0
	s_addc_u32 s7, s7, 0
	s_add_i32 s9, s9, -2
	s_cmp_lg_u32 s9, 0
	v_add_u32_e32 v1, v0, v1
	v_lshrrev_b32_e32 v1, s18, v1
	v_mul_lo_u32 v2, v1, s16
	v_mul_hi_u32 v3, s10, v1
	v_sub_u32_e32 v2, v0, v2
	v_add_u32_e32 v0, v1, v3
	v_lshrrev_b32_e32 v0, s11, v0
	v_mul_lo_u32 v5, v0, s19
	v_mul_lo_u32 v3, v2, s20
	;; [unrolled: 1-line block ×4, first 2 shown]
	v_sub_u32_e32 v1, v1, v5
	v_mul_lo_u32 v5, v1, s23
	v_mul_lo_u32 v7, v1, s24
	;; [unrolled: 1-line block ×3, first 2 shown]
	v_add3_u32 v6, v3, v6, v5
	v_add3_u32 v21, v4, v21, v7
	;; [unrolled: 1-line block ×3, first 2 shown]
	s_cbranch_scc1 .LBB79_1627
; %bb.1628:
	s_bitcmp1_b32 s8, 0
	s_cselect_b64 s[8:9], -1, 0
	s_and_b64 vcc, exec, s[8:9]
	s_cbranch_vccnz .LBB79_1632
; %bb.1629:
	s_load_dwordx2 s[8:9], s[6:7], 0x1c
	s_load_dword s16, s[6:7], 0x24
	s_load_dwordx2 s[10:11], s[6:7], 0xdc
	s_waitcnt lgkmcnt(0)
	v_mul_hi_u32 v1, s9, v0
	v_add_u32_e32 v1, v0, v1
	v_lshrrev_b32_e32 v1, s16, v1
	v_mul_lo_u32 v1, v1, s8
	s_load_dword s8, s[6:7], 0xe4
	v_sub_u32_e32 v0, v0, v1
	v_mad_u64_u32 v[6:7], s[6:7], v0, s10, v[6:7]
	v_mad_u64_u32 v[21:22], s[6:7], v0, s11, v[21:22]
	s_waitcnt lgkmcnt(0)
	v_mad_u64_u32 v[19:20], s[6:7], v0, s8, v[19:20]
	s_cbranch_execz .LBB79_1633
	s_branch .LBB79_1635
.LBB79_1630:
                                        ; implicit-def: $vgpr6
                                        ; implicit-def: $vgpr21
                                        ; implicit-def: $vgpr19
	s_branch .LBB79_1633
.LBB79_1631:
	s_waitcnt vmcnt(0)
	v_mov_b32_e32 v6, 0
	v_mov_b32_e32 v21, 0
	;; [unrolled: 1-line block ×3, first 2 shown]
.LBB79_1632:
	s_cbranch_execnz .LBB79_1635
.LBB79_1633:
	s_load_dwordx4 s[8:11], s[2:3], 0x4
	s_load_dwordx4 s[16:19], s[2:3], 0xc4
	s_cmp_lt_u32 s33, 2
	s_waitcnt lgkmcnt(0)
	v_mul_hi_u32 v0, s9, v8
	v_add_u32_e32 v0, v8, v0
	v_lshrrev_b32_e32 v0, s10, v0
	s_waitcnt vmcnt(0)
	v_mul_lo_u32 v1, v0, s8
	v_sub_u32_e32 v1, v8, v1
	v_mul_lo_u32 v6, v1, s16
	v_mul_lo_u32 v21, v1, s17
	;; [unrolled: 1-line block ×3, first 2 shown]
	s_cbranch_scc1 .LBB79_1635
; %bb.1634:
	s_load_dwordx4 s[8:11], s[2:3], 0x10
	s_load_dwordx4 s[16:19], s[2:3], 0xd0
	s_waitcnt lgkmcnt(0)
	v_mul_hi_u32 v1, s9, v0
	v_add_u32_e32 v1, v0, v1
	v_lshrrev_b32_e32 v1, s10, v1
	v_mul_lo_u32 v1, v1, s8
	v_sub_u32_e32 v0, v0, v1
	v_mad_u64_u32 v[6:7], s[6:7], v0, s16, v[6:7]
	v_mad_u64_u32 v[21:22], s[6:7], v0, s17, v[21:22]
	;; [unrolled: 1-line block ×3, first 2 shown]
.LBB79_1635:
	s_and_b64 vcc, exec, s[0:1]
	v_add_u32_e32 v0, 0x80, v8
	s_cbranch_vccnz .LBB79_1641
; %bb.1636:
	s_cmp_lg_u32 s33, 0
	s_cbranch_scc0 .LBB79_1642
; %bb.1637:
	s_min_u32 s8, s70, 15
	s_add_i32 s6, s8, 1
	s_and_b32 s9, s6, 30
	s_add_u32 s6, s2, 0xffffffe8
	s_addc_u32 s7, s3, -1
	v_mov_b32_e32 v15, 0
	v_mov_b32_e32 v17, 0
	s_waitcnt vmcnt(0)
	v_mov_b32_e32 v4, 0
	v_mov_b32_e32 v1, v0
.LBB79_1638:                            ; =>This Inner Loop Header: Depth=1
	s_load_dwordx4 s[16:19], s[6:7], 0x1c
	s_load_dwordx2 s[10:11], s[6:7], 0x2c
	s_load_dwordx2 s[24:25], s[6:7], 0xec
	s_load_dwordx4 s[20:23], s[6:7], 0xdc
	s_add_u32 s6, s6, 24
	s_waitcnt lgkmcnt(0)
	v_mul_hi_u32 v2, s17, v1
	s_addc_u32 s7, s7, 0
	s_add_i32 s9, s9, -2
	s_cmp_lg_u32 s9, 0
	v_add_u32_e32 v2, v1, v2
	v_lshrrev_b32_e32 v2, s18, v2
	v_mul_lo_u32 v3, v2, s16
	v_mul_hi_u32 v5, s10, v2
	v_sub_u32_e32 v3, v1, v3
	v_add_u32_e32 v1, v2, v5
	v_lshrrev_b32_e32 v1, s11, v1
	v_mul_lo_u32 v9, v1, s19
	v_mul_lo_u32 v5, v3, s20
	;; [unrolled: 1-line block ×4, first 2 shown]
	v_sub_u32_e32 v2, v2, v9
	v_mul_lo_u32 v9, v2, s23
	v_mul_lo_u32 v10, v2, s24
	;; [unrolled: 1-line block ×3, first 2 shown]
	v_add3_u32 v4, v5, v4, v9
	v_add3_u32 v17, v7, v17, v10
	;; [unrolled: 1-line block ×3, first 2 shown]
	s_cbranch_scc1 .LBB79_1638
; %bb.1639:
	s_bitcmp1_b32 s8, 0
	s_cselect_b64 s[8:9], -1, 0
	s_and_b64 vcc, exec, s[8:9]
	s_cbranch_vccnz .LBB79_1643
; %bb.1640:
	s_load_dwordx2 s[8:9], s[6:7], 0x1c
	s_load_dword s16, s[6:7], 0x24
	s_load_dwordx2 s[10:11], s[6:7], 0xdc
	s_waitcnt lgkmcnt(0)
	v_mul_hi_u32 v2, s9, v1
	v_add_u32_e32 v2, v1, v2
	v_lshrrev_b32_e32 v2, s16, v2
	v_mul_lo_u32 v2, v2, s8
	s_load_dword s8, s[6:7], 0xe4
	v_sub_u32_e32 v1, v1, v2
	v_mad_u64_u32 v[4:5], s[6:7], v1, s10, v[4:5]
	v_mad_u64_u32 v[17:18], s[6:7], v1, s11, v[17:18]
	s_waitcnt lgkmcnt(0)
	v_mad_u64_u32 v[15:16], s[6:7], v1, s8, v[15:16]
	s_cbranch_execz .LBB79_1644
	s_branch .LBB79_1646
.LBB79_1641:
                                        ; implicit-def: $vgpr4
                                        ; implicit-def: $vgpr17
                                        ; implicit-def: $vgpr15
	s_branch .LBB79_1644
.LBB79_1642:
	s_waitcnt vmcnt(0)
	v_mov_b32_e32 v4, 0
	v_mov_b32_e32 v17, 0
	;; [unrolled: 1-line block ×3, first 2 shown]
.LBB79_1643:
	s_cbranch_execnz .LBB79_1646
.LBB79_1644:
	s_load_dwordx4 s[8:11], s[2:3], 0x4
	s_load_dwordx4 s[16:19], s[2:3], 0xc4
	s_cmp_lt_u32 s33, 2
	s_waitcnt vmcnt(0) lgkmcnt(0)
	v_mul_hi_u32 v1, s9, v0
	v_add_u32_e32 v1, v0, v1
	v_lshrrev_b32_e32 v1, s10, v1
	v_mul_lo_u32 v2, v1, s8
	v_sub_u32_e32 v0, v0, v2
	v_mul_lo_u32 v4, v0, s16
	v_mul_lo_u32 v17, v0, s17
	;; [unrolled: 1-line block ×3, first 2 shown]
	s_cbranch_scc1 .LBB79_1646
; %bb.1645:
	s_load_dwordx4 s[8:11], s[2:3], 0x10
	s_load_dwordx4 s[16:19], s[2:3], 0xd0
	s_waitcnt lgkmcnt(0)
	v_mul_hi_u32 v0, s9, v1
	v_add_u32_e32 v0, v1, v0
	v_lshrrev_b32_e32 v0, s10, v0
	v_mul_lo_u32 v0, v0, s8
	v_sub_u32_e32 v0, v1, v0
	v_mad_u64_u32 v[4:5], s[6:7], v0, s16, v[4:5]
	v_mad_u64_u32 v[17:18], s[6:7], v0, s17, v[17:18]
	;; [unrolled: 1-line block ×3, first 2 shown]
.LBB79_1646:
	s_and_b64 vcc, exec, s[0:1]
	v_add_u32_e32 v0, 0x100, v8
	s_cbranch_vccnz .LBB79_1652
; %bb.1647:
	s_cmp_lg_u32 s33, 0
	s_cbranch_scc0 .LBB79_1653
; %bb.1648:
	s_min_u32 s8, s70, 15
	s_add_i32 s6, s8, 1
	s_and_b32 s9, s6, 30
	s_add_u32 s6, s2, 0xffffffe8
	s_addc_u32 s7, s3, -1
	v_mov_b32_e32 v11, 0
	v_mov_b32_e32 v13, 0
	s_waitcnt vmcnt(0)
	v_mov_b32_e32 v2, 0
	v_mov_b32_e32 v1, v0
.LBB79_1649:                            ; =>This Inner Loop Header: Depth=1
	s_load_dwordx4 s[16:19], s[6:7], 0x1c
	s_load_dwordx2 s[10:11], s[6:7], 0x2c
	s_load_dwordx2 s[24:25], s[6:7], 0xec
	s_load_dwordx4 s[20:23], s[6:7], 0xdc
	s_add_u32 s6, s6, 24
	s_waitcnt lgkmcnt(0)
	v_mul_hi_u32 v3, s17, v1
	s_addc_u32 s7, s7, 0
	s_add_i32 s9, s9, -2
	s_cmp_lg_u32 s9, 0
	v_add_u32_e32 v3, v1, v3
	v_lshrrev_b32_e32 v3, s18, v3
	v_mul_lo_u32 v5, v3, s16
	v_mul_hi_u32 v7, s10, v3
	v_sub_u32_e32 v5, v1, v5
	v_add_u32_e32 v1, v3, v7
	v_lshrrev_b32_e32 v1, s11, v1
	v_mul_lo_u32 v9, v1, s19
	v_mul_lo_u32 v7, v5, s20
	;; [unrolled: 1-line block ×4, first 2 shown]
	v_sub_u32_e32 v3, v3, v9
	v_mul_lo_u32 v9, v3, s23
	v_mul_lo_u32 v10, v3, s24
	v_mul_lo_u32 v3, v3, s25
	v_add3_u32 v2, v7, v2, v9
	v_add3_u32 v13, v8, v13, v10
	;; [unrolled: 1-line block ×3, first 2 shown]
	s_cbranch_scc1 .LBB79_1649
; %bb.1650:
	s_bitcmp1_b32 s8, 0
	s_cselect_b64 s[8:9], -1, 0
	s_and_b64 vcc, exec, s[8:9]
	s_cbranch_vccnz .LBB79_1654
; %bb.1651:
	s_load_dwordx2 s[8:9], s[6:7], 0x1c
	s_load_dword s16, s[6:7], 0x24
	s_load_dwordx2 s[10:11], s[6:7], 0xdc
	s_waitcnt lgkmcnt(0)
	v_mul_hi_u32 v3, s9, v1
	v_add_u32_e32 v3, v1, v3
	v_lshrrev_b32_e32 v3, s16, v3
	v_mul_lo_u32 v3, v3, s8
	s_load_dword s8, s[6:7], 0xe4
	v_sub_u32_e32 v1, v1, v3
	v_mad_u64_u32 v[2:3], s[6:7], v1, s10, v[2:3]
	v_mad_u64_u32 v[13:14], s[6:7], v1, s11, v[13:14]
	s_waitcnt lgkmcnt(0)
	v_mad_u64_u32 v[11:12], s[6:7], v1, s8, v[11:12]
	s_cbranch_execz .LBB79_1655
	s_branch .LBB79_1657
.LBB79_1652:
                                        ; implicit-def: $vgpr2
                                        ; implicit-def: $vgpr13
                                        ; implicit-def: $vgpr11
	s_branch .LBB79_1655
.LBB79_1653:
	s_waitcnt vmcnt(0)
	v_mov_b32_e32 v2, 0
	v_mov_b32_e32 v13, 0
	;; [unrolled: 1-line block ×3, first 2 shown]
.LBB79_1654:
	s_cbranch_execnz .LBB79_1657
.LBB79_1655:
	s_load_dwordx4 s[8:11], s[2:3], 0x4
	s_load_dwordx4 s[16:19], s[2:3], 0xc4
	s_cmp_lt_u32 s33, 2
	s_waitcnt vmcnt(0) lgkmcnt(0)
	v_mul_hi_u32 v1, s9, v0
	v_add_u32_e32 v1, v0, v1
	v_lshrrev_b32_e32 v1, s10, v1
	v_mul_lo_u32 v2, v1, s8
	v_sub_u32_e32 v0, v0, v2
	v_mul_lo_u32 v2, v0, s16
	v_mul_lo_u32 v13, v0, s17
	;; [unrolled: 1-line block ×3, first 2 shown]
	s_cbranch_scc1 .LBB79_1657
; %bb.1656:
	s_load_dwordx4 s[8:11], s[2:3], 0x10
	s_load_dwordx4 s[16:19], s[2:3], 0xd0
	s_waitcnt lgkmcnt(0)
	v_mul_hi_u32 v0, s9, v1
	v_add_u32_e32 v0, v1, v0
	v_lshrrev_b32_e32 v0, s10, v0
	v_mul_lo_u32 v0, v0, s8
	v_sub_u32_e32 v0, v1, v0
	v_mad_u64_u32 v[2:3], s[6:7], v0, s16, v[2:3]
	v_mad_u64_u32 v[13:14], s[6:7], v0, s17, v[13:14]
	;; [unrolled: 1-line block ×3, first 2 shown]
.LBB79_1657:
	s_and_b64 vcc, exec, s[0:1]
	s_cbranch_vccnz .LBB79_1663
; %bb.1658:
	s_cmp_lg_u32 s33, 0
	s_cbranch_scc0 .LBB79_1664
; %bb.1659:
	s_min_u32 s6, s70, 15
	s_add_i32 s0, s6, 1
	s_and_b32 s7, s0, 30
	s_add_u32 s0, s2, 0xffffffe8
	s_addc_u32 s1, s3, -1
	s_waitcnt vmcnt(0)
	v_mov_b32_e32 v7, 0
	v_mov_b32_e32 v9, 0
	;; [unrolled: 1-line block ×4, first 2 shown]
.LBB79_1660:                            ; =>This Inner Loop Header: Depth=1
	s_load_dwordx4 s[8:11], s[0:1], 0x1c
	s_load_dwordx2 s[20:21], s[0:1], 0x2c
	s_load_dwordx2 s[22:23], s[0:1], 0xec
	s_load_dwordx4 s[16:19], s[0:1], 0xdc
	s_add_u32 s0, s0, 24
	s_waitcnt lgkmcnt(0)
	v_mul_hi_u32 v3, s9, v1
	s_addc_u32 s1, s1, 0
	s_add_i32 s7, s7, -2
	s_cmp_lg_u32 s7, 0
	v_add_u32_e32 v3, v1, v3
	v_lshrrev_b32_e32 v3, s10, v3
	v_mul_lo_u32 v5, v3, s8
	v_mul_hi_u32 v8, s20, v3
	v_sub_u32_e32 v5, v1, v5
	v_add_u32_e32 v1, v3, v8
	v_lshrrev_b32_e32 v1, s21, v1
	v_mul_lo_u32 v12, v1, s11
	v_mul_lo_u32 v8, v5, s16
	v_mul_lo_u32 v10, v5, s17
	v_mul_lo_u32 v5, v5, s18
	v_sub_u32_e32 v3, v3, v12
	v_mul_lo_u32 v12, v3, s19
	v_mul_lo_u32 v14, v3, s22
	;; [unrolled: 1-line block ×3, first 2 shown]
	v_add3_u32 v0, v8, v0, v12
	v_add3_u32 v9, v10, v9, v14
	;; [unrolled: 1-line block ×3, first 2 shown]
	s_cbranch_scc1 .LBB79_1660
; %bb.1661:
	s_bitcmp1_b32 s6, 0
	s_cselect_b64 s[6:7], -1, 0
	s_and_b64 vcc, exec, s[6:7]
	s_cbranch_vccnz .LBB79_1665
; %bb.1662:
	s_load_dwordx2 s[6:7], s[0:1], 0x1c
	s_load_dword s10, s[0:1], 0x24
	s_load_dwordx2 s[8:9], s[0:1], 0xdc
	s_waitcnt lgkmcnt(0)
	v_mul_hi_u32 v3, s7, v1
	v_add_u32_e32 v3, v1, v3
	v_lshrrev_b32_e32 v3, s10, v3
	v_mul_lo_u32 v3, v3, s6
	s_load_dword s6, s[0:1], 0xe4
	v_sub_u32_e32 v3, v1, v3
	v_mad_u64_u32 v[0:1], s[0:1], v3, s8, v[0:1]
	v_mad_u64_u32 v[9:10], s[0:1], v3, s9, v[9:10]
	s_waitcnt lgkmcnt(0)
	v_mad_u64_u32 v[7:8], s[0:1], v3, s6, v[7:8]
	s_cbranch_execz .LBB79_1666
	s_branch .LBB79_1668
.LBB79_1663:
                                        ; implicit-def: $vgpr0
                                        ; implicit-def: $vgpr9
                                        ; implicit-def: $vgpr7
	s_branch .LBB79_1666
.LBB79_1664:
	v_mov_b32_e32 v0, 0
	v_mov_b32_e32 v9, 0
	s_waitcnt vmcnt(0)
	v_mov_b32_e32 v7, 0
.LBB79_1665:
	s_cbranch_execnz .LBB79_1668
.LBB79_1666:
	s_load_dwordx4 s[8:11], s[2:3], 0x4
	s_load_dwordx4 s[16:19], s[2:3], 0xc4
	s_cmp_lt_u32 s33, 2
	s_waitcnt lgkmcnt(0)
	v_mul_hi_u32 v0, s9, v23
	v_add_u32_e32 v0, v23, v0
	s_waitcnt vmcnt(0)
	v_lshrrev_b32_e32 v1, s10, v0
	v_mul_lo_u32 v0, v1, s8
	v_sub_u32_e32 v3, v23, v0
	v_mul_lo_u32 v0, v3, s16
	v_mul_lo_u32 v9, v3, s17
	v_mul_lo_u32 v7, v3, s18
	s_cbranch_scc1 .LBB79_1668
; %bb.1667:
	s_load_dwordx4 s[8:11], s[2:3], 0x10
	s_load_dwordx4 s[16:19], s[2:3], 0xd0
	s_waitcnt lgkmcnt(0)
	v_mul_hi_u32 v3, s9, v1
	v_add_u32_e32 v3, v1, v3
	v_lshrrev_b32_e32 v3, s10, v3
	v_mul_lo_u32 v3, v3, s8
	v_sub_u32_e32 v3, v1, v3
	v_mad_u64_u32 v[0:1], s[0:1], v3, s16, v[0:1]
	v_mad_u64_u32 v[9:10], s[0:1], v3, s17, v[9:10]
	;; [unrolled: 1-line block ×3, first 2 shown]
.LBB79_1668:
	s_load_dwordx4 s[8:11], s[2:3], 0x188
	s_load_dword s22, s[4:5], 0x1ac
	s_waitcnt vmcnt(0) lgkmcnt(0)
	v_mov_b32_e32 v1, s11
	s_bfe_u32 s18, s22, 0x80008
	v_add_co_u32_e32 v22, vcc, s10, v21
	s_cmp_lt_i32 s18, 11
	v_addc_co_u32_e32 v23, vcc, 0, v1, vcc
	s_cbranch_scc1 .LBB79_1675
; %bb.1669:
	s_and_b32 s19, 0xffff, s18
	s_cmp_gt_i32 s19, 25
	s_mov_b64 s[6:7], 0
	s_cbranch_scc0 .LBB79_1677
; %bb.1670:
	s_cmp_gt_i32 s19, 28
	s_cbranch_scc0 .LBB79_1678
; %bb.1671:
	s_cmp_gt_i32 s19, 43
	;; [unrolled: 3-line block ×3, first 2 shown]
	s_cbranch_scc0 .LBB79_1680
; %bb.1673:
	s_cmp_eq_u32 s19, 46
	s_mov_b64 s[4:5], 0
	s_cbranch_scc0 .LBB79_1683
; %bb.1674:
	global_load_dword v1, v[22:23], off
	s_mov_b64 s[0:1], 0
	s_mov_b64 s[16:17], -1
	s_waitcnt vmcnt(0)
	v_lshlrev_b32_e32 v1, 16, v1
	v_cvt_i32_f32_e32 v20, v1
	s_branch .LBB79_1684
.LBB79_1675:
	s_mov_b64 s[16:17], 0
                                        ; implicit-def: $vgpr20
	s_mov_b64 s[4:5], s[12:13]
	s_cbranch_execnz .LBB79_1742
.LBB79_1676:
	s_andn2_b64 vcc, exec, s[16:17]
	s_cbranch_vccz .LBB79_1787
	s_branch .LBB79_2723
.LBB79_1677:
	s_mov_b64 s[16:17], 0
	s_mov_b64 s[0:1], 0
                                        ; implicit-def: $vgpr20
	s_cbranch_execnz .LBB79_1709
	s_branch .LBB79_1738
.LBB79_1678:
	s_mov_b64 s[16:17], 0
	s_mov_b64 s[0:1], 0
                                        ; implicit-def: $vgpr20
	s_cbranch_execz .LBB79_1708
	s_branch .LBB79_1693
.LBB79_1679:
	s_mov_b64 s[16:17], 0
	s_mov_b64 s[0:1], 0
                                        ; implicit-def: $vgpr20
	s_cbranch_execnz .LBB79_1689
	s_branch .LBB79_1692
.LBB79_1680:
	s_mov_b64 s[4:5], -1
	s_mov_b64 s[16:17], 0
	s_mov_b64 s[0:1], 0
                                        ; implicit-def: $vgpr20
	s_branch .LBB79_1684
.LBB79_1681:
	s_andn2_saveexec_b64 s[18:19], s[18:19]
	s_cbranch_execz .LBB79_1535
.LBB79_1682:
	v_add_f32_e32 v0, 0x46000000, v1
	v_and_b32_e32 v0, 0xff, v0
	v_cmp_ne_u32_e32 vcc, 0, v0
	s_andn2_b64 s[14:15], s[14:15], exec
	s_and_b64 s[20:21], vcc, exec
	s_or_b64 s[14:15], s[14:15], s[20:21]
	s_or_b64 exec, exec, s[18:19]
	v_mov_b32_e32 v4, 0
	s_and_saveexec_b64 s[18:19], s[14:15]
	s_cbranch_execnz .LBB79_1536
	s_branch .LBB79_1537
.LBB79_1683:
	s_mov_b64 s[0:1], -1
                                        ; implicit-def: $vgpr20
	s_mov_b64 s[16:17], 0
.LBB79_1684:
	s_and_b64 vcc, exec, s[4:5]
	s_cbranch_vccz .LBB79_1687
; %bb.1685:
	s_cmp_eq_u32 s19, 44
	s_cbranch_scc0 .LBB79_1688
; %bb.1686:
	global_load_ubyte v1, v[22:23], off
	s_mov_b64 s[0:1], 0
	s_mov_b64 s[16:17], -1
	s_waitcnt vmcnt(0)
	v_lshlrev_b32_e32 v3, 23, v1
	v_cvt_i32_f32_e32 v3, v3
	v_cmp_ne_u32_e32 vcc, 0, v1
	v_cndmask_b32_e32 v20, 0, v3, vcc
.LBB79_1687:
	s_branch .LBB79_1692
.LBB79_1688:
	s_mov_b64 s[0:1], -1
                                        ; implicit-def: $vgpr20
	s_branch .LBB79_1692
.LBB79_1689:
	s_cmp_eq_u32 s19, 29
	s_cbranch_scc0 .LBB79_1691
; %bb.1690:
	global_load_dwordx2 v[20:21], v[22:23], off
	s_mov_b64 s[0:1], 0
	s_mov_b64 s[16:17], -1
	s_branch .LBB79_1692
.LBB79_1691:
	s_mov_b64 s[0:1], -1
                                        ; implicit-def: $vgpr20
.LBB79_1692:
	s_branch .LBB79_1708
.LBB79_1693:
	s_cmp_lt_i32 s19, 27
	s_cbranch_scc1 .LBB79_1696
; %bb.1694:
	s_cmp_gt_i32 s19, 27
	s_cbranch_scc0 .LBB79_1697
; %bb.1695:
	global_load_dword v20, v[22:23], off
	s_mov_b64 s[4:5], 0
	s_branch .LBB79_1698
.LBB79_1696:
	s_mov_b64 s[4:5], -1
                                        ; implicit-def: $vgpr20
	s_branch .LBB79_1701
.LBB79_1697:
	s_mov_b64 s[4:5], -1
                                        ; implicit-def: $vgpr20
.LBB79_1698:
	s_andn2_b64 vcc, exec, s[4:5]
	s_cbranch_vccnz .LBB79_1700
; %bb.1699:
	global_load_ushort v20, v[22:23], off
.LBB79_1700:
	s_mov_b64 s[4:5], 0
.LBB79_1701:
	s_andn2_b64 vcc, exec, s[4:5]
	s_cbranch_vccnz .LBB79_1707
; %bb.1702:
	global_load_ubyte v1, v[22:23], off
	s_movk_i32 s4, 0x7f
	s_mov_b64 s[16:17], 0
	s_waitcnt vmcnt(0)
	v_cmp_lt_i16_e32 vcc, s4, v1
	s_and_saveexec_b64 s[4:5], vcc
	s_xor_b64 s[4:5], exec, s[4:5]
	s_cbranch_execz .LBB79_1718
; %bb.1703:
	s_movk_i32 s16, 0x80
	v_cmp_ne_u16_e32 vcc, s16, v1
	s_and_b64 s[16:17], vcc, exec
	s_andn2_saveexec_b64 s[4:5], s[4:5]
	s_cbranch_execnz .LBB79_1719
.LBB79_1704:
	s_or_b64 exec, exec, s[4:5]
	v_mov_b32_e32 v20, 0
	s_and_saveexec_b64 s[4:5], s[16:17]
	s_cbranch_execz .LBB79_1706
.LBB79_1705:
	v_lshlrev_b32_e32 v3, 24, v1
	v_and_b32_e32 v1, 0xffff, v1
	v_and_b32_e32 v5, 7, v1
	v_ffbh_u32_e32 v10, v5
	v_min_u32_e32 v10, 32, v10
	v_subrev_u32_e32 v12, 28, v10
	v_bfe_u32 v8, v1, 3, 4
	v_lshlrev_b32_e32 v1, v12, v1
	v_sub_u32_e32 v10, 29, v10
	v_and_b32_e32 v1, 7, v1
	v_cmp_eq_u32_e32 vcc, 0, v8
	v_cndmask_b32_e32 v8, v8, v10, vcc
	v_cndmask_b32_e32 v1, v5, v1, vcc
	v_mov_b32_e32 v5, 0x3b800000
	v_lshlrev_b32_e32 v1, 20, v1
	v_and_b32_e32 v3, 0x80000000, v3
	v_lshl_add_u32 v5, v8, 23, v5
	v_or3_b32 v1, v3, v5, v1
	v_cvt_i32_f32_e32 v20, v1
.LBB79_1706:
	s_or_b64 exec, exec, s[4:5]
.LBB79_1707:
	s_mov_b64 s[16:17], -1
.LBB79_1708:
	s_branch .LBB79_1738
.LBB79_1709:
	s_cmp_gt_i32 s19, 22
	s_cbranch_scc0 .LBB79_1717
; %bb.1710:
	s_cmp_lt_i32 s19, 24
	s_cbranch_scc1 .LBB79_1720
; %bb.1711:
	s_cmp_gt_i32 s19, 24
	s_cbranch_scc0 .LBB79_1721
; %bb.1712:
	global_load_ubyte v1, v[22:23], off
	s_movk_i32 s4, 0x7f
	s_waitcnt vmcnt(0)
	v_cmp_lt_i16_e32 vcc, s4, v1
	s_and_saveexec_b64 s[4:5], vcc
	s_xor_b64 s[4:5], exec, s[4:5]
	s_cbranch_execz .LBB79_1732
; %bb.1713:
	s_movk_i32 s6, 0x80
	v_cmp_ne_u16_e32 vcc, s6, v1
	s_and_b64 s[6:7], vcc, exec
	s_andn2_saveexec_b64 s[4:5], s[4:5]
	s_cbranch_execnz .LBB79_1733
.LBB79_1714:
	s_or_b64 exec, exec, s[4:5]
	v_mov_b32_e32 v20, 0
	s_and_saveexec_b64 s[4:5], s[6:7]
	s_cbranch_execz .LBB79_1716
.LBB79_1715:
	v_lshlrev_b32_e32 v3, 24, v1
	v_and_b32_e32 v1, 0xffff, v1
	v_and_b32_e32 v5, 3, v1
	v_ffbh_u32_e32 v10, v5
	v_min_u32_e32 v10, 32, v10
	v_subrev_u32_e32 v12, 29, v10
	v_bfe_u32 v8, v1, 2, 5
	v_lshlrev_b32_e32 v1, v12, v1
	v_sub_u32_e32 v10, 30, v10
	v_and_b32_e32 v1, 3, v1
	v_cmp_eq_u32_e32 vcc, 0, v8
	v_cndmask_b32_e32 v8, v8, v10, vcc
	v_cndmask_b32_e32 v1, v5, v1, vcc
	v_mov_b32_e32 v5, 0x37800000
	v_lshlrev_b32_e32 v1, 21, v1
	v_and_b32_e32 v3, 0x80000000, v3
	v_lshl_add_u32 v5, v8, 23, v5
	v_or3_b32 v1, v3, v5, v1
	v_cvt_i32_f32_e32 v20, v1
.LBB79_1716:
	s_or_b64 exec, exec, s[4:5]
	s_mov_b64 s[4:5], 0
	s_branch .LBB79_1722
.LBB79_1717:
                                        ; implicit-def: $vgpr20
	s_mov_b64 s[6:7], 0
	s_branch .LBB79_1728
.LBB79_1718:
	s_andn2_saveexec_b64 s[4:5], s[4:5]
	s_cbranch_execz .LBB79_1704
.LBB79_1719:
	v_cmp_ne_u16_e32 vcc, 0, v1
	s_andn2_b64 s[16:17], s[16:17], exec
	s_and_b64 s[20:21], vcc, exec
	s_or_b64 s[16:17], s[16:17], s[20:21]
	s_or_b64 exec, exec, s[4:5]
	v_mov_b32_e32 v20, 0
	s_and_saveexec_b64 s[4:5], s[16:17]
	s_cbranch_execnz .LBB79_1705
	s_branch .LBB79_1706
.LBB79_1720:
	s_mov_b64 s[4:5], -1
                                        ; implicit-def: $vgpr20
	s_branch .LBB79_1725
.LBB79_1721:
	s_mov_b64 s[4:5], -1
                                        ; implicit-def: $vgpr20
.LBB79_1722:
	s_and_b64 vcc, exec, s[4:5]
	s_cbranch_vccz .LBB79_1724
; %bb.1723:
	global_load_ubyte v1, v[22:23], off
	s_mov_b32 s4, 0x7f800000
	s_waitcnt vmcnt(0)
	v_lshlrev_b32_e32 v1, 24, v1
	v_and_b32_e32 v3, 0x7f000000, v1
	v_ffbh_u32_e32 v5, v3
	v_min_u32_e32 v5, 32, v5
	v_sub_u32_e64 v5, v5, 4 clamp
	v_lshlrev_b32_e32 v10, v5, v3
	v_lshlrev_b32_e32 v5, 23, v5
	v_lshrrev_b32_e32 v10, 4, v10
	v_add_u32_e32 v8, 0x1000000, v3
	v_sub_u32_e32 v5, v10, v5
	v_ashrrev_i32_e32 v8, 8, v8
	v_add_u32_e32 v5, 0x3c000000, v5
	v_and_or_b32 v5, v8, s4, v5
	v_cmp_ne_u32_e32 vcc, 0, v3
	v_cndmask_b32_e32 v3, 0, v5, vcc
	s_brev_b32 s4, 1
	v_and_or_b32 v1, v1, s4, v3
	v_cvt_i32_f32_e32 v20, v1
.LBB79_1724:
	s_mov_b64 s[4:5], 0
.LBB79_1725:
	s_andn2_b64 vcc, exec, s[4:5]
	s_cbranch_vccnz .LBB79_1727
; %bb.1726:
	global_load_ubyte v1, v[22:23], off
	s_movk_i32 s4, 0x7f00
	s_brev_b32 s5, 16
	s_waitcnt vmcnt(0)
	v_lshlrev_b16_e32 v3, 8, v1
	v_lshlrev_b32_e32 v1, 25, v1
	v_lshrrev_b32_e32 v5, 4, v1
	v_and_or_b32 v8, v3, s4, 0.5
	v_or_b32_e32 v5, 0x70000000, v5
	v_add_f32_e32 v8, -0.5, v8
	v_mul_f32_e32 v5, 0x7800000, v5
	v_cmp_gt_u32_e32 vcc, s5, v1
	v_bfe_i32 v3, v3, 0, 16
	v_cndmask_b32_e32 v1, v5, v8, vcc
	s_brev_b32 s4, 1
	v_and_or_b32 v1, v3, s4, v1
	v_cvt_i32_f32_e32 v20, v1
.LBB79_1727:
	s_mov_b64 s[16:17], -1
	s_mov_b64 s[6:7], 0
	s_cbranch_execnz .LBB79_1738
.LBB79_1728:
	s_cmp_gt_i32 s19, 14
	s_cbranch_scc0 .LBB79_1731
; %bb.1729:
	s_cmp_eq_u32 s19, 15
	s_cbranch_scc0 .LBB79_1734
; %bb.1730:
	global_load_ushort v1, v[22:23], off
	s_mov_b64 s[0:1], 0
	s_mov_b64 s[16:17], -1
	s_waitcnt vmcnt(0)
	v_lshlrev_b32_e32 v1, 16, v1
	v_cvt_i32_f32_e32 v20, v1
	s_branch .LBB79_1735
.LBB79_1731:
	s_mov_b64 s[4:5], -1
                                        ; implicit-def: $vgpr20
	s_branch .LBB79_1736
.LBB79_1732:
	s_andn2_saveexec_b64 s[4:5], s[4:5]
	s_cbranch_execz .LBB79_1714
.LBB79_1733:
	v_cmp_ne_u16_e32 vcc, 0, v1
	s_andn2_b64 s[6:7], s[6:7], exec
	s_and_b64 s[16:17], vcc, exec
	s_or_b64 s[6:7], s[6:7], s[16:17]
	s_or_b64 exec, exec, s[4:5]
	v_mov_b32_e32 v20, 0
	s_and_saveexec_b64 s[4:5], s[6:7]
	s_cbranch_execnz .LBB79_1715
	s_branch .LBB79_1716
.LBB79_1734:
	s_mov_b64 s[0:1], -1
                                        ; implicit-def: $vgpr20
.LBB79_1735:
	s_mov_b64 s[4:5], 0
.LBB79_1736:
	s_and_b64 vcc, exec, s[4:5]
	s_cbranch_vccz .LBB79_1738
; %bb.1737:
	s_cmp_lg_u32 s19, 11
	s_mov_b64 s[6:7], -1
	s_cselect_b64 s[0:1], -1, 0
.LBB79_1738:
	s_and_b64 vcc, exec, s[0:1]
	s_mov_b64 s[4:5], s[12:13]
	s_cbranch_vccnz .LBB79_1799
; %bb.1739:
	s_andn2_b64 vcc, exec, s[6:7]
	s_cbranch_vccnz .LBB79_1741
.LBB79_1740:
	global_load_ubyte v1, v[22:23], off
	s_mov_b64 s[16:17], -1
	s_waitcnt vmcnt(0)
	v_cmp_ne_u16_e32 vcc, 0, v1
	v_cndmask_b32_e64 v20, 0, 1, vcc
.LBB79_1741:
	s_branch .LBB79_1676
.LBB79_1742:
	s_and_b32 s6, 0xffff, s18
	s_cmp_lt_i32 s6, 5
	s_cbranch_scc1 .LBB79_1747
; %bb.1743:
	s_cmp_lt_i32 s6, 8
	s_cbranch_scc1 .LBB79_1748
; %bb.1744:
	s_cmp_lt_i32 s6, 9
	s_cbranch_scc1 .LBB79_1749
; %bb.1745:
	s_cmp_gt_i32 s6, 9
	s_cbranch_scc0 .LBB79_1750
; %bb.1746:
	global_load_dwordx2 v[20:21], v[22:23], off
	s_mov_b64 s[0:1], 0
	s_waitcnt vmcnt(0)
	v_cvt_i32_f64_e32 v20, v[20:21]
	s_branch .LBB79_1751
.LBB79_1747:
                                        ; implicit-def: $vgpr20
	s_branch .LBB79_1768
.LBB79_1748:
                                        ; implicit-def: $vgpr20
	s_branch .LBB79_1757
.LBB79_1749:
	s_mov_b64 s[0:1], -1
                                        ; implicit-def: $vgpr20
	s_branch .LBB79_1754
.LBB79_1750:
	s_mov_b64 s[0:1], -1
                                        ; implicit-def: $vgpr20
.LBB79_1751:
	s_andn2_b64 vcc, exec, s[0:1]
	s_cbranch_vccnz .LBB79_1753
; %bb.1752:
	global_load_dword v1, v[22:23], off
	s_waitcnt vmcnt(0)
	v_cvt_i32_f32_e32 v20, v1
.LBB79_1753:
	s_mov_b64 s[0:1], 0
.LBB79_1754:
	s_andn2_b64 vcc, exec, s[0:1]
	s_cbranch_vccnz .LBB79_1756
; %bb.1755:
	global_load_dword v1, v[22:23], off
	s_waitcnt vmcnt(0)
	v_cvt_i16_f16_e32 v20, v1
.LBB79_1756:
	s_cbranch_execnz .LBB79_1767
.LBB79_1757:
	s_cmp_lt_i32 s6, 6
	s_cbranch_scc1 .LBB79_1760
; %bb.1758:
	s_cmp_gt_i32 s6, 6
	s_cbranch_scc0 .LBB79_1761
; %bb.1759:
	global_load_dwordx2 v[20:21], v[22:23], off
	s_mov_b64 s[0:1], 0
	s_waitcnt vmcnt(0)
	v_cvt_i32_f64_e32 v20, v[20:21]
	s_branch .LBB79_1762
.LBB79_1760:
	s_mov_b64 s[0:1], -1
                                        ; implicit-def: $vgpr20
	s_branch .LBB79_1765
.LBB79_1761:
	s_mov_b64 s[0:1], -1
                                        ; implicit-def: $vgpr20
.LBB79_1762:
	s_andn2_b64 vcc, exec, s[0:1]
	s_cbranch_vccnz .LBB79_1764
; %bb.1763:
	global_load_dword v1, v[22:23], off
	s_waitcnt vmcnt(0)
	v_cvt_i32_f32_e32 v20, v1
.LBB79_1764:
	s_mov_b64 s[0:1], 0
.LBB79_1765:
	s_andn2_b64 vcc, exec, s[0:1]
	s_cbranch_vccnz .LBB79_1767
; %bb.1766:
	global_load_ushort v1, v[22:23], off
	s_waitcnt vmcnt(0)
	v_cvt_i16_f16_e32 v20, v1
.LBB79_1767:
	s_cbranch_execnz .LBB79_1786
.LBB79_1768:
	s_cmp_lt_i32 s6, 2
	s_cbranch_scc1 .LBB79_1772
; %bb.1769:
	s_cmp_lt_i32 s6, 3
	s_cbranch_scc1 .LBB79_1773
; %bb.1770:
	s_cmp_gt_i32 s6, 3
	s_cbranch_scc0 .LBB79_1774
; %bb.1771:
	global_load_dwordx2 v[20:21], v[22:23], off
	s_mov_b64 s[0:1], 0
	s_branch .LBB79_1775
.LBB79_1772:
                                        ; implicit-def: $vgpr20
	s_branch .LBB79_1781
.LBB79_1773:
	s_mov_b64 s[0:1], -1
                                        ; implicit-def: $vgpr20
	s_branch .LBB79_1778
.LBB79_1774:
	s_mov_b64 s[0:1], -1
                                        ; implicit-def: $vgpr20
.LBB79_1775:
	s_andn2_b64 vcc, exec, s[0:1]
	s_cbranch_vccnz .LBB79_1777
; %bb.1776:
	global_load_dword v20, v[22:23], off
.LBB79_1777:
	s_mov_b64 s[0:1], 0
.LBB79_1778:
	s_andn2_b64 vcc, exec, s[0:1]
	s_cbranch_vccnz .LBB79_1780
; %bb.1779:
	global_load_ushort v20, v[22:23], off
.LBB79_1780:
	s_cbranch_execnz .LBB79_1786
.LBB79_1781:
	s_cmp_gt_i32 s6, 0
	s_cbranch_scc0 .LBB79_1783
; %bb.1782:
	global_load_sbyte v20, v[22:23], off
	s_mov_b64 s[0:1], 0
	s_branch .LBB79_1784
.LBB79_1783:
	s_mov_b64 s[0:1], -1
                                        ; implicit-def: $vgpr20
.LBB79_1784:
	s_andn2_b64 vcc, exec, s[0:1]
	s_cbranch_vccnz .LBB79_1786
; %bb.1785:
	global_load_ubyte v20, v[22:23], off
.LBB79_1786:
.LBB79_1787:
	s_load_dwordx2 s[0:1], s[2:3], 0x198
	s_bfe_u32 s23, s22, 0x80010
	s_cmp_lt_i32 s23, 11
	s_waitcnt lgkmcnt(0)
	v_mov_b32_e32 v1, s1
	v_add_co_u32_e32 v18, vcc, s0, v19
	v_addc_co_u32_e32 v19, vcc, 0, v1, vcc
	s_cbranch_scc1 .LBB79_1794
; %bb.1788:
	s_and_b32 s24, 0xffff, s23
	s_cmp_gt_i32 s24, 25
	s_mov_b64 s[16:17], 0
	s_cbranch_scc0 .LBB79_1796
; %bb.1789:
	s_cmp_gt_i32 s24, 28
	s_cbranch_scc0 .LBB79_1797
; %bb.1790:
	s_cmp_gt_i32 s24, 43
	;; [unrolled: 3-line block ×3, first 2 shown]
	s_cbranch_scc0 .LBB79_1800
; %bb.1792:
	s_cmp_eq_u32 s24, 46
	s_mov_b64 s[20:21], 0
	s_cbranch_scc0 .LBB79_1803
; %bb.1793:
	global_load_dword v1, v[18:19], off
	s_mov_b64 s[6:7], 0
	s_mov_b64 s[18:19], -1
	s_waitcnt vmcnt(0)
	v_lshlrev_b32_e32 v1, 16, v1
	v_cvt_i32_f32_e32 v21, v1
	s_branch .LBB79_1804
.LBB79_1794:
	s_mov_b64 s[18:19], 0
                                        ; implicit-def: $vgpr21
	s_cbranch_execnz .LBB79_1865
.LBB79_1795:
	s_andn2_b64 vcc, exec, s[18:19]
	s_cbranch_vccnz .LBB79_2723
	s_branch .LBB79_1912
.LBB79_1796:
	s_mov_b64 s[18:19], 0
	s_mov_b64 s[6:7], 0
                                        ; implicit-def: $vgpr21
	s_cbranch_execnz .LBB79_1831
	s_branch .LBB79_1861
.LBB79_1797:
	s_mov_b64 s[20:21], -1
	s_mov_b64 s[18:19], 0
	s_mov_b64 s[6:7], 0
                                        ; implicit-def: $vgpr21
	s_branch .LBB79_1814
.LBB79_1798:
	s_mov_b64 s[20:21], -1
	s_mov_b64 s[18:19], 0
	s_mov_b64 s[6:7], 0
                                        ; implicit-def: $vgpr21
	s_branch .LBB79_1809
.LBB79_1799:
	s_or_b64 s[4:5], s[12:13], exec
	s_trap 2
	s_cbranch_execz .LBB79_1740
	s_branch .LBB79_1741
.LBB79_1800:
	s_mov_b64 s[20:21], -1
	s_mov_b64 s[18:19], 0
	s_mov_b64 s[6:7], 0
                                        ; implicit-def: $vgpr21
	s_branch .LBB79_1804
.LBB79_1801:
	s_andn2_saveexec_b64 s[20:21], s[20:21]
	s_cbranch_execz .LBB79_1547
.LBB79_1802:
	v_add_f32_e32 v0, 0x42800000, v1
	v_and_b32_e32 v0, 0xff, v0
	v_cmp_ne_u32_e32 vcc, 0, v0
	s_andn2_b64 s[18:19], s[18:19], exec
	s_and_b64 s[30:31], vcc, exec
	s_or_b64 s[18:19], s[18:19], s[30:31]
	s_or_b64 exec, exec, s[20:21]
	v_mov_b32_e32 v4, 0
	s_and_saveexec_b64 s[20:21], s[18:19]
	s_cbranch_execnz .LBB79_1548
	s_branch .LBB79_1549
.LBB79_1803:
	s_mov_b64 s[6:7], -1
                                        ; implicit-def: $vgpr21
	s_mov_b64 s[18:19], 0
.LBB79_1804:
	s_and_b64 vcc, exec, s[20:21]
	s_cbranch_vccz .LBB79_1808
; %bb.1805:
	s_cmp_eq_u32 s24, 44
	s_cbranch_scc0 .LBB79_1807
; %bb.1806:
	global_load_ubyte v1, v[18:19], off
	s_mov_b64 s[6:7], 0
	s_mov_b64 s[18:19], -1
	s_waitcnt vmcnt(0)
	v_lshlrev_b32_e32 v3, 23, v1
	v_cvt_i32_f32_e32 v3, v3
	v_cmp_ne_u32_e32 vcc, 0, v1
	v_cndmask_b32_e32 v21, 0, v3, vcc
	s_branch .LBB79_1808
.LBB79_1807:
	s_mov_b64 s[6:7], -1
                                        ; implicit-def: $vgpr21
.LBB79_1808:
	s_mov_b64 s[20:21], 0
.LBB79_1809:
	s_and_b64 vcc, exec, s[20:21]
	s_cbranch_vccz .LBB79_1813
; %bb.1810:
	s_cmp_eq_u32 s24, 29
	s_cbranch_scc0 .LBB79_1812
; %bb.1811:
	global_load_dwordx2 v[21:22], v[18:19], off
	s_mov_b64 s[6:7], 0
	s_mov_b64 s[18:19], -1
	s_branch .LBB79_1813
.LBB79_1812:
	s_mov_b64 s[6:7], -1
                                        ; implicit-def: $vgpr21
.LBB79_1813:
	s_mov_b64 s[20:21], 0
.LBB79_1814:
	s_and_b64 vcc, exec, s[20:21]
	s_cbranch_vccz .LBB79_1830
; %bb.1815:
	s_cmp_lt_i32 s24, 27
	s_cbranch_scc1 .LBB79_1818
; %bb.1816:
	s_cmp_gt_i32 s24, 27
	s_cbranch_scc0 .LBB79_1819
; %bb.1817:
	global_load_dword v21, v[18:19], off
	s_mov_b64 s[18:19], 0
	s_branch .LBB79_1820
.LBB79_1818:
	s_mov_b64 s[18:19], -1
                                        ; implicit-def: $vgpr21
	s_branch .LBB79_1823
.LBB79_1819:
	s_mov_b64 s[18:19], -1
                                        ; implicit-def: $vgpr21
.LBB79_1820:
	s_andn2_b64 vcc, exec, s[18:19]
	s_cbranch_vccnz .LBB79_1822
; %bb.1821:
	global_load_ushort v21, v[18:19], off
.LBB79_1822:
	s_mov_b64 s[18:19], 0
.LBB79_1823:
	s_andn2_b64 vcc, exec, s[18:19]
	s_cbranch_vccnz .LBB79_1829
; %bb.1824:
	global_load_ubyte v1, v[18:19], off
	s_movk_i32 s18, 0x7f
	s_mov_b64 s[20:21], 0
	s_waitcnt vmcnt(0)
	v_cmp_lt_i16_e32 vcc, s18, v1
	s_and_saveexec_b64 s[18:19], vcc
	s_xor_b64 s[18:19], exec, s[18:19]
	s_cbranch_execz .LBB79_1840
; %bb.1825:
	s_movk_i32 s20, 0x80
	v_cmp_ne_u16_e32 vcc, s20, v1
	s_and_b64 s[20:21], vcc, exec
	s_andn2_saveexec_b64 s[18:19], s[18:19]
	s_cbranch_execnz .LBB79_1841
.LBB79_1826:
	s_or_b64 exec, exec, s[18:19]
	v_mov_b32_e32 v21, 0
	s_and_saveexec_b64 s[18:19], s[20:21]
	s_cbranch_execz .LBB79_1828
.LBB79_1827:
	v_lshlrev_b32_e32 v3, 24, v1
	v_and_b32_e32 v1, 0xffff, v1
	v_and_b32_e32 v5, 7, v1
	v_ffbh_u32_e32 v10, v5
	v_min_u32_e32 v10, 32, v10
	v_subrev_u32_e32 v12, 28, v10
	v_bfe_u32 v8, v1, 3, 4
	v_lshlrev_b32_e32 v1, v12, v1
	v_sub_u32_e32 v10, 29, v10
	v_and_b32_e32 v1, 7, v1
	v_cmp_eq_u32_e32 vcc, 0, v8
	v_cndmask_b32_e32 v8, v8, v10, vcc
	v_cndmask_b32_e32 v1, v5, v1, vcc
	v_mov_b32_e32 v5, 0x3b800000
	v_lshlrev_b32_e32 v1, 20, v1
	v_and_b32_e32 v3, 0x80000000, v3
	v_lshl_add_u32 v5, v8, 23, v5
	v_or3_b32 v1, v3, v5, v1
	v_cvt_i32_f32_e32 v21, v1
.LBB79_1828:
	s_or_b64 exec, exec, s[18:19]
.LBB79_1829:
	s_mov_b64 s[18:19], -1
.LBB79_1830:
	s_branch .LBB79_1861
.LBB79_1831:
	s_cmp_gt_i32 s24, 22
	s_cbranch_scc0 .LBB79_1839
; %bb.1832:
	s_cmp_lt_i32 s24, 24
	s_cbranch_scc1 .LBB79_1842
; %bb.1833:
	s_cmp_gt_i32 s24, 24
	s_cbranch_scc0 .LBB79_1843
; %bb.1834:
	global_load_ubyte v1, v[18:19], off
	s_movk_i32 s16, 0x7f
	s_mov_b64 s[18:19], 0
	s_waitcnt vmcnt(0)
	v_cmp_lt_i16_e32 vcc, s16, v1
	s_and_saveexec_b64 s[16:17], vcc
	s_xor_b64 s[16:17], exec, s[16:17]
	s_cbranch_execz .LBB79_1855
; %bb.1835:
	s_movk_i32 s18, 0x80
	v_cmp_ne_u16_e32 vcc, s18, v1
	s_and_b64 s[18:19], vcc, exec
	s_andn2_saveexec_b64 s[16:17], s[16:17]
	s_cbranch_execnz .LBB79_1856
.LBB79_1836:
	s_or_b64 exec, exec, s[16:17]
	v_mov_b32_e32 v21, 0
	s_and_saveexec_b64 s[16:17], s[18:19]
	s_cbranch_execz .LBB79_1838
.LBB79_1837:
	v_lshlrev_b32_e32 v3, 24, v1
	v_and_b32_e32 v1, 0xffff, v1
	v_and_b32_e32 v5, 3, v1
	v_ffbh_u32_e32 v10, v5
	v_min_u32_e32 v10, 32, v10
	v_subrev_u32_e32 v12, 29, v10
	v_bfe_u32 v8, v1, 2, 5
	v_lshlrev_b32_e32 v1, v12, v1
	v_sub_u32_e32 v10, 30, v10
	v_and_b32_e32 v1, 3, v1
	v_cmp_eq_u32_e32 vcc, 0, v8
	v_cndmask_b32_e32 v8, v8, v10, vcc
	v_cndmask_b32_e32 v1, v5, v1, vcc
	v_mov_b32_e32 v5, 0x37800000
	v_lshlrev_b32_e32 v1, 21, v1
	v_and_b32_e32 v3, 0x80000000, v3
	v_lshl_add_u32 v5, v8, 23, v5
	v_or3_b32 v1, v3, v5, v1
	v_cvt_i32_f32_e32 v21, v1
.LBB79_1838:
	s_or_b64 exec, exec, s[16:17]
	s_mov_b64 s[16:17], 0
	s_branch .LBB79_1844
.LBB79_1839:
	s_mov_b64 s[16:17], -1
                                        ; implicit-def: $vgpr21
	s_branch .LBB79_1850
.LBB79_1840:
	s_andn2_saveexec_b64 s[18:19], s[18:19]
	s_cbranch_execz .LBB79_1826
.LBB79_1841:
	v_cmp_ne_u16_e32 vcc, 0, v1
	s_andn2_b64 s[20:21], s[20:21], exec
	s_and_b64 s[26:27], vcc, exec
	s_or_b64 s[20:21], s[20:21], s[26:27]
	s_or_b64 exec, exec, s[18:19]
	v_mov_b32_e32 v21, 0
	s_and_saveexec_b64 s[18:19], s[20:21]
	s_cbranch_execnz .LBB79_1827
	s_branch .LBB79_1828
.LBB79_1842:
	s_mov_b64 s[16:17], -1
                                        ; implicit-def: $vgpr21
	s_branch .LBB79_1847
.LBB79_1843:
	s_mov_b64 s[16:17], -1
                                        ; implicit-def: $vgpr21
.LBB79_1844:
	s_and_b64 vcc, exec, s[16:17]
	s_cbranch_vccz .LBB79_1846
; %bb.1845:
	global_load_ubyte v1, v[18:19], off
	s_mov_b32 s16, 0x7f800000
	s_waitcnt vmcnt(0)
	v_lshlrev_b32_e32 v1, 24, v1
	v_and_b32_e32 v3, 0x7f000000, v1
	v_ffbh_u32_e32 v5, v3
	v_min_u32_e32 v5, 32, v5
	v_sub_u32_e64 v5, v5, 4 clamp
	v_lshlrev_b32_e32 v10, v5, v3
	v_lshlrev_b32_e32 v5, 23, v5
	v_lshrrev_b32_e32 v10, 4, v10
	v_add_u32_e32 v8, 0x1000000, v3
	v_sub_u32_e32 v5, v10, v5
	v_ashrrev_i32_e32 v8, 8, v8
	v_add_u32_e32 v5, 0x3c000000, v5
	v_and_or_b32 v5, v8, s16, v5
	v_cmp_ne_u32_e32 vcc, 0, v3
	v_cndmask_b32_e32 v3, 0, v5, vcc
	s_brev_b32 s16, 1
	v_and_or_b32 v1, v1, s16, v3
	v_cvt_i32_f32_e32 v21, v1
.LBB79_1846:
	s_mov_b64 s[16:17], 0
.LBB79_1847:
	s_andn2_b64 vcc, exec, s[16:17]
	s_cbranch_vccnz .LBB79_1849
; %bb.1848:
	global_load_ubyte v1, v[18:19], off
	s_movk_i32 s16, 0x7f00
	s_brev_b32 s17, 16
	s_waitcnt vmcnt(0)
	v_lshlrev_b16_e32 v3, 8, v1
	v_lshlrev_b32_e32 v1, 25, v1
	v_lshrrev_b32_e32 v5, 4, v1
	v_and_or_b32 v8, v3, s16, 0.5
	v_or_b32_e32 v5, 0x70000000, v5
	v_add_f32_e32 v8, -0.5, v8
	v_mul_f32_e32 v5, 0x7800000, v5
	v_cmp_gt_u32_e32 vcc, s17, v1
	v_bfe_i32 v3, v3, 0, 16
	v_cndmask_b32_e32 v1, v5, v8, vcc
	s_brev_b32 s16, 1
	v_and_or_b32 v1, v3, s16, v1
	v_cvt_i32_f32_e32 v21, v1
.LBB79_1849:
	s_mov_b64 s[16:17], 0
	s_mov_b64 s[18:19], -1
.LBB79_1850:
	s_andn2_b64 vcc, exec, s[16:17]
	s_mov_b64 s[16:17], 0
	s_cbranch_vccnz .LBB79_1861
; %bb.1851:
	s_cmp_gt_i32 s24, 14
	s_cbranch_scc0 .LBB79_1854
; %bb.1852:
	s_cmp_eq_u32 s24, 15
	s_cbranch_scc0 .LBB79_1857
; %bb.1853:
	global_load_ushort v1, v[18:19], off
	s_mov_b64 s[6:7], 0
	s_mov_b64 s[18:19], -1
	s_waitcnt vmcnt(0)
	v_lshlrev_b32_e32 v1, 16, v1
	v_cvt_i32_f32_e32 v21, v1
	s_branch .LBB79_1858
.LBB79_1854:
	s_mov_b64 s[20:21], -1
                                        ; implicit-def: $vgpr21
	s_branch .LBB79_1859
.LBB79_1855:
	s_andn2_saveexec_b64 s[16:17], s[16:17]
	s_cbranch_execz .LBB79_1836
.LBB79_1856:
	v_cmp_ne_u16_e32 vcc, 0, v1
	s_andn2_b64 s[18:19], s[18:19], exec
	s_and_b64 s[20:21], vcc, exec
	s_or_b64 s[18:19], s[18:19], s[20:21]
	s_or_b64 exec, exec, s[16:17]
	v_mov_b32_e32 v21, 0
	s_and_saveexec_b64 s[16:17], s[18:19]
	s_cbranch_execnz .LBB79_1837
	s_branch .LBB79_1838
.LBB79_1857:
	s_mov_b64 s[6:7], -1
                                        ; implicit-def: $vgpr21
.LBB79_1858:
	s_mov_b64 s[20:21], 0
.LBB79_1859:
	s_and_b64 vcc, exec, s[20:21]
	s_cbranch_vccz .LBB79_1861
; %bb.1860:
	s_cmp_lg_u32 s24, 11
	s_mov_b64 s[16:17], -1
	s_cselect_b64 s[6:7], -1, 0
.LBB79_1861:
	s_and_b64 vcc, exec, s[6:7]
	s_cbranch_vccnz .LBB79_1940
; %bb.1862:
	s_andn2_b64 vcc, exec, s[16:17]
	s_cbranch_vccnz .LBB79_1864
.LBB79_1863:
	global_load_ubyte v1, v[18:19], off
	s_mov_b64 s[18:19], -1
	s_waitcnt vmcnt(0)
	v_cmp_ne_u16_e32 vcc, 0, v1
	v_cndmask_b32_e64 v21, 0, 1, vcc
.LBB79_1864:
	s_branch .LBB79_1795
.LBB79_1865:
	s_and_b32 s16, 0xffff, s23
	s_cmp_lt_i32 s16, 5
	s_cbranch_scc1 .LBB79_1870
; %bb.1866:
	s_cmp_lt_i32 s16, 8
	s_cbranch_scc1 .LBB79_1871
; %bb.1867:
	;; [unrolled: 3-line block ×3, first 2 shown]
	s_cmp_gt_i32 s16, 9
	s_cbranch_scc0 .LBB79_1873
; %bb.1869:
	global_load_dwordx2 v[21:22], v[18:19], off
	s_mov_b64 s[6:7], 0
	s_waitcnt vmcnt(0)
	v_cvt_i32_f64_e32 v21, v[21:22]
	s_branch .LBB79_1874
.LBB79_1870:
                                        ; implicit-def: $vgpr21
	s_branch .LBB79_1892
.LBB79_1871:
	s_mov_b64 s[6:7], -1
                                        ; implicit-def: $vgpr21
	s_branch .LBB79_1880
.LBB79_1872:
	s_mov_b64 s[6:7], -1
                                        ; implicit-def: $vgpr21
	s_branch .LBB79_1877
.LBB79_1873:
	s_mov_b64 s[6:7], -1
                                        ; implicit-def: $vgpr21
.LBB79_1874:
	s_andn2_b64 vcc, exec, s[6:7]
	s_cbranch_vccnz .LBB79_1876
; %bb.1875:
	global_load_dword v1, v[18:19], off
	s_waitcnt vmcnt(0)
	v_cvt_i32_f32_e32 v21, v1
.LBB79_1876:
	s_mov_b64 s[6:7], 0
.LBB79_1877:
	s_andn2_b64 vcc, exec, s[6:7]
	s_cbranch_vccnz .LBB79_1879
; %bb.1878:
	global_load_dword v1, v[18:19], off
	s_waitcnt vmcnt(0)
	v_cvt_i16_f16_e32 v21, v1
.LBB79_1879:
	s_mov_b64 s[6:7], 0
.LBB79_1880:
	s_andn2_b64 vcc, exec, s[6:7]
	s_cbranch_vccnz .LBB79_1891
; %bb.1881:
	s_cmp_lt_i32 s16, 6
	s_cbranch_scc1 .LBB79_1884
; %bb.1882:
	s_cmp_gt_i32 s16, 6
	s_cbranch_scc0 .LBB79_1885
; %bb.1883:
	global_load_dwordx2 v[21:22], v[18:19], off
	s_mov_b64 s[6:7], 0
	s_waitcnt vmcnt(0)
	v_cvt_i32_f64_e32 v21, v[21:22]
	s_branch .LBB79_1886
.LBB79_1884:
	s_mov_b64 s[6:7], -1
                                        ; implicit-def: $vgpr21
	s_branch .LBB79_1889
.LBB79_1885:
	s_mov_b64 s[6:7], -1
                                        ; implicit-def: $vgpr21
.LBB79_1886:
	s_andn2_b64 vcc, exec, s[6:7]
	s_cbranch_vccnz .LBB79_1888
; %bb.1887:
	global_load_dword v1, v[18:19], off
	s_waitcnt vmcnt(0)
	v_cvt_i32_f32_e32 v21, v1
.LBB79_1888:
	s_mov_b64 s[6:7], 0
.LBB79_1889:
	s_andn2_b64 vcc, exec, s[6:7]
	s_cbranch_vccnz .LBB79_1891
; %bb.1890:
	global_load_ushort v1, v[18:19], off
	s_waitcnt vmcnt(0)
	v_cvt_i16_f16_e32 v21, v1
.LBB79_1891:
	s_cbranch_execnz .LBB79_1911
.LBB79_1892:
	s_cmp_lt_i32 s16, 2
	s_cbranch_scc1 .LBB79_1896
; %bb.1893:
	s_cmp_lt_i32 s16, 3
	s_cbranch_scc1 .LBB79_1897
; %bb.1894:
	s_cmp_gt_i32 s16, 3
	s_cbranch_scc0 .LBB79_1898
; %bb.1895:
	global_load_dwordx2 v[21:22], v[18:19], off
	s_mov_b64 s[6:7], 0
	s_branch .LBB79_1899
.LBB79_1896:
	s_mov_b64 s[6:7], -1
                                        ; implicit-def: $vgpr21
	s_branch .LBB79_1905
.LBB79_1897:
	s_mov_b64 s[6:7], -1
                                        ; implicit-def: $vgpr21
	s_branch .LBB79_1902
.LBB79_1898:
	s_mov_b64 s[6:7], -1
                                        ; implicit-def: $vgpr21
.LBB79_1899:
	s_andn2_b64 vcc, exec, s[6:7]
	s_cbranch_vccnz .LBB79_1901
; %bb.1900:
	global_load_dword v21, v[18:19], off
.LBB79_1901:
	s_mov_b64 s[6:7], 0
.LBB79_1902:
	s_andn2_b64 vcc, exec, s[6:7]
	s_cbranch_vccnz .LBB79_1904
; %bb.1903:
	global_load_ushort v21, v[18:19], off
.LBB79_1904:
	s_mov_b64 s[6:7], 0
.LBB79_1905:
	s_andn2_b64 vcc, exec, s[6:7]
	s_cbranch_vccnz .LBB79_1911
; %bb.1906:
	s_cmp_gt_i32 s16, 0
	s_cbranch_scc0 .LBB79_1908
; %bb.1907:
	global_load_sbyte v21, v[18:19], off
	s_mov_b64 s[6:7], 0
	s_branch .LBB79_1909
.LBB79_1908:
	s_mov_b64 s[6:7], -1
                                        ; implicit-def: $vgpr21
.LBB79_1909:
	s_andn2_b64 vcc, exec, s[6:7]
	s_cbranch_vccnz .LBB79_1911
; %bb.1910:
	global_load_ubyte v21, v[18:19], off
.LBB79_1911:
.LBB79_1912:
	s_load_dword s26, s[2:3], 0x1a0
	s_mov_b64 s[16:17], 0
	s_waitcnt lgkmcnt(0)
	s_cmp_lt_i32 s26, 1
	s_cbranch_scc1 .LBB79_1916
; %bb.1913:
	s_cmp_gt_i32 s26, 1
	s_cbranch_scc0 .LBB79_1917
; %bb.1914:
	s_cmp_eq_u32 s26, 2
	s_cbranch_scc0 .LBB79_1918
; %bb.1915:
	s_waitcnt vmcnt(0)
	v_cmp_le_i16_e64 s[6:7], v20, v21
	s_mov_b64 s[18:19], 0
	s_branch .LBB79_1919
.LBB79_1916:
                                        ; implicit-def: $sgpr6_sgpr7
	s_mov_b64 s[18:19], 0
	s_cbranch_execnz .LBB79_1923
	s_branch .LBB79_1924
.LBB79_1917:
	s_mov_b64 s[20:21], -1
	s_mov_b64 s[18:19], 0
                                        ; implicit-def: $sgpr6_sgpr7
	s_branch .LBB79_1920
.LBB79_1918:
	s_mov_b64 s[18:19], -1
                                        ; implicit-def: $sgpr6_sgpr7
.LBB79_1919:
	s_mov_b64 s[20:21], 0
.LBB79_1920:
	s_and_b64 vcc, exec, s[20:21]
	s_cbranch_vccz .LBB79_1922
; %bb.1921:
	s_waitcnt vmcnt(0)
	v_cmp_gt_i16_e32 vcc, v20, v21
	s_andn2_b64 s[6:7], s[6:7], exec
	s_and_b64 s[20:21], vcc, exec
	s_or_b64 s[6:7], s[6:7], s[20:21]
.LBB79_1922:
	s_branch .LBB79_1924
.LBB79_1923:
	s_cmp_lg_u32 s26, 0
	s_mov_b64 s[16:17], -1
	s_cselect_b64 s[18:19], -1, 0
.LBB79_1924:
	s_andn2_b64 vcc, exec, s[18:19]
	s_cbranch_vccnz .LBB79_1926
; %bb.1925:
	s_waitcnt vmcnt(0)
	v_cmp_lt_i16_e32 vcc, v20, v21
	s_andn2_b64 s[6:7], s[6:7], exec
	s_and_b64 s[18:19], vcc, exec
	s_or_b64 s[6:7], s[6:7], s[18:19]
	s_cbranch_execz .LBB79_1927
	s_branch .LBB79_1928
.LBB79_1926:
	s_andn2_b64 vcc, exec, s[16:17]
	s_cbranch_vccnz .LBB79_1928
.LBB79_1927:
	s_waitcnt vmcnt(0)
	v_cmp_ge_i16_e32 vcc, v20, v21
	s_andn2_b64 s[6:7], s[6:7], exec
	s_and_b64 s[16:17], vcc, exec
	s_or_b64 s[6:7], s[6:7], s[16:17]
.LBB79_1928:
	s_lshr_b32 s16, s22, 8
	s_lshr_b32 s24, s22, 16
	v_mov_b32_e32 v1, s11
	s_and_b32 s27, s16, 0xff
	v_add_co_u32_e32 v18, vcc, s10, v17
	s_cmp_lt_i32 s27, 11
	v_addc_co_u32_e32 v19, vcc, 0, v1, vcc
	s_cbranch_scc1 .LBB79_1935
; %bb.1929:
	s_and_b32 s25, 0xffff, s27
	s_cmp_gt_i32 s25, 25
	s_mov_b64 s[18:19], 0
	s_cbranch_scc0 .LBB79_1937
; %bb.1930:
	s_cmp_gt_i32 s25, 28
	s_cbranch_scc0 .LBB79_1938
; %bb.1931:
	s_cmp_gt_i32 s25, 43
	;; [unrolled: 3-line block ×3, first 2 shown]
	s_cbranch_scc0 .LBB79_1941
; %bb.1933:
	s_cmp_eq_u32 s25, 46
	s_mov_b64 s[22:23], 0
	s_cbranch_scc0 .LBB79_1942
; %bb.1934:
	global_load_dword v1, v[18:19], off
	s_mov_b64 s[16:17], 0
	s_mov_b64 s[20:21], -1
	s_waitcnt vmcnt(0)
	v_lshlrev_b32_e32 v1, 16, v1
	v_cvt_i32_f32_e32 v16, v1
	s_branch .LBB79_1943
.LBB79_1935:
	s_mov_b64 s[20:21], 0
                                        ; implicit-def: $vgpr16
	s_cbranch_execnz .LBB79_2005
.LBB79_1936:
	s_andn2_b64 vcc, exec, s[20:21]
	s_cbranch_vccnz .LBB79_2723
	s_branch .LBB79_2053
.LBB79_1937:
	s_mov_b64 s[22:23], -1
	s_mov_b64 s[20:21], 0
	s_mov_b64 s[16:17], 0
                                        ; implicit-def: $vgpr16
	s_branch .LBB79_1970
.LBB79_1938:
	s_mov_b64 s[22:23], -1
	s_mov_b64 s[20:21], 0
	s_mov_b64 s[16:17], 0
                                        ; implicit-def: $vgpr16
	s_branch .LBB79_1953
.LBB79_1939:
	s_mov_b64 s[22:23], -1
	s_mov_b64 s[20:21], 0
	s_mov_b64 s[16:17], 0
                                        ; implicit-def: $vgpr16
	s_branch .LBB79_1948
.LBB79_1940:
	s_trap 2
	s_or_b64 s[4:5], s[4:5], exec
	s_cbranch_execz .LBB79_1863
	s_branch .LBB79_1864
.LBB79_1941:
	s_mov_b64 s[22:23], -1
	s_mov_b64 s[20:21], 0
	s_mov_b64 s[16:17], 0
                                        ; implicit-def: $vgpr16
	s_branch .LBB79_1943
.LBB79_1942:
	s_mov_b64 s[16:17], -1
                                        ; implicit-def: $vgpr16
	s_mov_b64 s[20:21], 0
.LBB79_1943:
	s_and_b64 vcc, exec, s[22:23]
	s_cbranch_vccz .LBB79_1947
; %bb.1944:
	s_cmp_eq_u32 s25, 44
	s_cbranch_scc0 .LBB79_1946
; %bb.1945:
	global_load_ubyte v1, v[18:19], off
	s_mov_b64 s[16:17], 0
	s_mov_b64 s[20:21], -1
	s_waitcnt vmcnt(0)
	v_lshlrev_b32_e32 v3, 23, v1
	v_cvt_i32_f32_e32 v3, v3
	v_cmp_ne_u32_e32 vcc, 0, v1
	v_cndmask_b32_e32 v16, 0, v3, vcc
	s_branch .LBB79_1947
.LBB79_1946:
	s_mov_b64 s[16:17], -1
                                        ; implicit-def: $vgpr16
.LBB79_1947:
	s_mov_b64 s[22:23], 0
.LBB79_1948:
	s_and_b64 vcc, exec, s[22:23]
	s_cbranch_vccz .LBB79_1952
; %bb.1949:
	s_cmp_eq_u32 s25, 29
	s_cbranch_scc0 .LBB79_1951
; %bb.1950:
	global_load_dwordx2 v[16:17], v[18:19], off
	s_mov_b64 s[16:17], 0
	s_mov_b64 s[20:21], -1
	s_branch .LBB79_1952
.LBB79_1951:
	s_mov_b64 s[16:17], -1
                                        ; implicit-def: $vgpr16
.LBB79_1952:
	s_mov_b64 s[22:23], 0
.LBB79_1953:
	s_and_b64 vcc, exec, s[22:23]
	s_cbranch_vccz .LBB79_1969
; %bb.1954:
	s_cmp_lt_i32 s25, 27
	s_cbranch_scc1 .LBB79_1957
; %bb.1955:
	s_cmp_gt_i32 s25, 27
	s_cbranch_scc0 .LBB79_1958
; %bb.1956:
	global_load_dword v16, v[18:19], off
	s_mov_b64 s[20:21], 0
	s_branch .LBB79_1959
.LBB79_1957:
	s_mov_b64 s[20:21], -1
                                        ; implicit-def: $vgpr16
	s_branch .LBB79_1962
.LBB79_1958:
	s_mov_b64 s[20:21], -1
                                        ; implicit-def: $vgpr16
.LBB79_1959:
	s_andn2_b64 vcc, exec, s[20:21]
	s_cbranch_vccnz .LBB79_1961
; %bb.1960:
	global_load_ushort v16, v[18:19], off
.LBB79_1961:
	s_mov_b64 s[20:21], 0
.LBB79_1962:
	s_andn2_b64 vcc, exec, s[20:21]
	s_cbranch_vccnz .LBB79_1968
; %bb.1963:
	global_load_ubyte v1, v[18:19], off
	s_movk_i32 s20, 0x7f
	s_mov_b64 s[22:23], 0
	s_waitcnt vmcnt(0)
	v_cmp_lt_i16_e32 vcc, s20, v1
	s_and_saveexec_b64 s[20:21], vcc
	s_xor_b64 s[20:21], exec, s[20:21]
	s_cbranch_execz .LBB79_1980
; %bb.1964:
	s_movk_i32 s22, 0x80
	v_cmp_ne_u16_e32 vcc, s22, v1
	s_and_b64 s[22:23], vcc, exec
	s_andn2_saveexec_b64 s[20:21], s[20:21]
	s_cbranch_execnz .LBB79_1981
.LBB79_1965:
	s_or_b64 exec, exec, s[20:21]
	v_mov_b32_e32 v16, 0
	s_and_saveexec_b64 s[20:21], s[22:23]
	s_cbranch_execz .LBB79_1967
.LBB79_1966:
	v_lshlrev_b32_e32 v3, 24, v1
	v_and_b32_e32 v1, 0xffff, v1
	v_and_b32_e32 v5, 7, v1
	v_ffbh_u32_e32 v10, v5
	v_min_u32_e32 v10, 32, v10
	v_subrev_u32_e32 v12, 28, v10
	v_bfe_u32 v8, v1, 3, 4
	v_lshlrev_b32_e32 v1, v12, v1
	v_sub_u32_e32 v10, 29, v10
	v_and_b32_e32 v1, 7, v1
	v_cmp_eq_u32_e32 vcc, 0, v8
	v_cndmask_b32_e32 v8, v8, v10, vcc
	v_cndmask_b32_e32 v1, v5, v1, vcc
	v_mov_b32_e32 v5, 0x3b800000
	v_lshlrev_b32_e32 v1, 20, v1
	v_and_b32_e32 v3, 0x80000000, v3
	v_lshl_add_u32 v5, v8, 23, v5
	v_or3_b32 v1, v3, v5, v1
	v_cvt_i32_f32_e32 v16, v1
.LBB79_1967:
	s_or_b64 exec, exec, s[20:21]
.LBB79_1968:
	s_mov_b64 s[20:21], -1
.LBB79_1969:
	s_mov_b64 s[22:23], 0
.LBB79_1970:
	s_and_b64 vcc, exec, s[22:23]
	s_cbranch_vccz .LBB79_2001
; %bb.1971:
	s_cmp_gt_i32 s25, 22
	s_cbranch_scc0 .LBB79_1979
; %bb.1972:
	s_cmp_lt_i32 s25, 24
	s_cbranch_scc1 .LBB79_1982
; %bb.1973:
	s_cmp_gt_i32 s25, 24
	s_cbranch_scc0 .LBB79_1983
; %bb.1974:
	global_load_ubyte v1, v[18:19], off
	s_movk_i32 s18, 0x7f
	s_mov_b64 s[20:21], 0
	s_waitcnt vmcnt(0)
	v_cmp_lt_i16_e32 vcc, s18, v1
	s_and_saveexec_b64 s[18:19], vcc
	s_xor_b64 s[18:19], exec, s[18:19]
	s_cbranch_execz .LBB79_1995
; %bb.1975:
	s_movk_i32 s20, 0x80
	v_cmp_ne_u16_e32 vcc, s20, v1
	s_and_b64 s[20:21], vcc, exec
	s_andn2_saveexec_b64 s[18:19], s[18:19]
	s_cbranch_execnz .LBB79_1996
.LBB79_1976:
	s_or_b64 exec, exec, s[18:19]
	v_mov_b32_e32 v16, 0
	s_and_saveexec_b64 s[18:19], s[20:21]
	s_cbranch_execz .LBB79_1978
.LBB79_1977:
	v_lshlrev_b32_e32 v3, 24, v1
	v_and_b32_e32 v1, 0xffff, v1
	v_and_b32_e32 v5, 3, v1
	v_ffbh_u32_e32 v10, v5
	v_min_u32_e32 v10, 32, v10
	v_subrev_u32_e32 v12, 29, v10
	v_bfe_u32 v8, v1, 2, 5
	v_lshlrev_b32_e32 v1, v12, v1
	v_sub_u32_e32 v10, 30, v10
	v_and_b32_e32 v1, 3, v1
	v_cmp_eq_u32_e32 vcc, 0, v8
	v_cndmask_b32_e32 v8, v8, v10, vcc
	v_cndmask_b32_e32 v1, v5, v1, vcc
	v_mov_b32_e32 v5, 0x37800000
	v_lshlrev_b32_e32 v1, 21, v1
	v_and_b32_e32 v3, 0x80000000, v3
	v_lshl_add_u32 v5, v8, 23, v5
	v_or3_b32 v1, v3, v5, v1
	v_cvt_i32_f32_e32 v16, v1
.LBB79_1978:
	s_or_b64 exec, exec, s[18:19]
	s_mov_b64 s[18:19], 0
	s_branch .LBB79_1984
.LBB79_1979:
	s_mov_b64 s[18:19], -1
                                        ; implicit-def: $vgpr16
	s_branch .LBB79_1990
.LBB79_1980:
	s_andn2_saveexec_b64 s[20:21], s[20:21]
	s_cbranch_execz .LBB79_1965
.LBB79_1981:
	v_cmp_ne_u16_e32 vcc, 0, v1
	s_andn2_b64 s[22:23], s[22:23], exec
	s_and_b64 s[28:29], vcc, exec
	s_or_b64 s[22:23], s[22:23], s[28:29]
	s_or_b64 exec, exec, s[20:21]
	v_mov_b32_e32 v16, 0
	s_and_saveexec_b64 s[20:21], s[22:23]
	s_cbranch_execnz .LBB79_1966
	s_branch .LBB79_1967
.LBB79_1982:
	s_mov_b64 s[18:19], -1
                                        ; implicit-def: $vgpr16
	s_branch .LBB79_1987
.LBB79_1983:
	s_mov_b64 s[18:19], -1
                                        ; implicit-def: $vgpr16
.LBB79_1984:
	s_and_b64 vcc, exec, s[18:19]
	s_cbranch_vccz .LBB79_1986
; %bb.1985:
	global_load_ubyte v1, v[18:19], off
	s_mov_b32 s18, 0x7f800000
	s_waitcnt vmcnt(0)
	v_lshlrev_b32_e32 v1, 24, v1
	v_and_b32_e32 v3, 0x7f000000, v1
	v_ffbh_u32_e32 v5, v3
	v_min_u32_e32 v5, 32, v5
	v_sub_u32_e64 v5, v5, 4 clamp
	v_lshlrev_b32_e32 v10, v5, v3
	v_lshlrev_b32_e32 v5, 23, v5
	v_lshrrev_b32_e32 v10, 4, v10
	v_add_u32_e32 v8, 0x1000000, v3
	v_sub_u32_e32 v5, v10, v5
	v_ashrrev_i32_e32 v8, 8, v8
	v_add_u32_e32 v5, 0x3c000000, v5
	v_and_or_b32 v5, v8, s18, v5
	v_cmp_ne_u32_e32 vcc, 0, v3
	v_cndmask_b32_e32 v3, 0, v5, vcc
	s_brev_b32 s18, 1
	v_and_or_b32 v1, v1, s18, v3
	v_cvt_i32_f32_e32 v16, v1
.LBB79_1986:
	s_mov_b64 s[18:19], 0
.LBB79_1987:
	s_andn2_b64 vcc, exec, s[18:19]
	s_cbranch_vccnz .LBB79_1989
; %bb.1988:
	global_load_ubyte v1, v[18:19], off
	s_movk_i32 s18, 0x7f00
	s_brev_b32 s19, 16
	s_waitcnt vmcnt(0)
	v_lshlrev_b16_e32 v3, 8, v1
	v_lshlrev_b32_e32 v1, 25, v1
	v_lshrrev_b32_e32 v5, 4, v1
	v_and_or_b32 v8, v3, s18, 0.5
	v_or_b32_e32 v5, 0x70000000, v5
	v_add_f32_e32 v8, -0.5, v8
	v_mul_f32_e32 v5, 0x7800000, v5
	v_cmp_gt_u32_e32 vcc, s19, v1
	v_bfe_i32 v3, v3, 0, 16
	v_cndmask_b32_e32 v1, v5, v8, vcc
	s_brev_b32 s18, 1
	v_and_or_b32 v1, v3, s18, v1
	v_cvt_i32_f32_e32 v16, v1
.LBB79_1989:
	s_mov_b64 s[18:19], 0
	s_mov_b64 s[20:21], -1
.LBB79_1990:
	s_andn2_b64 vcc, exec, s[18:19]
	s_mov_b64 s[18:19], 0
	s_cbranch_vccnz .LBB79_2001
; %bb.1991:
	s_cmp_gt_i32 s25, 14
	s_cbranch_scc0 .LBB79_1994
; %bb.1992:
	s_cmp_eq_u32 s25, 15
	s_cbranch_scc0 .LBB79_1997
; %bb.1993:
	global_load_ushort v1, v[18:19], off
	s_mov_b64 s[16:17], 0
	s_mov_b64 s[20:21], -1
	s_waitcnt vmcnt(0)
	v_lshlrev_b32_e32 v1, 16, v1
	v_cvt_i32_f32_e32 v16, v1
	s_branch .LBB79_1998
.LBB79_1994:
	s_mov_b64 s[22:23], -1
                                        ; implicit-def: $vgpr16
	s_branch .LBB79_1999
.LBB79_1995:
	s_andn2_saveexec_b64 s[18:19], s[18:19]
	s_cbranch_execz .LBB79_1976
.LBB79_1996:
	v_cmp_ne_u16_e32 vcc, 0, v1
	s_andn2_b64 s[20:21], s[20:21], exec
	s_and_b64 s[22:23], vcc, exec
	s_or_b64 s[20:21], s[20:21], s[22:23]
	s_or_b64 exec, exec, s[18:19]
	v_mov_b32_e32 v16, 0
	s_and_saveexec_b64 s[18:19], s[20:21]
	s_cbranch_execnz .LBB79_1977
	s_branch .LBB79_1978
.LBB79_1997:
	s_mov_b64 s[16:17], -1
                                        ; implicit-def: $vgpr16
.LBB79_1998:
	s_mov_b64 s[22:23], 0
.LBB79_1999:
	s_and_b64 vcc, exec, s[22:23]
	s_cbranch_vccz .LBB79_2001
; %bb.2000:
	s_cmp_lg_u32 s25, 11
	s_mov_b64 s[18:19], -1
	s_cselect_b64 s[16:17], -1, 0
.LBB79_2001:
	s_and_b64 vcc, exec, s[16:17]
	s_cbranch_vccnz .LBB79_2064
; %bb.2002:
	s_andn2_b64 vcc, exec, s[18:19]
	s_cbranch_vccnz .LBB79_2004
.LBB79_2003:
	global_load_ubyte v1, v[18:19], off
	s_mov_b64 s[20:21], -1
	s_waitcnt vmcnt(0)
	v_cmp_ne_u16_e32 vcc, 0, v1
	v_cndmask_b32_e64 v16, 0, 1, vcc
.LBB79_2004:
	s_branch .LBB79_1936
.LBB79_2005:
	s_and_b32 s18, 0xffff, s27
	s_cmp_lt_i32 s18, 5
	s_cbranch_scc1 .LBB79_2010
; %bb.2006:
	s_cmp_lt_i32 s18, 8
	s_cbranch_scc1 .LBB79_2011
; %bb.2007:
	;; [unrolled: 3-line block ×3, first 2 shown]
	s_cmp_gt_i32 s18, 9
	s_cbranch_scc0 .LBB79_2013
; %bb.2009:
	global_load_dwordx2 v[16:17], v[18:19], off
	s_mov_b64 s[16:17], 0
	s_waitcnt vmcnt(0)
	v_cvt_i32_f64_e32 v16, v[16:17]
	s_branch .LBB79_2014
.LBB79_2010:
	s_mov_b64 s[16:17], -1
                                        ; implicit-def: $vgpr16
	s_branch .LBB79_2032
.LBB79_2011:
	s_mov_b64 s[16:17], -1
                                        ; implicit-def: $vgpr16
	s_branch .LBB79_2020
.LBB79_2012:
	s_mov_b64 s[16:17], -1
                                        ; implicit-def: $vgpr16
	s_branch .LBB79_2017
.LBB79_2013:
	s_mov_b64 s[16:17], -1
                                        ; implicit-def: $vgpr16
.LBB79_2014:
	s_andn2_b64 vcc, exec, s[16:17]
	s_cbranch_vccnz .LBB79_2016
; %bb.2015:
	global_load_dword v1, v[18:19], off
	s_waitcnt vmcnt(0)
	v_cvt_i32_f32_e32 v16, v1
.LBB79_2016:
	s_mov_b64 s[16:17], 0
.LBB79_2017:
	s_andn2_b64 vcc, exec, s[16:17]
	s_cbranch_vccnz .LBB79_2019
; %bb.2018:
	global_load_dword v1, v[18:19], off
	s_waitcnt vmcnt(0)
	v_cvt_i16_f16_e32 v16, v1
.LBB79_2019:
	s_mov_b64 s[16:17], 0
.LBB79_2020:
	s_andn2_b64 vcc, exec, s[16:17]
	s_cbranch_vccnz .LBB79_2031
; %bb.2021:
	s_cmp_lt_i32 s18, 6
	s_cbranch_scc1 .LBB79_2024
; %bb.2022:
	s_cmp_gt_i32 s18, 6
	s_cbranch_scc0 .LBB79_2025
; %bb.2023:
	global_load_dwordx2 v[16:17], v[18:19], off
	s_mov_b64 s[16:17], 0
	s_waitcnt vmcnt(0)
	v_cvt_i32_f64_e32 v16, v[16:17]
	s_branch .LBB79_2026
.LBB79_2024:
	s_mov_b64 s[16:17], -1
                                        ; implicit-def: $vgpr16
	s_branch .LBB79_2029
.LBB79_2025:
	s_mov_b64 s[16:17], -1
                                        ; implicit-def: $vgpr16
.LBB79_2026:
	s_andn2_b64 vcc, exec, s[16:17]
	s_cbranch_vccnz .LBB79_2028
; %bb.2027:
	global_load_dword v1, v[18:19], off
	s_waitcnt vmcnt(0)
	v_cvt_i32_f32_e32 v16, v1
.LBB79_2028:
	s_mov_b64 s[16:17], 0
.LBB79_2029:
	s_andn2_b64 vcc, exec, s[16:17]
	s_cbranch_vccnz .LBB79_2031
; %bb.2030:
	global_load_ushort v1, v[18:19], off
	s_waitcnt vmcnt(0)
	v_cvt_i16_f16_e32 v16, v1
.LBB79_2031:
	s_mov_b64 s[16:17], 0
.LBB79_2032:
	s_andn2_b64 vcc, exec, s[16:17]
	s_cbranch_vccnz .LBB79_2052
; %bb.2033:
	s_cmp_lt_i32 s18, 2
	s_cbranch_scc1 .LBB79_2037
; %bb.2034:
	s_cmp_lt_i32 s18, 3
	s_cbranch_scc1 .LBB79_2038
; %bb.2035:
	s_cmp_gt_i32 s18, 3
	s_cbranch_scc0 .LBB79_2039
; %bb.2036:
	global_load_dwordx2 v[16:17], v[18:19], off
	s_mov_b64 s[16:17], 0
	s_branch .LBB79_2040
.LBB79_2037:
	s_mov_b64 s[16:17], -1
                                        ; implicit-def: $vgpr16
	s_branch .LBB79_2046
.LBB79_2038:
	s_mov_b64 s[16:17], -1
                                        ; implicit-def: $vgpr16
	s_branch .LBB79_2043
.LBB79_2039:
	s_mov_b64 s[16:17], -1
                                        ; implicit-def: $vgpr16
.LBB79_2040:
	s_andn2_b64 vcc, exec, s[16:17]
	s_cbranch_vccnz .LBB79_2042
; %bb.2041:
	global_load_dword v16, v[18:19], off
.LBB79_2042:
	s_mov_b64 s[16:17], 0
.LBB79_2043:
	s_andn2_b64 vcc, exec, s[16:17]
	s_cbranch_vccnz .LBB79_2045
; %bb.2044:
	global_load_ushort v16, v[18:19], off
.LBB79_2045:
	s_mov_b64 s[16:17], 0
.LBB79_2046:
	s_andn2_b64 vcc, exec, s[16:17]
	s_cbranch_vccnz .LBB79_2052
; %bb.2047:
	s_cmp_gt_i32 s18, 0
	s_cbranch_scc0 .LBB79_2049
; %bb.2048:
	global_load_sbyte v16, v[18:19], off
	s_mov_b64 s[16:17], 0
	s_branch .LBB79_2050
.LBB79_2049:
	s_mov_b64 s[16:17], -1
                                        ; implicit-def: $vgpr16
.LBB79_2050:
	s_andn2_b64 vcc, exec, s[16:17]
	s_cbranch_vccnz .LBB79_2052
; %bb.2051:
	global_load_ubyte v16, v[18:19], off
.LBB79_2052:
.LBB79_2053:
	v_mov_b32_e32 v1, s1
	s_and_b32 s28, s24, 0xff
	v_add_co_u32_e32 v14, vcc, s0, v15
	s_cmp_lt_i32 s28, 11
	v_addc_co_u32_e32 v15, vcc, 0, v1, vcc
	s_cbranch_scc1 .LBB79_2060
; %bb.2054:
	s_and_b32 s24, 0xffff, s28
	s_cmp_gt_i32 s24, 25
	s_mov_b64 s[18:19], 0
	s_cbranch_scc0 .LBB79_2061
; %bb.2055:
	s_cmp_gt_i32 s24, 28
	s_cbranch_scc0 .LBB79_2062
; %bb.2056:
	s_cmp_gt_i32 s24, 43
	;; [unrolled: 3-line block ×3, first 2 shown]
	s_cbranch_scc0 .LBB79_2065
; %bb.2058:
	s_cmp_eq_u32 s24, 46
	s_mov_b64 s[22:23], 0
	s_cbranch_scc0 .LBB79_2066
; %bb.2059:
	global_load_dword v1, v[14:15], off
	s_mov_b64 s[16:17], 0
	s_mov_b64 s[20:21], -1
	s_waitcnt vmcnt(0)
	v_lshlrev_b32_e32 v1, 16, v1
	v_cvt_i32_f32_e32 v17, v1
	s_branch .LBB79_2067
.LBB79_2060:
	s_mov_b64 s[16:17], -1
	s_mov_b64 s[20:21], 0
                                        ; implicit-def: $vgpr17
	s_branch .LBB79_2129
.LBB79_2061:
	s_mov_b64 s[22:23], -1
	s_mov_b64 s[20:21], 0
	s_mov_b64 s[16:17], 0
                                        ; implicit-def: $vgpr17
	s_branch .LBB79_2094
.LBB79_2062:
	s_mov_b64 s[22:23], -1
	s_mov_b64 s[20:21], 0
	s_mov_b64 s[16:17], 0
                                        ; implicit-def: $vgpr17
	s_branch .LBB79_2077
.LBB79_2063:
	s_mov_b64 s[22:23], -1
	s_mov_b64 s[20:21], 0
	s_mov_b64 s[16:17], 0
                                        ; implicit-def: $vgpr17
	s_branch .LBB79_2072
.LBB79_2064:
	s_trap 2
	s_or_b64 s[4:5], s[4:5], exec
	s_cbranch_execz .LBB79_2003
	s_branch .LBB79_2004
.LBB79_2065:
	s_mov_b64 s[22:23], -1
	s_mov_b64 s[20:21], 0
	s_mov_b64 s[16:17], 0
                                        ; implicit-def: $vgpr17
	s_branch .LBB79_2067
.LBB79_2066:
	s_mov_b64 s[16:17], -1
                                        ; implicit-def: $vgpr17
	s_mov_b64 s[20:21], 0
.LBB79_2067:
	s_and_b64 vcc, exec, s[22:23]
	s_cbranch_vccz .LBB79_2071
; %bb.2068:
	s_cmp_eq_u32 s24, 44
	s_cbranch_scc0 .LBB79_2070
; %bb.2069:
	global_load_ubyte v1, v[14:15], off
	s_mov_b64 s[16:17], 0
	s_mov_b64 s[20:21], -1
	s_waitcnt vmcnt(0)
	v_lshlrev_b32_e32 v3, 23, v1
	v_cvt_i32_f32_e32 v3, v3
	v_cmp_ne_u32_e32 vcc, 0, v1
	v_cndmask_b32_e32 v17, 0, v3, vcc
	s_branch .LBB79_2071
.LBB79_2070:
	s_mov_b64 s[16:17], -1
                                        ; implicit-def: $vgpr17
.LBB79_2071:
	s_mov_b64 s[22:23], 0
.LBB79_2072:
	s_and_b64 vcc, exec, s[22:23]
	s_cbranch_vccz .LBB79_2076
; %bb.2073:
	s_cmp_eq_u32 s24, 29
	s_cbranch_scc0 .LBB79_2075
; %bb.2074:
	global_load_dwordx2 v[17:18], v[14:15], off
	s_mov_b64 s[16:17], 0
	s_mov_b64 s[20:21], -1
	s_branch .LBB79_2076
.LBB79_2075:
	s_mov_b64 s[16:17], -1
                                        ; implicit-def: $vgpr17
.LBB79_2076:
	s_mov_b64 s[22:23], 0
.LBB79_2077:
	s_and_b64 vcc, exec, s[22:23]
	s_cbranch_vccz .LBB79_2093
; %bb.2078:
	s_cmp_lt_i32 s24, 27
	s_cbranch_scc1 .LBB79_2081
; %bb.2079:
	s_cmp_gt_i32 s24, 27
	s_cbranch_scc0 .LBB79_2082
; %bb.2080:
	global_load_dword v17, v[14:15], off
	s_mov_b64 s[20:21], 0
	s_branch .LBB79_2083
.LBB79_2081:
	s_mov_b64 s[20:21], -1
                                        ; implicit-def: $vgpr17
	s_branch .LBB79_2086
.LBB79_2082:
	s_mov_b64 s[20:21], -1
                                        ; implicit-def: $vgpr17
.LBB79_2083:
	s_andn2_b64 vcc, exec, s[20:21]
	s_cbranch_vccnz .LBB79_2085
; %bb.2084:
	global_load_ushort v17, v[14:15], off
.LBB79_2085:
	s_mov_b64 s[20:21], 0
.LBB79_2086:
	s_andn2_b64 vcc, exec, s[20:21]
	s_cbranch_vccnz .LBB79_2092
; %bb.2087:
	global_load_ubyte v1, v[14:15], off
	s_movk_i32 s20, 0x7f
	s_mov_b64 s[22:23], 0
	s_waitcnt vmcnt(0)
	v_cmp_lt_i16_e32 vcc, s20, v1
	s_and_saveexec_b64 s[20:21], vcc
	s_xor_b64 s[20:21], exec, s[20:21]
	s_cbranch_execz .LBB79_2104
; %bb.2088:
	s_movk_i32 s22, 0x80
	v_cmp_ne_u16_e32 vcc, s22, v1
	s_and_b64 s[22:23], vcc, exec
	s_andn2_saveexec_b64 s[20:21], s[20:21]
	s_cbranch_execnz .LBB79_2105
.LBB79_2089:
	s_or_b64 exec, exec, s[20:21]
	v_mov_b32_e32 v17, 0
	s_and_saveexec_b64 s[20:21], s[22:23]
	s_cbranch_execz .LBB79_2091
.LBB79_2090:
	v_lshlrev_b32_e32 v3, 24, v1
	v_and_b32_e32 v1, 0xffff, v1
	v_and_b32_e32 v5, 7, v1
	v_ffbh_u32_e32 v10, v5
	v_min_u32_e32 v10, 32, v10
	v_subrev_u32_e32 v12, 28, v10
	v_bfe_u32 v8, v1, 3, 4
	v_lshlrev_b32_e32 v1, v12, v1
	v_sub_u32_e32 v10, 29, v10
	v_and_b32_e32 v1, 7, v1
	v_cmp_eq_u32_e32 vcc, 0, v8
	v_cndmask_b32_e32 v8, v8, v10, vcc
	v_cndmask_b32_e32 v1, v5, v1, vcc
	v_mov_b32_e32 v5, 0x3b800000
	v_lshlrev_b32_e32 v1, 20, v1
	v_and_b32_e32 v3, 0x80000000, v3
	v_lshl_add_u32 v5, v8, 23, v5
	v_or3_b32 v1, v3, v5, v1
	v_cvt_i32_f32_e32 v17, v1
.LBB79_2091:
	s_or_b64 exec, exec, s[20:21]
.LBB79_2092:
	s_mov_b64 s[20:21], -1
.LBB79_2093:
	s_mov_b64 s[22:23], 0
.LBB79_2094:
	s_and_b64 vcc, exec, s[22:23]
	s_cbranch_vccz .LBB79_2125
; %bb.2095:
	s_cmp_gt_i32 s24, 22
	s_cbranch_scc0 .LBB79_2103
; %bb.2096:
	s_cmp_lt_i32 s24, 24
	s_cbranch_scc1 .LBB79_2106
; %bb.2097:
	s_cmp_gt_i32 s24, 24
	s_cbranch_scc0 .LBB79_2107
; %bb.2098:
	global_load_ubyte v1, v[14:15], off
	s_movk_i32 s18, 0x7f
	s_mov_b64 s[20:21], 0
	s_waitcnt vmcnt(0)
	v_cmp_lt_i16_e32 vcc, s18, v1
	s_and_saveexec_b64 s[18:19], vcc
	s_xor_b64 s[18:19], exec, s[18:19]
	s_cbranch_execz .LBB79_2119
; %bb.2099:
	s_movk_i32 s20, 0x80
	v_cmp_ne_u16_e32 vcc, s20, v1
	s_and_b64 s[20:21], vcc, exec
	s_andn2_saveexec_b64 s[18:19], s[18:19]
	s_cbranch_execnz .LBB79_2120
.LBB79_2100:
	s_or_b64 exec, exec, s[18:19]
	v_mov_b32_e32 v17, 0
	s_and_saveexec_b64 s[18:19], s[20:21]
	s_cbranch_execz .LBB79_2102
.LBB79_2101:
	v_lshlrev_b32_e32 v3, 24, v1
	v_and_b32_e32 v1, 0xffff, v1
	v_and_b32_e32 v5, 3, v1
	v_ffbh_u32_e32 v10, v5
	v_min_u32_e32 v10, 32, v10
	v_subrev_u32_e32 v12, 29, v10
	v_bfe_u32 v8, v1, 2, 5
	v_lshlrev_b32_e32 v1, v12, v1
	v_sub_u32_e32 v10, 30, v10
	v_and_b32_e32 v1, 3, v1
	v_cmp_eq_u32_e32 vcc, 0, v8
	v_cndmask_b32_e32 v8, v8, v10, vcc
	v_cndmask_b32_e32 v1, v5, v1, vcc
	v_mov_b32_e32 v5, 0x37800000
	v_lshlrev_b32_e32 v1, 21, v1
	v_and_b32_e32 v3, 0x80000000, v3
	v_lshl_add_u32 v5, v8, 23, v5
	v_or3_b32 v1, v3, v5, v1
	v_cvt_i32_f32_e32 v17, v1
.LBB79_2102:
	s_or_b64 exec, exec, s[18:19]
	s_mov_b64 s[18:19], 0
	s_branch .LBB79_2108
.LBB79_2103:
	s_mov_b64 s[18:19], -1
                                        ; implicit-def: $vgpr17
	s_branch .LBB79_2114
.LBB79_2104:
	s_andn2_saveexec_b64 s[20:21], s[20:21]
	s_cbranch_execz .LBB79_2089
.LBB79_2105:
	v_cmp_ne_u16_e32 vcc, 0, v1
	s_andn2_b64 s[22:23], s[22:23], exec
	s_and_b64 s[30:31], vcc, exec
	s_or_b64 s[22:23], s[22:23], s[30:31]
	s_or_b64 exec, exec, s[20:21]
	v_mov_b32_e32 v17, 0
	s_and_saveexec_b64 s[20:21], s[22:23]
	s_cbranch_execnz .LBB79_2090
	s_branch .LBB79_2091
.LBB79_2106:
	s_mov_b64 s[18:19], -1
                                        ; implicit-def: $vgpr17
	s_branch .LBB79_2111
.LBB79_2107:
	s_mov_b64 s[18:19], -1
                                        ; implicit-def: $vgpr17
.LBB79_2108:
	s_and_b64 vcc, exec, s[18:19]
	s_cbranch_vccz .LBB79_2110
; %bb.2109:
	global_load_ubyte v1, v[14:15], off
	s_mov_b32 s18, 0x7f800000
	s_waitcnt vmcnt(0)
	v_lshlrev_b32_e32 v1, 24, v1
	v_and_b32_e32 v3, 0x7f000000, v1
	v_ffbh_u32_e32 v5, v3
	v_min_u32_e32 v5, 32, v5
	v_sub_u32_e64 v5, v5, 4 clamp
	v_lshlrev_b32_e32 v10, v5, v3
	v_lshlrev_b32_e32 v5, 23, v5
	v_lshrrev_b32_e32 v10, 4, v10
	v_add_u32_e32 v8, 0x1000000, v3
	v_sub_u32_e32 v5, v10, v5
	v_ashrrev_i32_e32 v8, 8, v8
	v_add_u32_e32 v5, 0x3c000000, v5
	v_and_or_b32 v5, v8, s18, v5
	v_cmp_ne_u32_e32 vcc, 0, v3
	v_cndmask_b32_e32 v3, 0, v5, vcc
	s_brev_b32 s18, 1
	v_and_or_b32 v1, v1, s18, v3
	v_cvt_i32_f32_e32 v17, v1
.LBB79_2110:
	s_mov_b64 s[18:19], 0
.LBB79_2111:
	s_andn2_b64 vcc, exec, s[18:19]
	s_cbranch_vccnz .LBB79_2113
; %bb.2112:
	global_load_ubyte v1, v[14:15], off
	s_movk_i32 s18, 0x7f00
	s_brev_b32 s19, 16
	s_waitcnt vmcnt(0)
	v_lshlrev_b16_e32 v3, 8, v1
	v_lshlrev_b32_e32 v1, 25, v1
	v_lshrrev_b32_e32 v5, 4, v1
	v_and_or_b32 v8, v3, s18, 0.5
	v_or_b32_e32 v5, 0x70000000, v5
	v_add_f32_e32 v8, -0.5, v8
	v_mul_f32_e32 v5, 0x7800000, v5
	v_cmp_gt_u32_e32 vcc, s19, v1
	v_bfe_i32 v3, v3, 0, 16
	v_cndmask_b32_e32 v1, v5, v8, vcc
	s_brev_b32 s18, 1
	v_and_or_b32 v1, v3, s18, v1
	v_cvt_i32_f32_e32 v17, v1
.LBB79_2113:
	s_mov_b64 s[18:19], 0
	s_mov_b64 s[20:21], -1
.LBB79_2114:
	s_andn2_b64 vcc, exec, s[18:19]
	s_mov_b64 s[18:19], 0
	s_cbranch_vccnz .LBB79_2125
; %bb.2115:
	s_cmp_gt_i32 s24, 14
	s_cbranch_scc0 .LBB79_2118
; %bb.2116:
	s_cmp_eq_u32 s24, 15
	s_cbranch_scc0 .LBB79_2121
; %bb.2117:
	global_load_ushort v1, v[14:15], off
	s_mov_b64 s[16:17], 0
	s_mov_b64 s[20:21], -1
	s_waitcnt vmcnt(0)
	v_lshlrev_b32_e32 v1, 16, v1
	v_cvt_i32_f32_e32 v17, v1
	s_branch .LBB79_2122
.LBB79_2118:
	s_mov_b64 s[22:23], -1
                                        ; implicit-def: $vgpr17
	s_branch .LBB79_2123
.LBB79_2119:
	s_andn2_saveexec_b64 s[18:19], s[18:19]
	s_cbranch_execz .LBB79_2100
.LBB79_2120:
	v_cmp_ne_u16_e32 vcc, 0, v1
	s_andn2_b64 s[20:21], s[20:21], exec
	s_and_b64 s[22:23], vcc, exec
	s_or_b64 s[20:21], s[20:21], s[22:23]
	s_or_b64 exec, exec, s[18:19]
	v_mov_b32_e32 v17, 0
	s_and_saveexec_b64 s[18:19], s[20:21]
	s_cbranch_execnz .LBB79_2101
	s_branch .LBB79_2102
.LBB79_2121:
	s_mov_b64 s[16:17], -1
                                        ; implicit-def: $vgpr17
.LBB79_2122:
	s_mov_b64 s[22:23], 0
.LBB79_2123:
	s_and_b64 vcc, exec, s[22:23]
	s_cbranch_vccz .LBB79_2125
; %bb.2124:
	s_cmp_lg_u32 s24, 11
	s_mov_b64 s[18:19], -1
	s_cselect_b64 s[16:17], -1, 0
.LBB79_2125:
	s_and_b64 vcc, exec, s[16:17]
	s_cbranch_vccnz .LBB79_2207
; %bb.2126:
	s_andn2_b64 vcc, exec, s[18:19]
	s_cbranch_vccnz .LBB79_2128
.LBB79_2127:
	global_load_ubyte v1, v[14:15], off
	s_mov_b64 s[20:21], -1
	s_waitcnt vmcnt(0)
	v_cmp_ne_u16_e32 vcc, 0, v1
	v_cndmask_b32_e64 v17, 0, 1, vcc
.LBB79_2128:
	s_mov_b64 s[16:17], 0
.LBB79_2129:
	s_and_b64 vcc, exec, s[16:17]
	s_cbranch_vccz .LBB79_2178
; %bb.2130:
	s_and_b32 s18, 0xffff, s28
	s_cmp_lt_i32 s18, 5
	s_cbranch_scc1 .LBB79_2135
; %bb.2131:
	s_cmp_lt_i32 s18, 8
	s_cbranch_scc1 .LBB79_2136
; %bb.2132:
	;; [unrolled: 3-line block ×3, first 2 shown]
	s_cmp_gt_i32 s18, 9
	s_cbranch_scc0 .LBB79_2138
; %bb.2134:
	global_load_dwordx2 v[17:18], v[14:15], off
	s_mov_b64 s[16:17], 0
	s_waitcnt vmcnt(0)
	v_cvt_i32_f64_e32 v17, v[17:18]
	s_branch .LBB79_2139
.LBB79_2135:
	s_mov_b64 s[16:17], -1
                                        ; implicit-def: $vgpr17
	s_branch .LBB79_2157
.LBB79_2136:
	s_mov_b64 s[16:17], -1
                                        ; implicit-def: $vgpr17
	s_branch .LBB79_2145
.LBB79_2137:
	s_mov_b64 s[16:17], -1
                                        ; implicit-def: $vgpr17
	s_branch .LBB79_2142
.LBB79_2138:
	s_mov_b64 s[16:17], -1
                                        ; implicit-def: $vgpr17
.LBB79_2139:
	s_andn2_b64 vcc, exec, s[16:17]
	s_cbranch_vccnz .LBB79_2141
; %bb.2140:
	global_load_dword v1, v[14:15], off
	s_waitcnt vmcnt(0)
	v_cvt_i32_f32_e32 v17, v1
.LBB79_2141:
	s_mov_b64 s[16:17], 0
.LBB79_2142:
	s_andn2_b64 vcc, exec, s[16:17]
	s_cbranch_vccnz .LBB79_2144
; %bb.2143:
	global_load_dword v1, v[14:15], off
	s_waitcnt vmcnt(0)
	v_cvt_i16_f16_e32 v17, v1
.LBB79_2144:
	s_mov_b64 s[16:17], 0
.LBB79_2145:
	s_andn2_b64 vcc, exec, s[16:17]
	s_cbranch_vccnz .LBB79_2156
; %bb.2146:
	s_cmp_lt_i32 s18, 6
	s_cbranch_scc1 .LBB79_2149
; %bb.2147:
	s_cmp_gt_i32 s18, 6
	s_cbranch_scc0 .LBB79_2150
; %bb.2148:
	global_load_dwordx2 v[17:18], v[14:15], off
	s_mov_b64 s[16:17], 0
	s_waitcnt vmcnt(0)
	v_cvt_i32_f64_e32 v17, v[17:18]
	s_branch .LBB79_2151
.LBB79_2149:
	s_mov_b64 s[16:17], -1
                                        ; implicit-def: $vgpr17
	s_branch .LBB79_2154
.LBB79_2150:
	s_mov_b64 s[16:17], -1
                                        ; implicit-def: $vgpr17
.LBB79_2151:
	s_andn2_b64 vcc, exec, s[16:17]
	s_cbranch_vccnz .LBB79_2153
; %bb.2152:
	global_load_dword v1, v[14:15], off
	s_waitcnt vmcnt(0)
	v_cvt_i32_f32_e32 v17, v1
.LBB79_2153:
	s_mov_b64 s[16:17], 0
.LBB79_2154:
	s_andn2_b64 vcc, exec, s[16:17]
	s_cbranch_vccnz .LBB79_2156
; %bb.2155:
	global_load_ushort v1, v[14:15], off
	s_waitcnt vmcnt(0)
	v_cvt_i16_f16_e32 v17, v1
.LBB79_2156:
	s_mov_b64 s[16:17], 0
.LBB79_2157:
	s_andn2_b64 vcc, exec, s[16:17]
	s_cbranch_vccnz .LBB79_2177
; %bb.2158:
	s_cmp_lt_i32 s18, 2
	s_cbranch_scc1 .LBB79_2162
; %bb.2159:
	s_cmp_lt_i32 s18, 3
	s_cbranch_scc1 .LBB79_2163
; %bb.2160:
	s_cmp_gt_i32 s18, 3
	s_cbranch_scc0 .LBB79_2164
; %bb.2161:
	global_load_dwordx2 v[17:18], v[14:15], off
	s_mov_b64 s[16:17], 0
	s_branch .LBB79_2165
.LBB79_2162:
	s_mov_b64 s[16:17], -1
                                        ; implicit-def: $vgpr17
	s_branch .LBB79_2171
.LBB79_2163:
	s_mov_b64 s[16:17], -1
                                        ; implicit-def: $vgpr17
	s_branch .LBB79_2168
.LBB79_2164:
	s_mov_b64 s[16:17], -1
                                        ; implicit-def: $vgpr17
.LBB79_2165:
	s_andn2_b64 vcc, exec, s[16:17]
	s_cbranch_vccnz .LBB79_2167
; %bb.2166:
	global_load_dword v17, v[14:15], off
.LBB79_2167:
	s_mov_b64 s[16:17], 0
.LBB79_2168:
	s_andn2_b64 vcc, exec, s[16:17]
	s_cbranch_vccnz .LBB79_2170
; %bb.2169:
	global_load_ushort v17, v[14:15], off
.LBB79_2170:
	s_mov_b64 s[16:17], 0
.LBB79_2171:
	s_andn2_b64 vcc, exec, s[16:17]
	s_cbranch_vccnz .LBB79_2177
; %bb.2172:
	s_cmp_gt_i32 s18, 0
	s_cbranch_scc0 .LBB79_2174
; %bb.2173:
	global_load_sbyte v17, v[14:15], off
	s_mov_b64 s[16:17], 0
	s_branch .LBB79_2175
.LBB79_2174:
	s_mov_b64 s[16:17], -1
                                        ; implicit-def: $vgpr17
.LBB79_2175:
	s_andn2_b64 vcc, exec, s[16:17]
	s_cbranch_vccnz .LBB79_2177
; %bb.2176:
	global_load_ubyte v17, v[14:15], off
.LBB79_2177:
	s_mov_b64 s[20:21], -1
.LBB79_2178:
	s_andn2_b64 vcc, exec, s[20:21]
	s_cbranch_vccnz .LBB79_2723
; %bb.2179:
	s_cmp_lt_i32 s26, 1
	s_mov_b64 s[18:19], 0
	s_cbranch_scc1 .LBB79_2183
; %bb.2180:
	s_cmp_gt_i32 s26, 1
	s_cbranch_scc0 .LBB79_2184
; %bb.2181:
	s_cmp_eq_u32 s26, 2
	s_cbranch_scc0 .LBB79_2185
; %bb.2182:
	s_waitcnt vmcnt(0)
	v_cmp_le_i16_e64 s[16:17], v16, v17
	s_mov_b64 s[20:21], 0
	s_branch .LBB79_2186
.LBB79_2183:
	s_mov_b64 s[22:23], -1
                                        ; implicit-def: $sgpr16_sgpr17
	s_mov_b64 s[20:21], 0
	s_branch .LBB79_2190
.LBB79_2184:
	s_mov_b64 s[22:23], -1
	s_mov_b64 s[20:21], 0
                                        ; implicit-def: $sgpr16_sgpr17
	s_branch .LBB79_2187
.LBB79_2185:
	s_mov_b64 s[20:21], -1
                                        ; implicit-def: $sgpr16_sgpr17
.LBB79_2186:
	s_mov_b64 s[22:23], 0
.LBB79_2187:
	s_and_b64 vcc, exec, s[22:23]
	s_cbranch_vccz .LBB79_2189
; %bb.2188:
	s_waitcnt vmcnt(0)
	v_cmp_gt_i16_e32 vcc, v16, v17
	s_andn2_b64 s[16:17], s[16:17], exec
	s_and_b64 s[22:23], vcc, exec
	s_or_b64 s[16:17], s[16:17], s[22:23]
.LBB79_2189:
	s_mov_b64 s[22:23], 0
.LBB79_2190:
	s_and_b64 vcc, exec, s[22:23]
	s_cbranch_vccz .LBB79_2201
; %bb.2191:
	s_cmp_lg_u32 s26, 0
	s_mov_b64 s[18:19], -1
	s_cselect_b64 s[20:21], -1, 0
	s_andn2_b64 vcc, exec, s[20:21]
	s_cbranch_vccz .LBB79_2202
.LBB79_2192:
	s_andn2_b64 vcc, exec, s[18:19]
	s_cbranch_vccnz .LBB79_2194
.LBB79_2193:
	s_waitcnt vmcnt(0)
	v_cmp_ge_i16_e32 vcc, v16, v17
	s_andn2_b64 s[16:17], s[16:17], exec
	s_and_b64 s[18:19], vcc, exec
	s_or_b64 s[16:17], s[16:17], s[18:19]
.LBB79_2194:
	v_mov_b32_e32 v1, s11
	v_add_co_u32_e32 v14, vcc, s10, v13
	s_cmp_lt_i32 s27, 11
	v_addc_co_u32_e32 v15, vcc, 0, v1, vcc
	s_cbranch_scc1 .LBB79_2203
; %bb.2195:
	s_and_b32 s29, 0xffff, s27
	s_cmp_gt_i32 s29, 25
	s_mov_b64 s[20:21], 0
	s_cbranch_scc0 .LBB79_2204
; %bb.2196:
	s_cmp_gt_i32 s29, 28
	s_cbranch_scc0 .LBB79_2205
; %bb.2197:
	s_cmp_gt_i32 s29, 43
	;; [unrolled: 3-line block ×3, first 2 shown]
	s_cbranch_scc0 .LBB79_2208
; %bb.2199:
	s_cmp_eq_u32 s29, 46
	s_mov_b64 s[24:25], 0
	s_cbranch_scc0 .LBB79_2209
; %bb.2200:
	global_load_dword v1, v[14:15], off
	s_mov_b64 s[18:19], 0
	s_mov_b64 s[22:23], -1
	s_waitcnt vmcnt(0)
	v_lshlrev_b32_e32 v1, 16, v1
	v_cvt_i32_f32_e32 v12, v1
	s_branch .LBB79_2210
.LBB79_2201:
	s_andn2_b64 vcc, exec, s[20:21]
	s_cbranch_vccnz .LBB79_2192
.LBB79_2202:
	s_waitcnt vmcnt(0)
	v_cmp_lt_i16_e32 vcc, v16, v17
	s_andn2_b64 s[16:17], s[16:17], exec
	s_and_b64 s[20:21], vcc, exec
	s_or_b64 s[16:17], s[16:17], s[20:21]
	s_cbranch_execz .LBB79_2193
	s_branch .LBB79_2194
.LBB79_2203:
	s_mov_b64 s[18:19], -1
	s_mov_b64 s[22:23], 0
                                        ; implicit-def: $vgpr12
	s_branch .LBB79_2272
.LBB79_2204:
	s_mov_b64 s[24:25], -1
	s_mov_b64 s[22:23], 0
	s_mov_b64 s[18:19], 0
                                        ; implicit-def: $vgpr12
	s_branch .LBB79_2237
.LBB79_2205:
	s_mov_b64 s[24:25], -1
	s_mov_b64 s[22:23], 0
	s_mov_b64 s[18:19], 0
                                        ; implicit-def: $vgpr12
	s_branch .LBB79_2220
.LBB79_2206:
	s_mov_b64 s[24:25], -1
	s_mov_b64 s[22:23], 0
	s_mov_b64 s[18:19], 0
                                        ; implicit-def: $vgpr12
	s_branch .LBB79_2215
.LBB79_2207:
	s_trap 2
	s_or_b64 s[4:5], s[4:5], exec
	s_cbranch_execz .LBB79_2127
	s_branch .LBB79_2128
.LBB79_2208:
	s_mov_b64 s[24:25], -1
	s_mov_b64 s[22:23], 0
	s_mov_b64 s[18:19], 0
                                        ; implicit-def: $vgpr12
	s_branch .LBB79_2210
.LBB79_2209:
	s_mov_b64 s[18:19], -1
                                        ; implicit-def: $vgpr12
	s_mov_b64 s[22:23], 0
.LBB79_2210:
	s_and_b64 vcc, exec, s[24:25]
	s_cbranch_vccz .LBB79_2214
; %bb.2211:
	s_cmp_eq_u32 s29, 44
	s_cbranch_scc0 .LBB79_2213
; %bb.2212:
	global_load_ubyte v1, v[14:15], off
	s_mov_b64 s[18:19], 0
	s_mov_b64 s[22:23], -1
	s_waitcnt vmcnt(0)
	v_lshlrev_b32_e32 v3, 23, v1
	v_cvt_i32_f32_e32 v3, v3
	v_cmp_ne_u32_e32 vcc, 0, v1
	v_cndmask_b32_e32 v12, 0, v3, vcc
	s_branch .LBB79_2214
.LBB79_2213:
	s_mov_b64 s[18:19], -1
                                        ; implicit-def: $vgpr12
.LBB79_2214:
	s_mov_b64 s[24:25], 0
.LBB79_2215:
	s_and_b64 vcc, exec, s[24:25]
	s_cbranch_vccz .LBB79_2219
; %bb.2216:
	s_cmp_eq_u32 s29, 29
	s_cbranch_scc0 .LBB79_2218
; %bb.2217:
	global_load_dwordx2 v[12:13], v[14:15], off
	s_mov_b64 s[18:19], 0
	s_mov_b64 s[22:23], -1
	s_branch .LBB79_2219
.LBB79_2218:
	s_mov_b64 s[18:19], -1
                                        ; implicit-def: $vgpr12
.LBB79_2219:
	s_mov_b64 s[24:25], 0
.LBB79_2220:
	s_and_b64 vcc, exec, s[24:25]
	s_cbranch_vccz .LBB79_2236
; %bb.2221:
	s_cmp_lt_i32 s29, 27
	s_cbranch_scc1 .LBB79_2224
; %bb.2222:
	s_cmp_gt_i32 s29, 27
	s_cbranch_scc0 .LBB79_2225
; %bb.2223:
	global_load_dword v12, v[14:15], off
	s_mov_b64 s[22:23], 0
	s_branch .LBB79_2226
.LBB79_2224:
	s_mov_b64 s[22:23], -1
                                        ; implicit-def: $vgpr12
	s_branch .LBB79_2229
.LBB79_2225:
	s_mov_b64 s[22:23], -1
                                        ; implicit-def: $vgpr12
.LBB79_2226:
	s_andn2_b64 vcc, exec, s[22:23]
	s_cbranch_vccnz .LBB79_2228
; %bb.2227:
	global_load_ushort v12, v[14:15], off
.LBB79_2228:
	s_mov_b64 s[22:23], 0
.LBB79_2229:
	s_andn2_b64 vcc, exec, s[22:23]
	s_cbranch_vccnz .LBB79_2235
; %bb.2230:
	global_load_ubyte v1, v[14:15], off
	s_movk_i32 s22, 0x7f
	s_mov_b64 s[24:25], 0
	s_waitcnt vmcnt(0)
	v_cmp_lt_i16_e32 vcc, s22, v1
	s_and_saveexec_b64 s[22:23], vcc
	s_xor_b64 s[22:23], exec, s[22:23]
	s_cbranch_execz .LBB79_2247
; %bb.2231:
	s_movk_i32 s24, 0x80
	v_cmp_ne_u16_e32 vcc, s24, v1
	s_and_b64 s[24:25], vcc, exec
	s_andn2_saveexec_b64 s[22:23], s[22:23]
	s_cbranch_execnz .LBB79_2248
.LBB79_2232:
	s_or_b64 exec, exec, s[22:23]
	v_mov_b32_e32 v12, 0
	s_and_saveexec_b64 s[22:23], s[24:25]
	s_cbranch_execz .LBB79_2234
.LBB79_2233:
	v_lshlrev_b32_e32 v3, 24, v1
	v_and_b32_e32 v1, 0xffff, v1
	v_and_b32_e32 v5, 7, v1
	v_ffbh_u32_e32 v10, v5
	v_min_u32_e32 v10, 32, v10
	v_subrev_u32_e32 v12, 28, v10
	v_bfe_u32 v8, v1, 3, 4
	v_lshlrev_b32_e32 v1, v12, v1
	v_sub_u32_e32 v10, 29, v10
	v_and_b32_e32 v1, 7, v1
	v_cmp_eq_u32_e32 vcc, 0, v8
	v_cndmask_b32_e32 v8, v8, v10, vcc
	v_cndmask_b32_e32 v1, v5, v1, vcc
	v_mov_b32_e32 v5, 0x3b800000
	v_lshlrev_b32_e32 v1, 20, v1
	v_and_b32_e32 v3, 0x80000000, v3
	v_lshl_add_u32 v5, v8, 23, v5
	v_or3_b32 v1, v3, v5, v1
	v_cvt_i32_f32_e32 v12, v1
.LBB79_2234:
	s_or_b64 exec, exec, s[22:23]
.LBB79_2235:
	s_mov_b64 s[22:23], -1
.LBB79_2236:
	s_mov_b64 s[24:25], 0
.LBB79_2237:
	s_and_b64 vcc, exec, s[24:25]
	s_cbranch_vccz .LBB79_2268
; %bb.2238:
	s_cmp_gt_i32 s29, 22
	s_cbranch_scc0 .LBB79_2246
; %bb.2239:
	s_cmp_lt_i32 s29, 24
	s_cbranch_scc1 .LBB79_2249
; %bb.2240:
	s_cmp_gt_i32 s29, 24
	s_cbranch_scc0 .LBB79_2250
; %bb.2241:
	global_load_ubyte v1, v[14:15], off
	s_movk_i32 s20, 0x7f
	s_mov_b64 s[22:23], 0
	s_waitcnt vmcnt(0)
	v_cmp_lt_i16_e32 vcc, s20, v1
	s_and_saveexec_b64 s[20:21], vcc
	s_xor_b64 s[20:21], exec, s[20:21]
	s_cbranch_execz .LBB79_2262
; %bb.2242:
	s_movk_i32 s22, 0x80
	v_cmp_ne_u16_e32 vcc, s22, v1
	s_and_b64 s[22:23], vcc, exec
	s_andn2_saveexec_b64 s[20:21], s[20:21]
	s_cbranch_execnz .LBB79_2263
.LBB79_2243:
	s_or_b64 exec, exec, s[20:21]
	v_mov_b32_e32 v12, 0
	s_and_saveexec_b64 s[20:21], s[22:23]
	s_cbranch_execz .LBB79_2245
.LBB79_2244:
	v_lshlrev_b32_e32 v3, 24, v1
	v_and_b32_e32 v1, 0xffff, v1
	v_and_b32_e32 v5, 3, v1
	v_ffbh_u32_e32 v10, v5
	v_min_u32_e32 v10, 32, v10
	v_subrev_u32_e32 v12, 29, v10
	v_bfe_u32 v8, v1, 2, 5
	v_lshlrev_b32_e32 v1, v12, v1
	v_sub_u32_e32 v10, 30, v10
	v_and_b32_e32 v1, 3, v1
	v_cmp_eq_u32_e32 vcc, 0, v8
	v_cndmask_b32_e32 v8, v8, v10, vcc
	v_cndmask_b32_e32 v1, v5, v1, vcc
	v_mov_b32_e32 v5, 0x37800000
	v_lshlrev_b32_e32 v1, 21, v1
	v_and_b32_e32 v3, 0x80000000, v3
	v_lshl_add_u32 v5, v8, 23, v5
	v_or3_b32 v1, v3, v5, v1
	v_cvt_i32_f32_e32 v12, v1
.LBB79_2245:
	s_or_b64 exec, exec, s[20:21]
	s_mov_b64 s[20:21], 0
	s_branch .LBB79_2251
.LBB79_2246:
	s_mov_b64 s[20:21], -1
                                        ; implicit-def: $vgpr12
	s_branch .LBB79_2257
.LBB79_2247:
	s_andn2_saveexec_b64 s[22:23], s[22:23]
	s_cbranch_execz .LBB79_2232
.LBB79_2248:
	v_cmp_ne_u16_e32 vcc, 0, v1
	s_andn2_b64 s[24:25], s[24:25], exec
	s_and_b64 s[30:31], vcc, exec
	s_or_b64 s[24:25], s[24:25], s[30:31]
	s_or_b64 exec, exec, s[22:23]
	v_mov_b32_e32 v12, 0
	s_and_saveexec_b64 s[22:23], s[24:25]
	s_cbranch_execnz .LBB79_2233
	s_branch .LBB79_2234
.LBB79_2249:
	s_mov_b64 s[20:21], -1
                                        ; implicit-def: $vgpr12
	s_branch .LBB79_2254
.LBB79_2250:
	s_mov_b64 s[20:21], -1
                                        ; implicit-def: $vgpr12
.LBB79_2251:
	s_and_b64 vcc, exec, s[20:21]
	s_cbranch_vccz .LBB79_2253
; %bb.2252:
	global_load_ubyte v1, v[14:15], off
	s_mov_b32 s20, 0x7f800000
	s_waitcnt vmcnt(0)
	v_lshlrev_b32_e32 v1, 24, v1
	v_and_b32_e32 v3, 0x7f000000, v1
	v_ffbh_u32_e32 v5, v3
	v_min_u32_e32 v5, 32, v5
	v_sub_u32_e64 v5, v5, 4 clamp
	v_lshlrev_b32_e32 v10, v5, v3
	v_lshlrev_b32_e32 v5, 23, v5
	v_lshrrev_b32_e32 v10, 4, v10
	v_add_u32_e32 v8, 0x1000000, v3
	v_sub_u32_e32 v5, v10, v5
	v_ashrrev_i32_e32 v8, 8, v8
	v_add_u32_e32 v5, 0x3c000000, v5
	v_and_or_b32 v5, v8, s20, v5
	v_cmp_ne_u32_e32 vcc, 0, v3
	v_cndmask_b32_e32 v3, 0, v5, vcc
	s_brev_b32 s20, 1
	v_and_or_b32 v1, v1, s20, v3
	v_cvt_i32_f32_e32 v12, v1
.LBB79_2253:
	s_mov_b64 s[20:21], 0
.LBB79_2254:
	s_andn2_b64 vcc, exec, s[20:21]
	s_cbranch_vccnz .LBB79_2256
; %bb.2255:
	global_load_ubyte v1, v[14:15], off
	s_movk_i32 s20, 0x7f00
	s_brev_b32 s21, 16
	s_waitcnt vmcnt(0)
	v_lshlrev_b16_e32 v3, 8, v1
	v_lshlrev_b32_e32 v1, 25, v1
	v_lshrrev_b32_e32 v5, 4, v1
	v_and_or_b32 v8, v3, s20, 0.5
	v_or_b32_e32 v5, 0x70000000, v5
	v_add_f32_e32 v8, -0.5, v8
	v_mul_f32_e32 v5, 0x7800000, v5
	v_cmp_gt_u32_e32 vcc, s21, v1
	v_bfe_i32 v3, v3, 0, 16
	v_cndmask_b32_e32 v1, v5, v8, vcc
	s_brev_b32 s20, 1
	v_and_or_b32 v1, v3, s20, v1
	v_cvt_i32_f32_e32 v12, v1
.LBB79_2256:
	s_mov_b64 s[20:21], 0
	s_mov_b64 s[22:23], -1
.LBB79_2257:
	s_andn2_b64 vcc, exec, s[20:21]
	s_mov_b64 s[20:21], 0
	s_cbranch_vccnz .LBB79_2268
; %bb.2258:
	s_cmp_gt_i32 s29, 14
	s_cbranch_scc0 .LBB79_2261
; %bb.2259:
	s_cmp_eq_u32 s29, 15
	s_cbranch_scc0 .LBB79_2264
; %bb.2260:
	global_load_ushort v1, v[14:15], off
	s_mov_b64 s[18:19], 0
	s_mov_b64 s[22:23], -1
	s_waitcnt vmcnt(0)
	v_lshlrev_b32_e32 v1, 16, v1
	v_cvt_i32_f32_e32 v12, v1
	s_branch .LBB79_2265
.LBB79_2261:
	s_mov_b64 s[24:25], -1
                                        ; implicit-def: $vgpr12
	s_branch .LBB79_2266
.LBB79_2262:
	s_andn2_saveexec_b64 s[20:21], s[20:21]
	s_cbranch_execz .LBB79_2243
.LBB79_2263:
	v_cmp_ne_u16_e32 vcc, 0, v1
	s_andn2_b64 s[22:23], s[22:23], exec
	s_and_b64 s[24:25], vcc, exec
	s_or_b64 s[22:23], s[22:23], s[24:25]
	s_or_b64 exec, exec, s[20:21]
	v_mov_b32_e32 v12, 0
	s_and_saveexec_b64 s[20:21], s[22:23]
	s_cbranch_execnz .LBB79_2244
	s_branch .LBB79_2245
.LBB79_2264:
	s_mov_b64 s[18:19], -1
                                        ; implicit-def: $vgpr12
.LBB79_2265:
	s_mov_b64 s[24:25], 0
.LBB79_2266:
	s_and_b64 vcc, exec, s[24:25]
	s_cbranch_vccz .LBB79_2268
; %bb.2267:
	s_cmp_lg_u32 s29, 11
	s_mov_b64 s[20:21], -1
	s_cselect_b64 s[18:19], -1, 0
.LBB79_2268:
	s_and_b64 vcc, exec, s[18:19]
	s_cbranch_vccnz .LBB79_2333
; %bb.2269:
	s_andn2_b64 vcc, exec, s[20:21]
	s_cbranch_vccnz .LBB79_2271
.LBB79_2270:
	global_load_ubyte v1, v[14:15], off
	s_mov_b64 s[22:23], -1
	s_waitcnt vmcnt(0)
	v_cmp_ne_u16_e32 vcc, 0, v1
	v_cndmask_b32_e64 v12, 0, 1, vcc
.LBB79_2271:
	s_mov_b64 s[18:19], 0
.LBB79_2272:
	s_and_b64 vcc, exec, s[18:19]
	s_cbranch_vccz .LBB79_2321
; %bb.2273:
	s_and_b32 s20, 0xffff, s27
	s_cmp_lt_i32 s20, 5
	s_cbranch_scc1 .LBB79_2278
; %bb.2274:
	s_cmp_lt_i32 s20, 8
	s_cbranch_scc1 .LBB79_2279
; %bb.2275:
	;; [unrolled: 3-line block ×3, first 2 shown]
	s_cmp_gt_i32 s20, 9
	s_cbranch_scc0 .LBB79_2281
; %bb.2277:
	global_load_dwordx2 v[12:13], v[14:15], off
	s_mov_b64 s[18:19], 0
	s_waitcnt vmcnt(0)
	v_cvt_i32_f64_e32 v12, v[12:13]
	s_branch .LBB79_2282
.LBB79_2278:
	s_mov_b64 s[18:19], -1
                                        ; implicit-def: $vgpr12
	s_branch .LBB79_2300
.LBB79_2279:
	s_mov_b64 s[18:19], -1
                                        ; implicit-def: $vgpr12
	s_branch .LBB79_2288
.LBB79_2280:
	s_mov_b64 s[18:19], -1
                                        ; implicit-def: $vgpr12
	s_branch .LBB79_2285
.LBB79_2281:
	s_mov_b64 s[18:19], -1
                                        ; implicit-def: $vgpr12
.LBB79_2282:
	s_andn2_b64 vcc, exec, s[18:19]
	s_cbranch_vccnz .LBB79_2284
; %bb.2283:
	global_load_dword v1, v[14:15], off
	s_waitcnt vmcnt(0)
	v_cvt_i32_f32_e32 v12, v1
.LBB79_2284:
	s_mov_b64 s[18:19], 0
.LBB79_2285:
	s_andn2_b64 vcc, exec, s[18:19]
	s_cbranch_vccnz .LBB79_2287
; %bb.2286:
	global_load_dword v1, v[14:15], off
	s_waitcnt vmcnt(0)
	v_cvt_i16_f16_e32 v12, v1
.LBB79_2287:
	s_mov_b64 s[18:19], 0
.LBB79_2288:
	s_andn2_b64 vcc, exec, s[18:19]
	s_cbranch_vccnz .LBB79_2299
; %bb.2289:
	s_cmp_lt_i32 s20, 6
	s_cbranch_scc1 .LBB79_2292
; %bb.2290:
	s_cmp_gt_i32 s20, 6
	s_cbranch_scc0 .LBB79_2293
; %bb.2291:
	global_load_dwordx2 v[12:13], v[14:15], off
	s_mov_b64 s[18:19], 0
	s_waitcnt vmcnt(0)
	v_cvt_i32_f64_e32 v12, v[12:13]
	s_branch .LBB79_2294
.LBB79_2292:
	s_mov_b64 s[18:19], -1
                                        ; implicit-def: $vgpr12
	s_branch .LBB79_2297
.LBB79_2293:
	s_mov_b64 s[18:19], -1
                                        ; implicit-def: $vgpr12
.LBB79_2294:
	s_andn2_b64 vcc, exec, s[18:19]
	s_cbranch_vccnz .LBB79_2296
; %bb.2295:
	global_load_dword v1, v[14:15], off
	s_waitcnt vmcnt(0)
	v_cvt_i32_f32_e32 v12, v1
.LBB79_2296:
	s_mov_b64 s[18:19], 0
.LBB79_2297:
	s_andn2_b64 vcc, exec, s[18:19]
	s_cbranch_vccnz .LBB79_2299
; %bb.2298:
	global_load_ushort v1, v[14:15], off
	s_waitcnt vmcnt(0)
	v_cvt_i16_f16_e32 v12, v1
.LBB79_2299:
	s_mov_b64 s[18:19], 0
.LBB79_2300:
	s_andn2_b64 vcc, exec, s[18:19]
	s_cbranch_vccnz .LBB79_2320
; %bb.2301:
	s_cmp_lt_i32 s20, 2
	s_cbranch_scc1 .LBB79_2305
; %bb.2302:
	s_cmp_lt_i32 s20, 3
	s_cbranch_scc1 .LBB79_2306
; %bb.2303:
	s_cmp_gt_i32 s20, 3
	s_cbranch_scc0 .LBB79_2307
; %bb.2304:
	global_load_dwordx2 v[12:13], v[14:15], off
	s_mov_b64 s[18:19], 0
	s_branch .LBB79_2308
.LBB79_2305:
	s_mov_b64 s[18:19], -1
                                        ; implicit-def: $vgpr12
	s_branch .LBB79_2314
.LBB79_2306:
	s_mov_b64 s[18:19], -1
                                        ; implicit-def: $vgpr12
	s_branch .LBB79_2311
.LBB79_2307:
	s_mov_b64 s[18:19], -1
                                        ; implicit-def: $vgpr12
.LBB79_2308:
	s_andn2_b64 vcc, exec, s[18:19]
	s_cbranch_vccnz .LBB79_2310
; %bb.2309:
	global_load_dword v12, v[14:15], off
.LBB79_2310:
	s_mov_b64 s[18:19], 0
.LBB79_2311:
	s_andn2_b64 vcc, exec, s[18:19]
	s_cbranch_vccnz .LBB79_2313
; %bb.2312:
	global_load_ushort v12, v[14:15], off
.LBB79_2313:
	s_mov_b64 s[18:19], 0
.LBB79_2314:
	s_andn2_b64 vcc, exec, s[18:19]
	s_cbranch_vccnz .LBB79_2320
; %bb.2315:
	s_cmp_gt_i32 s20, 0
	s_cbranch_scc0 .LBB79_2317
; %bb.2316:
	global_load_sbyte v12, v[14:15], off
	s_mov_b64 s[18:19], 0
	s_branch .LBB79_2318
.LBB79_2317:
	s_mov_b64 s[18:19], -1
                                        ; implicit-def: $vgpr12
.LBB79_2318:
	s_andn2_b64 vcc, exec, s[18:19]
	s_cbranch_vccnz .LBB79_2320
; %bb.2319:
	global_load_ubyte v12, v[14:15], off
.LBB79_2320:
	s_mov_b64 s[22:23], -1
.LBB79_2321:
	s_andn2_b64 vcc, exec, s[22:23]
	s_cbranch_vccnz .LBB79_2723
; %bb.2322:
	v_mov_b32_e32 v1, s1
	v_add_co_u32_e32 v10, vcc, s0, v11
	s_cmp_lt_i32 s28, 11
	v_addc_co_u32_e32 v11, vcc, 0, v1, vcc
	s_cbranch_scc1 .LBB79_2329
; %bb.2323:
	s_and_b32 s29, 0xffff, s28
	s_cmp_gt_i32 s29, 25
	s_mov_b64 s[20:21], 0
	s_cbranch_scc0 .LBB79_2330
; %bb.2324:
	s_cmp_gt_i32 s29, 28
	s_cbranch_scc0 .LBB79_2331
; %bb.2325:
	s_cmp_gt_i32 s29, 43
	;; [unrolled: 3-line block ×3, first 2 shown]
	s_cbranch_scc0 .LBB79_2334
; %bb.2327:
	s_cmp_eq_u32 s29, 46
	s_mov_b64 s[24:25], 0
	s_cbranch_scc0 .LBB79_2337
; %bb.2328:
	global_load_dword v1, v[10:11], off
	s_mov_b64 s[18:19], 0
	s_mov_b64 s[22:23], -1
	s_waitcnt vmcnt(0)
	v_lshlrev_b32_e32 v1, 16, v1
	v_cvt_i32_f32_e32 v13, v1
	s_branch .LBB79_2338
.LBB79_2329:
	s_mov_b64 s[18:19], -1
	s_mov_b64 s[22:23], 0
                                        ; implicit-def: $vgpr13
	s_branch .LBB79_2400
.LBB79_2330:
	s_mov_b64 s[24:25], -1
	s_mov_b64 s[22:23], 0
	s_mov_b64 s[18:19], 0
                                        ; implicit-def: $vgpr13
	s_branch .LBB79_2365
.LBB79_2331:
	s_mov_b64 s[24:25], -1
	s_mov_b64 s[22:23], 0
	s_mov_b64 s[18:19], 0
                                        ; implicit-def: $vgpr13
	s_branch .LBB79_2348
.LBB79_2332:
	s_mov_b64 s[24:25], -1
	s_mov_b64 s[22:23], 0
	s_mov_b64 s[18:19], 0
                                        ; implicit-def: $vgpr13
	s_branch .LBB79_2343
.LBB79_2333:
	s_trap 2
	s_or_b64 s[4:5], s[4:5], exec
	s_cbranch_execz .LBB79_2270
	s_branch .LBB79_2271
.LBB79_2334:
	s_mov_b64 s[24:25], -1
	s_mov_b64 s[22:23], 0
	s_mov_b64 s[18:19], 0
                                        ; implicit-def: $vgpr13
	s_branch .LBB79_2338
.LBB79_2335:
	s_andn2_saveexec_b64 s[66:67], s[66:67]
	s_cbranch_execz .LBB79_1145
.LBB79_2336:
	v_add_f32_e32 v2, 0x42800000, v3
	v_and_b32_e32 v2, 0xff, v2
	v_cmp_ne_u32_e32 vcc, 0, v2
	s_andn2_b64 s[64:65], s[64:65], exec
	s_and_b64 s[76:77], vcc, exec
	s_or_b64 s[64:65], s[64:65], s[76:77]
	s_or_b64 exec, exec, s[66:67]
	v_mov_b32_e32 v4, 0
	s_and_saveexec_b64 s[66:67], s[64:65]
	s_cbranch_execnz .LBB79_1146
	s_branch .LBB79_1147
.LBB79_2337:
	s_mov_b64 s[18:19], -1
                                        ; implicit-def: $vgpr13
	s_mov_b64 s[22:23], 0
.LBB79_2338:
	s_and_b64 vcc, exec, s[24:25]
	s_cbranch_vccz .LBB79_2342
; %bb.2339:
	s_cmp_eq_u32 s29, 44
	s_cbranch_scc0 .LBB79_2341
; %bb.2340:
	global_load_ubyte v1, v[10:11], off
	s_mov_b64 s[18:19], 0
	s_mov_b64 s[22:23], -1
	s_waitcnt vmcnt(0)
	v_lshlrev_b32_e32 v3, 23, v1
	v_cvt_i32_f32_e32 v3, v3
	v_cmp_ne_u32_e32 vcc, 0, v1
	v_cndmask_b32_e32 v13, 0, v3, vcc
	s_branch .LBB79_2342
.LBB79_2341:
	s_mov_b64 s[18:19], -1
                                        ; implicit-def: $vgpr13
.LBB79_2342:
	s_mov_b64 s[24:25], 0
.LBB79_2343:
	s_and_b64 vcc, exec, s[24:25]
	s_cbranch_vccz .LBB79_2347
; %bb.2344:
	s_cmp_eq_u32 s29, 29
	s_cbranch_scc0 .LBB79_2346
; %bb.2345:
	global_load_dwordx2 v[13:14], v[10:11], off
	s_mov_b64 s[18:19], 0
	s_mov_b64 s[22:23], -1
	s_branch .LBB79_2347
.LBB79_2346:
	s_mov_b64 s[18:19], -1
                                        ; implicit-def: $vgpr13
.LBB79_2347:
	s_mov_b64 s[24:25], 0
.LBB79_2348:
	s_and_b64 vcc, exec, s[24:25]
	s_cbranch_vccz .LBB79_2364
; %bb.2349:
	s_cmp_lt_i32 s29, 27
	s_cbranch_scc1 .LBB79_2352
; %bb.2350:
	s_cmp_gt_i32 s29, 27
	s_cbranch_scc0 .LBB79_2353
; %bb.2351:
	global_load_dword v13, v[10:11], off
	s_mov_b64 s[22:23], 0
	s_branch .LBB79_2354
.LBB79_2352:
	s_mov_b64 s[22:23], -1
                                        ; implicit-def: $vgpr13
	s_branch .LBB79_2357
.LBB79_2353:
	s_mov_b64 s[22:23], -1
                                        ; implicit-def: $vgpr13
.LBB79_2354:
	s_andn2_b64 vcc, exec, s[22:23]
	s_cbranch_vccnz .LBB79_2356
; %bb.2355:
	global_load_ushort v13, v[10:11], off
.LBB79_2356:
	s_mov_b64 s[22:23], 0
.LBB79_2357:
	s_andn2_b64 vcc, exec, s[22:23]
	s_cbranch_vccnz .LBB79_2363
; %bb.2358:
	global_load_ubyte v1, v[10:11], off
	s_movk_i32 s22, 0x7f
	s_mov_b64 s[24:25], 0
	s_waitcnt vmcnt(0)
	v_cmp_lt_i16_e32 vcc, s22, v1
	s_and_saveexec_b64 s[22:23], vcc
	s_xor_b64 s[22:23], exec, s[22:23]
	s_cbranch_execz .LBB79_2375
; %bb.2359:
	s_movk_i32 s24, 0x80
	v_cmp_ne_u16_e32 vcc, s24, v1
	s_and_b64 s[24:25], vcc, exec
	s_andn2_saveexec_b64 s[22:23], s[22:23]
	s_cbranch_execnz .LBB79_2376
.LBB79_2360:
	s_or_b64 exec, exec, s[22:23]
	v_mov_b32_e32 v13, 0
	s_and_saveexec_b64 s[22:23], s[24:25]
	s_cbranch_execz .LBB79_2362
.LBB79_2361:
	v_lshlrev_b32_e32 v3, 24, v1
	v_and_b32_e32 v1, 0xffff, v1
	v_and_b32_e32 v5, 7, v1
	v_ffbh_u32_e32 v13, v5
	v_min_u32_e32 v13, 32, v13
	v_subrev_u32_e32 v14, 28, v13
	v_bfe_u32 v8, v1, 3, 4
	v_lshlrev_b32_e32 v1, v14, v1
	v_sub_u32_e32 v13, 29, v13
	v_and_b32_e32 v1, 7, v1
	v_cmp_eq_u32_e32 vcc, 0, v8
	v_cndmask_b32_e32 v8, v8, v13, vcc
	v_cndmask_b32_e32 v1, v5, v1, vcc
	v_mov_b32_e32 v5, 0x3b800000
	v_lshlrev_b32_e32 v1, 20, v1
	v_and_b32_e32 v3, 0x80000000, v3
	v_lshl_add_u32 v5, v8, 23, v5
	v_or3_b32 v1, v3, v5, v1
	v_cvt_i32_f32_e32 v13, v1
.LBB79_2362:
	s_or_b64 exec, exec, s[22:23]
.LBB79_2363:
	s_mov_b64 s[22:23], -1
.LBB79_2364:
	s_mov_b64 s[24:25], 0
.LBB79_2365:
	s_and_b64 vcc, exec, s[24:25]
	s_cbranch_vccz .LBB79_2396
; %bb.2366:
	s_cmp_gt_i32 s29, 22
	s_cbranch_scc0 .LBB79_2374
; %bb.2367:
	s_cmp_lt_i32 s29, 24
	s_cbranch_scc1 .LBB79_2377
; %bb.2368:
	s_cmp_gt_i32 s29, 24
	s_cbranch_scc0 .LBB79_2378
; %bb.2369:
	global_load_ubyte v1, v[10:11], off
	s_movk_i32 s20, 0x7f
	s_mov_b64 s[22:23], 0
	s_waitcnt vmcnt(0)
	v_cmp_lt_i16_e32 vcc, s20, v1
	s_and_saveexec_b64 s[20:21], vcc
	s_xor_b64 s[20:21], exec, s[20:21]
	s_cbranch_execz .LBB79_2390
; %bb.2370:
	s_movk_i32 s22, 0x80
	v_cmp_ne_u16_e32 vcc, s22, v1
	s_and_b64 s[22:23], vcc, exec
	s_andn2_saveexec_b64 s[20:21], s[20:21]
	s_cbranch_execnz .LBB79_2391
.LBB79_2371:
	s_or_b64 exec, exec, s[20:21]
	v_mov_b32_e32 v13, 0
	s_and_saveexec_b64 s[20:21], s[22:23]
	s_cbranch_execz .LBB79_2373
.LBB79_2372:
	v_lshlrev_b32_e32 v3, 24, v1
	v_and_b32_e32 v1, 0xffff, v1
	v_and_b32_e32 v5, 3, v1
	v_ffbh_u32_e32 v13, v5
	v_min_u32_e32 v13, 32, v13
	v_subrev_u32_e32 v14, 29, v13
	v_bfe_u32 v8, v1, 2, 5
	v_lshlrev_b32_e32 v1, v14, v1
	v_sub_u32_e32 v13, 30, v13
	v_and_b32_e32 v1, 3, v1
	v_cmp_eq_u32_e32 vcc, 0, v8
	v_cndmask_b32_e32 v8, v8, v13, vcc
	v_cndmask_b32_e32 v1, v5, v1, vcc
	v_mov_b32_e32 v5, 0x37800000
	v_lshlrev_b32_e32 v1, 21, v1
	v_and_b32_e32 v3, 0x80000000, v3
	v_lshl_add_u32 v5, v8, 23, v5
	v_or3_b32 v1, v3, v5, v1
	v_cvt_i32_f32_e32 v13, v1
.LBB79_2373:
	s_or_b64 exec, exec, s[20:21]
	s_mov_b64 s[20:21], 0
	s_branch .LBB79_2379
.LBB79_2374:
	s_mov_b64 s[20:21], -1
                                        ; implicit-def: $vgpr13
	s_branch .LBB79_2385
.LBB79_2375:
	s_andn2_saveexec_b64 s[22:23], s[22:23]
	s_cbranch_execz .LBB79_2360
.LBB79_2376:
	v_cmp_ne_u16_e32 vcc, 0, v1
	s_andn2_b64 s[24:25], s[24:25], exec
	s_and_b64 s[30:31], vcc, exec
	s_or_b64 s[24:25], s[24:25], s[30:31]
	s_or_b64 exec, exec, s[22:23]
	v_mov_b32_e32 v13, 0
	s_and_saveexec_b64 s[22:23], s[24:25]
	s_cbranch_execnz .LBB79_2361
	s_branch .LBB79_2362
.LBB79_2377:
	s_mov_b64 s[20:21], -1
                                        ; implicit-def: $vgpr13
	s_branch .LBB79_2382
.LBB79_2378:
	s_mov_b64 s[20:21], -1
                                        ; implicit-def: $vgpr13
.LBB79_2379:
	s_and_b64 vcc, exec, s[20:21]
	s_cbranch_vccz .LBB79_2381
; %bb.2380:
	global_load_ubyte v1, v[10:11], off
	s_mov_b32 s20, 0x7f800000
	s_waitcnt vmcnt(0)
	v_lshlrev_b32_e32 v1, 24, v1
	v_and_b32_e32 v3, 0x7f000000, v1
	v_ffbh_u32_e32 v5, v3
	v_min_u32_e32 v5, 32, v5
	v_sub_u32_e64 v5, v5, 4 clamp
	v_lshlrev_b32_e32 v13, v5, v3
	v_lshlrev_b32_e32 v5, 23, v5
	v_lshrrev_b32_e32 v13, 4, v13
	v_add_u32_e32 v8, 0x1000000, v3
	v_sub_u32_e32 v5, v13, v5
	v_ashrrev_i32_e32 v8, 8, v8
	v_add_u32_e32 v5, 0x3c000000, v5
	v_and_or_b32 v5, v8, s20, v5
	v_cmp_ne_u32_e32 vcc, 0, v3
	v_cndmask_b32_e32 v3, 0, v5, vcc
	s_brev_b32 s20, 1
	v_and_or_b32 v1, v1, s20, v3
	v_cvt_i32_f32_e32 v13, v1
.LBB79_2381:
	s_mov_b64 s[20:21], 0
.LBB79_2382:
	s_andn2_b64 vcc, exec, s[20:21]
	s_cbranch_vccnz .LBB79_2384
; %bb.2383:
	global_load_ubyte v1, v[10:11], off
	s_movk_i32 s20, 0x7f00
	s_brev_b32 s21, 16
	s_waitcnt vmcnt(0)
	v_lshlrev_b16_e32 v3, 8, v1
	v_lshlrev_b32_e32 v1, 25, v1
	v_lshrrev_b32_e32 v5, 4, v1
	v_and_or_b32 v8, v3, s20, 0.5
	v_or_b32_e32 v5, 0x70000000, v5
	v_add_f32_e32 v8, -0.5, v8
	v_mul_f32_e32 v5, 0x7800000, v5
	v_cmp_gt_u32_e32 vcc, s21, v1
	v_bfe_i32 v3, v3, 0, 16
	v_cndmask_b32_e32 v1, v5, v8, vcc
	s_brev_b32 s20, 1
	v_and_or_b32 v1, v3, s20, v1
	v_cvt_i32_f32_e32 v13, v1
.LBB79_2384:
	s_mov_b64 s[20:21], 0
	s_mov_b64 s[22:23], -1
.LBB79_2385:
	s_andn2_b64 vcc, exec, s[20:21]
	s_mov_b64 s[20:21], 0
	s_cbranch_vccnz .LBB79_2396
; %bb.2386:
	s_cmp_gt_i32 s29, 14
	s_cbranch_scc0 .LBB79_2389
; %bb.2387:
	s_cmp_eq_u32 s29, 15
	s_cbranch_scc0 .LBB79_2392
; %bb.2388:
	global_load_ushort v1, v[10:11], off
	s_mov_b64 s[18:19], 0
	s_mov_b64 s[22:23], -1
	s_waitcnt vmcnt(0)
	v_lshlrev_b32_e32 v1, 16, v1
	v_cvt_i32_f32_e32 v13, v1
	s_branch .LBB79_2393
.LBB79_2389:
	s_mov_b64 s[24:25], -1
                                        ; implicit-def: $vgpr13
	s_branch .LBB79_2394
.LBB79_2390:
	s_andn2_saveexec_b64 s[20:21], s[20:21]
	s_cbranch_execz .LBB79_2371
.LBB79_2391:
	v_cmp_ne_u16_e32 vcc, 0, v1
	s_andn2_b64 s[22:23], s[22:23], exec
	s_and_b64 s[24:25], vcc, exec
	s_or_b64 s[22:23], s[22:23], s[24:25]
	s_or_b64 exec, exec, s[20:21]
	v_mov_b32_e32 v13, 0
	s_and_saveexec_b64 s[20:21], s[22:23]
	s_cbranch_execnz .LBB79_2372
	s_branch .LBB79_2373
.LBB79_2392:
	s_mov_b64 s[18:19], -1
                                        ; implicit-def: $vgpr13
.LBB79_2393:
	s_mov_b64 s[24:25], 0
.LBB79_2394:
	s_and_b64 vcc, exec, s[24:25]
	s_cbranch_vccz .LBB79_2396
; %bb.2395:
	s_cmp_lg_u32 s29, 11
	s_mov_b64 s[20:21], -1
	s_cselect_b64 s[18:19], -1, 0
.LBB79_2396:
	s_and_b64 vcc, exec, s[18:19]
	s_cbranch_vccnz .LBB79_2478
; %bb.2397:
	s_andn2_b64 vcc, exec, s[20:21]
	s_cbranch_vccnz .LBB79_2399
.LBB79_2398:
	global_load_ubyte v1, v[10:11], off
	s_mov_b64 s[22:23], -1
	s_waitcnt vmcnt(0)
	v_cmp_ne_u16_e32 vcc, 0, v1
	v_cndmask_b32_e64 v13, 0, 1, vcc
.LBB79_2399:
	s_mov_b64 s[18:19], 0
.LBB79_2400:
	s_and_b64 vcc, exec, s[18:19]
	s_cbranch_vccz .LBB79_2449
; %bb.2401:
	s_and_b32 s20, 0xffff, s28
	s_cmp_lt_i32 s20, 5
	s_cbranch_scc1 .LBB79_2406
; %bb.2402:
	s_cmp_lt_i32 s20, 8
	s_cbranch_scc1 .LBB79_2407
; %bb.2403:
	;; [unrolled: 3-line block ×3, first 2 shown]
	s_cmp_gt_i32 s20, 9
	s_cbranch_scc0 .LBB79_2409
; %bb.2405:
	global_load_dwordx2 v[13:14], v[10:11], off
	s_mov_b64 s[18:19], 0
	s_waitcnt vmcnt(0)
	v_cvt_i32_f64_e32 v13, v[13:14]
	s_branch .LBB79_2410
.LBB79_2406:
	s_mov_b64 s[18:19], -1
                                        ; implicit-def: $vgpr13
	s_branch .LBB79_2428
.LBB79_2407:
	s_mov_b64 s[18:19], -1
                                        ; implicit-def: $vgpr13
	s_branch .LBB79_2416
.LBB79_2408:
	s_mov_b64 s[18:19], -1
                                        ; implicit-def: $vgpr13
	s_branch .LBB79_2413
.LBB79_2409:
	s_mov_b64 s[18:19], -1
                                        ; implicit-def: $vgpr13
.LBB79_2410:
	s_andn2_b64 vcc, exec, s[18:19]
	s_cbranch_vccnz .LBB79_2412
; %bb.2411:
	global_load_dword v1, v[10:11], off
	s_waitcnt vmcnt(0)
	v_cvt_i32_f32_e32 v13, v1
.LBB79_2412:
	s_mov_b64 s[18:19], 0
.LBB79_2413:
	s_andn2_b64 vcc, exec, s[18:19]
	s_cbranch_vccnz .LBB79_2415
; %bb.2414:
	global_load_dword v1, v[10:11], off
	s_waitcnt vmcnt(0)
	v_cvt_i16_f16_e32 v13, v1
.LBB79_2415:
	s_mov_b64 s[18:19], 0
.LBB79_2416:
	s_andn2_b64 vcc, exec, s[18:19]
	s_cbranch_vccnz .LBB79_2427
; %bb.2417:
	s_cmp_lt_i32 s20, 6
	s_cbranch_scc1 .LBB79_2420
; %bb.2418:
	s_cmp_gt_i32 s20, 6
	s_cbranch_scc0 .LBB79_2421
; %bb.2419:
	global_load_dwordx2 v[13:14], v[10:11], off
	s_mov_b64 s[18:19], 0
	s_waitcnt vmcnt(0)
	v_cvt_i32_f64_e32 v13, v[13:14]
	s_branch .LBB79_2422
.LBB79_2420:
	s_mov_b64 s[18:19], -1
                                        ; implicit-def: $vgpr13
	s_branch .LBB79_2425
.LBB79_2421:
	s_mov_b64 s[18:19], -1
                                        ; implicit-def: $vgpr13
.LBB79_2422:
	s_andn2_b64 vcc, exec, s[18:19]
	s_cbranch_vccnz .LBB79_2424
; %bb.2423:
	global_load_dword v1, v[10:11], off
	s_waitcnt vmcnt(0)
	v_cvt_i32_f32_e32 v13, v1
.LBB79_2424:
	s_mov_b64 s[18:19], 0
.LBB79_2425:
	s_andn2_b64 vcc, exec, s[18:19]
	s_cbranch_vccnz .LBB79_2427
; %bb.2426:
	global_load_ushort v1, v[10:11], off
	s_waitcnt vmcnt(0)
	v_cvt_i16_f16_e32 v13, v1
.LBB79_2427:
	s_mov_b64 s[18:19], 0
.LBB79_2428:
	s_andn2_b64 vcc, exec, s[18:19]
	s_cbranch_vccnz .LBB79_2448
; %bb.2429:
	s_cmp_lt_i32 s20, 2
	s_cbranch_scc1 .LBB79_2433
; %bb.2430:
	s_cmp_lt_i32 s20, 3
	s_cbranch_scc1 .LBB79_2434
; %bb.2431:
	s_cmp_gt_i32 s20, 3
	s_cbranch_scc0 .LBB79_2435
; %bb.2432:
	global_load_dwordx2 v[13:14], v[10:11], off
	s_mov_b64 s[18:19], 0
	s_branch .LBB79_2436
.LBB79_2433:
	s_mov_b64 s[18:19], -1
                                        ; implicit-def: $vgpr13
	s_branch .LBB79_2442
.LBB79_2434:
	s_mov_b64 s[18:19], -1
                                        ; implicit-def: $vgpr13
	s_branch .LBB79_2439
.LBB79_2435:
	s_mov_b64 s[18:19], -1
                                        ; implicit-def: $vgpr13
.LBB79_2436:
	s_andn2_b64 vcc, exec, s[18:19]
	s_cbranch_vccnz .LBB79_2438
; %bb.2437:
	global_load_dword v13, v[10:11], off
.LBB79_2438:
	s_mov_b64 s[18:19], 0
.LBB79_2439:
	s_andn2_b64 vcc, exec, s[18:19]
	s_cbranch_vccnz .LBB79_2441
; %bb.2440:
	global_load_ushort v13, v[10:11], off
.LBB79_2441:
	s_mov_b64 s[18:19], 0
.LBB79_2442:
	s_andn2_b64 vcc, exec, s[18:19]
	s_cbranch_vccnz .LBB79_2448
; %bb.2443:
	s_cmp_gt_i32 s20, 0
	s_cbranch_scc0 .LBB79_2445
; %bb.2444:
	global_load_sbyte v13, v[10:11], off
	s_mov_b64 s[18:19], 0
	s_branch .LBB79_2446
.LBB79_2445:
	s_mov_b64 s[18:19], -1
                                        ; implicit-def: $vgpr13
.LBB79_2446:
	s_andn2_b64 vcc, exec, s[18:19]
	s_cbranch_vccnz .LBB79_2448
; %bb.2447:
	global_load_ubyte v13, v[10:11], off
.LBB79_2448:
	s_mov_b64 s[22:23], -1
.LBB79_2449:
	s_andn2_b64 vcc, exec, s[22:23]
	s_cbranch_vccnz .LBB79_2723
; %bb.2450:
	s_cmp_lt_i32 s26, 1
	s_mov_b64 s[20:21], 0
	s_cbranch_scc1 .LBB79_2454
; %bb.2451:
	s_cmp_gt_i32 s26, 1
	s_cbranch_scc0 .LBB79_2455
; %bb.2452:
	s_cmp_eq_u32 s26, 2
	s_cbranch_scc0 .LBB79_2456
; %bb.2453:
	s_waitcnt vmcnt(0)
	v_cmp_le_i16_e64 s[18:19], v12, v13
	s_mov_b64 s[22:23], 0
	s_branch .LBB79_2457
.LBB79_2454:
	s_mov_b64 s[24:25], -1
                                        ; implicit-def: $sgpr18_sgpr19
	s_mov_b64 s[22:23], 0
	s_branch .LBB79_2461
.LBB79_2455:
	s_mov_b64 s[24:25], -1
	s_mov_b64 s[22:23], 0
                                        ; implicit-def: $sgpr18_sgpr19
	s_branch .LBB79_2458
.LBB79_2456:
	s_mov_b64 s[22:23], -1
                                        ; implicit-def: $sgpr18_sgpr19
.LBB79_2457:
	s_mov_b64 s[24:25], 0
.LBB79_2458:
	s_and_b64 vcc, exec, s[24:25]
	s_cbranch_vccz .LBB79_2460
; %bb.2459:
	s_waitcnt vmcnt(0)
	v_cmp_gt_i16_e32 vcc, v12, v13
	s_andn2_b64 s[18:19], s[18:19], exec
	s_and_b64 s[24:25], vcc, exec
	s_or_b64 s[18:19], s[18:19], s[24:25]
.LBB79_2460:
	s_mov_b64 s[24:25], 0
.LBB79_2461:
	s_and_b64 vcc, exec, s[24:25]
	s_cbranch_vccz .LBB79_2472
; %bb.2462:
	s_cmp_lg_u32 s26, 0
	s_mov_b64 s[20:21], -1
	s_cselect_b64 s[22:23], -1, 0
	s_andn2_b64 vcc, exec, s[22:23]
	s_cbranch_vccz .LBB79_2473
.LBB79_2463:
	s_andn2_b64 vcc, exec, s[20:21]
	s_cbranch_vccnz .LBB79_2465
.LBB79_2464:
	s_waitcnt vmcnt(0)
	v_cmp_ge_i16_e32 vcc, v12, v13
	s_andn2_b64 s[18:19], s[18:19], exec
	s_and_b64 s[20:21], vcc, exec
	s_or_b64 s[18:19], s[18:19], s[20:21]
.LBB79_2465:
	v_mov_b32_e32 v1, s11
	v_add_co_u32_e32 v10, vcc, s10, v9
	s_cmp_lt_i32 s27, 11
	v_addc_co_u32_e32 v11, vcc, 0, v1, vcc
	s_cbranch_scc1 .LBB79_2474
; %bb.2466:
	s_and_b32 s29, 0xffff, s27
	s_cmp_gt_i32 s29, 25
	s_mov_b64 s[20:21], 0
	s_cbranch_scc0 .LBB79_2475
; %bb.2467:
	s_cmp_gt_i32 s29, 28
	s_cbranch_scc0 .LBB79_2476
; %bb.2468:
	s_cmp_gt_i32 s29, 43
	;; [unrolled: 3-line block ×3, first 2 shown]
	s_cbranch_scc0 .LBB79_2479
; %bb.2470:
	s_cmp_eq_u32 s29, 46
	s_mov_b64 s[24:25], 0
	s_cbranch_scc0 .LBB79_2480
; %bb.2471:
	global_load_dword v1, v[10:11], off
	s_mov_b64 s[10:11], 0
	s_mov_b64 s[22:23], -1
	s_waitcnt vmcnt(0)
	v_lshlrev_b32_e32 v1, 16, v1
	v_cvt_i32_f32_e32 v8, v1
	s_branch .LBB79_2481
.LBB79_2472:
	s_andn2_b64 vcc, exec, s[22:23]
	s_cbranch_vccnz .LBB79_2463
.LBB79_2473:
	s_waitcnt vmcnt(0)
	v_cmp_lt_i16_e32 vcc, v12, v13
	s_andn2_b64 s[18:19], s[18:19], exec
	s_and_b64 s[22:23], vcc, exec
	s_or_b64 s[18:19], s[18:19], s[22:23]
	s_cbranch_execz .LBB79_2464
	s_branch .LBB79_2465
.LBB79_2474:
	s_mov_b64 s[10:11], -1
	s_mov_b64 s[22:23], 0
                                        ; implicit-def: $vgpr8
	s_branch .LBB79_2543
.LBB79_2475:
	s_mov_b64 s[24:25], -1
	s_mov_b64 s[22:23], 0
	s_mov_b64 s[10:11], 0
                                        ; implicit-def: $vgpr8
	s_branch .LBB79_2508
.LBB79_2476:
	s_mov_b64 s[24:25], -1
	s_mov_b64 s[22:23], 0
	s_mov_b64 s[10:11], 0
                                        ; implicit-def: $vgpr8
	s_branch .LBB79_2491
.LBB79_2477:
	s_mov_b64 s[24:25], -1
	s_mov_b64 s[22:23], 0
	s_mov_b64 s[10:11], 0
                                        ; implicit-def: $vgpr8
	s_branch .LBB79_2486
.LBB79_2478:
	s_trap 2
	s_or_b64 s[4:5], s[4:5], exec
	s_cbranch_execz .LBB79_2398
	s_branch .LBB79_2399
.LBB79_2479:
	s_mov_b64 s[24:25], -1
	s_mov_b64 s[22:23], 0
	s_mov_b64 s[10:11], 0
                                        ; implicit-def: $vgpr8
	s_branch .LBB79_2481
.LBB79_2480:
	s_mov_b64 s[10:11], -1
                                        ; implicit-def: $vgpr8
	s_mov_b64 s[22:23], 0
.LBB79_2481:
	s_and_b64 vcc, exec, s[24:25]
	s_cbranch_vccz .LBB79_2485
; %bb.2482:
	s_cmp_eq_u32 s29, 44
	s_cbranch_scc0 .LBB79_2484
; %bb.2483:
	global_load_ubyte v1, v[10:11], off
	s_mov_b64 s[10:11], 0
	s_mov_b64 s[22:23], -1
	s_waitcnt vmcnt(0)
	v_lshlrev_b32_e32 v3, 23, v1
	v_cvt_i32_f32_e32 v3, v3
	v_cmp_ne_u32_e32 vcc, 0, v1
	v_cndmask_b32_e32 v8, 0, v3, vcc
	s_branch .LBB79_2485
.LBB79_2484:
	s_mov_b64 s[10:11], -1
                                        ; implicit-def: $vgpr8
.LBB79_2485:
	s_mov_b64 s[24:25], 0
.LBB79_2486:
	s_and_b64 vcc, exec, s[24:25]
	s_cbranch_vccz .LBB79_2490
; %bb.2487:
	s_cmp_eq_u32 s29, 29
	s_cbranch_scc0 .LBB79_2489
; %bb.2488:
	global_load_dwordx2 v[8:9], v[10:11], off
	s_mov_b64 s[10:11], 0
	s_mov_b64 s[22:23], -1
	s_branch .LBB79_2490
.LBB79_2489:
	s_mov_b64 s[10:11], -1
                                        ; implicit-def: $vgpr8
.LBB79_2490:
	s_mov_b64 s[24:25], 0
.LBB79_2491:
	s_and_b64 vcc, exec, s[24:25]
	s_cbranch_vccz .LBB79_2507
; %bb.2492:
	s_cmp_lt_i32 s29, 27
	s_cbranch_scc1 .LBB79_2495
; %bb.2493:
	s_cmp_gt_i32 s29, 27
	s_cbranch_scc0 .LBB79_2496
; %bb.2494:
	global_load_dword v8, v[10:11], off
	s_mov_b64 s[22:23], 0
	s_branch .LBB79_2497
.LBB79_2495:
	s_mov_b64 s[22:23], -1
                                        ; implicit-def: $vgpr8
	s_branch .LBB79_2500
.LBB79_2496:
	s_mov_b64 s[22:23], -1
                                        ; implicit-def: $vgpr8
.LBB79_2497:
	s_andn2_b64 vcc, exec, s[22:23]
	s_cbranch_vccnz .LBB79_2499
; %bb.2498:
	global_load_ushort v8, v[10:11], off
.LBB79_2499:
	s_mov_b64 s[22:23], 0
.LBB79_2500:
	s_andn2_b64 vcc, exec, s[22:23]
	s_cbranch_vccnz .LBB79_2506
; %bb.2501:
	global_load_ubyte v1, v[10:11], off
	s_movk_i32 s22, 0x7f
	s_mov_b64 s[24:25], 0
	s_waitcnt vmcnt(0)
	v_cmp_lt_i16_e32 vcc, s22, v1
	s_and_saveexec_b64 s[22:23], vcc
	s_xor_b64 s[22:23], exec, s[22:23]
	s_cbranch_execz .LBB79_2518
; %bb.2502:
	s_movk_i32 s24, 0x80
	v_cmp_ne_u16_e32 vcc, s24, v1
	s_and_b64 s[24:25], vcc, exec
	s_andn2_saveexec_b64 s[22:23], s[22:23]
	s_cbranch_execnz .LBB79_2519
.LBB79_2503:
	s_or_b64 exec, exec, s[22:23]
	v_mov_b32_e32 v8, 0
	s_and_saveexec_b64 s[22:23], s[24:25]
	s_cbranch_execz .LBB79_2505
.LBB79_2504:
	v_lshlrev_b32_e32 v3, 24, v1
	v_and_b32_e32 v1, 0xffff, v1
	v_and_b32_e32 v5, 7, v1
	v_ffbh_u32_e32 v9, v5
	v_min_u32_e32 v9, 32, v9
	v_subrev_u32_e32 v12, 28, v9
	v_bfe_u32 v8, v1, 3, 4
	v_lshlrev_b32_e32 v1, v12, v1
	v_sub_u32_e32 v9, 29, v9
	v_and_b32_e32 v1, 7, v1
	v_cmp_eq_u32_e32 vcc, 0, v8
	v_cndmask_b32_e32 v8, v8, v9, vcc
	v_cndmask_b32_e32 v1, v5, v1, vcc
	v_mov_b32_e32 v5, 0x3b800000
	v_lshlrev_b32_e32 v1, 20, v1
	v_and_b32_e32 v3, 0x80000000, v3
	v_lshl_add_u32 v5, v8, 23, v5
	v_or3_b32 v1, v3, v5, v1
	v_cvt_i32_f32_e32 v8, v1
.LBB79_2505:
	s_or_b64 exec, exec, s[22:23]
.LBB79_2506:
	s_mov_b64 s[22:23], -1
.LBB79_2507:
	s_mov_b64 s[24:25], 0
.LBB79_2508:
	s_and_b64 vcc, exec, s[24:25]
	s_cbranch_vccz .LBB79_2539
; %bb.2509:
	s_cmp_gt_i32 s29, 22
	s_cbranch_scc0 .LBB79_2517
; %bb.2510:
	s_cmp_lt_i32 s29, 24
	s_cbranch_scc1 .LBB79_2520
; %bb.2511:
	s_cmp_gt_i32 s29, 24
	s_cbranch_scc0 .LBB79_2521
; %bb.2512:
	global_load_ubyte v1, v[10:11], off
	s_movk_i32 s20, 0x7f
	s_mov_b64 s[22:23], 0
	s_waitcnt vmcnt(0)
	v_cmp_lt_i16_e32 vcc, s20, v1
	s_and_saveexec_b64 s[20:21], vcc
	s_xor_b64 s[20:21], exec, s[20:21]
	s_cbranch_execz .LBB79_2533
; %bb.2513:
	s_movk_i32 s22, 0x80
	v_cmp_ne_u16_e32 vcc, s22, v1
	s_and_b64 s[22:23], vcc, exec
	s_andn2_saveexec_b64 s[20:21], s[20:21]
	s_cbranch_execnz .LBB79_2534
.LBB79_2514:
	s_or_b64 exec, exec, s[20:21]
	v_mov_b32_e32 v8, 0
	s_and_saveexec_b64 s[20:21], s[22:23]
	s_cbranch_execz .LBB79_2516
.LBB79_2515:
	v_lshlrev_b32_e32 v3, 24, v1
	v_and_b32_e32 v1, 0xffff, v1
	v_and_b32_e32 v5, 3, v1
	v_ffbh_u32_e32 v9, v5
	v_min_u32_e32 v9, 32, v9
	v_subrev_u32_e32 v12, 29, v9
	v_bfe_u32 v8, v1, 2, 5
	v_lshlrev_b32_e32 v1, v12, v1
	v_sub_u32_e32 v9, 30, v9
	v_and_b32_e32 v1, 3, v1
	v_cmp_eq_u32_e32 vcc, 0, v8
	v_cndmask_b32_e32 v8, v8, v9, vcc
	v_cndmask_b32_e32 v1, v5, v1, vcc
	v_mov_b32_e32 v5, 0x37800000
	v_lshlrev_b32_e32 v1, 21, v1
	v_and_b32_e32 v3, 0x80000000, v3
	v_lshl_add_u32 v5, v8, 23, v5
	v_or3_b32 v1, v3, v5, v1
	v_cvt_i32_f32_e32 v8, v1
.LBB79_2516:
	s_or_b64 exec, exec, s[20:21]
	s_mov_b64 s[20:21], 0
	s_branch .LBB79_2522
.LBB79_2517:
	s_mov_b64 s[20:21], -1
                                        ; implicit-def: $vgpr8
	s_branch .LBB79_2528
.LBB79_2518:
	s_andn2_saveexec_b64 s[22:23], s[22:23]
	s_cbranch_execz .LBB79_2503
.LBB79_2519:
	v_cmp_ne_u16_e32 vcc, 0, v1
	s_andn2_b64 s[24:25], s[24:25], exec
	s_and_b64 s[30:31], vcc, exec
	s_or_b64 s[24:25], s[24:25], s[30:31]
	s_or_b64 exec, exec, s[22:23]
	v_mov_b32_e32 v8, 0
	s_and_saveexec_b64 s[22:23], s[24:25]
	s_cbranch_execnz .LBB79_2504
	s_branch .LBB79_2505
.LBB79_2520:
	s_mov_b64 s[20:21], -1
                                        ; implicit-def: $vgpr8
	s_branch .LBB79_2525
.LBB79_2521:
	s_mov_b64 s[20:21], -1
                                        ; implicit-def: $vgpr8
.LBB79_2522:
	s_and_b64 vcc, exec, s[20:21]
	s_cbranch_vccz .LBB79_2524
; %bb.2523:
	global_load_ubyte v1, v[10:11], off
	s_mov_b32 s20, 0x7f800000
	s_waitcnt vmcnt(0)
	v_lshlrev_b32_e32 v1, 24, v1
	v_and_b32_e32 v3, 0x7f000000, v1
	v_ffbh_u32_e32 v5, v3
	v_min_u32_e32 v5, 32, v5
	v_sub_u32_e64 v5, v5, 4 clamp
	v_lshlrev_b32_e32 v9, v5, v3
	v_lshlrev_b32_e32 v5, 23, v5
	v_lshrrev_b32_e32 v9, 4, v9
	v_add_u32_e32 v8, 0x1000000, v3
	v_sub_u32_e32 v5, v9, v5
	v_ashrrev_i32_e32 v8, 8, v8
	v_add_u32_e32 v5, 0x3c000000, v5
	v_and_or_b32 v5, v8, s20, v5
	v_cmp_ne_u32_e32 vcc, 0, v3
	v_cndmask_b32_e32 v3, 0, v5, vcc
	s_brev_b32 s20, 1
	v_and_or_b32 v1, v1, s20, v3
	v_cvt_i32_f32_e32 v8, v1
.LBB79_2524:
	s_mov_b64 s[20:21], 0
.LBB79_2525:
	s_andn2_b64 vcc, exec, s[20:21]
	s_cbranch_vccnz .LBB79_2527
; %bb.2526:
	global_load_ubyte v1, v[10:11], off
	s_movk_i32 s20, 0x7f00
	s_brev_b32 s21, 16
	s_waitcnt vmcnt(0)
	v_lshlrev_b16_e32 v3, 8, v1
	v_lshlrev_b32_e32 v1, 25, v1
	v_lshrrev_b32_e32 v5, 4, v1
	v_and_or_b32 v8, v3, s20, 0.5
	v_or_b32_e32 v5, 0x70000000, v5
	v_add_f32_e32 v8, -0.5, v8
	v_mul_f32_e32 v5, 0x7800000, v5
	v_cmp_gt_u32_e32 vcc, s21, v1
	v_bfe_i32 v3, v3, 0, 16
	v_cndmask_b32_e32 v1, v5, v8, vcc
	s_brev_b32 s20, 1
	v_and_or_b32 v1, v3, s20, v1
	v_cvt_i32_f32_e32 v8, v1
.LBB79_2527:
	s_mov_b64 s[20:21], 0
	s_mov_b64 s[22:23], -1
.LBB79_2528:
	s_andn2_b64 vcc, exec, s[20:21]
	s_mov_b64 s[20:21], 0
	s_cbranch_vccnz .LBB79_2539
; %bb.2529:
	s_cmp_gt_i32 s29, 14
	s_cbranch_scc0 .LBB79_2532
; %bb.2530:
	s_cmp_eq_u32 s29, 15
	s_cbranch_scc0 .LBB79_2535
; %bb.2531:
	global_load_ushort v1, v[10:11], off
	s_mov_b64 s[10:11], 0
	s_mov_b64 s[22:23], -1
	s_waitcnt vmcnt(0)
	v_lshlrev_b32_e32 v1, 16, v1
	v_cvt_i32_f32_e32 v8, v1
	s_branch .LBB79_2536
.LBB79_2532:
	s_mov_b64 s[24:25], -1
                                        ; implicit-def: $vgpr8
	s_branch .LBB79_2537
.LBB79_2533:
	s_andn2_saveexec_b64 s[20:21], s[20:21]
	s_cbranch_execz .LBB79_2514
.LBB79_2534:
	v_cmp_ne_u16_e32 vcc, 0, v1
	s_andn2_b64 s[22:23], s[22:23], exec
	s_and_b64 s[24:25], vcc, exec
	s_or_b64 s[22:23], s[22:23], s[24:25]
	s_or_b64 exec, exec, s[20:21]
	v_mov_b32_e32 v8, 0
	s_and_saveexec_b64 s[20:21], s[22:23]
	s_cbranch_execnz .LBB79_2515
	s_branch .LBB79_2516
.LBB79_2535:
	s_mov_b64 s[10:11], -1
                                        ; implicit-def: $vgpr8
.LBB79_2536:
	s_mov_b64 s[24:25], 0
.LBB79_2537:
	s_and_b64 vcc, exec, s[24:25]
	s_cbranch_vccz .LBB79_2539
; %bb.2538:
	s_cmp_lg_u32 s29, 11
	s_mov_b64 s[20:21], -1
	s_cselect_b64 s[10:11], -1, 0
.LBB79_2539:
	s_and_b64 vcc, exec, s[10:11]
	s_cbranch_vccnz .LBB79_2604
; %bb.2540:
	s_andn2_b64 vcc, exec, s[20:21]
	s_cbranch_vccnz .LBB79_2542
.LBB79_2541:
	global_load_ubyte v1, v[10:11], off
	s_mov_b64 s[22:23], -1
	s_waitcnt vmcnt(0)
	v_cmp_ne_u16_e32 vcc, 0, v1
	v_cndmask_b32_e64 v8, 0, 1, vcc
.LBB79_2542:
	s_mov_b64 s[10:11], 0
.LBB79_2543:
	s_and_b64 vcc, exec, s[10:11]
	s_cbranch_vccz .LBB79_2592
; %bb.2544:
	s_and_b32 s20, 0xffff, s27
	s_cmp_lt_i32 s20, 5
	s_cbranch_scc1 .LBB79_2549
; %bb.2545:
	s_cmp_lt_i32 s20, 8
	s_cbranch_scc1 .LBB79_2550
; %bb.2546:
	;; [unrolled: 3-line block ×3, first 2 shown]
	s_cmp_gt_i32 s20, 9
	s_cbranch_scc0 .LBB79_2552
; %bb.2548:
	global_load_dwordx2 v[8:9], v[10:11], off
	s_mov_b64 s[10:11], 0
	s_waitcnt vmcnt(0)
	v_cvt_i32_f64_e32 v8, v[8:9]
	s_branch .LBB79_2553
.LBB79_2549:
	s_mov_b64 s[10:11], -1
                                        ; implicit-def: $vgpr8
	s_branch .LBB79_2571
.LBB79_2550:
	s_mov_b64 s[10:11], -1
                                        ; implicit-def: $vgpr8
	s_branch .LBB79_2559
.LBB79_2551:
	s_mov_b64 s[10:11], -1
                                        ; implicit-def: $vgpr8
	s_branch .LBB79_2556
.LBB79_2552:
	s_mov_b64 s[10:11], -1
                                        ; implicit-def: $vgpr8
.LBB79_2553:
	s_andn2_b64 vcc, exec, s[10:11]
	s_cbranch_vccnz .LBB79_2555
; %bb.2554:
	global_load_dword v1, v[10:11], off
	s_waitcnt vmcnt(0)
	v_cvt_i32_f32_e32 v8, v1
.LBB79_2555:
	s_mov_b64 s[10:11], 0
.LBB79_2556:
	s_andn2_b64 vcc, exec, s[10:11]
	s_cbranch_vccnz .LBB79_2558
; %bb.2557:
	global_load_dword v1, v[10:11], off
	s_waitcnt vmcnt(0)
	v_cvt_i16_f16_e32 v8, v1
.LBB79_2558:
	s_mov_b64 s[10:11], 0
.LBB79_2559:
	s_andn2_b64 vcc, exec, s[10:11]
	s_cbranch_vccnz .LBB79_2570
; %bb.2560:
	s_cmp_lt_i32 s20, 6
	s_cbranch_scc1 .LBB79_2563
; %bb.2561:
	s_cmp_gt_i32 s20, 6
	s_cbranch_scc0 .LBB79_2564
; %bb.2562:
	global_load_dwordx2 v[8:9], v[10:11], off
	s_mov_b64 s[10:11], 0
	s_waitcnt vmcnt(0)
	v_cvt_i32_f64_e32 v8, v[8:9]
	s_branch .LBB79_2565
.LBB79_2563:
	s_mov_b64 s[10:11], -1
                                        ; implicit-def: $vgpr8
	s_branch .LBB79_2568
.LBB79_2564:
	s_mov_b64 s[10:11], -1
                                        ; implicit-def: $vgpr8
.LBB79_2565:
	s_andn2_b64 vcc, exec, s[10:11]
	s_cbranch_vccnz .LBB79_2567
; %bb.2566:
	global_load_dword v1, v[10:11], off
	s_waitcnt vmcnt(0)
	v_cvt_i32_f32_e32 v8, v1
.LBB79_2567:
	s_mov_b64 s[10:11], 0
.LBB79_2568:
	s_andn2_b64 vcc, exec, s[10:11]
	s_cbranch_vccnz .LBB79_2570
; %bb.2569:
	global_load_ushort v1, v[10:11], off
	s_waitcnt vmcnt(0)
	v_cvt_i16_f16_e32 v8, v1
.LBB79_2570:
	s_mov_b64 s[10:11], 0
.LBB79_2571:
	s_andn2_b64 vcc, exec, s[10:11]
	s_cbranch_vccnz .LBB79_2591
; %bb.2572:
	s_cmp_lt_i32 s20, 2
	s_cbranch_scc1 .LBB79_2576
; %bb.2573:
	s_cmp_lt_i32 s20, 3
	s_cbranch_scc1 .LBB79_2577
; %bb.2574:
	s_cmp_gt_i32 s20, 3
	s_cbranch_scc0 .LBB79_2578
; %bb.2575:
	global_load_dwordx2 v[8:9], v[10:11], off
	s_mov_b64 s[10:11], 0
	s_branch .LBB79_2579
.LBB79_2576:
	s_mov_b64 s[10:11], -1
                                        ; implicit-def: $vgpr8
	s_branch .LBB79_2585
.LBB79_2577:
	s_mov_b64 s[10:11], -1
                                        ; implicit-def: $vgpr8
	s_branch .LBB79_2582
.LBB79_2578:
	s_mov_b64 s[10:11], -1
                                        ; implicit-def: $vgpr8
.LBB79_2579:
	s_andn2_b64 vcc, exec, s[10:11]
	s_cbranch_vccnz .LBB79_2581
; %bb.2580:
	global_load_dword v8, v[10:11], off
.LBB79_2581:
	s_mov_b64 s[10:11], 0
.LBB79_2582:
	s_andn2_b64 vcc, exec, s[10:11]
	s_cbranch_vccnz .LBB79_2584
; %bb.2583:
	global_load_ushort v8, v[10:11], off
.LBB79_2584:
	s_mov_b64 s[10:11], 0
.LBB79_2585:
	s_andn2_b64 vcc, exec, s[10:11]
	s_cbranch_vccnz .LBB79_2591
; %bb.2586:
	s_cmp_gt_i32 s20, 0
	s_cbranch_scc0 .LBB79_2588
; %bb.2587:
	global_load_sbyte v8, v[10:11], off
	s_mov_b64 s[10:11], 0
	s_branch .LBB79_2589
.LBB79_2588:
	s_mov_b64 s[10:11], -1
                                        ; implicit-def: $vgpr8
.LBB79_2589:
	s_andn2_b64 vcc, exec, s[10:11]
	s_cbranch_vccnz .LBB79_2591
; %bb.2590:
	global_load_ubyte v8, v[10:11], off
.LBB79_2591:
	s_mov_b64 s[22:23], -1
.LBB79_2592:
	s_andn2_b64 vcc, exec, s[22:23]
	s_cbranch_vccnz .LBB79_2723
; %bb.2593:
	v_mov_b32_e32 v1, s1
	s_waitcnt vmcnt(0)
	v_add_co_u32_e32 v9, vcc, s0, v7
	s_cmp_lt_i32 s28, 11
	v_addc_co_u32_e32 v10, vcc, 0, v1, vcc
	s_cbranch_scc1 .LBB79_2600
; %bb.2594:
	s_and_b32 s24, 0xffff, s28
	s_cmp_gt_i32 s24, 25
	s_mov_b64 s[10:11], 0
	s_cbranch_scc0 .LBB79_2601
; %bb.2595:
	s_cmp_gt_i32 s24, 28
	s_cbranch_scc0 .LBB79_2602
; %bb.2596:
	s_cmp_gt_i32 s24, 43
	;; [unrolled: 3-line block ×3, first 2 shown]
	s_cbranch_scc0 .LBB79_2605
; %bb.2598:
	s_cmp_eq_u32 s24, 46
	s_mov_b64 s[22:23], 0
	s_cbranch_scc0 .LBB79_2606
; %bb.2599:
	global_load_dword v1, v[9:10], off
	s_mov_b64 s[0:1], 0
	s_mov_b64 s[20:21], -1
	s_waitcnt vmcnt(0)
	v_lshlrev_b32_e32 v1, 16, v1
	v_cvt_i32_f32_e32 v11, v1
	s_branch .LBB79_2607
.LBB79_2600:
	s_mov_b64 s[0:1], -1
	s_mov_b64 s[20:21], 0
                                        ; implicit-def: $vgpr11
	s_branch .LBB79_2669
.LBB79_2601:
	s_mov_b64 s[22:23], -1
	s_mov_b64 s[20:21], 0
	s_mov_b64 s[0:1], 0
                                        ; implicit-def: $vgpr11
	s_branch .LBB79_2634
.LBB79_2602:
	s_mov_b64 s[22:23], -1
	s_mov_b64 s[20:21], 0
	s_mov_b64 s[0:1], 0
                                        ; implicit-def: $vgpr11
	s_branch .LBB79_2617
.LBB79_2603:
	s_mov_b64 s[22:23], -1
	s_mov_b64 s[20:21], 0
	s_mov_b64 s[0:1], 0
                                        ; implicit-def: $vgpr11
	s_branch .LBB79_2612
.LBB79_2604:
	s_trap 2
	s_or_b64 s[4:5], s[4:5], exec
	s_cbranch_execz .LBB79_2541
	s_branch .LBB79_2542
.LBB79_2605:
	s_mov_b64 s[22:23], -1
	s_mov_b64 s[20:21], 0
	s_mov_b64 s[0:1], 0
                                        ; implicit-def: $vgpr11
	s_branch .LBB79_2607
.LBB79_2606:
	s_mov_b64 s[0:1], -1
                                        ; implicit-def: $vgpr11
	s_mov_b64 s[20:21], 0
.LBB79_2607:
	s_and_b64 vcc, exec, s[22:23]
	s_cbranch_vccz .LBB79_2611
; %bb.2608:
	s_cmp_eq_u32 s24, 44
	s_cbranch_scc0 .LBB79_2610
; %bb.2609:
	global_load_ubyte v1, v[9:10], off
	s_mov_b64 s[0:1], 0
	s_mov_b64 s[20:21], -1
	s_waitcnt vmcnt(0)
	v_lshlrev_b32_e32 v3, 23, v1
	v_cvt_i32_f32_e32 v3, v3
	v_cmp_ne_u32_e32 vcc, 0, v1
	v_cndmask_b32_e32 v11, 0, v3, vcc
	s_branch .LBB79_2611
.LBB79_2610:
	s_mov_b64 s[0:1], -1
                                        ; implicit-def: $vgpr11
.LBB79_2611:
	s_mov_b64 s[22:23], 0
.LBB79_2612:
	s_and_b64 vcc, exec, s[22:23]
	s_cbranch_vccz .LBB79_2616
; %bb.2613:
	s_cmp_eq_u32 s24, 29
	s_cbranch_scc0 .LBB79_2615
; %bb.2614:
	global_load_dwordx2 v[11:12], v[9:10], off
	s_mov_b64 s[0:1], 0
	s_mov_b64 s[20:21], -1
	s_branch .LBB79_2616
.LBB79_2615:
	s_mov_b64 s[0:1], -1
                                        ; implicit-def: $vgpr11
.LBB79_2616:
	s_mov_b64 s[22:23], 0
.LBB79_2617:
	s_and_b64 vcc, exec, s[22:23]
	s_cbranch_vccz .LBB79_2633
; %bb.2618:
	s_cmp_lt_i32 s24, 27
	s_cbranch_scc1 .LBB79_2621
; %bb.2619:
	s_cmp_gt_i32 s24, 27
	s_cbranch_scc0 .LBB79_2622
; %bb.2620:
	global_load_dword v11, v[9:10], off
	s_mov_b64 s[20:21], 0
	s_branch .LBB79_2623
.LBB79_2621:
	s_mov_b64 s[20:21], -1
                                        ; implicit-def: $vgpr11
	s_branch .LBB79_2626
.LBB79_2622:
	s_mov_b64 s[20:21], -1
                                        ; implicit-def: $vgpr11
.LBB79_2623:
	s_andn2_b64 vcc, exec, s[20:21]
	s_cbranch_vccnz .LBB79_2625
; %bb.2624:
	global_load_ushort v11, v[9:10], off
.LBB79_2625:
	s_mov_b64 s[20:21], 0
.LBB79_2626:
	s_andn2_b64 vcc, exec, s[20:21]
	s_cbranch_vccnz .LBB79_2632
; %bb.2627:
	global_load_ubyte v1, v[9:10], off
	s_movk_i32 s20, 0x7f
	s_mov_b64 s[22:23], 0
	s_waitcnt vmcnt(0)
	v_cmp_lt_i16_e32 vcc, s20, v1
	s_and_saveexec_b64 s[20:21], vcc
	s_xor_b64 s[20:21], exec, s[20:21]
	s_cbranch_execz .LBB79_2644
; %bb.2628:
	s_movk_i32 s22, 0x80
	v_cmp_ne_u16_e32 vcc, s22, v1
	s_and_b64 s[22:23], vcc, exec
	s_andn2_saveexec_b64 s[20:21], s[20:21]
	s_cbranch_execnz .LBB79_2645
.LBB79_2629:
	s_or_b64 exec, exec, s[20:21]
	v_mov_b32_e32 v11, 0
	s_and_saveexec_b64 s[20:21], s[22:23]
	s_cbranch_execz .LBB79_2631
.LBB79_2630:
	v_lshlrev_b32_e32 v3, 24, v1
	v_and_b32_e32 v1, 0xffff, v1
	v_and_b32_e32 v5, 7, v1
	v_ffbh_u32_e32 v11, v5
	v_min_u32_e32 v11, 32, v11
	v_subrev_u32_e32 v12, 28, v11
	v_bfe_u32 v7, v1, 3, 4
	v_lshlrev_b32_e32 v1, v12, v1
	v_sub_u32_e32 v11, 29, v11
	v_and_b32_e32 v1, 7, v1
	v_cmp_eq_u32_e32 vcc, 0, v7
	v_cndmask_b32_e32 v7, v7, v11, vcc
	v_cndmask_b32_e32 v1, v5, v1, vcc
	v_mov_b32_e32 v5, 0x3b800000
	v_lshlrev_b32_e32 v1, 20, v1
	v_and_b32_e32 v3, 0x80000000, v3
	v_lshl_add_u32 v5, v7, 23, v5
	v_or3_b32 v1, v3, v5, v1
	v_cvt_i32_f32_e32 v11, v1
.LBB79_2631:
	s_or_b64 exec, exec, s[20:21]
.LBB79_2632:
	s_mov_b64 s[20:21], -1
.LBB79_2633:
	s_mov_b64 s[22:23], 0
.LBB79_2634:
	s_and_b64 vcc, exec, s[22:23]
	s_cbranch_vccz .LBB79_2665
; %bb.2635:
	s_cmp_gt_i32 s24, 22
	s_cbranch_scc0 .LBB79_2643
; %bb.2636:
	s_cmp_lt_i32 s24, 24
	s_cbranch_scc1 .LBB79_2646
; %bb.2637:
	s_cmp_gt_i32 s24, 24
	s_cbranch_scc0 .LBB79_2647
; %bb.2638:
	global_load_ubyte v1, v[9:10], off
	s_movk_i32 s10, 0x7f
	s_mov_b64 s[20:21], 0
	s_waitcnt vmcnt(0)
	v_cmp_lt_i16_e32 vcc, s10, v1
	s_and_saveexec_b64 s[10:11], vcc
	s_xor_b64 s[10:11], exec, s[10:11]
	s_cbranch_execz .LBB79_2659
; %bb.2639:
	s_movk_i32 s20, 0x80
	v_cmp_ne_u16_e32 vcc, s20, v1
	s_and_b64 s[20:21], vcc, exec
	s_andn2_saveexec_b64 s[10:11], s[10:11]
	s_cbranch_execnz .LBB79_2660
.LBB79_2640:
	s_or_b64 exec, exec, s[10:11]
	v_mov_b32_e32 v11, 0
	s_and_saveexec_b64 s[10:11], s[20:21]
	s_cbranch_execz .LBB79_2642
.LBB79_2641:
	v_lshlrev_b32_e32 v3, 24, v1
	v_and_b32_e32 v1, 0xffff, v1
	v_and_b32_e32 v5, 3, v1
	v_ffbh_u32_e32 v11, v5
	v_min_u32_e32 v11, 32, v11
	v_subrev_u32_e32 v12, 29, v11
	v_bfe_u32 v7, v1, 2, 5
	v_lshlrev_b32_e32 v1, v12, v1
	v_sub_u32_e32 v11, 30, v11
	v_and_b32_e32 v1, 3, v1
	v_cmp_eq_u32_e32 vcc, 0, v7
	v_cndmask_b32_e32 v7, v7, v11, vcc
	v_cndmask_b32_e32 v1, v5, v1, vcc
	v_mov_b32_e32 v5, 0x37800000
	v_lshlrev_b32_e32 v1, 21, v1
	v_and_b32_e32 v3, 0x80000000, v3
	v_lshl_add_u32 v5, v7, 23, v5
	v_or3_b32 v1, v3, v5, v1
	v_cvt_i32_f32_e32 v11, v1
.LBB79_2642:
	s_or_b64 exec, exec, s[10:11]
	s_mov_b64 s[10:11], 0
	s_branch .LBB79_2648
.LBB79_2643:
	s_mov_b64 s[10:11], -1
                                        ; implicit-def: $vgpr11
	s_branch .LBB79_2654
.LBB79_2644:
	s_andn2_saveexec_b64 s[20:21], s[20:21]
	s_cbranch_execz .LBB79_2629
.LBB79_2645:
	v_cmp_ne_u16_e32 vcc, 0, v1
	s_andn2_b64 s[22:23], s[22:23], exec
	s_and_b64 s[30:31], vcc, exec
	s_or_b64 s[22:23], s[22:23], s[30:31]
	s_or_b64 exec, exec, s[20:21]
	v_mov_b32_e32 v11, 0
	s_and_saveexec_b64 s[20:21], s[22:23]
	s_cbranch_execnz .LBB79_2630
	s_branch .LBB79_2631
.LBB79_2646:
	s_mov_b64 s[10:11], -1
                                        ; implicit-def: $vgpr11
	s_branch .LBB79_2651
.LBB79_2647:
	s_mov_b64 s[10:11], -1
                                        ; implicit-def: $vgpr11
.LBB79_2648:
	s_and_b64 vcc, exec, s[10:11]
	s_cbranch_vccz .LBB79_2650
; %bb.2649:
	global_load_ubyte v1, v[9:10], off
	s_mov_b32 s10, 0x7f800000
	s_waitcnt vmcnt(0)
	v_lshlrev_b32_e32 v1, 24, v1
	v_and_b32_e32 v3, 0x7f000000, v1
	v_ffbh_u32_e32 v5, v3
	v_min_u32_e32 v5, 32, v5
	v_sub_u32_e64 v5, v5, 4 clamp
	v_lshlrev_b32_e32 v11, v5, v3
	v_lshlrev_b32_e32 v5, 23, v5
	v_lshrrev_b32_e32 v11, 4, v11
	v_add_u32_e32 v7, 0x1000000, v3
	v_sub_u32_e32 v5, v11, v5
	v_ashrrev_i32_e32 v7, 8, v7
	v_add_u32_e32 v5, 0x3c000000, v5
	v_and_or_b32 v5, v7, s10, v5
	v_cmp_ne_u32_e32 vcc, 0, v3
	v_cndmask_b32_e32 v3, 0, v5, vcc
	s_brev_b32 s10, 1
	v_and_or_b32 v1, v1, s10, v3
	v_cvt_i32_f32_e32 v11, v1
.LBB79_2650:
	s_mov_b64 s[10:11], 0
.LBB79_2651:
	s_andn2_b64 vcc, exec, s[10:11]
	s_cbranch_vccnz .LBB79_2653
; %bb.2652:
	global_load_ubyte v1, v[9:10], off
	s_movk_i32 s10, 0x7f00
	s_brev_b32 s11, 16
	s_waitcnt vmcnt(0)
	v_lshlrev_b16_e32 v3, 8, v1
	v_lshlrev_b32_e32 v1, 25, v1
	v_lshrrev_b32_e32 v5, 4, v1
	v_and_or_b32 v7, v3, s10, 0.5
	v_or_b32_e32 v5, 0x70000000, v5
	v_add_f32_e32 v7, -0.5, v7
	v_mul_f32_e32 v5, 0x7800000, v5
	v_cmp_gt_u32_e32 vcc, s11, v1
	v_bfe_i32 v3, v3, 0, 16
	v_cndmask_b32_e32 v1, v5, v7, vcc
	s_brev_b32 s10, 1
	v_and_or_b32 v1, v3, s10, v1
	v_cvt_i32_f32_e32 v11, v1
.LBB79_2653:
	s_mov_b64 s[10:11], 0
	s_mov_b64 s[20:21], -1
.LBB79_2654:
	s_andn2_b64 vcc, exec, s[10:11]
	s_mov_b64 s[10:11], 0
	s_cbranch_vccnz .LBB79_2665
; %bb.2655:
	s_cmp_gt_i32 s24, 14
	s_cbranch_scc0 .LBB79_2658
; %bb.2656:
	s_cmp_eq_u32 s24, 15
	s_cbranch_scc0 .LBB79_2661
; %bb.2657:
	global_load_ushort v1, v[9:10], off
	s_mov_b64 s[0:1], 0
	s_mov_b64 s[20:21], -1
	s_waitcnt vmcnt(0)
	v_lshlrev_b32_e32 v1, 16, v1
	v_cvt_i32_f32_e32 v11, v1
	s_branch .LBB79_2662
.LBB79_2658:
	s_mov_b64 s[22:23], -1
                                        ; implicit-def: $vgpr11
	s_branch .LBB79_2663
.LBB79_2659:
	s_andn2_saveexec_b64 s[10:11], s[10:11]
	s_cbranch_execz .LBB79_2640
.LBB79_2660:
	v_cmp_ne_u16_e32 vcc, 0, v1
	s_andn2_b64 s[20:21], s[20:21], exec
	s_and_b64 s[22:23], vcc, exec
	s_or_b64 s[20:21], s[20:21], s[22:23]
	s_or_b64 exec, exec, s[10:11]
	v_mov_b32_e32 v11, 0
	s_and_saveexec_b64 s[10:11], s[20:21]
	s_cbranch_execnz .LBB79_2641
	s_branch .LBB79_2642
.LBB79_2661:
	s_mov_b64 s[0:1], -1
                                        ; implicit-def: $vgpr11
.LBB79_2662:
	s_mov_b64 s[22:23], 0
.LBB79_2663:
	s_and_b64 vcc, exec, s[22:23]
	s_cbranch_vccz .LBB79_2665
; %bb.2664:
	s_cmp_lg_u32 s24, 11
	s_mov_b64 s[10:11], -1
	s_cselect_b64 s[0:1], -1, 0
.LBB79_2665:
	s_and_b64 vcc, exec, s[0:1]
	s_cbranch_vccnz .LBB79_3217
; %bb.2666:
	s_andn2_b64 vcc, exec, s[10:11]
	s_cbranch_vccnz .LBB79_2668
.LBB79_2667:
	global_load_ubyte v1, v[9:10], off
	s_mov_b64 s[20:21], -1
	s_waitcnt vmcnt(0)
	v_cmp_ne_u16_e32 vcc, 0, v1
	v_cndmask_b32_e64 v11, 0, 1, vcc
.LBB79_2668:
	s_mov_b64 s[0:1], 0
.LBB79_2669:
	s_and_b64 vcc, exec, s[0:1]
	s_cbranch_vccz .LBB79_2718
; %bb.2670:
	s_and_b32 s10, 0xffff, s28
	s_cmp_lt_i32 s10, 5
	s_cbranch_scc1 .LBB79_2675
; %bb.2671:
	s_cmp_lt_i32 s10, 8
	s_cbranch_scc1 .LBB79_2676
; %bb.2672:
	;; [unrolled: 3-line block ×3, first 2 shown]
	s_cmp_gt_i32 s10, 9
	s_cbranch_scc0 .LBB79_2678
; %bb.2674:
	global_load_dwordx2 v[11:12], v[9:10], off
	s_mov_b64 s[0:1], 0
	s_waitcnt vmcnt(0)
	v_cvt_i32_f64_e32 v11, v[11:12]
	s_branch .LBB79_2679
.LBB79_2675:
	s_mov_b64 s[0:1], -1
                                        ; implicit-def: $vgpr11
	s_branch .LBB79_2697
.LBB79_2676:
	s_mov_b64 s[0:1], -1
                                        ; implicit-def: $vgpr11
	s_branch .LBB79_2685
.LBB79_2677:
	s_mov_b64 s[0:1], -1
                                        ; implicit-def: $vgpr11
	s_branch .LBB79_2682
.LBB79_2678:
	s_mov_b64 s[0:1], -1
                                        ; implicit-def: $vgpr11
.LBB79_2679:
	s_andn2_b64 vcc, exec, s[0:1]
	s_cbranch_vccnz .LBB79_2681
; %bb.2680:
	global_load_dword v1, v[9:10], off
	s_waitcnt vmcnt(0)
	v_cvt_i32_f32_e32 v11, v1
.LBB79_2681:
	s_mov_b64 s[0:1], 0
.LBB79_2682:
	s_andn2_b64 vcc, exec, s[0:1]
	s_cbranch_vccnz .LBB79_2684
; %bb.2683:
	global_load_dword v1, v[9:10], off
	s_waitcnt vmcnt(0)
	v_cvt_i16_f16_e32 v11, v1
.LBB79_2684:
	s_mov_b64 s[0:1], 0
.LBB79_2685:
	s_andn2_b64 vcc, exec, s[0:1]
	s_cbranch_vccnz .LBB79_2696
; %bb.2686:
	s_cmp_lt_i32 s10, 6
	s_cbranch_scc1 .LBB79_2689
; %bb.2687:
	s_cmp_gt_i32 s10, 6
	s_cbranch_scc0 .LBB79_2690
; %bb.2688:
	global_load_dwordx2 v[11:12], v[9:10], off
	s_mov_b64 s[0:1], 0
	s_waitcnt vmcnt(0)
	v_cvt_i32_f64_e32 v11, v[11:12]
	s_branch .LBB79_2691
.LBB79_2689:
	s_mov_b64 s[0:1], -1
                                        ; implicit-def: $vgpr11
	s_branch .LBB79_2694
.LBB79_2690:
	s_mov_b64 s[0:1], -1
                                        ; implicit-def: $vgpr11
.LBB79_2691:
	s_andn2_b64 vcc, exec, s[0:1]
	s_cbranch_vccnz .LBB79_2693
; %bb.2692:
	global_load_dword v1, v[9:10], off
	s_waitcnt vmcnt(0)
	v_cvt_i32_f32_e32 v11, v1
.LBB79_2693:
	s_mov_b64 s[0:1], 0
.LBB79_2694:
	s_andn2_b64 vcc, exec, s[0:1]
	s_cbranch_vccnz .LBB79_2696
; %bb.2695:
	global_load_ushort v1, v[9:10], off
	s_waitcnt vmcnt(0)
	v_cvt_i16_f16_e32 v11, v1
.LBB79_2696:
	s_mov_b64 s[0:1], 0
.LBB79_2697:
	s_andn2_b64 vcc, exec, s[0:1]
	s_cbranch_vccnz .LBB79_2717
; %bb.2698:
	s_cmp_lt_i32 s10, 2
	s_cbranch_scc1 .LBB79_2702
; %bb.2699:
	s_cmp_lt_i32 s10, 3
	s_cbranch_scc1 .LBB79_2703
; %bb.2700:
	s_cmp_gt_i32 s10, 3
	s_cbranch_scc0 .LBB79_2704
; %bb.2701:
	global_load_dwordx2 v[11:12], v[9:10], off
	s_mov_b64 s[0:1], 0
	s_branch .LBB79_2705
.LBB79_2702:
	s_mov_b64 s[0:1], -1
                                        ; implicit-def: $vgpr11
	s_branch .LBB79_2711
.LBB79_2703:
	s_mov_b64 s[0:1], -1
                                        ; implicit-def: $vgpr11
	s_branch .LBB79_2708
.LBB79_2704:
	s_mov_b64 s[0:1], -1
                                        ; implicit-def: $vgpr11
.LBB79_2705:
	s_andn2_b64 vcc, exec, s[0:1]
	s_cbranch_vccnz .LBB79_2707
; %bb.2706:
	global_load_dword v11, v[9:10], off
.LBB79_2707:
	s_mov_b64 s[0:1], 0
.LBB79_2708:
	s_andn2_b64 vcc, exec, s[0:1]
	s_cbranch_vccnz .LBB79_2710
; %bb.2709:
	global_load_ushort v11, v[9:10], off
.LBB79_2710:
	s_mov_b64 s[0:1], 0
.LBB79_2711:
	s_andn2_b64 vcc, exec, s[0:1]
	s_cbranch_vccnz .LBB79_2717
; %bb.2712:
	s_cmp_gt_i32 s10, 0
	s_cbranch_scc0 .LBB79_2714
; %bb.2713:
	global_load_sbyte v11, v[9:10], off
	s_mov_b64 s[0:1], 0
	s_branch .LBB79_2715
.LBB79_2714:
	s_mov_b64 s[0:1], -1
                                        ; implicit-def: $vgpr11
.LBB79_2715:
	s_andn2_b64 vcc, exec, s[0:1]
	s_cbranch_vccnz .LBB79_2717
; %bb.2716:
	global_load_ubyte v11, v[9:10], off
.LBB79_2717:
	s_mov_b64 s[20:21], -1
.LBB79_2718:
	s_andn2_b64 vcc, exec, s[20:21]
	s_cbranch_vccnz .LBB79_2723
; %bb.2719:
	s_cmp_lt_i32 s26, 1
	s_mov_b64 s[0:1], 0
	s_cbranch_scc1 .LBB79_2769
; %bb.2720:
	s_cmp_gt_i32 s26, 1
	s_cbranch_scc0 .LBB79_2770
; %bb.2721:
	s_cmp_eq_u32 s26, 2
	s_cbranch_scc0 .LBB79_2771
; %bb.2722:
	s_waitcnt vmcnt(0)
	v_cmp_le_i16_e64 s[10:11], v8, v11
	s_mov_b64 s[20:21], 0
	s_branch .LBB79_2772
.LBB79_2723:
	s_mov_b64 s[0:1], 0
                                        ; implicit-def: $sgpr10_sgpr11
.LBB79_2724:
	s_mov_b64 s[2:3], 0
                                        ; implicit-def: $vgpr0_vgpr1
                                        ; implicit-def: $sgpr26
.LBB79_2725:
	s_and_b64 s[6:7], s[2:3], exec
	s_andn2_b64 s[2:3], s[12:13], exec
	s_and_b64 s[4:5], s[4:5], exec
	s_and_b64 s[0:1], s[0:1], exec
	s_or_b64 s[12:13], s[2:3], s[4:5]
.LBB79_2726:
	s_or_b64 exec, exec, s[14:15]
	s_and_saveexec_b64 s[2:3], s[12:13]
	s_cbranch_execz .LBB79_2729
; %bb.2727:
	; divergent unreachable
	s_or_b64 exec, exec, s[2:3]
	s_and_saveexec_b64 s[2:3], s[6:7]
	s_xor_b64 s[2:3], exec, s[2:3]
	s_cbranch_execnz .LBB79_2730
.LBB79_2728:
	s_or_b64 exec, exec, s[2:3]
	s_and_saveexec_b64 s[2:3], s[0:1]
	s_cbranch_execnz .LBB79_2731
	s_branch .LBB79_2768
.LBB79_2729:
	s_or_b64 exec, exec, s[2:3]
	s_and_saveexec_b64 s[2:3], s[6:7]
	s_xor_b64 s[2:3], exec, s[2:3]
	s_cbranch_execz .LBB79_2728
.LBB79_2730:
	s_waitcnt vmcnt(0)
	v_cndmask_b32_e64 v2, 0, 1, s[10:11]
	global_store_byte v[0:1], v2, off
	s_or_b64 exec, exec, s[2:3]
	s_and_saveexec_b64 s[2:3], s[0:1]
	s_cbranch_execz .LBB79_2768
.LBB79_2731:
	s_sext_i32_i16 s2, s26
	s_cmp_lt_i32 s2, 5
	s_mov_b64 s[0:1], -1
	s_cbranch_scc1 .LBB79_2752
; %bb.2732:
	s_cmp_lt_i32 s2, 8
	s_cbranch_scc1 .LBB79_2742
; %bb.2733:
	s_cmp_lt_i32 s2, 9
	s_cbranch_scc1 .LBB79_2739
; %bb.2734:
	s_cmp_gt_i32 s2, 9
	s_cbranch_scc0 .LBB79_2736
; %bb.2735:
	s_waitcnt vmcnt(0)
	v_cndmask_b32_e64 v2, 0, 1, s[10:11]
	v_cvt_f64_u32_e32 v[2:3], v2
	v_mov_b32_e32 v4, 0
	v_mov_b32_e32 v5, v4
	s_mov_b64 s[0:1], 0
	global_store_dwordx4 v[0:1], v[2:5], off
.LBB79_2736:
	s_andn2_b64 vcc, exec, s[0:1]
	s_cbranch_vccnz .LBB79_2738
; %bb.2737:
	s_waitcnt vmcnt(0)
	v_cndmask_b32_e64 v2, 0, 1.0, s[10:11]
	v_mov_b32_e32 v3, 0
	global_store_dwordx2 v[0:1], v[2:3], off
.LBB79_2738:
	s_mov_b64 s[0:1], 0
.LBB79_2739:
	s_andn2_b64 vcc, exec, s[0:1]
	s_cbranch_vccnz .LBB79_2741
; %bb.2740:
	s_waitcnt vmcnt(0)
	v_cndmask_b32_e64 v2, 0, 1.0, s[10:11]
	v_cvt_f16_f32_e32 v2, v2
	global_store_dword v[0:1], v2, off
.LBB79_2741:
	s_mov_b64 s[0:1], 0
.LBB79_2742:
	s_andn2_b64 vcc, exec, s[0:1]
	s_cbranch_vccnz .LBB79_2751
; %bb.2743:
	s_sext_i32_i16 s2, s26
	s_cmp_lt_i32 s2, 6
	s_mov_b64 s[0:1], -1
	s_cbranch_scc1 .LBB79_2749
; %bb.2744:
	s_cmp_gt_i32 s2, 6
	s_cbranch_scc0 .LBB79_2746
; %bb.2745:
	s_waitcnt vmcnt(0)
	v_cndmask_b32_e64 v2, 0, 1, s[10:11]
	v_cvt_f64_u32_e32 v[2:3], v2
	s_mov_b64 s[0:1], 0
	global_store_dwordx2 v[0:1], v[2:3], off
.LBB79_2746:
	s_andn2_b64 vcc, exec, s[0:1]
	s_cbranch_vccnz .LBB79_2748
; %bb.2747:
	s_waitcnt vmcnt(0)
	v_cndmask_b32_e64 v2, 0, 1.0, s[10:11]
	global_store_dword v[0:1], v2, off
.LBB79_2748:
	s_mov_b64 s[0:1], 0
.LBB79_2749:
	s_andn2_b64 vcc, exec, s[0:1]
	s_cbranch_vccnz .LBB79_2751
; %bb.2750:
	s_waitcnt vmcnt(0)
	v_cndmask_b32_e64 v2, 0, 1.0, s[10:11]
	v_cvt_f16_f32_e32 v2, v2
	global_store_short v[0:1], v2, off
.LBB79_2751:
	s_mov_b64 s[0:1], 0
.LBB79_2752:
	s_andn2_b64 vcc, exec, s[0:1]
	s_cbranch_vccnz .LBB79_2768
; %bb.2753:
	s_sext_i32_i16 s2, s26
	s_cmp_lt_i32 s2, 2
	s_mov_b64 s[0:1], -1
	s_cbranch_scc1 .LBB79_2763
; %bb.2754:
	s_cmp_lt_i32 s2, 3
	s_cbranch_scc1 .LBB79_2760
; %bb.2755:
	s_cmp_gt_i32 s2, 3
	s_cbranch_scc0 .LBB79_2757
; %bb.2756:
	s_mov_b32 s0, 0
	s_waitcnt vmcnt(0)
	v_cndmask_b32_e64 v2, 0, 1, s[10:11]
	v_mov_b32_e32 v3, s0
	global_store_dwordx2 v[0:1], v[2:3], off
	s_mov_b64 s[0:1], 0
.LBB79_2757:
	s_andn2_b64 vcc, exec, s[0:1]
	s_cbranch_vccnz .LBB79_2759
; %bb.2758:
	s_waitcnt vmcnt(0)
	v_cndmask_b32_e64 v2, 0, 1, s[10:11]
	global_store_dword v[0:1], v2, off
.LBB79_2759:
	s_mov_b64 s[0:1], 0
.LBB79_2760:
	s_andn2_b64 vcc, exec, s[0:1]
	s_cbranch_vccnz .LBB79_2762
; %bb.2761:
	s_waitcnt vmcnt(0)
	v_cndmask_b32_e64 v2, 0, 1, s[10:11]
	global_store_short v[0:1], v2, off
.LBB79_2762:
	s_mov_b64 s[0:1], 0
.LBB79_2763:
	s_andn2_b64 vcc, exec, s[0:1]
	s_cbranch_vccnz .LBB79_2768
; %bb.2764:
	s_sext_i32_i16 s0, s26
	s_cmp_gt_i32 s0, 0
	s_mov_b64 s[0:1], -1
	s_cbranch_scc0 .LBB79_2766
; %bb.2765:
	s_waitcnt vmcnt(0)
	v_cndmask_b32_e64 v2, 0, 1, s[10:11]
	global_store_byte v[0:1], v2, off
	s_mov_b64 s[0:1], 0
.LBB79_2766:
	s_andn2_b64 vcc, exec, s[0:1]
	s_cbranch_vccnz .LBB79_2768
; %bb.2767:
	s_waitcnt vmcnt(0)
	v_cndmask_b32_e64 v2, 0, 1, s[10:11]
	global_store_byte v[0:1], v2, off
	s_endpgm
.LBB79_2768:
	s_endpgm
.LBB79_2769:
	s_mov_b64 s[22:23], -1
                                        ; implicit-def: $sgpr10_sgpr11
	s_mov_b64 s[20:21], 0
	s_branch .LBB79_2776
.LBB79_2770:
	s_mov_b64 s[22:23], -1
	s_mov_b64 s[20:21], 0
                                        ; implicit-def: $sgpr10_sgpr11
	s_branch .LBB79_2773
.LBB79_2771:
	s_mov_b64 s[20:21], -1
                                        ; implicit-def: $sgpr10_sgpr11
.LBB79_2772:
	s_mov_b64 s[22:23], 0
.LBB79_2773:
	s_and_b64 vcc, exec, s[22:23]
	s_cbranch_vccz .LBB79_2775
; %bb.2774:
	s_waitcnt vmcnt(0)
	v_cmp_gt_i16_e32 vcc, v8, v11
	s_andn2_b64 s[10:11], s[10:11], exec
	s_and_b64 s[22:23], vcc, exec
	s_or_b64 s[10:11], s[10:11], s[22:23]
.LBB79_2775:
	s_mov_b64 s[22:23], 0
.LBB79_2776:
	s_and_b64 vcc, exec, s[22:23]
	s_cbranch_vccz .LBB79_2858
; %bb.2777:
	s_cmp_lg_u32 s26, 0
	s_mov_b64 s[0:1], -1
	s_cselect_b64 s[20:21], -1, 0
	s_andn2_b64 vcc, exec, s[20:21]
	s_cbranch_vccz .LBB79_2859
.LBB79_2778:
	s_andn2_b64 vcc, exec, s[0:1]
	s_cbranch_vccnz .LBB79_2780
.LBB79_2779:
	s_waitcnt vmcnt(0)
	v_cmp_ge_i16_e32 vcc, v8, v11
	s_andn2_b64 s[0:1], s[10:11], exec
	s_and_b64 s[10:11], vcc, exec
	s_or_b64 s[10:11], s[0:1], s[10:11]
.LBB79_2780:
	s_load_dword s0, s[2:3], 0x1a4
	v_mov_b32_e32 v1, s9
	v_add_co_u32_e32 v5, vcc, s8, v6
	v_addc_co_u32_e32 v6, vcc, 0, v1, vcc
	s_waitcnt lgkmcnt(0)
	s_and_b32 s26, s0, 0xff
	s_cmp_lt_i32 s26, 11
	s_cbranch_scc1 .LBB79_2860
; %bb.2781:
	s_and_b32 s27, 0xffff, s26
	s_mov_b64 s[22:23], -1
	s_mov_b64 s[2:3], 0
	s_cmp_gt_i32 s27, 25
	s_mov_b64 s[20:21], 0
	s_mov_b64 s[0:1], 0
	s_cbranch_scc0 .LBB79_2814
; %bb.2782:
	s_cmp_gt_i32 s27, 28
	s_cbranch_scc0 .LBB79_2797
; %bb.2783:
	s_cmp_gt_i32 s27, 43
	s_cbranch_scc0 .LBB79_2793
; %bb.2784:
	s_cmp_gt_i32 s27, 45
	s_cbranch_scc0 .LBB79_2787
; %bb.2785:
	s_mov_b64 s[0:1], -1
	s_mov_b64 s[22:23], 0
	s_cmp_eq_u32 s27, 46
	s_cbranch_scc0 .LBB79_2787
; %bb.2786:
	v_cndmask_b32_e64 v1, 0, 1.0, s[6:7]
	v_bfe_u32 v3, v1, 16, 1
	s_movk_i32 s0, 0x7fff
	v_add3_u32 v1, v1, v3, s0
	v_lshrrev_b32_e32 v1, 16, v1
	global_store_dword v[5:6], v1, off
	s_mov_b64 s[0:1], 0
	s_mov_b64 s[20:21], -1
.LBB79_2787:
	s_and_b64 vcc, exec, s[22:23]
	s_cbranch_vccz .LBB79_2792
; %bb.2788:
	s_cmp_eq_u32 s27, 44
	s_mov_b64 s[0:1], -1
	s_cbranch_scc0 .LBB79_2792
; %bb.2789:
	v_cndmask_b32_e64 v3, 0, 1.0, s[6:7]
	v_lshrrev_b32_e32 v1, 23, v3
	s_movk_i32 s0, 0xff
	v_cmp_ne_u32_e32 vcc, s0, v1
	v_mov_b32_e32 v7, 0xff
	s_and_saveexec_b64 s[20:21], vcc
; %bb.2790:
	s_mov_b32 s0, 0x3fffff
	v_and_b32_e32 v7, 0x400000, v3
	v_and_or_b32 v3, v3, s0, v1
	v_cmp_ne_u32_e32 vcc, 0, v7
	v_cmp_ne_u32_e64 s[0:1], 0, v3
	s_and_b64 s[0:1], vcc, s[0:1]
	v_cndmask_b32_e64 v3, 0, 1, s[0:1]
	v_add_u32_e32 v7, v1, v3
; %bb.2791:
	s_or_b64 exec, exec, s[20:21]
	s_mov_b64 s[0:1], 0
	s_mov_b64 s[20:21], -1
	global_store_byte v[5:6], v7, off
.LBB79_2792:
	s_mov_b64 s[22:23], 0
.LBB79_2793:
	s_and_b64 vcc, exec, s[22:23]
	s_cbranch_vccz .LBB79_2796
; %bb.2794:
	s_cmp_eq_u32 s27, 29
	s_mov_b64 s[0:1], -1
	s_cbranch_scc0 .LBB79_2796
; %bb.2795:
	s_mov_b32 s0, 0
	v_cndmask_b32_e64 v7, 0, 1, s[6:7]
	v_mov_b32_e32 v8, s0
	global_store_dwordx2 v[5:6], v[7:8], off
	s_mov_b64 s[0:1], 0
	s_mov_b64 s[20:21], -1
.LBB79_2796:
	s_mov_b64 s[22:23], 0
.LBB79_2797:
	s_and_b64 vcc, exec, s[22:23]
	s_cbranch_vccz .LBB79_2813
; %bb.2798:
	s_cmp_lt_i32 s27, 27
	s_mov_b64 s[20:21], -1
	s_cbranch_scc1 .LBB79_2804
; %bb.2799:
	s_cmp_gt_i32 s27, 27
	s_cbranch_scc0 .LBB79_2801
; %bb.2800:
	v_cndmask_b32_e64 v1, 0, 1, s[6:7]
	s_mov_b64 s[20:21], 0
	global_store_dword v[5:6], v1, off
.LBB79_2801:
	s_andn2_b64 vcc, exec, s[20:21]
	s_cbranch_vccnz .LBB79_2803
; %bb.2802:
	v_cndmask_b32_e64 v1, 0, 1, s[6:7]
	global_store_short v[5:6], v1, off
.LBB79_2803:
	s_mov_b64 s[20:21], 0
.LBB79_2804:
	s_andn2_b64 vcc, exec, s[20:21]
	s_cbranch_vccnz .LBB79_2812
; %bb.2805:
	v_cndmask_b32_e64 v3, 0, 1.0, s[6:7]
	s_mov_b32 s20, 0x43800000
	v_cmp_gt_u32_e32 vcc, s20, v3
	v_mov_b32_e32 v7, 0x80
	s_and_saveexec_b64 s[20:21], vcc
	s_cbranch_execz .LBB79_2811
; %bb.2806:
	s_mov_b32 s22, 0x3bffffff
	v_cmp_lt_u32_e32 vcc, s22, v3
	s_mov_b64 s[22:23], 0
                                        ; implicit-def: $vgpr1
	s_and_saveexec_b64 s[24:25], vcc
	s_xor_b64 s[24:25], exec, s[24:25]
	s_cbranch_execz .LBB79_3218
; %bb.2807:
	v_bfe_u32 v1, v3, 20, 1
	s_mov_b32 s28, 0x487ffff
	v_add3_u32 v1, v3, v1, s28
	s_mov_b64 s[22:23], exec
	v_lshrrev_b32_e32 v1, 20, v1
                                        ; implicit-def: $vgpr3
	s_andn2_saveexec_b64 s[24:25], s[24:25]
	s_cbranch_execnz .LBB79_3219
.LBB79_2808:
	s_or_b64 exec, exec, s[24:25]
	v_mov_b32_e32 v7, 0
	s_and_saveexec_b64 s[24:25], s[22:23]
.LBB79_2809:
	v_mov_b32_e32 v7, v1
.LBB79_2810:
	s_or_b64 exec, exec, s[24:25]
.LBB79_2811:
	s_or_b64 exec, exec, s[20:21]
	global_store_byte v[5:6], v7, off
.LBB79_2812:
	s_mov_b64 s[20:21], -1
.LBB79_2813:
	s_mov_b64 s[22:23], 0
.LBB79_2814:
	s_and_b64 vcc, exec, s[22:23]
	s_cbranch_vccz .LBB79_2854
; %bb.2815:
	s_cmp_gt_i32 s27, 22
	s_mov_b64 s[2:3], -1
	s_cbranch_scc0 .LBB79_2847
; %bb.2816:
	s_cmp_lt_i32 s27, 24
	s_cbranch_scc1 .LBB79_2836
; %bb.2817:
	s_cmp_gt_i32 s27, 24
	s_cbranch_scc0 .LBB79_2825
; %bb.2818:
	v_cndmask_b32_e64 v3, 0, 1.0, s[6:7]
	s_mov_b32 s2, 0x47800000
	v_cmp_gt_u32_e32 vcc, s2, v3
	v_mov_b32_e32 v7, 0x80
	s_and_saveexec_b64 s[2:3], vcc
	s_cbranch_execz .LBB79_2824
; %bb.2819:
	s_mov_b32 s20, 0x37ffffff
	v_cmp_lt_u32_e32 vcc, s20, v3
	s_mov_b64 s[20:21], 0
                                        ; implicit-def: $vgpr1
	s_and_saveexec_b64 s[22:23], vcc
	s_xor_b64 s[22:23], exec, s[22:23]
	s_cbranch_execz .LBB79_3221
; %bb.2820:
	v_bfe_u32 v1, v3, 21, 1
	s_mov_b32 s24, 0x88fffff
	v_add3_u32 v1, v3, v1, s24
	s_mov_b64 s[20:21], exec
	v_lshrrev_b32_e32 v1, 21, v1
                                        ; implicit-def: $vgpr3
	s_andn2_saveexec_b64 s[22:23], s[22:23]
	s_cbranch_execnz .LBB79_3222
.LBB79_2821:
	s_or_b64 exec, exec, s[22:23]
	v_mov_b32_e32 v7, 0
	s_and_saveexec_b64 s[22:23], s[20:21]
.LBB79_2822:
	v_mov_b32_e32 v7, v1
.LBB79_2823:
	s_or_b64 exec, exec, s[22:23]
.LBB79_2824:
	s_or_b64 exec, exec, s[2:3]
	s_mov_b64 s[2:3], 0
	global_store_byte v[5:6], v7, off
.LBB79_2825:
	s_and_b64 vcc, exec, s[2:3]
	s_cbranch_vccz .LBB79_2835
; %bb.2826:
	v_cndmask_b32_e64 v1, 0, 1.0, s[6:7]
	s_mov_b32 s2, 0x43f00000
	v_cmp_gt_u32_e32 vcc, s2, v1
                                        ; implicit-def: $vgpr3
	s_and_saveexec_b64 s[2:3], vcc
	s_xor_b64 s[2:3], exec, s[2:3]
	s_cbranch_execz .LBB79_2832
; %bb.2827:
	s_mov_b32 s20, 0x3c7fffff
	v_cmp_lt_u32_e32 vcc, s20, v1
                                        ; implicit-def: $vgpr3
	s_and_saveexec_b64 s[20:21], vcc
	s_xor_b64 s[20:21], exec, s[20:21]
; %bb.2828:
	v_bfe_u32 v3, v1, 20, 1
	s_mov_b32 s22, 0x407ffff
	v_add3_u32 v1, v1, v3, s22
	v_lshrrev_b32_e32 v3, 20, v1
	v_and_b32_e32 v1, 0xff00000, v1
	s_mov_b32 s22, 0x7f00000
	v_mov_b32_e32 v7, 0x7e
	v_cmp_ne_u32_e32 vcc, s22, v1
	v_cndmask_b32_e32 v3, v7, v3, vcc
                                        ; implicit-def: $vgpr1
; %bb.2829:
	s_andn2_saveexec_b64 s[20:21], s[20:21]
; %bb.2830:
	v_add_f32_e32 v3, 0x46800000, v1
; %bb.2831:
	s_or_b64 exec, exec, s[20:21]
                                        ; implicit-def: $vgpr1
.LBB79_2832:
	s_andn2_saveexec_b64 s[2:3], s[2:3]
; %bb.2833:
	s_mov_b32 s20, 0x7f800000
	v_mov_b32_e32 v3, 0x7e
	v_mov_b32_e32 v7, 0x7f
	v_cmp_lt_u32_e32 vcc, s20, v1
	v_cndmask_b32_e32 v3, v3, v7, vcc
; %bb.2834:
	s_or_b64 exec, exec, s[2:3]
	global_store_byte v[5:6], v3, off
.LBB79_2835:
	s_mov_b64 s[2:3], 0
.LBB79_2836:
	s_andn2_b64 vcc, exec, s[2:3]
	s_cbranch_vccnz .LBB79_2846
; %bb.2837:
	v_cndmask_b32_e64 v1, 0, 1.0, s[6:7]
	s_mov_b32 s2, 0x47800000
	v_cmp_gt_u32_e32 vcc, s2, v1
                                        ; implicit-def: $vgpr3
	s_and_saveexec_b64 s[2:3], vcc
	s_xor_b64 s[2:3], exec, s[2:3]
	s_cbranch_execz .LBB79_2843
; %bb.2838:
	s_mov_b32 s20, 0x387fffff
	v_cmp_lt_u32_e32 vcc, s20, v1
                                        ; implicit-def: $vgpr3
	s_and_saveexec_b64 s[20:21], vcc
	s_xor_b64 s[20:21], exec, s[20:21]
; %bb.2839:
	v_bfe_u32 v3, v1, 21, 1
	s_mov_b32 s22, 0x80fffff
	v_add3_u32 v1, v1, v3, s22
	v_lshrrev_b32_e32 v3, 21, v1
                                        ; implicit-def: $vgpr1
; %bb.2840:
	s_andn2_saveexec_b64 s[20:21], s[20:21]
; %bb.2841:
	v_add_f32_e32 v3, 0x43000000, v1
; %bb.2842:
	s_or_b64 exec, exec, s[20:21]
                                        ; implicit-def: $vgpr1
.LBB79_2843:
	s_andn2_saveexec_b64 s[2:3], s[2:3]
; %bb.2844:
	s_mov_b32 s20, 0x7f800000
	v_mov_b32_e32 v3, 0x7c
	v_mov_b32_e32 v7, 0x7f
	v_cmp_lt_u32_e32 vcc, s20, v1
	v_cndmask_b32_e32 v3, v3, v7, vcc
; %bb.2845:
	s_or_b64 exec, exec, s[2:3]
	global_store_byte v[5:6], v3, off
.LBB79_2846:
	s_mov_b64 s[2:3], 0
	s_mov_b64 s[20:21], -1
.LBB79_2847:
	s_andn2_b64 vcc, exec, s[2:3]
	s_mov_b64 s[2:3], 0
	s_cbranch_vccnz .LBB79_2854
; %bb.2848:
	s_cmp_gt_i32 s27, 14
	s_mov_b64 s[22:23], -1
	s_cbranch_scc0 .LBB79_2852
; %bb.2849:
	s_cmp_eq_u32 s27, 15
	s_mov_b64 s[0:1], -1
	s_cbranch_scc0 .LBB79_2851
; %bb.2850:
	v_cndmask_b32_e64 v1, 0, 1.0, s[6:7]
	v_bfe_u32 v3, v1, 16, 1
	s_movk_i32 s0, 0x7fff
	v_add3_u32 v1, v1, v3, s0
	global_store_short_d16_hi v[5:6], v1, off
	s_mov_b64 s[0:1], 0
	s_mov_b64 s[20:21], -1
.LBB79_2851:
	s_mov_b64 s[22:23], 0
.LBB79_2852:
	s_and_b64 vcc, exec, s[22:23]
	s_cbranch_vccz .LBB79_2854
; %bb.2853:
	s_cmp_lg_u32 s27, 11
	s_mov_b64 s[2:3], -1
	s_cselect_b64 s[0:1], -1, 0
.LBB79_2854:
	s_and_b64 vcc, exec, s[0:1]
	s_cbranch_vccnz .LBB79_3220
; %bb.2855:
	s_andn2_b64 vcc, exec, s[2:3]
	s_cbranch_vccnz .LBB79_2857
.LBB79_2856:
	v_cndmask_b32_e64 v1, 0, 1, s[6:7]
	s_mov_b64 s[20:21], -1
	global_store_byte v[5:6], v1, off
.LBB79_2857:
	s_mov_b64 s[0:1], 0
	s_branch .LBB79_2861
.LBB79_2858:
	s_andn2_b64 vcc, exec, s[20:21]
	s_cbranch_vccnz .LBB79_2778
.LBB79_2859:
	s_waitcnt vmcnt(0)
	v_cmp_lt_i16_e32 vcc, v8, v11
	s_andn2_b64 s[10:11], s[10:11], exec
	s_and_b64 s[20:21], vcc, exec
	s_or_b64 s[10:11], s[10:11], s[20:21]
	s_cbranch_execz .LBB79_2779
	s_branch .LBB79_2780
.LBB79_2860:
	s_mov_b64 s[0:1], -1
	s_mov_b64 s[20:21], 0
.LBB79_2861:
	s_and_b64 vcc, exec, s[0:1]
	s_cbranch_vccz .LBB79_2900
; %bb.2862:
	s_and_b32 s2, 0xffff, s26
	s_cmp_lt_i32 s2, 5
	s_mov_b64 s[0:1], -1
	s_cbranch_scc1 .LBB79_2883
; %bb.2863:
	s_cmp_lt_i32 s2, 8
	s_cbranch_scc1 .LBB79_2873
; %bb.2864:
	s_cmp_lt_i32 s2, 9
	s_cbranch_scc1 .LBB79_2870
; %bb.2865:
	s_cmp_gt_i32 s2, 9
	s_cbranch_scc0 .LBB79_2867
; %bb.2866:
	v_cndmask_b32_e64 v1, 0, 1, s[6:7]
	v_cvt_f64_u32_e32 v[7:8], v1
	v_mov_b32_e32 v9, 0
	v_mov_b32_e32 v10, v9
	s_mov_b64 s[0:1], 0
	global_store_dwordx4 v[5:6], v[7:10], off
.LBB79_2867:
	s_andn2_b64 vcc, exec, s[0:1]
	s_cbranch_vccnz .LBB79_2869
; %bb.2868:
	v_cndmask_b32_e64 v7, 0, 1.0, s[6:7]
	v_mov_b32_e32 v8, 0
	global_store_dwordx2 v[5:6], v[7:8], off
.LBB79_2869:
	s_mov_b64 s[0:1], 0
.LBB79_2870:
	s_andn2_b64 vcc, exec, s[0:1]
	s_cbranch_vccnz .LBB79_2872
; %bb.2871:
	v_cndmask_b32_e64 v1, 0, 1.0, s[6:7]
	v_cvt_f16_f32_e32 v1, v1
	global_store_dword v[5:6], v1, off
.LBB79_2872:
	s_mov_b64 s[0:1], 0
.LBB79_2873:
	s_andn2_b64 vcc, exec, s[0:1]
	s_cbranch_vccnz .LBB79_2882
; %bb.2874:
	s_cmp_lt_i32 s2, 6
	s_mov_b64 s[0:1], -1
	s_cbranch_scc1 .LBB79_2880
; %bb.2875:
	s_cmp_gt_i32 s2, 6
	s_cbranch_scc0 .LBB79_2877
; %bb.2876:
	v_cndmask_b32_e64 v1, 0, 1, s[6:7]
	v_cvt_f64_u32_e32 v[7:8], v1
	s_mov_b64 s[0:1], 0
	global_store_dwordx2 v[5:6], v[7:8], off
.LBB79_2877:
	s_andn2_b64 vcc, exec, s[0:1]
	s_cbranch_vccnz .LBB79_2879
; %bb.2878:
	v_cndmask_b32_e64 v1, 0, 1.0, s[6:7]
	global_store_dword v[5:6], v1, off
.LBB79_2879:
	s_mov_b64 s[0:1], 0
.LBB79_2880:
	s_andn2_b64 vcc, exec, s[0:1]
	s_cbranch_vccnz .LBB79_2882
; %bb.2881:
	v_cndmask_b32_e64 v1, 0, 1.0, s[6:7]
	v_cvt_f16_f32_e32 v1, v1
	global_store_short v[5:6], v1, off
.LBB79_2882:
	s_mov_b64 s[0:1], 0
.LBB79_2883:
	s_andn2_b64 vcc, exec, s[0:1]
	s_cbranch_vccnz .LBB79_2899
; %bb.2884:
	s_cmp_lt_i32 s2, 2
	s_mov_b64 s[0:1], -1
	s_cbranch_scc1 .LBB79_2894
; %bb.2885:
	s_cmp_lt_i32 s2, 3
	s_cbranch_scc1 .LBB79_2891
; %bb.2886:
	s_cmp_gt_i32 s2, 3
	s_cbranch_scc0 .LBB79_2888
; %bb.2887:
	s_mov_b32 s0, 0
	v_cndmask_b32_e64 v7, 0, 1, s[6:7]
	v_mov_b32_e32 v8, s0
	global_store_dwordx2 v[5:6], v[7:8], off
	s_mov_b64 s[0:1], 0
.LBB79_2888:
	s_andn2_b64 vcc, exec, s[0:1]
	s_cbranch_vccnz .LBB79_2890
; %bb.2889:
	v_cndmask_b32_e64 v1, 0, 1, s[6:7]
	global_store_dword v[5:6], v1, off
.LBB79_2890:
	s_mov_b64 s[0:1], 0
.LBB79_2891:
	s_andn2_b64 vcc, exec, s[0:1]
	s_cbranch_vccnz .LBB79_2893
; %bb.2892:
	v_cndmask_b32_e64 v1, 0, 1, s[6:7]
	global_store_short v[5:6], v1, off
.LBB79_2893:
	s_mov_b64 s[0:1], 0
.LBB79_2894:
	s_andn2_b64 vcc, exec, s[0:1]
	s_cbranch_vccnz .LBB79_2899
; %bb.2895:
	s_mov_b64 s[0:1], -1
	s_cmp_gt_i32 s2, 0
	v_cndmask_b32_e64 v1, 0, 1, s[6:7]
	s_cbranch_scc0 .LBB79_2897
; %bb.2896:
	global_store_byte v[5:6], v1, off
	s_mov_b64 s[0:1], 0
.LBB79_2897:
	s_andn2_b64 vcc, exec, s[0:1]
	s_cbranch_vccnz .LBB79_2899
; %bb.2898:
	global_store_byte v[5:6], v1, off
.LBB79_2899:
	s_mov_b64 s[20:21], -1
.LBB79_2900:
	s_andn2_b64 vcc, exec, s[20:21]
	s_cbranch_vccnz .LBB79_3215
; %bb.2901:
	v_mov_b32_e32 v1, s9
	s_and_b32 s24, 0xffff, s26
	v_add_co_u32_e32 v3, vcc, s8, v4
	s_cmp_lt_i32 s24, 11
	v_addc_co_u32_e32 v4, vcc, 0, v1, vcc
	s_cbranch_scc1 .LBB79_2979
; %bb.2902:
	s_mov_b64 s[20:21], -1
	s_mov_b64 s[2:3], 0
	s_cmp_gt_i32 s24, 25
	s_mov_b64 s[6:7], 0
	s_mov_b64 s[0:1], 0
	s_cbranch_scc0 .LBB79_2935
; %bb.2903:
	s_cmp_gt_i32 s24, 28
	s_cbranch_scc0 .LBB79_2918
; %bb.2904:
	s_cmp_gt_i32 s24, 43
	;; [unrolled: 3-line block ×3, first 2 shown]
	s_cbranch_scc0 .LBB79_2908
; %bb.2906:
	s_mov_b64 s[0:1], -1
	s_mov_b64 s[20:21], 0
	s_cmp_eq_u32 s24, 46
	s_cbranch_scc0 .LBB79_2908
; %bb.2907:
	v_cndmask_b32_e64 v1, 0, 1.0, s[16:17]
	v_bfe_u32 v5, v1, 16, 1
	s_movk_i32 s0, 0x7fff
	v_add3_u32 v1, v1, v5, s0
	v_lshrrev_b32_e32 v1, 16, v1
	global_store_dword v[3:4], v1, off
	s_mov_b64 s[0:1], 0
	s_mov_b64 s[6:7], -1
.LBB79_2908:
	s_and_b64 vcc, exec, s[20:21]
	s_cbranch_vccz .LBB79_2913
; %bb.2909:
	s_cmp_eq_u32 s24, 44
	s_mov_b64 s[0:1], -1
	s_cbranch_scc0 .LBB79_2913
; %bb.2910:
	v_cndmask_b32_e64 v5, 0, 1.0, s[16:17]
	v_lshrrev_b32_e32 v1, 23, v5
	s_movk_i32 s0, 0xff
	v_cmp_ne_u32_e32 vcc, s0, v1
	v_mov_b32_e32 v6, 0xff
	s_and_saveexec_b64 s[6:7], vcc
; %bb.2911:
	s_mov_b32 s0, 0x3fffff
	v_and_b32_e32 v6, 0x400000, v5
	v_and_or_b32 v5, v5, s0, v1
	v_cmp_ne_u32_e32 vcc, 0, v6
	v_cmp_ne_u32_e64 s[0:1], 0, v5
	s_and_b64 s[0:1], vcc, s[0:1]
	v_cndmask_b32_e64 v5, 0, 1, s[0:1]
	v_add_u32_e32 v6, v1, v5
; %bb.2912:
	s_or_b64 exec, exec, s[6:7]
	s_mov_b64 s[0:1], 0
	s_mov_b64 s[6:7], -1
	global_store_byte v[3:4], v6, off
.LBB79_2913:
	s_mov_b64 s[20:21], 0
.LBB79_2914:
	s_and_b64 vcc, exec, s[20:21]
	s_cbranch_vccz .LBB79_2917
; %bb.2915:
	s_cmp_eq_u32 s24, 29
	s_mov_b64 s[0:1], -1
	s_cbranch_scc0 .LBB79_2917
; %bb.2916:
	s_mov_b32 s0, 0
	v_cndmask_b32_e64 v5, 0, 1, s[16:17]
	v_mov_b32_e32 v6, s0
	global_store_dwordx2 v[3:4], v[5:6], off
	s_mov_b64 s[0:1], 0
	s_mov_b64 s[6:7], -1
.LBB79_2917:
	s_mov_b64 s[20:21], 0
.LBB79_2918:
	s_and_b64 vcc, exec, s[20:21]
	s_cbranch_vccz .LBB79_2934
; %bb.2919:
	s_cmp_lt_i32 s24, 27
	s_mov_b64 s[6:7], -1
	s_cbranch_scc1 .LBB79_2925
; %bb.2920:
	s_cmp_gt_i32 s24, 27
	s_cbranch_scc0 .LBB79_2922
; %bb.2921:
	v_cndmask_b32_e64 v1, 0, 1, s[16:17]
	s_mov_b64 s[6:7], 0
	global_store_dword v[3:4], v1, off
.LBB79_2922:
	s_andn2_b64 vcc, exec, s[6:7]
	s_cbranch_vccnz .LBB79_2924
; %bb.2923:
	v_cndmask_b32_e64 v1, 0, 1, s[16:17]
	global_store_short v[3:4], v1, off
.LBB79_2924:
	s_mov_b64 s[6:7], 0
.LBB79_2925:
	s_andn2_b64 vcc, exec, s[6:7]
	s_cbranch_vccnz .LBB79_2933
; %bb.2926:
	v_cndmask_b32_e64 v5, 0, 1.0, s[16:17]
	s_mov_b32 s6, 0x43800000
	v_cmp_gt_u32_e32 vcc, s6, v5
	v_mov_b32_e32 v6, 0x80
	s_and_saveexec_b64 s[6:7], vcc
	s_cbranch_execz .LBB79_2932
; %bb.2927:
	s_mov_b32 s20, 0x3bffffff
	v_cmp_lt_u32_e32 vcc, s20, v5
	s_mov_b64 s[20:21], 0
                                        ; implicit-def: $vgpr1
	s_and_saveexec_b64 s[22:23], vcc
	s_xor_b64 s[22:23], exec, s[22:23]
	s_cbranch_execz .LBB79_3223
; %bb.2928:
	v_bfe_u32 v1, v5, 20, 1
	s_mov_b32 s25, 0x487ffff
	v_add3_u32 v1, v5, v1, s25
	s_mov_b64 s[20:21], exec
	v_lshrrev_b32_e32 v1, 20, v1
                                        ; implicit-def: $vgpr5
	s_andn2_saveexec_b64 s[22:23], s[22:23]
	s_cbranch_execnz .LBB79_3224
.LBB79_2929:
	s_or_b64 exec, exec, s[22:23]
	v_mov_b32_e32 v6, 0
	s_and_saveexec_b64 s[22:23], s[20:21]
.LBB79_2930:
	v_mov_b32_e32 v6, v1
.LBB79_2931:
	s_or_b64 exec, exec, s[22:23]
.LBB79_2932:
	s_or_b64 exec, exec, s[6:7]
	global_store_byte v[3:4], v6, off
.LBB79_2933:
	s_mov_b64 s[6:7], -1
.LBB79_2934:
	s_mov_b64 s[20:21], 0
.LBB79_2935:
	s_and_b64 vcc, exec, s[20:21]
	s_cbranch_vccz .LBB79_2975
; %bb.2936:
	s_cmp_gt_i32 s24, 22
	s_mov_b64 s[2:3], -1
	s_cbranch_scc0 .LBB79_2968
; %bb.2937:
	s_cmp_lt_i32 s24, 24
	s_cbranch_scc1 .LBB79_2957
; %bb.2938:
	s_cmp_gt_i32 s24, 24
	s_cbranch_scc0 .LBB79_2946
; %bb.2939:
	v_cndmask_b32_e64 v5, 0, 1.0, s[16:17]
	s_mov_b32 s2, 0x47800000
	v_cmp_gt_u32_e32 vcc, s2, v5
	v_mov_b32_e32 v6, 0x80
	s_and_saveexec_b64 s[2:3], vcc
	s_cbranch_execz .LBB79_2945
; %bb.2940:
	s_mov_b32 s6, 0x37ffffff
	v_cmp_lt_u32_e32 vcc, s6, v5
	s_mov_b64 s[6:7], 0
                                        ; implicit-def: $vgpr1
	s_and_saveexec_b64 s[20:21], vcc
	s_xor_b64 s[20:21], exec, s[20:21]
	s_cbranch_execz .LBB79_3226
; %bb.2941:
	v_bfe_u32 v1, v5, 21, 1
	s_mov_b32 s22, 0x88fffff
	v_add3_u32 v1, v5, v1, s22
	s_mov_b64 s[6:7], exec
	v_lshrrev_b32_e32 v1, 21, v1
                                        ; implicit-def: $vgpr5
	s_andn2_saveexec_b64 s[20:21], s[20:21]
	s_cbranch_execnz .LBB79_3227
.LBB79_2942:
	s_or_b64 exec, exec, s[20:21]
	v_mov_b32_e32 v6, 0
	s_and_saveexec_b64 s[20:21], s[6:7]
.LBB79_2943:
	v_mov_b32_e32 v6, v1
.LBB79_2944:
	s_or_b64 exec, exec, s[20:21]
.LBB79_2945:
	s_or_b64 exec, exec, s[2:3]
	s_mov_b64 s[2:3], 0
	global_store_byte v[3:4], v6, off
.LBB79_2946:
	s_and_b64 vcc, exec, s[2:3]
	s_cbranch_vccz .LBB79_2956
; %bb.2947:
	v_cndmask_b32_e64 v1, 0, 1.0, s[16:17]
	s_mov_b32 s2, 0x43f00000
	v_cmp_gt_u32_e32 vcc, s2, v1
                                        ; implicit-def: $vgpr5
	s_and_saveexec_b64 s[2:3], vcc
	s_xor_b64 s[2:3], exec, s[2:3]
	s_cbranch_execz .LBB79_2953
; %bb.2948:
	s_mov_b32 s6, 0x3c7fffff
	v_cmp_lt_u32_e32 vcc, s6, v1
                                        ; implicit-def: $vgpr5
	s_and_saveexec_b64 s[6:7], vcc
	s_xor_b64 s[6:7], exec, s[6:7]
; %bb.2949:
	v_bfe_u32 v5, v1, 20, 1
	s_mov_b32 s20, 0x407ffff
	v_add3_u32 v1, v1, v5, s20
	v_lshrrev_b32_e32 v5, 20, v1
	v_and_b32_e32 v1, 0xff00000, v1
	s_mov_b32 s20, 0x7f00000
	v_mov_b32_e32 v6, 0x7e
	v_cmp_ne_u32_e32 vcc, s20, v1
	v_cndmask_b32_e32 v5, v6, v5, vcc
                                        ; implicit-def: $vgpr1
; %bb.2950:
	s_andn2_saveexec_b64 s[6:7], s[6:7]
; %bb.2951:
	v_add_f32_e32 v5, 0x46800000, v1
; %bb.2952:
	s_or_b64 exec, exec, s[6:7]
                                        ; implicit-def: $vgpr1
.LBB79_2953:
	s_andn2_saveexec_b64 s[2:3], s[2:3]
; %bb.2954:
	s_mov_b32 s6, 0x7f800000
	v_mov_b32_e32 v5, 0x7e
	v_mov_b32_e32 v6, 0x7f
	v_cmp_lt_u32_e32 vcc, s6, v1
	v_cndmask_b32_e32 v5, v5, v6, vcc
; %bb.2955:
	s_or_b64 exec, exec, s[2:3]
	global_store_byte v[3:4], v5, off
.LBB79_2956:
	s_mov_b64 s[2:3], 0
.LBB79_2957:
	s_andn2_b64 vcc, exec, s[2:3]
	s_cbranch_vccnz .LBB79_2967
; %bb.2958:
	v_cndmask_b32_e64 v1, 0, 1.0, s[16:17]
	s_mov_b32 s2, 0x47800000
	v_cmp_gt_u32_e32 vcc, s2, v1
                                        ; implicit-def: $vgpr5
	s_and_saveexec_b64 s[2:3], vcc
	s_xor_b64 s[2:3], exec, s[2:3]
	s_cbranch_execz .LBB79_2964
; %bb.2959:
	s_mov_b32 s6, 0x387fffff
	v_cmp_lt_u32_e32 vcc, s6, v1
                                        ; implicit-def: $vgpr5
	s_and_saveexec_b64 s[6:7], vcc
	s_xor_b64 s[6:7], exec, s[6:7]
; %bb.2960:
	v_bfe_u32 v5, v1, 21, 1
	s_mov_b32 s20, 0x80fffff
	v_add3_u32 v1, v1, v5, s20
	v_lshrrev_b32_e32 v5, 21, v1
                                        ; implicit-def: $vgpr1
; %bb.2961:
	s_andn2_saveexec_b64 s[6:7], s[6:7]
; %bb.2962:
	v_add_f32_e32 v5, 0x43000000, v1
; %bb.2963:
	s_or_b64 exec, exec, s[6:7]
                                        ; implicit-def: $vgpr1
.LBB79_2964:
	s_andn2_saveexec_b64 s[2:3], s[2:3]
; %bb.2965:
	s_mov_b32 s6, 0x7f800000
	v_mov_b32_e32 v5, 0x7c
	v_mov_b32_e32 v6, 0x7f
	v_cmp_lt_u32_e32 vcc, s6, v1
	v_cndmask_b32_e32 v5, v5, v6, vcc
; %bb.2966:
	s_or_b64 exec, exec, s[2:3]
	global_store_byte v[3:4], v5, off
.LBB79_2967:
	s_mov_b64 s[2:3], 0
	s_mov_b64 s[6:7], -1
.LBB79_2968:
	s_andn2_b64 vcc, exec, s[2:3]
	s_mov_b64 s[2:3], 0
	s_cbranch_vccnz .LBB79_2975
; %bb.2969:
	s_cmp_gt_i32 s24, 14
	s_mov_b64 s[20:21], -1
	s_cbranch_scc0 .LBB79_2973
; %bb.2970:
	s_cmp_eq_u32 s24, 15
	s_mov_b64 s[0:1], -1
	s_cbranch_scc0 .LBB79_2972
; %bb.2971:
	v_cndmask_b32_e64 v1, 0, 1.0, s[16:17]
	v_bfe_u32 v5, v1, 16, 1
	s_movk_i32 s0, 0x7fff
	v_add3_u32 v1, v1, v5, s0
	global_store_short_d16_hi v[3:4], v1, off
	s_mov_b64 s[0:1], 0
	s_mov_b64 s[6:7], -1
.LBB79_2972:
	s_mov_b64 s[20:21], 0
.LBB79_2973:
	s_and_b64 vcc, exec, s[20:21]
	s_cbranch_vccz .LBB79_2975
; %bb.2974:
	s_cmp_lg_u32 s24, 11
	s_mov_b64 s[2:3], -1
	s_cselect_b64 s[0:1], -1, 0
.LBB79_2975:
	s_and_b64 vcc, exec, s[0:1]
	s_cbranch_vccnz .LBB79_3225
; %bb.2976:
	s_andn2_b64 vcc, exec, s[2:3]
	s_cbranch_vccnz .LBB79_2978
.LBB79_2977:
	v_cndmask_b32_e64 v1, 0, 1, s[16:17]
	s_mov_b64 s[6:7], -1
	global_store_byte v[3:4], v1, off
.LBB79_2978:
	s_mov_b64 s[0:1], 0
	s_branch .LBB79_2980
.LBB79_2979:
	s_mov_b64 s[0:1], -1
	s_mov_b64 s[6:7], 0
.LBB79_2980:
	s_and_b64 vcc, exec, s[0:1]
	s_cbranch_vccz .LBB79_3019
; %bb.2981:
	s_cmp_lt_i32 s24, 5
	s_mov_b64 s[0:1], -1
	s_cbranch_scc1 .LBB79_3002
; %bb.2982:
	s_cmp_lt_i32 s24, 8
	s_cbranch_scc1 .LBB79_2992
; %bb.2983:
	s_cmp_lt_i32 s24, 9
	s_cbranch_scc1 .LBB79_2989
; %bb.2984:
	s_cmp_gt_i32 s24, 9
	s_cbranch_scc0 .LBB79_2986
; %bb.2985:
	v_cndmask_b32_e64 v1, 0, 1, s[16:17]
	v_cvt_f64_u32_e32 v[5:6], v1
	v_mov_b32_e32 v7, 0
	v_mov_b32_e32 v8, v7
	s_mov_b64 s[0:1], 0
	global_store_dwordx4 v[3:4], v[5:8], off
.LBB79_2986:
	s_andn2_b64 vcc, exec, s[0:1]
	s_cbranch_vccnz .LBB79_2988
; %bb.2987:
	v_cndmask_b32_e64 v5, 0, 1.0, s[16:17]
	v_mov_b32_e32 v6, 0
	global_store_dwordx2 v[3:4], v[5:6], off
.LBB79_2988:
	s_mov_b64 s[0:1], 0
.LBB79_2989:
	s_andn2_b64 vcc, exec, s[0:1]
	s_cbranch_vccnz .LBB79_2991
; %bb.2990:
	v_cndmask_b32_e64 v1, 0, 1.0, s[16:17]
	v_cvt_f16_f32_e32 v1, v1
	global_store_dword v[3:4], v1, off
.LBB79_2991:
	s_mov_b64 s[0:1], 0
.LBB79_2992:
	s_andn2_b64 vcc, exec, s[0:1]
	s_cbranch_vccnz .LBB79_3001
; %bb.2993:
	s_cmp_lt_i32 s24, 6
	s_mov_b64 s[0:1], -1
	s_cbranch_scc1 .LBB79_2999
; %bb.2994:
	s_cmp_gt_i32 s24, 6
	s_cbranch_scc0 .LBB79_2996
; %bb.2995:
	v_cndmask_b32_e64 v1, 0, 1, s[16:17]
	v_cvt_f64_u32_e32 v[5:6], v1
	s_mov_b64 s[0:1], 0
	global_store_dwordx2 v[3:4], v[5:6], off
.LBB79_2996:
	s_andn2_b64 vcc, exec, s[0:1]
	s_cbranch_vccnz .LBB79_2998
; %bb.2997:
	v_cndmask_b32_e64 v1, 0, 1.0, s[16:17]
	global_store_dword v[3:4], v1, off
.LBB79_2998:
	s_mov_b64 s[0:1], 0
.LBB79_2999:
	s_andn2_b64 vcc, exec, s[0:1]
	s_cbranch_vccnz .LBB79_3001
; %bb.3000:
	v_cndmask_b32_e64 v1, 0, 1.0, s[16:17]
	v_cvt_f16_f32_e32 v1, v1
	global_store_short v[3:4], v1, off
.LBB79_3001:
	s_mov_b64 s[0:1], 0
.LBB79_3002:
	s_andn2_b64 vcc, exec, s[0:1]
	s_cbranch_vccnz .LBB79_3018
; %bb.3003:
	s_cmp_lt_i32 s24, 2
	s_mov_b64 s[0:1], -1
	s_cbranch_scc1 .LBB79_3013
; %bb.3004:
	s_cmp_lt_i32 s24, 3
	s_cbranch_scc1 .LBB79_3010
; %bb.3005:
	s_cmp_gt_i32 s24, 3
	s_cbranch_scc0 .LBB79_3007
; %bb.3006:
	s_mov_b32 s0, 0
	v_cndmask_b32_e64 v5, 0, 1, s[16:17]
	v_mov_b32_e32 v6, s0
	global_store_dwordx2 v[3:4], v[5:6], off
	s_mov_b64 s[0:1], 0
.LBB79_3007:
	s_andn2_b64 vcc, exec, s[0:1]
	s_cbranch_vccnz .LBB79_3009
; %bb.3008:
	v_cndmask_b32_e64 v1, 0, 1, s[16:17]
	global_store_dword v[3:4], v1, off
.LBB79_3009:
	s_mov_b64 s[0:1], 0
.LBB79_3010:
	s_andn2_b64 vcc, exec, s[0:1]
	s_cbranch_vccnz .LBB79_3012
; %bb.3011:
	v_cndmask_b32_e64 v1, 0, 1, s[16:17]
	global_store_short v[3:4], v1, off
.LBB79_3012:
	s_mov_b64 s[0:1], 0
.LBB79_3013:
	s_andn2_b64 vcc, exec, s[0:1]
	s_cbranch_vccnz .LBB79_3018
; %bb.3014:
	s_mov_b64 s[0:1], -1
	s_cmp_gt_i32 s24, 0
	v_cndmask_b32_e64 v1, 0, 1, s[16:17]
	s_cbranch_scc0 .LBB79_3016
; %bb.3015:
	global_store_byte v[3:4], v1, off
	s_mov_b64 s[0:1], 0
.LBB79_3016:
	s_andn2_b64 vcc, exec, s[0:1]
	s_cbranch_vccnz .LBB79_3018
; %bb.3017:
	global_store_byte v[3:4], v1, off
.LBB79_3018:
	s_mov_b64 s[6:7], -1
.LBB79_3019:
	s_andn2_b64 vcc, exec, s[6:7]
	s_cbranch_vccnz .LBB79_3215
; %bb.3020:
	v_mov_b32_e32 v3, s9
	v_add_co_u32_e32 v1, vcc, s8, v2
	s_cmp_lt_i32 s24, 11
	v_addc_co_u32_e32 v2, vcc, 0, v3, vcc
	s_cbranch_scc1 .LBB79_3098
; %bb.3021:
	s_mov_b64 s[16:17], -1
	s_mov_b64 s[2:3], 0
	s_cmp_gt_i32 s24, 25
	s_mov_b64 s[6:7], 0
	s_mov_b64 s[0:1], 0
	s_cbranch_scc0 .LBB79_3054
; %bb.3022:
	s_cmp_gt_i32 s24, 28
	s_cbranch_scc0 .LBB79_3037
; %bb.3023:
	s_cmp_gt_i32 s24, 43
	;; [unrolled: 3-line block ×3, first 2 shown]
	s_cbranch_scc0 .LBB79_3027
; %bb.3025:
	s_mov_b64 s[0:1], -1
	s_mov_b64 s[16:17], 0
	s_cmp_eq_u32 s24, 46
	s_cbranch_scc0 .LBB79_3027
; %bb.3026:
	v_cndmask_b32_e64 v3, 0, 1.0, s[18:19]
	v_bfe_u32 v4, v3, 16, 1
	s_movk_i32 s0, 0x7fff
	v_add3_u32 v3, v3, v4, s0
	v_lshrrev_b32_e32 v3, 16, v3
	global_store_dword v[1:2], v3, off
	s_mov_b64 s[0:1], 0
	s_mov_b64 s[6:7], -1
.LBB79_3027:
	s_and_b64 vcc, exec, s[16:17]
	s_cbranch_vccz .LBB79_3032
; %bb.3028:
	s_cmp_eq_u32 s24, 44
	s_mov_b64 s[0:1], -1
	s_cbranch_scc0 .LBB79_3032
; %bb.3029:
	v_cndmask_b32_e64 v4, 0, 1.0, s[18:19]
	v_lshrrev_b32_e32 v3, 23, v4
	s_movk_i32 s0, 0xff
	v_cmp_ne_u32_e32 vcc, s0, v3
	v_mov_b32_e32 v5, 0xff
	s_and_saveexec_b64 s[6:7], vcc
; %bb.3030:
	s_mov_b32 s0, 0x3fffff
	v_and_b32_e32 v5, 0x400000, v4
	v_and_or_b32 v4, v4, s0, v3
	v_cmp_ne_u32_e32 vcc, 0, v5
	v_cmp_ne_u32_e64 s[0:1], 0, v4
	s_and_b64 s[0:1], vcc, s[0:1]
	v_cndmask_b32_e64 v4, 0, 1, s[0:1]
	v_add_u32_e32 v5, v3, v4
; %bb.3031:
	s_or_b64 exec, exec, s[6:7]
	s_mov_b64 s[0:1], 0
	s_mov_b64 s[6:7], -1
	global_store_byte v[1:2], v5, off
.LBB79_3032:
	s_mov_b64 s[16:17], 0
.LBB79_3033:
	s_and_b64 vcc, exec, s[16:17]
	s_cbranch_vccz .LBB79_3036
; %bb.3034:
	s_cmp_eq_u32 s24, 29
	s_mov_b64 s[0:1], -1
	s_cbranch_scc0 .LBB79_3036
; %bb.3035:
	s_mov_b32 s0, 0
	v_cndmask_b32_e64 v3, 0, 1, s[18:19]
	v_mov_b32_e32 v4, s0
	global_store_dwordx2 v[1:2], v[3:4], off
	s_mov_b64 s[0:1], 0
	s_mov_b64 s[6:7], -1
.LBB79_3036:
	s_mov_b64 s[16:17], 0
.LBB79_3037:
	s_and_b64 vcc, exec, s[16:17]
	s_cbranch_vccz .LBB79_3053
; %bb.3038:
	s_cmp_lt_i32 s24, 27
	s_mov_b64 s[6:7], -1
	s_cbranch_scc1 .LBB79_3044
; %bb.3039:
	s_cmp_gt_i32 s24, 27
	s_cbranch_scc0 .LBB79_3041
; %bb.3040:
	v_cndmask_b32_e64 v3, 0, 1, s[18:19]
	s_mov_b64 s[6:7], 0
	global_store_dword v[1:2], v3, off
.LBB79_3041:
	s_andn2_b64 vcc, exec, s[6:7]
	s_cbranch_vccnz .LBB79_3043
; %bb.3042:
	v_cndmask_b32_e64 v3, 0, 1, s[18:19]
	global_store_short v[1:2], v3, off
.LBB79_3043:
	s_mov_b64 s[6:7], 0
.LBB79_3044:
	s_andn2_b64 vcc, exec, s[6:7]
	s_cbranch_vccnz .LBB79_3052
; %bb.3045:
	v_cndmask_b32_e64 v4, 0, 1.0, s[18:19]
	s_mov_b32 s6, 0x43800000
	v_cmp_gt_u32_e32 vcc, s6, v4
	v_mov_b32_e32 v5, 0x80
	s_and_saveexec_b64 s[6:7], vcc
	s_cbranch_execz .LBB79_3051
; %bb.3046:
	s_mov_b32 s16, 0x3bffffff
	v_cmp_lt_u32_e32 vcc, s16, v4
	s_mov_b64 s[16:17], 0
                                        ; implicit-def: $vgpr3
	s_and_saveexec_b64 s[20:21], vcc
	s_xor_b64 s[20:21], exec, s[20:21]
	s_cbranch_execz .LBB79_3228
; %bb.3047:
	v_bfe_u32 v3, v4, 20, 1
	s_mov_b32 s22, 0x487ffff
	v_add3_u32 v3, v4, v3, s22
	s_mov_b64 s[16:17], exec
	v_lshrrev_b32_e32 v3, 20, v3
                                        ; implicit-def: $vgpr4
	s_andn2_saveexec_b64 s[20:21], s[20:21]
	s_cbranch_execnz .LBB79_3229
.LBB79_3048:
	s_or_b64 exec, exec, s[20:21]
	v_mov_b32_e32 v5, 0
	s_and_saveexec_b64 s[20:21], s[16:17]
.LBB79_3049:
	v_mov_b32_e32 v5, v3
.LBB79_3050:
	s_or_b64 exec, exec, s[20:21]
.LBB79_3051:
	s_or_b64 exec, exec, s[6:7]
	global_store_byte v[1:2], v5, off
.LBB79_3052:
	s_mov_b64 s[6:7], -1
.LBB79_3053:
	s_mov_b64 s[16:17], 0
.LBB79_3054:
	s_and_b64 vcc, exec, s[16:17]
	s_cbranch_vccz .LBB79_3094
; %bb.3055:
	s_cmp_gt_i32 s24, 22
	s_mov_b64 s[2:3], -1
	s_cbranch_scc0 .LBB79_3087
; %bb.3056:
	s_cmp_lt_i32 s24, 24
	s_cbranch_scc1 .LBB79_3076
; %bb.3057:
	s_cmp_gt_i32 s24, 24
	s_cbranch_scc0 .LBB79_3065
; %bb.3058:
	v_cndmask_b32_e64 v4, 0, 1.0, s[18:19]
	s_mov_b32 s2, 0x47800000
	v_cmp_gt_u32_e32 vcc, s2, v4
	v_mov_b32_e32 v5, 0x80
	s_and_saveexec_b64 s[2:3], vcc
	s_cbranch_execz .LBB79_3064
; %bb.3059:
	s_mov_b32 s6, 0x37ffffff
	v_cmp_lt_u32_e32 vcc, s6, v4
	s_mov_b64 s[6:7], 0
                                        ; implicit-def: $vgpr3
	s_and_saveexec_b64 s[16:17], vcc
	s_xor_b64 s[16:17], exec, s[16:17]
	s_cbranch_execz .LBB79_3231
; %bb.3060:
	v_bfe_u32 v3, v4, 21, 1
	s_mov_b32 s20, 0x88fffff
	v_add3_u32 v3, v4, v3, s20
	s_mov_b64 s[6:7], exec
	v_lshrrev_b32_e32 v3, 21, v3
                                        ; implicit-def: $vgpr4
	s_andn2_saveexec_b64 s[16:17], s[16:17]
	s_cbranch_execnz .LBB79_3232
.LBB79_3061:
	s_or_b64 exec, exec, s[16:17]
	v_mov_b32_e32 v5, 0
	s_and_saveexec_b64 s[16:17], s[6:7]
.LBB79_3062:
	v_mov_b32_e32 v5, v3
.LBB79_3063:
	s_or_b64 exec, exec, s[16:17]
.LBB79_3064:
	s_or_b64 exec, exec, s[2:3]
	s_mov_b64 s[2:3], 0
	global_store_byte v[1:2], v5, off
.LBB79_3065:
	s_and_b64 vcc, exec, s[2:3]
	s_cbranch_vccz .LBB79_3075
; %bb.3066:
	v_cndmask_b32_e64 v3, 0, 1.0, s[18:19]
	s_mov_b32 s2, 0x43f00000
	v_cmp_gt_u32_e32 vcc, s2, v3
                                        ; implicit-def: $vgpr4
	s_and_saveexec_b64 s[2:3], vcc
	s_xor_b64 s[2:3], exec, s[2:3]
	s_cbranch_execz .LBB79_3072
; %bb.3067:
	s_mov_b32 s6, 0x3c7fffff
	v_cmp_lt_u32_e32 vcc, s6, v3
                                        ; implicit-def: $vgpr4
	s_and_saveexec_b64 s[6:7], vcc
	s_xor_b64 s[6:7], exec, s[6:7]
; %bb.3068:
	v_bfe_u32 v4, v3, 20, 1
	s_mov_b32 s16, 0x407ffff
	v_add3_u32 v3, v3, v4, s16
	v_lshrrev_b32_e32 v4, 20, v3
	v_and_b32_e32 v3, 0xff00000, v3
	s_mov_b32 s16, 0x7f00000
	v_mov_b32_e32 v5, 0x7e
	v_cmp_ne_u32_e32 vcc, s16, v3
	v_cndmask_b32_e32 v4, v5, v4, vcc
                                        ; implicit-def: $vgpr3
; %bb.3069:
	s_andn2_saveexec_b64 s[6:7], s[6:7]
; %bb.3070:
	v_add_f32_e32 v4, 0x46800000, v3
; %bb.3071:
	s_or_b64 exec, exec, s[6:7]
                                        ; implicit-def: $vgpr3
.LBB79_3072:
	s_andn2_saveexec_b64 s[2:3], s[2:3]
; %bb.3073:
	s_mov_b32 s6, 0x7f800000
	v_mov_b32_e32 v4, 0x7e
	v_mov_b32_e32 v5, 0x7f
	v_cmp_lt_u32_e32 vcc, s6, v3
	v_cndmask_b32_e32 v4, v4, v5, vcc
; %bb.3074:
	s_or_b64 exec, exec, s[2:3]
	global_store_byte v[1:2], v4, off
.LBB79_3075:
	s_mov_b64 s[2:3], 0
.LBB79_3076:
	s_andn2_b64 vcc, exec, s[2:3]
	s_cbranch_vccnz .LBB79_3086
; %bb.3077:
	v_cndmask_b32_e64 v3, 0, 1.0, s[18:19]
	s_mov_b32 s2, 0x47800000
	v_cmp_gt_u32_e32 vcc, s2, v3
                                        ; implicit-def: $vgpr4
	s_and_saveexec_b64 s[2:3], vcc
	s_xor_b64 s[2:3], exec, s[2:3]
	s_cbranch_execz .LBB79_3083
; %bb.3078:
	s_mov_b32 s6, 0x387fffff
	v_cmp_lt_u32_e32 vcc, s6, v3
                                        ; implicit-def: $vgpr4
	s_and_saveexec_b64 s[6:7], vcc
	s_xor_b64 s[6:7], exec, s[6:7]
; %bb.3079:
	v_bfe_u32 v4, v3, 21, 1
	s_mov_b32 s16, 0x80fffff
	v_add3_u32 v3, v3, v4, s16
	v_lshrrev_b32_e32 v4, 21, v3
                                        ; implicit-def: $vgpr3
; %bb.3080:
	s_andn2_saveexec_b64 s[6:7], s[6:7]
; %bb.3081:
	v_add_f32_e32 v4, 0x43000000, v3
; %bb.3082:
	s_or_b64 exec, exec, s[6:7]
                                        ; implicit-def: $vgpr3
.LBB79_3083:
	s_andn2_saveexec_b64 s[2:3], s[2:3]
; %bb.3084:
	s_mov_b32 s6, 0x7f800000
	v_mov_b32_e32 v4, 0x7c
	v_mov_b32_e32 v5, 0x7f
	v_cmp_lt_u32_e32 vcc, s6, v3
	v_cndmask_b32_e32 v4, v4, v5, vcc
; %bb.3085:
	s_or_b64 exec, exec, s[2:3]
	global_store_byte v[1:2], v4, off
.LBB79_3086:
	s_mov_b64 s[2:3], 0
	s_mov_b64 s[6:7], -1
.LBB79_3087:
	s_andn2_b64 vcc, exec, s[2:3]
	s_mov_b64 s[2:3], 0
	s_cbranch_vccnz .LBB79_3094
; %bb.3088:
	s_cmp_gt_i32 s24, 14
	s_mov_b64 s[16:17], -1
	s_cbranch_scc0 .LBB79_3092
; %bb.3089:
	s_cmp_eq_u32 s24, 15
	s_mov_b64 s[0:1], -1
	s_cbranch_scc0 .LBB79_3091
; %bb.3090:
	v_cndmask_b32_e64 v3, 0, 1.0, s[18:19]
	v_bfe_u32 v4, v3, 16, 1
	s_movk_i32 s0, 0x7fff
	v_add3_u32 v3, v3, v4, s0
	global_store_short_d16_hi v[1:2], v3, off
	s_mov_b64 s[0:1], 0
	s_mov_b64 s[6:7], -1
.LBB79_3091:
	s_mov_b64 s[16:17], 0
.LBB79_3092:
	s_and_b64 vcc, exec, s[16:17]
	s_cbranch_vccz .LBB79_3094
; %bb.3093:
	s_cmp_lg_u32 s24, 11
	s_mov_b64 s[2:3], -1
	s_cselect_b64 s[0:1], -1, 0
.LBB79_3094:
	s_and_b64 vcc, exec, s[0:1]
	s_cbranch_vccnz .LBB79_3230
; %bb.3095:
	s_andn2_b64 vcc, exec, s[2:3]
	s_cbranch_vccnz .LBB79_3097
.LBB79_3096:
	v_cndmask_b32_e64 v3, 0, 1, s[18:19]
	s_mov_b64 s[6:7], -1
	global_store_byte v[1:2], v3, off
.LBB79_3097:
	s_mov_b64 s[0:1], 0
	s_branch .LBB79_3099
.LBB79_3098:
	s_mov_b64 s[0:1], -1
	s_mov_b64 s[6:7], 0
.LBB79_3099:
	s_and_b64 vcc, exec, s[0:1]
	s_cbranch_vccz .LBB79_3138
; %bb.3100:
	s_cmp_lt_i32 s24, 5
	s_mov_b64 s[0:1], -1
	s_cbranch_scc1 .LBB79_3121
; %bb.3101:
	s_cmp_lt_i32 s24, 8
	s_cbranch_scc1 .LBB79_3111
; %bb.3102:
	s_cmp_lt_i32 s24, 9
	s_cbranch_scc1 .LBB79_3108
; %bb.3103:
	s_cmp_gt_i32 s24, 9
	s_cbranch_scc0 .LBB79_3105
; %bb.3104:
	v_cndmask_b32_e64 v3, 0, 1, s[18:19]
	v_cvt_f64_u32_e32 v[3:4], v3
	v_mov_b32_e32 v5, 0
	v_mov_b32_e32 v6, v5
	s_mov_b64 s[0:1], 0
	global_store_dwordx4 v[1:2], v[3:6], off
.LBB79_3105:
	s_andn2_b64 vcc, exec, s[0:1]
	s_cbranch_vccnz .LBB79_3107
; %bb.3106:
	v_cndmask_b32_e64 v3, 0, 1.0, s[18:19]
	v_mov_b32_e32 v4, 0
	global_store_dwordx2 v[1:2], v[3:4], off
.LBB79_3107:
	s_mov_b64 s[0:1], 0
.LBB79_3108:
	s_andn2_b64 vcc, exec, s[0:1]
	s_cbranch_vccnz .LBB79_3110
; %bb.3109:
	v_cndmask_b32_e64 v3, 0, 1.0, s[18:19]
	v_cvt_f16_f32_e32 v3, v3
	global_store_dword v[1:2], v3, off
.LBB79_3110:
	s_mov_b64 s[0:1], 0
.LBB79_3111:
	s_andn2_b64 vcc, exec, s[0:1]
	s_cbranch_vccnz .LBB79_3120
; %bb.3112:
	s_cmp_lt_i32 s24, 6
	s_mov_b64 s[0:1], -1
	s_cbranch_scc1 .LBB79_3118
; %bb.3113:
	s_cmp_gt_i32 s24, 6
	s_cbranch_scc0 .LBB79_3115
; %bb.3114:
	v_cndmask_b32_e64 v3, 0, 1, s[18:19]
	v_cvt_f64_u32_e32 v[3:4], v3
	s_mov_b64 s[0:1], 0
	global_store_dwordx2 v[1:2], v[3:4], off
.LBB79_3115:
	s_andn2_b64 vcc, exec, s[0:1]
	s_cbranch_vccnz .LBB79_3117
; %bb.3116:
	v_cndmask_b32_e64 v3, 0, 1.0, s[18:19]
	global_store_dword v[1:2], v3, off
.LBB79_3117:
	s_mov_b64 s[0:1], 0
.LBB79_3118:
	s_andn2_b64 vcc, exec, s[0:1]
	s_cbranch_vccnz .LBB79_3120
; %bb.3119:
	v_cndmask_b32_e64 v3, 0, 1.0, s[18:19]
	v_cvt_f16_f32_e32 v3, v3
	global_store_short v[1:2], v3, off
.LBB79_3120:
	s_mov_b64 s[0:1], 0
.LBB79_3121:
	s_andn2_b64 vcc, exec, s[0:1]
	s_cbranch_vccnz .LBB79_3137
; %bb.3122:
	s_cmp_lt_i32 s24, 2
	s_mov_b64 s[0:1], -1
	s_cbranch_scc1 .LBB79_3132
; %bb.3123:
	s_cmp_lt_i32 s24, 3
	s_cbranch_scc1 .LBB79_3129
; %bb.3124:
	s_cmp_gt_i32 s24, 3
	s_cbranch_scc0 .LBB79_3126
; %bb.3125:
	s_mov_b32 s0, 0
	v_cndmask_b32_e64 v3, 0, 1, s[18:19]
	v_mov_b32_e32 v4, s0
	global_store_dwordx2 v[1:2], v[3:4], off
	s_mov_b64 s[0:1], 0
.LBB79_3126:
	s_andn2_b64 vcc, exec, s[0:1]
	s_cbranch_vccnz .LBB79_3128
; %bb.3127:
	v_cndmask_b32_e64 v3, 0, 1, s[18:19]
	global_store_dword v[1:2], v3, off
.LBB79_3128:
	s_mov_b64 s[0:1], 0
.LBB79_3129:
	s_andn2_b64 vcc, exec, s[0:1]
	s_cbranch_vccnz .LBB79_3131
; %bb.3130:
	v_cndmask_b32_e64 v3, 0, 1, s[18:19]
	global_store_short v[1:2], v3, off
.LBB79_3131:
	s_mov_b64 s[0:1], 0
.LBB79_3132:
	s_andn2_b64 vcc, exec, s[0:1]
	s_cbranch_vccnz .LBB79_3137
; %bb.3133:
	s_cmp_gt_i32 s24, 0
	s_mov_b64 s[0:1], -1
	s_cbranch_scc0 .LBB79_3135
; %bb.3134:
	v_cndmask_b32_e64 v3, 0, 1, s[18:19]
	global_store_byte v[1:2], v3, off
	s_mov_b64 s[0:1], 0
.LBB79_3135:
	s_andn2_b64 vcc, exec, s[0:1]
	s_cbranch_vccnz .LBB79_3137
; %bb.3136:
	v_cndmask_b32_e64 v3, 0, 1, s[18:19]
	global_store_byte v[1:2], v3, off
.LBB79_3137:
	s_mov_b64 s[6:7], -1
.LBB79_3138:
	s_andn2_b64 vcc, exec, s[6:7]
	s_cbranch_vccnz .LBB79_3215
; %bb.3139:
	v_mov_b32_e32 v1, s9
	v_add_co_u32_e32 v0, vcc, s8, v0
	s_cmp_lt_i32 s24, 11
	v_addc_co_u32_e32 v1, vcc, 0, v1, vcc
	s_cbranch_scc1 .LBB79_3216
; %bb.3140:
	s_mov_b64 s[6:7], -1
	s_mov_b64 s[2:3], 0
	s_cmp_gt_i32 s24, 25
	s_mov_b64 s[0:1], 0
	s_cbranch_scc0 .LBB79_3173
; %bb.3141:
	s_cmp_gt_i32 s24, 28
	s_cbranch_scc0 .LBB79_3157
; %bb.3142:
	s_cmp_gt_i32 s24, 43
	;; [unrolled: 3-line block ×3, first 2 shown]
	s_cbranch_scc0 .LBB79_3147
; %bb.3144:
	s_cmp_eq_u32 s24, 46
	s_mov_b64 s[0:1], -1
	s_cbranch_scc0 .LBB79_3146
; %bb.3145:
	v_cndmask_b32_e64 v2, 0, 1.0, s[10:11]
	v_bfe_u32 v3, v2, 16, 1
	s_movk_i32 s0, 0x7fff
	v_add3_u32 v2, v2, v3, s0
	v_lshrrev_b32_e32 v2, 16, v2
	global_store_dword v[0:1], v2, off
	s_mov_b64 s[0:1], 0
.LBB79_3146:
	s_mov_b64 s[6:7], 0
.LBB79_3147:
	s_and_b64 vcc, exec, s[6:7]
	s_cbranch_vccz .LBB79_3152
; %bb.3148:
	s_cmp_eq_u32 s24, 44
	s_mov_b64 s[0:1], -1
	s_cbranch_scc0 .LBB79_3152
; %bb.3149:
	v_cndmask_b32_e64 v3, 0, 1.0, s[10:11]
	v_lshrrev_b32_e32 v2, 23, v3
	s_movk_i32 s0, 0xff
	v_cmp_ne_u32_e32 vcc, s0, v2
	v_mov_b32_e32 v4, 0xff
	s_and_saveexec_b64 s[6:7], vcc
; %bb.3150:
	s_mov_b32 s0, 0x3fffff
	v_and_b32_e32 v4, 0x400000, v3
	v_and_or_b32 v3, v3, s0, v2
	v_cmp_ne_u32_e32 vcc, 0, v4
	v_cmp_ne_u32_e64 s[0:1], 0, v3
	s_and_b64 s[0:1], vcc, s[0:1]
	v_cndmask_b32_e64 v3, 0, 1, s[0:1]
	v_add_u32_e32 v4, v2, v3
; %bb.3151:
	s_or_b64 exec, exec, s[6:7]
	s_mov_b64 s[0:1], 0
	global_store_byte v[0:1], v4, off
.LBB79_3152:
	s_mov_b64 s[6:7], 0
.LBB79_3153:
	s_and_b64 vcc, exec, s[6:7]
	s_cbranch_vccz .LBB79_3156
; %bb.3154:
	s_cmp_eq_u32 s24, 29
	s_mov_b64 s[0:1], -1
	s_cbranch_scc0 .LBB79_3156
; %bb.3155:
	s_mov_b32 s0, 0
	v_cndmask_b32_e64 v2, 0, 1, s[10:11]
	v_mov_b32_e32 v3, s0
	global_store_dwordx2 v[0:1], v[2:3], off
	s_mov_b64 s[0:1], 0
.LBB79_3156:
	s_mov_b64 s[6:7], 0
.LBB79_3157:
	s_and_b64 vcc, exec, s[6:7]
	s_cbranch_vccz .LBB79_3172
; %bb.3158:
	s_cmp_lt_i32 s24, 27
	s_mov_b64 s[6:7], -1
	s_cbranch_scc1 .LBB79_3164
; %bb.3159:
	s_cmp_gt_i32 s24, 27
	v_cndmask_b32_e64 v2, 0, 1, s[10:11]
	s_cbranch_scc0 .LBB79_3161
; %bb.3160:
	global_store_dword v[0:1], v2, off
	s_mov_b64 s[6:7], 0
.LBB79_3161:
	s_andn2_b64 vcc, exec, s[6:7]
	s_cbranch_vccnz .LBB79_3163
; %bb.3162:
	global_store_short v[0:1], v2, off
.LBB79_3163:
	s_mov_b64 s[6:7], 0
.LBB79_3164:
	s_andn2_b64 vcc, exec, s[6:7]
	s_cbranch_vccnz .LBB79_3172
; %bb.3165:
	v_cndmask_b32_e64 v3, 0, 1.0, s[10:11]
	s_mov_b32 s6, 0x43800000
	v_cmp_gt_u32_e32 vcc, s6, v3
	v_mov_b32_e32 v4, 0x80
	s_and_saveexec_b64 s[6:7], vcc
	s_cbranch_execz .LBB79_3171
; %bb.3166:
	s_mov_b32 s8, 0x3bffffff
	v_cmp_lt_u32_e32 vcc, s8, v3
	s_mov_b64 s[8:9], 0
                                        ; implicit-def: $vgpr2
	s_and_saveexec_b64 s[16:17], vcc
	s_xor_b64 s[16:17], exec, s[16:17]
	s_cbranch_execz .LBB79_3233
; %bb.3167:
	v_bfe_u32 v2, v3, 20, 1
	s_mov_b32 s18, 0x487ffff
	v_add3_u32 v2, v3, v2, s18
	s_mov_b64 s[8:9], exec
	v_lshrrev_b32_e32 v2, 20, v2
                                        ; implicit-def: $vgpr3
	s_andn2_saveexec_b64 s[16:17], s[16:17]
	s_cbranch_execnz .LBB79_3234
.LBB79_3168:
	s_or_b64 exec, exec, s[16:17]
	v_mov_b32_e32 v4, 0
	s_and_saveexec_b64 s[16:17], s[8:9]
.LBB79_3169:
	v_mov_b32_e32 v4, v2
.LBB79_3170:
	s_or_b64 exec, exec, s[16:17]
.LBB79_3171:
	s_or_b64 exec, exec, s[6:7]
	global_store_byte v[0:1], v4, off
.LBB79_3172:
	s_mov_b64 s[6:7], 0
.LBB79_3173:
	s_and_b64 vcc, exec, s[6:7]
	s_cbranch_vccz .LBB79_3213
; %bb.3174:
	s_cmp_gt_i32 s24, 22
	s_mov_b64 s[2:3], -1
	s_cbranch_scc0 .LBB79_3206
; %bb.3175:
	s_cmp_lt_i32 s24, 24
	s_cbranch_scc1 .LBB79_3195
; %bb.3176:
	s_cmp_gt_i32 s24, 24
	s_cbranch_scc0 .LBB79_3184
; %bb.3177:
	v_cndmask_b32_e64 v3, 0, 1.0, s[10:11]
	s_mov_b32 s2, 0x47800000
	v_cmp_gt_u32_e32 vcc, s2, v3
	v_mov_b32_e32 v4, 0x80
	s_and_saveexec_b64 s[2:3], vcc
	s_cbranch_execz .LBB79_3183
; %bb.3178:
	s_mov_b32 s6, 0x37ffffff
	v_cmp_lt_u32_e32 vcc, s6, v3
	s_mov_b64 s[6:7], 0
                                        ; implicit-def: $vgpr2
	s_and_saveexec_b64 s[8:9], vcc
	s_xor_b64 s[8:9], exec, s[8:9]
	s_cbranch_execz .LBB79_3236
; %bb.3179:
	v_bfe_u32 v2, v3, 21, 1
	s_mov_b32 s16, 0x88fffff
	v_add3_u32 v2, v3, v2, s16
	s_mov_b64 s[6:7], exec
	v_lshrrev_b32_e32 v2, 21, v2
                                        ; implicit-def: $vgpr3
	s_andn2_saveexec_b64 s[8:9], s[8:9]
	s_cbranch_execnz .LBB79_3237
.LBB79_3180:
	s_or_b64 exec, exec, s[8:9]
	v_mov_b32_e32 v4, 0
	s_and_saveexec_b64 s[8:9], s[6:7]
.LBB79_3181:
	v_mov_b32_e32 v4, v2
.LBB79_3182:
	s_or_b64 exec, exec, s[8:9]
.LBB79_3183:
	s_or_b64 exec, exec, s[2:3]
	s_mov_b64 s[2:3], 0
	global_store_byte v[0:1], v4, off
.LBB79_3184:
	s_and_b64 vcc, exec, s[2:3]
	s_cbranch_vccz .LBB79_3194
; %bb.3185:
	v_cndmask_b32_e64 v2, 0, 1.0, s[10:11]
	s_mov_b32 s2, 0x43f00000
	v_cmp_gt_u32_e32 vcc, s2, v2
                                        ; implicit-def: $vgpr3
	s_and_saveexec_b64 s[2:3], vcc
	s_xor_b64 s[2:3], exec, s[2:3]
	s_cbranch_execz .LBB79_3191
; %bb.3186:
	s_mov_b32 s6, 0x3c7fffff
	v_cmp_lt_u32_e32 vcc, s6, v2
                                        ; implicit-def: $vgpr3
	s_and_saveexec_b64 s[6:7], vcc
	s_xor_b64 s[6:7], exec, s[6:7]
; %bb.3187:
	v_bfe_u32 v3, v2, 20, 1
	s_mov_b32 s8, 0x407ffff
	v_add3_u32 v2, v2, v3, s8
	v_lshrrev_b32_e32 v3, 20, v2
	v_and_b32_e32 v2, 0xff00000, v2
	s_mov_b32 s8, 0x7f00000
	v_mov_b32_e32 v4, 0x7e
	v_cmp_ne_u32_e32 vcc, s8, v2
	v_cndmask_b32_e32 v3, v4, v3, vcc
                                        ; implicit-def: $vgpr2
; %bb.3188:
	s_andn2_saveexec_b64 s[6:7], s[6:7]
; %bb.3189:
	v_add_f32_e32 v3, 0x46800000, v2
; %bb.3190:
	s_or_b64 exec, exec, s[6:7]
                                        ; implicit-def: $vgpr2
.LBB79_3191:
	s_andn2_saveexec_b64 s[2:3], s[2:3]
; %bb.3192:
	s_mov_b32 s6, 0x7f800000
	v_mov_b32_e32 v3, 0x7e
	v_mov_b32_e32 v4, 0x7f
	v_cmp_lt_u32_e32 vcc, s6, v2
	v_cndmask_b32_e32 v3, v3, v4, vcc
; %bb.3193:
	s_or_b64 exec, exec, s[2:3]
	global_store_byte v[0:1], v3, off
.LBB79_3194:
	s_mov_b64 s[2:3], 0
.LBB79_3195:
	s_andn2_b64 vcc, exec, s[2:3]
	s_cbranch_vccnz .LBB79_3205
; %bb.3196:
	v_cndmask_b32_e64 v2, 0, 1.0, s[10:11]
	s_mov_b32 s2, 0x47800000
	v_cmp_gt_u32_e32 vcc, s2, v2
                                        ; implicit-def: $vgpr3
	s_and_saveexec_b64 s[2:3], vcc
	s_xor_b64 s[2:3], exec, s[2:3]
	s_cbranch_execz .LBB79_3202
; %bb.3197:
	s_mov_b32 s6, 0x387fffff
	v_cmp_lt_u32_e32 vcc, s6, v2
                                        ; implicit-def: $vgpr3
	s_and_saveexec_b64 s[6:7], vcc
	s_xor_b64 s[6:7], exec, s[6:7]
; %bb.3198:
	v_bfe_u32 v3, v2, 21, 1
	s_mov_b32 s8, 0x80fffff
	v_add3_u32 v2, v2, v3, s8
	v_lshrrev_b32_e32 v3, 21, v2
                                        ; implicit-def: $vgpr2
; %bb.3199:
	s_andn2_saveexec_b64 s[6:7], s[6:7]
; %bb.3200:
	v_add_f32_e32 v3, 0x43000000, v2
; %bb.3201:
	s_or_b64 exec, exec, s[6:7]
                                        ; implicit-def: $vgpr2
.LBB79_3202:
	s_andn2_saveexec_b64 s[2:3], s[2:3]
; %bb.3203:
	s_mov_b32 s6, 0x7f800000
	v_mov_b32_e32 v3, 0x7c
	v_mov_b32_e32 v4, 0x7f
	v_cmp_lt_u32_e32 vcc, s6, v2
	v_cndmask_b32_e32 v3, v3, v4, vcc
; %bb.3204:
	s_or_b64 exec, exec, s[2:3]
	global_store_byte v[0:1], v3, off
.LBB79_3205:
	s_mov_b64 s[2:3], 0
.LBB79_3206:
	s_andn2_b64 vcc, exec, s[2:3]
	s_mov_b64 s[2:3], 0
	s_cbranch_vccnz .LBB79_3213
; %bb.3207:
	s_cmp_gt_i32 s24, 14
	s_mov_b64 s[6:7], -1
	s_cbranch_scc0 .LBB79_3211
; %bb.3208:
	s_cmp_eq_u32 s24, 15
	s_mov_b64 s[0:1], -1
	s_cbranch_scc0 .LBB79_3210
; %bb.3209:
	v_cndmask_b32_e64 v2, 0, 1.0, s[10:11]
	v_bfe_u32 v3, v2, 16, 1
	s_movk_i32 s0, 0x7fff
	v_add3_u32 v2, v2, v3, s0
	global_store_short_d16_hi v[0:1], v2, off
	s_mov_b64 s[0:1], 0
.LBB79_3210:
	s_mov_b64 s[6:7], 0
.LBB79_3211:
	s_and_b64 vcc, exec, s[6:7]
	s_cbranch_vccz .LBB79_3213
; %bb.3212:
	s_cmp_lg_u32 s24, 11
	s_mov_b64 s[2:3], -1
	s_cselect_b64 s[0:1], -1, 0
.LBB79_3213:
	s_and_b64 vcc, exec, s[0:1]
	s_cbranch_vccnz .LBB79_3235
.LBB79_3214:
	s_mov_b64 s[0:1], 0
	s_branch .LBB79_2725
.LBB79_3215:
	s_mov_b64 s[0:1], 0
	s_branch .LBB79_2724
.LBB79_3216:
	s_mov_b64 s[2:3], 0
	s_mov_b64 s[0:1], -1
	s_branch .LBB79_2725
.LBB79_3217:
	s_trap 2
	s_or_b64 s[4:5], s[4:5], exec
	s_cbranch_execz .LBB79_2667
	s_branch .LBB79_2668
.LBB79_3218:
	s_andn2_saveexec_b64 s[24:25], s[24:25]
	s_cbranch_execz .LBB79_2808
.LBB79_3219:
	v_add_f32_e32 v1, 0x46000000, v3
	v_and_b32_e32 v1, 0xff, v1
	v_cmp_ne_u32_e32 vcc, 0, v1
	s_andn2_b64 s[22:23], s[22:23], exec
	s_and_b64 s[28:29], vcc, exec
	s_or_b64 s[22:23], s[22:23], s[28:29]
	s_or_b64 exec, exec, s[24:25]
	v_mov_b32_e32 v7, 0
	s_and_saveexec_b64 s[24:25], s[22:23]
	s_cbranch_execnz .LBB79_2809
	s_branch .LBB79_2810
.LBB79_3220:
	s_trap 2
	s_or_b64 s[4:5], s[4:5], exec
	s_cbranch_execz .LBB79_2856
	s_branch .LBB79_2857
.LBB79_3221:
	s_andn2_saveexec_b64 s[22:23], s[22:23]
	s_cbranch_execz .LBB79_2821
.LBB79_3222:
	v_add_f32_e32 v1, 0x42800000, v3
	v_and_b32_e32 v1, 0xff, v1
	v_cmp_ne_u32_e32 vcc, 0, v1
	s_andn2_b64 s[20:21], s[20:21], exec
	s_and_b64 s[24:25], vcc, exec
	s_or_b64 s[20:21], s[20:21], s[24:25]
	s_or_b64 exec, exec, s[22:23]
	v_mov_b32_e32 v7, 0
	s_and_saveexec_b64 s[22:23], s[20:21]
	s_cbranch_execnz .LBB79_2822
	s_branch .LBB79_2823
.LBB79_3223:
	s_andn2_saveexec_b64 s[22:23], s[22:23]
	s_cbranch_execz .LBB79_2929
.LBB79_3224:
	v_add_f32_e32 v1, 0x46000000, v5
	v_and_b32_e32 v1, 0xff, v1
	v_cmp_ne_u32_e32 vcc, 0, v1
	s_andn2_b64 s[20:21], s[20:21], exec
	s_and_b64 s[28:29], vcc, exec
	s_or_b64 s[20:21], s[20:21], s[28:29]
	s_or_b64 exec, exec, s[22:23]
	v_mov_b32_e32 v6, 0
	s_and_saveexec_b64 s[22:23], s[20:21]
	s_cbranch_execnz .LBB79_2930
	s_branch .LBB79_2931
.LBB79_3225:
	s_trap 2
	s_or_b64 s[4:5], s[4:5], exec
	s_cbranch_execz .LBB79_2977
	s_branch .LBB79_2978
.LBB79_3226:
	s_andn2_saveexec_b64 s[20:21], s[20:21]
	s_cbranch_execz .LBB79_2942
.LBB79_3227:
	v_add_f32_e32 v1, 0x42800000, v5
	v_and_b32_e32 v1, 0xff, v1
	v_cmp_ne_u32_e32 vcc, 0, v1
	s_andn2_b64 s[6:7], s[6:7], exec
	s_and_b64 s[22:23], vcc, exec
	s_or_b64 s[6:7], s[6:7], s[22:23]
	s_or_b64 exec, exec, s[20:21]
	v_mov_b32_e32 v6, 0
	s_and_saveexec_b64 s[20:21], s[6:7]
	s_cbranch_execnz .LBB79_2943
	s_branch .LBB79_2944
.LBB79_3228:
	s_andn2_saveexec_b64 s[20:21], s[20:21]
	s_cbranch_execz .LBB79_3048
.LBB79_3229:
	v_add_f32_e32 v3, 0x46000000, v4
	v_and_b32_e32 v3, 0xff, v3
	v_cmp_ne_u32_e32 vcc, 0, v3
	s_andn2_b64 s[16:17], s[16:17], exec
	s_and_b64 s[22:23], vcc, exec
	s_or_b64 s[16:17], s[16:17], s[22:23]
	s_or_b64 exec, exec, s[20:21]
	v_mov_b32_e32 v5, 0
	s_and_saveexec_b64 s[20:21], s[16:17]
	s_cbranch_execnz .LBB79_3049
	s_branch .LBB79_3050
.LBB79_3230:
	s_trap 2
	s_or_b64 s[4:5], s[4:5], exec
	s_cbranch_execz .LBB79_3096
	s_branch .LBB79_3097
.LBB79_3231:
	s_andn2_saveexec_b64 s[16:17], s[16:17]
	s_cbranch_execz .LBB79_3061
.LBB79_3232:
	v_add_f32_e32 v3, 0x42800000, v4
	v_and_b32_e32 v3, 0xff, v3
	v_cmp_ne_u32_e32 vcc, 0, v3
	s_andn2_b64 s[6:7], s[6:7], exec
	s_and_b64 s[20:21], vcc, exec
	s_or_b64 s[6:7], s[6:7], s[20:21]
	s_or_b64 exec, exec, s[16:17]
	v_mov_b32_e32 v5, 0
	s_and_saveexec_b64 s[16:17], s[6:7]
	s_cbranch_execnz .LBB79_3062
	s_branch .LBB79_3063
.LBB79_3233:
	s_andn2_saveexec_b64 s[16:17], s[16:17]
	s_cbranch_execz .LBB79_3168
.LBB79_3234:
	v_add_f32_e32 v2, 0x46000000, v3
	v_and_b32_e32 v2, 0xff, v2
	v_cmp_ne_u32_e32 vcc, 0, v2
	s_andn2_b64 s[8:9], s[8:9], exec
	s_and_b64 s[18:19], vcc, exec
	s_or_b64 s[8:9], s[8:9], s[18:19]
	s_or_b64 exec, exec, s[16:17]
	v_mov_b32_e32 v4, 0
	s_and_saveexec_b64 s[16:17], s[8:9]
	s_cbranch_execnz .LBB79_3169
	s_branch .LBB79_3170
.LBB79_3235:
	s_mov_b64 s[2:3], 0
	s_or_b64 s[4:5], s[4:5], exec
	s_trap 2
	s_branch .LBB79_3214
.LBB79_3236:
	s_andn2_saveexec_b64 s[8:9], s[8:9]
	s_cbranch_execz .LBB79_3180
.LBB79_3237:
	v_add_f32_e32 v2, 0x42800000, v3
	v_and_b32_e32 v2, 0xff, v2
	v_cmp_ne_u32_e32 vcc, 0, v2
	s_andn2_b64 s[6:7], s[6:7], exec
	s_and_b64 s[16:17], vcc, exec
	s_or_b64 s[6:7], s[6:7], s[16:17]
	s_or_b64 exec, exec, s[8:9]
	v_mov_b32_e32 v4, 0
	s_and_saveexec_b64 s[8:9], s[6:7]
	s_cbranch_execnz .LBB79_3181
	s_branch .LBB79_3182
	.section	.rodata,"a",@progbits
	.p2align	6, 0x0
	.amdhsa_kernel _ZN2at6native32elementwise_kernel_manual_unrollILi128ELi4EZNS0_15gpu_kernel_implINS0_12_GLOBAL__N_114CompareFunctorIsEEEEvRNS_18TensorIteratorBaseERKT_EUlibE0_EEviT1_
		.amdhsa_group_segment_fixed_size 0
		.amdhsa_private_segment_fixed_size 0
		.amdhsa_kernarg_size 432
		.amdhsa_user_sgpr_count 6
		.amdhsa_user_sgpr_private_segment_buffer 1
		.amdhsa_user_sgpr_dispatch_ptr 0
		.amdhsa_user_sgpr_queue_ptr 0
		.amdhsa_user_sgpr_kernarg_segment_ptr 1
		.amdhsa_user_sgpr_dispatch_id 0
		.amdhsa_user_sgpr_flat_scratch_init 0
		.amdhsa_user_sgpr_private_segment_size 0
		.amdhsa_uses_dynamic_stack 0
		.amdhsa_system_sgpr_private_segment_wavefront_offset 0
		.amdhsa_system_sgpr_workgroup_id_x 1
		.amdhsa_system_sgpr_workgroup_id_y 0
		.amdhsa_system_sgpr_workgroup_id_z 0
		.amdhsa_system_sgpr_workgroup_info 0
		.amdhsa_system_vgpr_workitem_id 0
		.amdhsa_next_free_vgpr 24
		.amdhsa_next_free_sgpr 80
		.amdhsa_reserve_vcc 1
		.amdhsa_reserve_flat_scratch 0
		.amdhsa_float_round_mode_32 0
		.amdhsa_float_round_mode_16_64 0
		.amdhsa_float_denorm_mode_32 3
		.amdhsa_float_denorm_mode_16_64 3
		.amdhsa_dx10_clamp 1
		.amdhsa_ieee_mode 1
		.amdhsa_fp16_overflow 0
		.amdhsa_exception_fp_ieee_invalid_op 0
		.amdhsa_exception_fp_denorm_src 0
		.amdhsa_exception_fp_ieee_div_zero 0
		.amdhsa_exception_fp_ieee_overflow 0
		.amdhsa_exception_fp_ieee_underflow 0
		.amdhsa_exception_fp_ieee_inexact 0
		.amdhsa_exception_int_div_zero 0
	.end_amdhsa_kernel
	.section	.text._ZN2at6native32elementwise_kernel_manual_unrollILi128ELi4EZNS0_15gpu_kernel_implINS0_12_GLOBAL__N_114CompareFunctorIsEEEEvRNS_18TensorIteratorBaseERKT_EUlibE0_EEviT1_,"axG",@progbits,_ZN2at6native32elementwise_kernel_manual_unrollILi128ELi4EZNS0_15gpu_kernel_implINS0_12_GLOBAL__N_114CompareFunctorIsEEEEvRNS_18TensorIteratorBaseERKT_EUlibE0_EEviT1_,comdat
.Lfunc_end79:
	.size	_ZN2at6native32elementwise_kernel_manual_unrollILi128ELi4EZNS0_15gpu_kernel_implINS0_12_GLOBAL__N_114CompareFunctorIsEEEEvRNS_18TensorIteratorBaseERKT_EUlibE0_EEviT1_, .Lfunc_end79-_ZN2at6native32elementwise_kernel_manual_unrollILi128ELi4EZNS0_15gpu_kernel_implINS0_12_GLOBAL__N_114CompareFunctorIsEEEEvRNS_18TensorIteratorBaseERKT_EUlibE0_EEviT1_
                                        ; -- End function
	.set _ZN2at6native32elementwise_kernel_manual_unrollILi128ELi4EZNS0_15gpu_kernel_implINS0_12_GLOBAL__N_114CompareFunctorIsEEEEvRNS_18TensorIteratorBaseERKT_EUlibE0_EEviT1_.num_vgpr, 24
	.set _ZN2at6native32elementwise_kernel_manual_unrollILi128ELi4EZNS0_15gpu_kernel_implINS0_12_GLOBAL__N_114CompareFunctorIsEEEEvRNS_18TensorIteratorBaseERKT_EUlibE0_EEviT1_.num_agpr, 0
	.set _ZN2at6native32elementwise_kernel_manual_unrollILi128ELi4EZNS0_15gpu_kernel_implINS0_12_GLOBAL__N_114CompareFunctorIsEEEEvRNS_18TensorIteratorBaseERKT_EUlibE0_EEviT1_.numbered_sgpr, 80
	.set _ZN2at6native32elementwise_kernel_manual_unrollILi128ELi4EZNS0_15gpu_kernel_implINS0_12_GLOBAL__N_114CompareFunctorIsEEEEvRNS_18TensorIteratorBaseERKT_EUlibE0_EEviT1_.num_named_barrier, 0
	.set _ZN2at6native32elementwise_kernel_manual_unrollILi128ELi4EZNS0_15gpu_kernel_implINS0_12_GLOBAL__N_114CompareFunctorIsEEEEvRNS_18TensorIteratorBaseERKT_EUlibE0_EEviT1_.private_seg_size, 0
	.set _ZN2at6native32elementwise_kernel_manual_unrollILi128ELi4EZNS0_15gpu_kernel_implINS0_12_GLOBAL__N_114CompareFunctorIsEEEEvRNS_18TensorIteratorBaseERKT_EUlibE0_EEviT1_.uses_vcc, 1
	.set _ZN2at6native32elementwise_kernel_manual_unrollILi128ELi4EZNS0_15gpu_kernel_implINS0_12_GLOBAL__N_114CompareFunctorIsEEEEvRNS_18TensorIteratorBaseERKT_EUlibE0_EEviT1_.uses_flat_scratch, 0
	.set _ZN2at6native32elementwise_kernel_manual_unrollILi128ELi4EZNS0_15gpu_kernel_implINS0_12_GLOBAL__N_114CompareFunctorIsEEEEvRNS_18TensorIteratorBaseERKT_EUlibE0_EEviT1_.has_dyn_sized_stack, 0
	.set _ZN2at6native32elementwise_kernel_manual_unrollILi128ELi4EZNS0_15gpu_kernel_implINS0_12_GLOBAL__N_114CompareFunctorIsEEEEvRNS_18TensorIteratorBaseERKT_EUlibE0_EEviT1_.has_recursion, 0
	.set _ZN2at6native32elementwise_kernel_manual_unrollILi128ELi4EZNS0_15gpu_kernel_implINS0_12_GLOBAL__N_114CompareFunctorIsEEEEvRNS_18TensorIteratorBaseERKT_EUlibE0_EEviT1_.has_indirect_call, 0
	.section	.AMDGPU.csdata,"",@progbits
; Kernel info:
; codeLenInByte = 49216
; TotalNumSgprs: 84
; NumVgprs: 24
; ScratchSize: 0
; MemoryBound: 1
; FloatMode: 240
; IeeeMode: 1
; LDSByteSize: 0 bytes/workgroup (compile time only)
; SGPRBlocks: 10
; VGPRBlocks: 5
; NumSGPRsForWavesPerEU: 84
; NumVGPRsForWavesPerEU: 24
; Occupancy: 9
; WaveLimiterHint : 1
; COMPUTE_PGM_RSRC2:SCRATCH_EN: 0
; COMPUTE_PGM_RSRC2:USER_SGPR: 6
; COMPUTE_PGM_RSRC2:TRAP_HANDLER: 0
; COMPUTE_PGM_RSRC2:TGID_X_EN: 1
; COMPUTE_PGM_RSRC2:TGID_Y_EN: 0
; COMPUTE_PGM_RSRC2:TGID_Z_EN: 0
; COMPUTE_PGM_RSRC2:TIDIG_COMP_CNT: 0
	.section	.text._ZN2at6native29vectorized_elementwise_kernelILi16EZNS0_21compare_scalar_kernelIdEEvRNS_18TensorIteratorBaseENS0_12_GLOBAL__N_16OpTypeET_EUldE_St5arrayIPcLm2EEEEviT0_T1_,"axG",@progbits,_ZN2at6native29vectorized_elementwise_kernelILi16EZNS0_21compare_scalar_kernelIdEEvRNS_18TensorIteratorBaseENS0_12_GLOBAL__N_16OpTypeET_EUldE_St5arrayIPcLm2EEEEviT0_T1_,comdat
	.globl	_ZN2at6native29vectorized_elementwise_kernelILi16EZNS0_21compare_scalar_kernelIdEEvRNS_18TensorIteratorBaseENS0_12_GLOBAL__N_16OpTypeET_EUldE_St5arrayIPcLm2EEEEviT0_T1_ ; -- Begin function _ZN2at6native29vectorized_elementwise_kernelILi16EZNS0_21compare_scalar_kernelIdEEvRNS_18TensorIteratorBaseENS0_12_GLOBAL__N_16OpTypeET_EUldE_St5arrayIPcLm2EEEEviT0_T1_
	.p2align	8
	.type	_ZN2at6native29vectorized_elementwise_kernelILi16EZNS0_21compare_scalar_kernelIdEEvRNS_18TensorIteratorBaseENS0_12_GLOBAL__N_16OpTypeET_EUldE_St5arrayIPcLm2EEEEviT0_T1_,@function
_ZN2at6native29vectorized_elementwise_kernelILi16EZNS0_21compare_scalar_kernelIdEEvRNS_18TensorIteratorBaseENS0_12_GLOBAL__N_16OpTypeET_EUldE_St5arrayIPcLm2EEEEviT0_T1_: ; @_ZN2at6native29vectorized_elementwise_kernelILi16EZNS0_21compare_scalar_kernelIdEEvRNS_18TensorIteratorBaseENS0_12_GLOBAL__N_16OpTypeET_EUldE_St5arrayIPcLm2EEEEviT0_T1_
; %bb.0:
	s_load_dword s0, s[4:5], 0x0
	s_load_dword s48, s[4:5], 0x8
	s_load_dwordx4 s[8:11], s[4:5], 0x10
	s_load_dwordx2 s[12:13], s[4:5], 0x20
	s_lshl_b32 s2, s6, 12
	s_waitcnt lgkmcnt(0)
	s_sub_i32 s33, s0, s2
	s_cmpk_gt_i32 s33, 0xfff
	s_mov_b64 s[0:1], -1
	s_cbranch_scc0 .LBB80_211
; %bb.1:
	s_ashr_i32 s3, s2, 31
	s_lshl_b64 s[0:1], s[2:3], 3
	s_add_u32 s0, s12, s0
	s_addc_u32 s1, s13, s1
	v_lshlrev_b32_e32 v33, 7, v0
	global_load_dwordx4 v[17:20], v33, s[0:1] offset:48
	global_load_dwordx4 v[21:24], v33, s[0:1] offset:32
	;; [unrolled: 1-line block ×3, first 2 shown]
	global_load_dwordx4 v[29:32], v33, s[0:1]
	global_load_dwordx4 v[1:4], v33, s[0:1] offset:112
	global_load_dwordx4 v[5:8], v33, s[0:1] offset:96
	;; [unrolled: 1-line block ×4, first 2 shown]
	s_cmp_lt_i32 s48, 1
	s_mov_b64 s[4:5], 0
	s_cbranch_scc1 .LBB80_5
; %bb.2:
	s_cmp_gt_i32 s48, 1
	s_cbranch_scc0 .LBB80_6
; %bb.3:
	s_cmp_eq_u32 s48, 2
	s_cbranch_scc0 .LBB80_7
; %bb.4:
	s_waitcnt vmcnt(4)
	v_cmp_ge_f64_e64 s[0:1], s[8:9], v[29:30]
	s_mov_b64 s[6:7], 0
	s_branch .LBB80_8
.LBB80_5:
                                        ; implicit-def: $sgpr0_sgpr1
	s_mov_b64 s[6:7], 0
	s_cbranch_execnz .LBB80_11
	s_branch .LBB80_12
.LBB80_6:
	s_mov_b64 s[6:7], 0
                                        ; implicit-def: $sgpr0_sgpr1
	s_cbranch_execnz .LBB80_9
	s_branch .LBB80_10
.LBB80_7:
	s_mov_b64 s[6:7], -1
                                        ; implicit-def: $sgpr0_sgpr1
.LBB80_8:
	s_branch .LBB80_10
.LBB80_9:
	s_waitcnt vmcnt(4)
	v_cmp_lt_f64_e32 vcc, s[8:9], v[29:30]
	s_andn2_b64 s[0:1], s[0:1], exec
	s_and_b64 s[14:15], vcc, exec
	s_or_b64 s[0:1], s[0:1], s[14:15]
.LBB80_10:
	s_branch .LBB80_12
.LBB80_11:
	s_cmp_lg_u32 s48, 0
	s_mov_b64 s[4:5], -1
	s_cselect_b64 s[6:7], -1, 0
.LBB80_12:
	s_andn2_b64 vcc, exec, s[6:7]
	s_cbranch_vccz .LBB80_18
; %bb.13:
	s_andn2_b64 vcc, exec, s[4:5]
	s_cbranch_vccz .LBB80_19
.LBB80_14:
	s_cmp_lt_i32 s48, 1
	s_mov_b64 s[6:7], 0
	s_cbranch_scc1 .LBB80_20
.LBB80_15:
	s_cmp_gt_i32 s48, 1
	s_cbranch_scc0 .LBB80_21
; %bb.16:
	s_cmp_eq_u32 s48, 2
	s_cbranch_scc0 .LBB80_251
; %bb.17:
	s_waitcnt vmcnt(4)
	v_cmp_ge_f64_e64 s[4:5], s[8:9], v[31:32]
	s_mov_b64 s[14:15], 0
	s_branch .LBB80_23
.LBB80_18:
	s_waitcnt vmcnt(4)
	v_cmp_gt_f64_e32 vcc, s[8:9], v[29:30]
	s_andn2_b64 s[0:1], s[0:1], exec
	s_and_b64 s[6:7], vcc, exec
	s_or_b64 s[0:1], s[0:1], s[6:7]
	s_cbranch_execnz .LBB80_14
.LBB80_19:
	s_waitcnt vmcnt(4)
	v_cmp_le_f64_e32 vcc, s[8:9], v[29:30]
	s_andn2_b64 s[0:1], s[0:1], exec
	s_and_b64 s[4:5], vcc, exec
	s_or_b64 s[0:1], s[0:1], s[4:5]
	s_cmp_lt_i32 s48, 1
	s_mov_b64 s[6:7], 0
	s_cbranch_scc0 .LBB80_15
.LBB80_20:
                                        ; implicit-def: $sgpr4_sgpr5
	s_mov_b64 s[14:15], 0
	s_cbranch_execnz .LBB80_24
	s_branch .LBB80_25
.LBB80_21:
	s_mov_b64 s[14:15], 0
                                        ; implicit-def: $sgpr4_sgpr5
	s_cbranch_execz .LBB80_23
; %bb.22:
	s_waitcnt vmcnt(4)
	v_cmp_lt_f64_e32 vcc, s[8:9], v[31:32]
	s_andn2_b64 s[4:5], s[4:5], exec
	s_and_b64 s[16:17], vcc, exec
	s_or_b64 s[4:5], s[4:5], s[16:17]
.LBB80_23:
	s_branch .LBB80_25
.LBB80_24:
	s_cmp_lg_u32 s48, 0
	s_mov_b64 s[6:7], -1
	s_cselect_b64 s[14:15], -1, 0
.LBB80_25:
	s_andn2_b64 vcc, exec, s[14:15]
	s_cbranch_vccz .LBB80_31
; %bb.26:
	s_andn2_b64 vcc, exec, s[6:7]
	s_cbranch_vccz .LBB80_32
.LBB80_27:
	s_cmp_lt_i32 s48, 1
	s_mov_b64 s[14:15], 0
	s_cbranch_scc1 .LBB80_33
.LBB80_28:
	s_cmp_gt_i32 s48, 1
	s_cbranch_scc0 .LBB80_34
; %bb.29:
	s_cmp_eq_u32 s48, 2
	s_cbranch_scc0 .LBB80_252
; %bb.30:
	s_waitcnt vmcnt(5)
	v_cmp_ge_f64_e64 s[6:7], s[8:9], v[25:26]
	s_mov_b64 s[16:17], 0
	s_branch .LBB80_36
.LBB80_31:
	s_waitcnt vmcnt(4)
	v_cmp_gt_f64_e32 vcc, s[8:9], v[31:32]
	s_andn2_b64 s[4:5], s[4:5], exec
	s_and_b64 s[14:15], vcc, exec
	s_or_b64 s[4:5], s[4:5], s[14:15]
	s_cbranch_execnz .LBB80_27
.LBB80_32:
	s_waitcnt vmcnt(4)
	v_cmp_le_f64_e32 vcc, s[8:9], v[31:32]
	s_andn2_b64 s[4:5], s[4:5], exec
	s_and_b64 s[6:7], vcc, exec
	s_or_b64 s[4:5], s[4:5], s[6:7]
	s_cmp_lt_i32 s48, 1
	s_mov_b64 s[14:15], 0
	s_cbranch_scc0 .LBB80_28
.LBB80_33:
                                        ; implicit-def: $sgpr6_sgpr7
	s_mov_b64 s[16:17], 0
	s_cbranch_execnz .LBB80_37
	s_branch .LBB80_38
.LBB80_34:
	s_mov_b64 s[16:17], 0
                                        ; implicit-def: $sgpr6_sgpr7
	s_cbranch_execz .LBB80_36
; %bb.35:
	s_waitcnt vmcnt(5)
	v_cmp_lt_f64_e32 vcc, s[8:9], v[25:26]
	s_andn2_b64 s[6:7], s[6:7], exec
	s_and_b64 s[18:19], vcc, exec
	s_or_b64 s[6:7], s[6:7], s[18:19]
.LBB80_36:
	s_branch .LBB80_38
.LBB80_37:
	s_cmp_lg_u32 s48, 0
	s_mov_b64 s[14:15], -1
	s_cselect_b64 s[16:17], -1, 0
.LBB80_38:
	s_andn2_b64 vcc, exec, s[16:17]
	s_cbranch_vccz .LBB80_44
; %bb.39:
	s_andn2_b64 vcc, exec, s[14:15]
	s_cbranch_vccz .LBB80_45
.LBB80_40:
	s_cmp_lt_i32 s48, 1
	s_mov_b64 s[16:17], 0
	s_cbranch_scc1 .LBB80_46
.LBB80_41:
	s_cmp_gt_i32 s48, 1
	s_cbranch_scc0 .LBB80_47
; %bb.42:
	s_cmp_eq_u32 s48, 2
	s_cbranch_scc0 .LBB80_253
; %bb.43:
	s_waitcnt vmcnt(5)
	v_cmp_ge_f64_e64 s[14:15], s[8:9], v[27:28]
	s_mov_b64 s[18:19], 0
	s_branch .LBB80_49
.LBB80_44:
	s_waitcnt vmcnt(5)
	v_cmp_gt_f64_e32 vcc, s[8:9], v[25:26]
	s_andn2_b64 s[6:7], s[6:7], exec
	s_and_b64 s[16:17], vcc, exec
	s_or_b64 s[6:7], s[6:7], s[16:17]
	s_cbranch_execnz .LBB80_40
.LBB80_45:
	s_waitcnt vmcnt(5)
	v_cmp_le_f64_e32 vcc, s[8:9], v[25:26]
	s_andn2_b64 s[6:7], s[6:7], exec
	s_and_b64 s[14:15], vcc, exec
	s_or_b64 s[6:7], s[6:7], s[14:15]
	s_cmp_lt_i32 s48, 1
	s_mov_b64 s[16:17], 0
	s_cbranch_scc0 .LBB80_41
.LBB80_46:
                                        ; implicit-def: $sgpr14_sgpr15
	s_mov_b64 s[18:19], 0
	s_cbranch_execnz .LBB80_50
	s_branch .LBB80_51
.LBB80_47:
	s_mov_b64 s[18:19], 0
                                        ; implicit-def: $sgpr14_sgpr15
	s_cbranch_execz .LBB80_49
; %bb.48:
	s_waitcnt vmcnt(5)
	v_cmp_lt_f64_e32 vcc, s[8:9], v[27:28]
	s_andn2_b64 s[14:15], s[14:15], exec
	s_and_b64 s[20:21], vcc, exec
	s_or_b64 s[14:15], s[14:15], s[20:21]
.LBB80_49:
	s_branch .LBB80_51
.LBB80_50:
	s_cmp_lg_u32 s48, 0
	s_mov_b64 s[16:17], -1
	s_cselect_b64 s[18:19], -1, 0
.LBB80_51:
	s_andn2_b64 vcc, exec, s[18:19]
	s_cbranch_vccz .LBB80_57
; %bb.52:
	s_andn2_b64 vcc, exec, s[16:17]
	s_cbranch_vccz .LBB80_58
.LBB80_53:
	s_cmp_lt_i32 s48, 1
	s_mov_b64 s[18:19], 0
	s_cbranch_scc1 .LBB80_59
.LBB80_54:
	s_cmp_gt_i32 s48, 1
	s_cbranch_scc0 .LBB80_60
; %bb.55:
	s_cmp_eq_u32 s48, 2
	s_cbranch_scc0 .LBB80_254
; %bb.56:
	s_waitcnt vmcnt(6)
	v_cmp_ge_f64_e64 s[16:17], s[8:9], v[21:22]
	s_mov_b64 s[20:21], 0
	s_branch .LBB80_62
.LBB80_57:
	s_waitcnt vmcnt(5)
	v_cmp_gt_f64_e32 vcc, s[8:9], v[27:28]
	s_andn2_b64 s[14:15], s[14:15], exec
	s_and_b64 s[18:19], vcc, exec
	s_or_b64 s[14:15], s[14:15], s[18:19]
	s_cbranch_execnz .LBB80_53
.LBB80_58:
	s_waitcnt vmcnt(5)
	v_cmp_le_f64_e32 vcc, s[8:9], v[27:28]
	s_andn2_b64 s[14:15], s[14:15], exec
	s_and_b64 s[16:17], vcc, exec
	s_or_b64 s[14:15], s[14:15], s[16:17]
	s_cmp_lt_i32 s48, 1
	s_mov_b64 s[18:19], 0
	s_cbranch_scc0 .LBB80_54
.LBB80_59:
                                        ; implicit-def: $sgpr16_sgpr17
	s_mov_b64 s[20:21], 0
	s_cbranch_execnz .LBB80_63
	s_branch .LBB80_64
.LBB80_60:
	s_mov_b64 s[20:21], 0
                                        ; implicit-def: $sgpr16_sgpr17
	s_cbranch_execz .LBB80_62
; %bb.61:
	s_waitcnt vmcnt(6)
	v_cmp_lt_f64_e32 vcc, s[8:9], v[21:22]
	s_andn2_b64 s[16:17], s[16:17], exec
	s_and_b64 s[22:23], vcc, exec
	s_or_b64 s[16:17], s[16:17], s[22:23]
.LBB80_62:
	s_branch .LBB80_64
.LBB80_63:
	s_cmp_lg_u32 s48, 0
	s_mov_b64 s[18:19], -1
	s_cselect_b64 s[20:21], -1, 0
.LBB80_64:
	s_andn2_b64 vcc, exec, s[20:21]
	s_cbranch_vccz .LBB80_70
; %bb.65:
	s_andn2_b64 vcc, exec, s[18:19]
	s_cbranch_vccz .LBB80_71
.LBB80_66:
	s_cmp_lt_i32 s48, 1
	s_mov_b64 s[20:21], 0
	s_cbranch_scc1 .LBB80_72
.LBB80_67:
	s_cmp_gt_i32 s48, 1
	s_cbranch_scc0 .LBB80_73
; %bb.68:
	s_cmp_eq_u32 s48, 2
	s_cbranch_scc0 .LBB80_255
; %bb.69:
	s_waitcnt vmcnt(6)
	v_cmp_ge_f64_e64 s[18:19], s[8:9], v[23:24]
	s_mov_b64 s[22:23], 0
	s_branch .LBB80_75
.LBB80_70:
	s_waitcnt vmcnt(6)
	v_cmp_gt_f64_e32 vcc, s[8:9], v[21:22]
	s_andn2_b64 s[16:17], s[16:17], exec
	s_and_b64 s[20:21], vcc, exec
	s_or_b64 s[16:17], s[16:17], s[20:21]
	s_cbranch_execnz .LBB80_66
.LBB80_71:
	s_waitcnt vmcnt(6)
	v_cmp_le_f64_e32 vcc, s[8:9], v[21:22]
	s_andn2_b64 s[16:17], s[16:17], exec
	s_and_b64 s[18:19], vcc, exec
	s_or_b64 s[16:17], s[16:17], s[18:19]
	s_cmp_lt_i32 s48, 1
	s_mov_b64 s[20:21], 0
	s_cbranch_scc0 .LBB80_67
.LBB80_72:
                                        ; implicit-def: $sgpr18_sgpr19
	s_mov_b64 s[22:23], 0
	s_cbranch_execnz .LBB80_76
	s_branch .LBB80_77
.LBB80_73:
	s_mov_b64 s[22:23], 0
                                        ; implicit-def: $sgpr18_sgpr19
	s_cbranch_execz .LBB80_75
; %bb.74:
	s_waitcnt vmcnt(6)
	v_cmp_lt_f64_e32 vcc, s[8:9], v[23:24]
	s_andn2_b64 s[18:19], s[18:19], exec
	s_and_b64 s[24:25], vcc, exec
	s_or_b64 s[18:19], s[18:19], s[24:25]
.LBB80_75:
	s_branch .LBB80_77
.LBB80_76:
	s_cmp_lg_u32 s48, 0
	s_mov_b64 s[20:21], -1
	s_cselect_b64 s[22:23], -1, 0
.LBB80_77:
	s_andn2_b64 vcc, exec, s[22:23]
	s_cbranch_vccz .LBB80_83
; %bb.78:
	s_andn2_b64 vcc, exec, s[20:21]
	s_cbranch_vccz .LBB80_84
.LBB80_79:
	s_cmp_lt_i32 s48, 1
	s_mov_b64 s[22:23], 0
	s_cbranch_scc1 .LBB80_85
.LBB80_80:
	s_cmp_gt_i32 s48, 1
	s_cbranch_scc0 .LBB80_86
; %bb.81:
	s_cmp_eq_u32 s48, 2
	s_cbranch_scc0 .LBB80_256
; %bb.82:
	s_waitcnt vmcnt(7)
	v_cmp_ge_f64_e64 s[20:21], s[8:9], v[17:18]
	s_mov_b64 s[24:25], 0
	s_branch .LBB80_88
.LBB80_83:
	s_waitcnt vmcnt(6)
	v_cmp_gt_f64_e32 vcc, s[8:9], v[23:24]
	s_andn2_b64 s[18:19], s[18:19], exec
	s_and_b64 s[22:23], vcc, exec
	s_or_b64 s[18:19], s[18:19], s[22:23]
	s_cbranch_execnz .LBB80_79
.LBB80_84:
	s_waitcnt vmcnt(6)
	v_cmp_le_f64_e32 vcc, s[8:9], v[23:24]
	s_andn2_b64 s[18:19], s[18:19], exec
	s_and_b64 s[20:21], vcc, exec
	s_or_b64 s[18:19], s[18:19], s[20:21]
	s_cmp_lt_i32 s48, 1
	s_mov_b64 s[22:23], 0
	s_cbranch_scc0 .LBB80_80
.LBB80_85:
                                        ; implicit-def: $sgpr20_sgpr21
	s_mov_b64 s[24:25], 0
	s_cbranch_execnz .LBB80_89
	s_branch .LBB80_90
.LBB80_86:
	s_mov_b64 s[24:25], 0
                                        ; implicit-def: $sgpr20_sgpr21
	s_cbranch_execz .LBB80_88
; %bb.87:
	s_waitcnt vmcnt(7)
	v_cmp_lt_f64_e32 vcc, s[8:9], v[17:18]
	s_andn2_b64 s[20:21], s[20:21], exec
	s_and_b64 s[26:27], vcc, exec
	s_or_b64 s[20:21], s[20:21], s[26:27]
.LBB80_88:
	s_branch .LBB80_90
.LBB80_89:
	s_cmp_lg_u32 s48, 0
	s_mov_b64 s[22:23], -1
	s_cselect_b64 s[24:25], -1, 0
.LBB80_90:
	s_andn2_b64 vcc, exec, s[24:25]
	s_cbranch_vccz .LBB80_96
; %bb.91:
	s_andn2_b64 vcc, exec, s[22:23]
	s_cbranch_vccz .LBB80_97
.LBB80_92:
	s_cmp_lt_i32 s48, 1
	s_mov_b64 s[24:25], 0
	s_cbranch_scc1 .LBB80_98
.LBB80_93:
	s_cmp_gt_i32 s48, 1
	s_cbranch_scc0 .LBB80_99
; %bb.94:
	s_cmp_eq_u32 s48, 2
	s_cbranch_scc0 .LBB80_257
; %bb.95:
	s_waitcnt vmcnt(7)
	v_cmp_ge_f64_e64 s[22:23], s[8:9], v[19:20]
	s_mov_b64 s[26:27], 0
	s_branch .LBB80_101
.LBB80_96:
	s_waitcnt vmcnt(7)
	v_cmp_gt_f64_e32 vcc, s[8:9], v[17:18]
	s_andn2_b64 s[20:21], s[20:21], exec
	s_and_b64 s[24:25], vcc, exec
	s_or_b64 s[20:21], s[20:21], s[24:25]
	s_cbranch_execnz .LBB80_92
.LBB80_97:
	s_waitcnt vmcnt(7)
	v_cmp_le_f64_e32 vcc, s[8:9], v[17:18]
	s_andn2_b64 s[20:21], s[20:21], exec
	s_and_b64 s[22:23], vcc, exec
	s_or_b64 s[20:21], s[20:21], s[22:23]
	s_cmp_lt_i32 s48, 1
	s_mov_b64 s[24:25], 0
	s_cbranch_scc0 .LBB80_93
.LBB80_98:
                                        ; implicit-def: $sgpr22_sgpr23
	s_mov_b64 s[26:27], 0
	s_cbranch_execnz .LBB80_102
	s_branch .LBB80_103
.LBB80_99:
	s_mov_b64 s[26:27], 0
                                        ; implicit-def: $sgpr22_sgpr23
	s_cbranch_execz .LBB80_101
; %bb.100:
	s_waitcnt vmcnt(7)
	v_cmp_lt_f64_e32 vcc, s[8:9], v[19:20]
	s_andn2_b64 s[22:23], s[22:23], exec
	s_and_b64 s[28:29], vcc, exec
	s_or_b64 s[22:23], s[22:23], s[28:29]
.LBB80_101:
	s_branch .LBB80_103
.LBB80_102:
	s_cmp_lg_u32 s48, 0
	s_mov_b64 s[24:25], -1
	s_cselect_b64 s[26:27], -1, 0
.LBB80_103:
	s_andn2_b64 vcc, exec, s[26:27]
	s_cbranch_vccz .LBB80_109
; %bb.104:
	s_andn2_b64 vcc, exec, s[24:25]
	s_cbranch_vccz .LBB80_110
.LBB80_105:
	s_cmp_lt_i32 s48, 1
	s_mov_b64 s[26:27], 0
	s_cbranch_scc1 .LBB80_111
.LBB80_106:
	s_cmp_gt_i32 s48, 1
	s_cbranch_scc0 .LBB80_112
; %bb.107:
	s_cmp_eq_u32 s48, 2
	s_cbranch_scc0 .LBB80_258
; %bb.108:
	s_waitcnt vmcnt(0)
	v_cmp_ge_f64_e64 s[24:25], s[8:9], v[13:14]
	s_mov_b64 s[28:29], 0
	s_branch .LBB80_114
.LBB80_109:
	s_waitcnt vmcnt(7)
	v_cmp_gt_f64_e32 vcc, s[8:9], v[19:20]
	s_andn2_b64 s[22:23], s[22:23], exec
	s_and_b64 s[26:27], vcc, exec
	s_or_b64 s[22:23], s[22:23], s[26:27]
	s_cbranch_execnz .LBB80_105
.LBB80_110:
	s_waitcnt vmcnt(7)
	v_cmp_le_f64_e32 vcc, s[8:9], v[19:20]
	s_andn2_b64 s[22:23], s[22:23], exec
	s_and_b64 s[24:25], vcc, exec
	s_or_b64 s[22:23], s[22:23], s[24:25]
	s_cmp_lt_i32 s48, 1
	s_mov_b64 s[26:27], 0
	s_cbranch_scc0 .LBB80_106
.LBB80_111:
                                        ; implicit-def: $sgpr24_sgpr25
	s_mov_b64 s[28:29], 0
	s_cbranch_execnz .LBB80_115
	s_branch .LBB80_116
.LBB80_112:
	s_mov_b64 s[28:29], 0
                                        ; implicit-def: $sgpr24_sgpr25
	s_cbranch_execz .LBB80_114
; %bb.113:
	s_waitcnt vmcnt(0)
	v_cmp_lt_f64_e32 vcc, s[8:9], v[13:14]
	s_andn2_b64 s[24:25], s[24:25], exec
	s_and_b64 s[30:31], vcc, exec
	s_or_b64 s[24:25], s[24:25], s[30:31]
.LBB80_114:
	s_branch .LBB80_116
.LBB80_115:
	s_cmp_lg_u32 s48, 0
	s_mov_b64 s[26:27], -1
	s_cselect_b64 s[28:29], -1, 0
.LBB80_116:
	s_andn2_b64 vcc, exec, s[28:29]
	s_cbranch_vccz .LBB80_122
; %bb.117:
	s_andn2_b64 vcc, exec, s[26:27]
	s_cbranch_vccz .LBB80_123
.LBB80_118:
	s_cmp_lt_i32 s48, 1
	s_mov_b64 s[28:29], 0
	s_cbranch_scc1 .LBB80_124
.LBB80_119:
	s_cmp_gt_i32 s48, 1
	s_cbranch_scc0 .LBB80_125
; %bb.120:
	s_cmp_eq_u32 s48, 2
	s_cbranch_scc0 .LBB80_259
; %bb.121:
	s_waitcnt vmcnt(0)
	v_cmp_ge_f64_e64 s[26:27], s[8:9], v[15:16]
	s_mov_b64 s[30:31], 0
	s_branch .LBB80_127
.LBB80_122:
	s_waitcnt vmcnt(0)
	v_cmp_gt_f64_e32 vcc, s[8:9], v[13:14]
	s_andn2_b64 s[24:25], s[24:25], exec
	s_and_b64 s[28:29], vcc, exec
	s_or_b64 s[24:25], s[24:25], s[28:29]
	s_cbranch_execnz .LBB80_118
.LBB80_123:
	s_waitcnt vmcnt(0)
	v_cmp_le_f64_e32 vcc, s[8:9], v[13:14]
	s_andn2_b64 s[24:25], s[24:25], exec
	s_and_b64 s[26:27], vcc, exec
	s_or_b64 s[24:25], s[24:25], s[26:27]
	s_cmp_lt_i32 s48, 1
	s_mov_b64 s[28:29], 0
	s_cbranch_scc0 .LBB80_119
.LBB80_124:
                                        ; implicit-def: $sgpr26_sgpr27
	s_mov_b64 s[30:31], 0
	s_cbranch_execnz .LBB80_128
	s_branch .LBB80_129
.LBB80_125:
	s_mov_b64 s[30:31], 0
                                        ; implicit-def: $sgpr26_sgpr27
	s_cbranch_execz .LBB80_127
; %bb.126:
	s_waitcnt vmcnt(0)
	v_cmp_lt_f64_e32 vcc, s[8:9], v[15:16]
	s_andn2_b64 s[26:27], s[26:27], exec
	s_and_b64 s[34:35], vcc, exec
	s_or_b64 s[26:27], s[26:27], s[34:35]
.LBB80_127:
	s_branch .LBB80_129
.LBB80_128:
	s_cmp_lg_u32 s48, 0
	s_mov_b64 s[28:29], -1
	s_cselect_b64 s[30:31], -1, 0
.LBB80_129:
	s_andn2_b64 vcc, exec, s[30:31]
	s_cbranch_vccz .LBB80_135
; %bb.130:
	s_andn2_b64 vcc, exec, s[28:29]
	s_cbranch_vccz .LBB80_136
.LBB80_131:
	s_cmp_lt_i32 s48, 1
	s_mov_b64 s[30:31], 0
	s_cbranch_scc1 .LBB80_137
.LBB80_132:
	s_cmp_gt_i32 s48, 1
	s_cbranch_scc0 .LBB80_138
; %bb.133:
	s_cmp_eq_u32 s48, 2
	s_cbranch_scc0 .LBB80_260
; %bb.134:
	s_waitcnt vmcnt(1)
	v_cmp_ge_f64_e64 s[28:29], s[8:9], v[9:10]
	s_mov_b64 s[34:35], 0
	s_branch .LBB80_140
.LBB80_135:
	s_waitcnt vmcnt(0)
	v_cmp_gt_f64_e32 vcc, s[8:9], v[15:16]
	s_andn2_b64 s[26:27], s[26:27], exec
	s_and_b64 s[30:31], vcc, exec
	s_or_b64 s[26:27], s[26:27], s[30:31]
	s_cbranch_execnz .LBB80_131
.LBB80_136:
	s_waitcnt vmcnt(0)
	v_cmp_le_f64_e32 vcc, s[8:9], v[15:16]
	s_andn2_b64 s[26:27], s[26:27], exec
	s_and_b64 s[28:29], vcc, exec
	s_or_b64 s[26:27], s[26:27], s[28:29]
	s_cmp_lt_i32 s48, 1
	s_mov_b64 s[30:31], 0
	s_cbranch_scc0 .LBB80_132
.LBB80_137:
                                        ; implicit-def: $sgpr28_sgpr29
	s_mov_b64 s[34:35], 0
	s_cbranch_execnz .LBB80_141
	s_branch .LBB80_142
.LBB80_138:
	s_mov_b64 s[34:35], 0
                                        ; implicit-def: $sgpr28_sgpr29
	s_cbranch_execz .LBB80_140
; %bb.139:
	s_waitcnt vmcnt(1)
	v_cmp_lt_f64_e32 vcc, s[8:9], v[9:10]
	s_andn2_b64 s[28:29], s[28:29], exec
	s_and_b64 s[36:37], vcc, exec
	s_or_b64 s[28:29], s[28:29], s[36:37]
.LBB80_140:
	s_branch .LBB80_142
.LBB80_141:
	s_cmp_lg_u32 s48, 0
	s_mov_b64 s[30:31], -1
	s_cselect_b64 s[34:35], -1, 0
.LBB80_142:
	s_andn2_b64 vcc, exec, s[34:35]
	s_cbranch_vccz .LBB80_148
; %bb.143:
	s_andn2_b64 vcc, exec, s[30:31]
	s_cbranch_vccz .LBB80_149
.LBB80_144:
	s_cmp_lt_i32 s48, 1
	s_mov_b64 s[34:35], 0
	s_cbranch_scc1 .LBB80_150
.LBB80_145:
	s_cmp_gt_i32 s48, 1
	s_cbranch_scc0 .LBB80_151
; %bb.146:
	s_cmp_eq_u32 s48, 2
	s_cbranch_scc0 .LBB80_261
; %bb.147:
	s_waitcnt vmcnt(1)
	v_cmp_ge_f64_e64 s[30:31], s[8:9], v[11:12]
	s_mov_b64 s[36:37], 0
	s_branch .LBB80_153
.LBB80_148:
	s_waitcnt vmcnt(1)
	v_cmp_gt_f64_e32 vcc, s[8:9], v[9:10]
	s_andn2_b64 s[28:29], s[28:29], exec
	s_and_b64 s[34:35], vcc, exec
	s_or_b64 s[28:29], s[28:29], s[34:35]
	s_cbranch_execnz .LBB80_144
.LBB80_149:
	s_waitcnt vmcnt(1)
	v_cmp_le_f64_e32 vcc, s[8:9], v[9:10]
	s_andn2_b64 s[28:29], s[28:29], exec
	s_and_b64 s[30:31], vcc, exec
	s_or_b64 s[28:29], s[28:29], s[30:31]
	s_cmp_lt_i32 s48, 1
	s_mov_b64 s[34:35], 0
	s_cbranch_scc0 .LBB80_145
.LBB80_150:
                                        ; implicit-def: $sgpr30_sgpr31
	s_mov_b64 s[36:37], 0
	s_cbranch_execnz .LBB80_154
	s_branch .LBB80_155
.LBB80_151:
	s_mov_b64 s[36:37], 0
                                        ; implicit-def: $sgpr30_sgpr31
	s_cbranch_execz .LBB80_153
; %bb.152:
	s_waitcnt vmcnt(1)
	v_cmp_lt_f64_e32 vcc, s[8:9], v[11:12]
	s_andn2_b64 s[30:31], s[30:31], exec
	s_and_b64 s[38:39], vcc, exec
	s_or_b64 s[30:31], s[30:31], s[38:39]
.LBB80_153:
	s_branch .LBB80_155
.LBB80_154:
	s_cmp_lg_u32 s48, 0
	s_mov_b64 s[34:35], -1
	s_cselect_b64 s[36:37], -1, 0
.LBB80_155:
	s_andn2_b64 vcc, exec, s[36:37]
	s_cbranch_vccz .LBB80_161
; %bb.156:
	s_andn2_b64 vcc, exec, s[34:35]
	s_cbranch_vccz .LBB80_162
.LBB80_157:
	s_cmp_lt_i32 s48, 1
	s_mov_b64 s[36:37], 0
	s_cbranch_scc1 .LBB80_163
.LBB80_158:
	s_cmp_gt_i32 s48, 1
	s_cbranch_scc0 .LBB80_164
; %bb.159:
	s_cmp_eq_u32 s48, 2
	s_cbranch_scc0 .LBB80_262
; %bb.160:
	s_waitcnt vmcnt(2)
	v_cmp_ge_f64_e64 s[34:35], s[8:9], v[5:6]
	s_mov_b64 s[38:39], 0
	s_branch .LBB80_166
.LBB80_161:
	s_waitcnt vmcnt(1)
	v_cmp_gt_f64_e32 vcc, s[8:9], v[11:12]
	s_andn2_b64 s[30:31], s[30:31], exec
	s_and_b64 s[36:37], vcc, exec
	s_or_b64 s[30:31], s[30:31], s[36:37]
	s_cbranch_execnz .LBB80_157
.LBB80_162:
	s_waitcnt vmcnt(1)
	v_cmp_le_f64_e32 vcc, s[8:9], v[11:12]
	s_andn2_b64 s[30:31], s[30:31], exec
	s_and_b64 s[34:35], vcc, exec
	s_or_b64 s[30:31], s[30:31], s[34:35]
	s_cmp_lt_i32 s48, 1
	s_mov_b64 s[36:37], 0
	s_cbranch_scc0 .LBB80_158
.LBB80_163:
                                        ; implicit-def: $sgpr34_sgpr35
	s_mov_b64 s[38:39], 0
	s_cbranch_execnz .LBB80_167
	s_branch .LBB80_168
.LBB80_164:
	s_mov_b64 s[38:39], 0
                                        ; implicit-def: $sgpr34_sgpr35
	s_cbranch_execz .LBB80_166
; %bb.165:
	s_waitcnt vmcnt(2)
	v_cmp_lt_f64_e32 vcc, s[8:9], v[5:6]
	s_andn2_b64 s[34:35], s[34:35], exec
	s_and_b64 s[40:41], vcc, exec
	s_or_b64 s[34:35], s[34:35], s[40:41]
.LBB80_166:
	s_branch .LBB80_168
.LBB80_167:
	s_cmp_lg_u32 s48, 0
	s_mov_b64 s[36:37], -1
	s_cselect_b64 s[38:39], -1, 0
.LBB80_168:
	s_andn2_b64 vcc, exec, s[38:39]
	s_cbranch_vccz .LBB80_174
; %bb.169:
	s_andn2_b64 vcc, exec, s[36:37]
	s_cbranch_vccz .LBB80_175
.LBB80_170:
	s_cmp_lt_i32 s48, 1
	s_mov_b64 s[38:39], 0
	s_cbranch_scc1 .LBB80_176
.LBB80_171:
	s_cmp_gt_i32 s48, 1
	s_cbranch_scc0 .LBB80_177
; %bb.172:
	s_cmp_eq_u32 s48, 2
	s_cbranch_scc0 .LBB80_263
; %bb.173:
	s_waitcnt vmcnt(2)
	v_cmp_ge_f64_e64 s[36:37], s[8:9], v[7:8]
	s_mov_b64 s[40:41], 0
	s_branch .LBB80_179
.LBB80_174:
	s_waitcnt vmcnt(2)
	v_cmp_gt_f64_e32 vcc, s[8:9], v[5:6]
	s_andn2_b64 s[34:35], s[34:35], exec
	s_and_b64 s[38:39], vcc, exec
	s_or_b64 s[34:35], s[34:35], s[38:39]
	s_cbranch_execnz .LBB80_170
.LBB80_175:
	s_waitcnt vmcnt(2)
	v_cmp_le_f64_e32 vcc, s[8:9], v[5:6]
	s_andn2_b64 s[34:35], s[34:35], exec
	s_and_b64 s[36:37], vcc, exec
	s_or_b64 s[34:35], s[34:35], s[36:37]
	s_cmp_lt_i32 s48, 1
	s_mov_b64 s[38:39], 0
	s_cbranch_scc0 .LBB80_171
.LBB80_176:
                                        ; implicit-def: $sgpr36_sgpr37
	s_mov_b64 s[40:41], 0
	s_cbranch_execnz .LBB80_180
	s_branch .LBB80_181
.LBB80_177:
	s_mov_b64 s[40:41], 0
                                        ; implicit-def: $sgpr36_sgpr37
	s_cbranch_execz .LBB80_179
; %bb.178:
	s_waitcnt vmcnt(2)
	v_cmp_lt_f64_e32 vcc, s[8:9], v[7:8]
	s_andn2_b64 s[36:37], s[36:37], exec
	s_and_b64 s[42:43], vcc, exec
	s_or_b64 s[36:37], s[36:37], s[42:43]
.LBB80_179:
	s_branch .LBB80_181
.LBB80_180:
	s_cmp_lg_u32 s48, 0
	s_mov_b64 s[38:39], -1
	s_cselect_b64 s[40:41], -1, 0
.LBB80_181:
	s_andn2_b64 vcc, exec, s[40:41]
	s_cbranch_vccz .LBB80_187
; %bb.182:
	s_andn2_b64 vcc, exec, s[38:39]
	s_cbranch_vccz .LBB80_188
.LBB80_183:
	s_cmp_lt_i32 s48, 1
	s_mov_b64 s[40:41], 0
	s_cbranch_scc1 .LBB80_189
.LBB80_184:
	s_cmp_gt_i32 s48, 1
	s_cbranch_scc0 .LBB80_190
; %bb.185:
	s_cmp_eq_u32 s48, 2
	s_cbranch_scc0 .LBB80_264
; %bb.186:
	s_waitcnt vmcnt(3)
	v_cmp_ge_f64_e64 s[38:39], s[8:9], v[1:2]
	s_mov_b64 s[42:43], 0
	s_branch .LBB80_192
.LBB80_187:
	s_waitcnt vmcnt(2)
	v_cmp_gt_f64_e32 vcc, s[8:9], v[7:8]
	s_andn2_b64 s[36:37], s[36:37], exec
	s_and_b64 s[40:41], vcc, exec
	s_or_b64 s[36:37], s[36:37], s[40:41]
	s_cbranch_execnz .LBB80_183
.LBB80_188:
	s_waitcnt vmcnt(2)
	v_cmp_le_f64_e32 vcc, s[8:9], v[7:8]
	s_andn2_b64 s[36:37], s[36:37], exec
	s_and_b64 s[38:39], vcc, exec
	s_or_b64 s[36:37], s[36:37], s[38:39]
	s_cmp_lt_i32 s48, 1
	s_mov_b64 s[40:41], 0
	s_cbranch_scc0 .LBB80_184
.LBB80_189:
                                        ; implicit-def: $sgpr38_sgpr39
	s_mov_b64 s[42:43], 0
	s_cbranch_execnz .LBB80_193
	s_branch .LBB80_194
.LBB80_190:
	s_mov_b64 s[42:43], 0
                                        ; implicit-def: $sgpr38_sgpr39
	s_cbranch_execz .LBB80_192
; %bb.191:
	s_waitcnt vmcnt(3)
	v_cmp_lt_f64_e32 vcc, s[8:9], v[1:2]
	s_andn2_b64 s[38:39], s[38:39], exec
	s_and_b64 s[44:45], vcc, exec
	s_or_b64 s[38:39], s[38:39], s[44:45]
.LBB80_192:
	s_branch .LBB80_194
.LBB80_193:
	s_cmp_lg_u32 s48, 0
	s_mov_b64 s[40:41], -1
	s_cselect_b64 s[42:43], -1, 0
.LBB80_194:
	s_andn2_b64 vcc, exec, s[42:43]
	s_cbranch_vccz .LBB80_200
; %bb.195:
	s_andn2_b64 vcc, exec, s[40:41]
	s_cbranch_vccz .LBB80_201
.LBB80_196:
	s_cmp_lt_i32 s48, 1
	s_mov_b64 s[42:43], 0
	s_cbranch_scc1 .LBB80_202
.LBB80_197:
	s_cmp_gt_i32 s48, 1
	s_cbranch_scc0 .LBB80_203
; %bb.198:
	s_cmp_eq_u32 s48, 2
	s_cbranch_scc0 .LBB80_265
; %bb.199:
	s_waitcnt vmcnt(3)
	v_cmp_ge_f64_e64 s[40:41], s[8:9], v[3:4]
	s_mov_b64 s[44:45], 0
	s_branch .LBB80_205
.LBB80_200:
	s_waitcnt vmcnt(3)
	v_cmp_gt_f64_e32 vcc, s[8:9], v[1:2]
	s_andn2_b64 s[38:39], s[38:39], exec
	s_and_b64 s[42:43], vcc, exec
	s_or_b64 s[38:39], s[38:39], s[42:43]
	s_cbranch_execnz .LBB80_196
.LBB80_201:
	s_waitcnt vmcnt(3)
	v_cmp_le_f64_e32 vcc, s[8:9], v[1:2]
	s_andn2_b64 s[38:39], s[38:39], exec
	s_and_b64 s[40:41], vcc, exec
	s_or_b64 s[38:39], s[38:39], s[40:41]
	s_cmp_lt_i32 s48, 1
	s_mov_b64 s[42:43], 0
	s_cbranch_scc0 .LBB80_197
.LBB80_202:
                                        ; implicit-def: $sgpr40_sgpr41
	s_mov_b64 s[44:45], 0
	s_cbranch_execnz .LBB80_206
	s_branch .LBB80_207
.LBB80_203:
	s_mov_b64 s[44:45], 0
                                        ; implicit-def: $sgpr40_sgpr41
	s_cbranch_execz .LBB80_205
; %bb.204:
	s_waitcnt vmcnt(3)
	v_cmp_lt_f64_e32 vcc, s[8:9], v[3:4]
	s_andn2_b64 s[40:41], s[40:41], exec
	s_and_b64 s[46:47], vcc, exec
	s_or_b64 s[40:41], s[40:41], s[46:47]
.LBB80_205:
	s_branch .LBB80_207
.LBB80_206:
	s_cmp_lg_u32 s48, 0
	s_mov_b64 s[42:43], -1
	s_cselect_b64 s[44:45], -1, 0
.LBB80_207:
	s_andn2_b64 vcc, exec, s[44:45]
	s_cbranch_vccz .LBB80_243
; %bb.208:
	s_andn2_b64 vcc, exec, s[42:43]
	s_cbranch_vccnz .LBB80_210
.LBB80_209:
	s_waitcnt vmcnt(3)
	v_cmp_le_f64_e32 vcc, s[8:9], v[3:4]
	s_andn2_b64 s[40:41], s[40:41], exec
	s_and_b64 s[42:43], vcc, exec
	s_or_b64 s[40:41], s[40:41], s[42:43]
.LBB80_210:
	s_waitcnt vmcnt(3)
	v_cndmask_b32_e64 v1, 0, 1, s[4:5]
	v_lshlrev_b16_e32 v1, 8, v1
	v_cndmask_b32_e64 v2, 0, 1, s[0:1]
	v_or_b32_e32 v1, v2, v1
	v_cndmask_b32_e64 v2, 0, 1, s[14:15]
	v_lshlrev_b16_e32 v2, 8, v2
	v_cndmask_b32_e64 v3, 0, 1, s[6:7]
	v_or_b32_sdwa v2, v3, v2 dst_sel:WORD_1 dst_unused:UNUSED_PAD src0_sel:DWORD src1_sel:DWORD
	v_or_b32_sdwa v1, v1, v2 dst_sel:DWORD dst_unused:UNUSED_PAD src0_sel:WORD_0 src1_sel:DWORD
	v_cndmask_b32_e64 v2, 0, 1, s[18:19]
	v_lshlrev_b16_e32 v2, 8, v2
	v_cndmask_b32_e64 v3, 0, 1, s[16:17]
	v_or_b32_e32 v2, v3, v2
	v_cndmask_b32_e64 v3, 0, 1, s[22:23]
	v_lshlrev_b16_e32 v3, 8, v3
	v_cndmask_b32_e64 v4, 0, 1, s[20:21]
	v_or_b32_sdwa v3, v4, v3 dst_sel:WORD_1 dst_unused:UNUSED_PAD src0_sel:DWORD src1_sel:DWORD
	v_or_b32_sdwa v2, v2, v3 dst_sel:DWORD dst_unused:UNUSED_PAD src0_sel:WORD_0 src1_sel:DWORD
	v_cndmask_b32_e64 v3, 0, 1, s[26:27]
	v_lshlrev_b16_e32 v3, 8, v3
	v_cndmask_b32_e64 v4, 0, 1, s[24:25]
	v_or_b32_e32 v3, v4, v3
	v_cndmask_b32_e64 v4, 0, 1, s[30:31]
	v_lshlrev_b16_e32 v4, 8, v4
	s_waitcnt vmcnt(2)
	v_cndmask_b32_e64 v6, 0, 1, s[28:29]
	v_or_b32_sdwa v4, v6, v4 dst_sel:WORD_1 dst_unused:UNUSED_PAD src0_sel:DWORD src1_sel:DWORD
	v_or_b32_sdwa v3, v3, v4 dst_sel:DWORD dst_unused:UNUSED_PAD src0_sel:WORD_0 src1_sel:DWORD
	v_cndmask_b32_e64 v4, 0, 1, s[36:37]
	v_lshlrev_b16_e32 v4, 8, v4
	v_cndmask_b32_e64 v6, 0, 1, s[34:35]
	v_or_b32_e32 v4, v6, v4
	v_cndmask_b32_e64 v6, 0, 1, s[40:41]
	v_lshlrev_b16_e32 v6, 8, v6
	v_cndmask_b32_e64 v7, 0, 1, s[38:39]
	s_add_u32 s42, s10, s2
	v_or_b32_sdwa v6, v7, v6 dst_sel:WORD_1 dst_unused:UNUSED_PAD src0_sel:DWORD src1_sel:DWORD
	s_addc_u32 s43, s11, s3
	v_lshlrev_b32_e32 v5, 4, v0
	v_or_b32_sdwa v4, v4, v6 dst_sel:DWORD dst_unused:UNUSED_PAD src0_sel:WORD_0 src1_sel:DWORD
	global_store_dwordx4 v5, v[1:4], s[42:43]
	s_mov_b64 s[0:1], 0
.LBB80_211:
	s_and_b64 vcc, exec, s[0:1]
	s_cbranch_vccz .LBB80_519
; %bb.212:
	v_mov_b32_e32 v30, 0
	v_mov_b32_e32 v32, 0
	v_cmp_gt_i32_e64 s[0:1], s33, v0
	v_mov_b32_e32 v31, 0
	v_or_b32_e32 v1, s2, v0
	v_mov_b32_e32 v33, 0
	v_mov_b32_e32 v34, v0
	s_and_saveexec_b64 s[4:5], s[0:1]
	s_cbranch_execz .LBB80_214
; %bb.213:
	v_mov_b32_e32 v2, 0
	v_lshlrev_b64 v[2:3], 3, v[1:2]
	v_mov_b32_e32 v4, s13
	v_add_co_u32_e32 v2, vcc, s12, v2
	v_addc_co_u32_e32 v3, vcc, v4, v3, vcc
	global_load_dwordx2 v[32:33], v[2:3], off
	v_or_b32_e32 v34, 0x100, v0
.LBB80_214:
	s_or_b64 exec, exec, s[4:5]
	v_cmp_gt_i32_e32 vcc, s33, v34
	s_and_saveexec_b64 s[4:5], vcc
	s_cbranch_execz .LBB80_216
; %bb.215:
	v_add_u32_e32 v2, s2, v34
	v_mov_b32_e32 v3, 0
	v_lshlrev_b64 v[2:3], 3, v[2:3]
	v_mov_b32_e32 v4, s13
	v_add_co_u32_e32 v2, vcc, s12, v2
	v_addc_co_u32_e32 v3, vcc, v4, v3, vcc
	global_load_dwordx2 v[30:31], v[2:3], off
	v_add_u32_e32 v34, 0x100, v34
.LBB80_216:
	s_or_b64 exec, exec, s[4:5]
	v_mov_b32_e32 v26, 0
	v_mov_b32_e32 v28, 0
	v_mov_b32_e32 v27, 0
	v_mov_b32_e32 v29, 0
	v_cmp_gt_i32_e32 vcc, s33, v34
	s_and_saveexec_b64 s[4:5], vcc
	s_cbranch_execz .LBB80_218
; %bb.217:
	v_add_u32_e32 v2, s2, v34
	v_mov_b32_e32 v3, 0
	v_lshlrev_b64 v[2:3], 3, v[2:3]
	v_mov_b32_e32 v4, s13
	v_add_co_u32_e32 v2, vcc, s12, v2
	v_addc_co_u32_e32 v3, vcc, v4, v3, vcc
	global_load_dwordx2 v[28:29], v[2:3], off
	v_add_u32_e32 v34, 0x100, v34
.LBB80_218:
	s_or_b64 exec, exec, s[4:5]
	v_cmp_gt_i32_e32 vcc, s33, v34
	s_and_saveexec_b64 s[4:5], vcc
	s_cbranch_execz .LBB80_220
; %bb.219:
	v_add_u32_e32 v2, s2, v34
	v_mov_b32_e32 v3, 0
	v_lshlrev_b64 v[2:3], 3, v[2:3]
	v_mov_b32_e32 v4, s13
	v_add_co_u32_e32 v2, vcc, s12, v2
	v_addc_co_u32_e32 v3, vcc, v4, v3, vcc
	global_load_dwordx2 v[26:27], v[2:3], off
	v_add_u32_e32 v34, 0x100, v34
.LBB80_220:
	s_or_b64 exec, exec, s[4:5]
	v_mov_b32_e32 v22, 0
	v_mov_b32_e32 v24, 0
	v_mov_b32_e32 v23, 0
	v_mov_b32_e32 v25, 0
	v_cmp_gt_i32_e32 vcc, s33, v34
	s_and_saveexec_b64 s[4:5], vcc
	s_cbranch_execz .LBB80_222
; %bb.221:
	v_add_u32_e32 v2, s2, v34
	v_mov_b32_e32 v3, 0
	v_lshlrev_b64 v[2:3], 3, v[2:3]
	v_mov_b32_e32 v4, s13
	v_add_co_u32_e32 v2, vcc, s12, v2
	v_addc_co_u32_e32 v3, vcc, v4, v3, vcc
	global_load_dwordx2 v[24:25], v[2:3], off
	v_add_u32_e32 v34, 0x100, v34
.LBB80_222:
	;; [unrolled: 32-line block ×3, first 2 shown]
	s_or_b64 exec, exec, s[4:5]
	v_cmp_gt_i32_e32 vcc, s33, v34
	s_and_saveexec_b64 s[4:5], vcc
	s_cbranch_execz .LBB80_228
; %bb.227:
	v_add_u32_e32 v2, s2, v34
	v_mov_b32_e32 v3, 0
	v_lshlrev_b64 v[2:3], 3, v[2:3]
	v_mov_b32_e32 v4, s13
	v_add_co_u32_e32 v2, vcc, s12, v2
	v_addc_co_u32_e32 v3, vcc, v4, v3, vcc
	global_load_dwordx2 v[18:19], v[2:3], off
	v_add_u32_e32 v34, 0x100, v34
.LBB80_228:
	s_or_b64 exec, exec, s[4:5]
	s_waitcnt vmcnt(1)
	v_mov_b32_e32 v14, 0
	v_mov_b32_e32 v16, 0
	v_mov_b32_e32 v15, 0
	v_mov_b32_e32 v17, 0
	v_cmp_gt_i32_e32 vcc, s33, v34
	s_and_saveexec_b64 s[4:5], vcc
	s_cbranch_execz .LBB80_230
; %bb.229:
	v_add_u32_e32 v2, s2, v34
	v_mov_b32_e32 v3, 0
	v_lshlrev_b64 v[2:3], 3, v[2:3]
	v_mov_b32_e32 v4, s13
	v_add_co_u32_e32 v2, vcc, s12, v2
	v_addc_co_u32_e32 v3, vcc, v4, v3, vcc
	global_load_dwordx2 v[16:17], v[2:3], off
	v_add_u32_e32 v34, 0x100, v34
.LBB80_230:
	s_or_b64 exec, exec, s[4:5]
	v_cmp_gt_i32_e32 vcc, s33, v34
	s_and_saveexec_b64 s[4:5], vcc
	s_cbranch_execz .LBB80_232
; %bb.231:
	v_add_u32_e32 v2, s2, v34
	v_mov_b32_e32 v3, 0
	v_lshlrev_b64 v[2:3], 3, v[2:3]
	v_mov_b32_e32 v4, s13
	v_add_co_u32_e32 v2, vcc, s12, v2
	v_addc_co_u32_e32 v3, vcc, v4, v3, vcc
	global_load_dwordx2 v[14:15], v[2:3], off
	v_add_u32_e32 v34, 0x100, v34
.LBB80_232:
	s_or_b64 exec, exec, s[4:5]
	v_mov_b32_e32 v10, 0
	v_mov_b32_e32 v12, 0
	v_mov_b32_e32 v11, 0
	v_mov_b32_e32 v13, 0
	v_cmp_gt_i32_e32 vcc, s33, v34
	s_and_saveexec_b64 s[4:5], vcc
	s_cbranch_execz .LBB80_234
; %bb.233:
	v_add_u32_e32 v2, s2, v34
	v_mov_b32_e32 v3, 0
	v_lshlrev_b64 v[2:3], 3, v[2:3]
	v_mov_b32_e32 v4, s13
	v_add_co_u32_e32 v2, vcc, s12, v2
	v_addc_co_u32_e32 v3, vcc, v4, v3, vcc
	global_load_dwordx2 v[12:13], v[2:3], off
	v_add_u32_e32 v34, 0x100, v34
.LBB80_234:
	s_or_b64 exec, exec, s[4:5]
	v_cmp_gt_i32_e32 vcc, s33, v34
	s_and_saveexec_b64 s[4:5], vcc
	s_cbranch_execz .LBB80_236
; %bb.235:
	v_add_u32_e32 v2, s2, v34
	v_mov_b32_e32 v3, 0
	v_lshlrev_b64 v[2:3], 3, v[2:3]
	v_mov_b32_e32 v4, s13
	v_add_co_u32_e32 v2, vcc, s12, v2
	v_addc_co_u32_e32 v3, vcc, v4, v3, vcc
	global_load_dwordx2 v[10:11], v[2:3], off
	v_add_u32_e32 v34, 0x100, v34
.LBB80_236:
	s_or_b64 exec, exec, s[4:5]
	;; [unrolled: 32-line block ×3, first 2 shown]
	v_mov_b32_e32 v2, 0
	v_mov_b32_e32 v4, 0
	;; [unrolled: 1-line block ×4, first 2 shown]
	v_cmp_gt_i32_e32 vcc, s33, v34
	s_and_saveexec_b64 s[4:5], vcc
	s_cbranch_execnz .LBB80_244
; %bb.241:
	s_or_b64 exec, exec, s[4:5]
	v_cmp_gt_i32_e32 vcc, s33, v34
	s_and_saveexec_b64 s[4:5], vcc
	s_cbranch_execnz .LBB80_245
.LBB80_242:
	s_or_b64 exec, exec, s[4:5]
                                        ; implicit-def: $vgpr34
	s_and_saveexec_b64 s[4:5], s[0:1]
	s_cbranch_execnz .LBB80_246
	s_branch .LBB80_276
.LBB80_243:
	s_waitcnt vmcnt(3)
	v_cmp_gt_f64_e32 vcc, s[8:9], v[3:4]
	s_andn2_b64 s[40:41], s[40:41], exec
	s_and_b64 s[44:45], vcc, exec
	s_or_b64 s[40:41], s[40:41], s[44:45]
	s_cbranch_execz .LBB80_209
	s_branch .LBB80_210
.LBB80_244:
	v_add_u32_e32 v4, s2, v34
	v_mov_b32_e32 v5, 0
	v_lshlrev_b64 v[4:5], 3, v[4:5]
	v_mov_b32_e32 v35, s13
	v_add_co_u32_e32 v4, vcc, s12, v4
	v_addc_co_u32_e32 v5, vcc, v35, v5, vcc
	global_load_dwordx2 v[4:5], v[4:5], off
	v_add_u32_e32 v34, 0x100, v34
	s_or_b64 exec, exec, s[4:5]
	v_cmp_gt_i32_e32 vcc, s33, v34
	s_and_saveexec_b64 s[4:5], vcc
	s_cbranch_execz .LBB80_242
.LBB80_245:
	v_add_u32_e32 v2, s2, v34
	v_mov_b32_e32 v3, 0
	v_lshlrev_b64 v[2:3], 3, v[2:3]
	v_mov_b32_e32 v34, s13
	v_add_co_u32_e32 v2, vcc, s12, v2
	v_addc_co_u32_e32 v3, vcc, v34, v3, vcc
	global_load_dwordx2 v[2:3], v[2:3], off
	s_or_b64 exec, exec, s[4:5]
                                        ; implicit-def: $vgpr34
	s_and_saveexec_b64 s[4:5], s[0:1]
	s_cbranch_execz .LBB80_276
.LBB80_246:
	s_cmp_lt_i32 s48, 1
	s_mov_b64 s[6:7], 0
	s_cbranch_scc1 .LBB80_250
; %bb.247:
	s_cmp_gt_i32 s48, 1
	s_cbranch_scc0 .LBB80_266
; %bb.248:
	s_cmp_eq_u32 s48, 2
	s_cbranch_scc0 .LBB80_267
; %bb.249:
	s_waitcnt vmcnt(0)
	v_cmp_ge_f64_e64 s[12:13], s[8:9], v[32:33]
	s_mov_b64 s[14:15], 0
	s_branch .LBB80_268
.LBB80_250:
                                        ; implicit-def: $sgpr12_sgpr13
	s_mov_b64 s[14:15], 0
	s_cbranch_execnz .LBB80_271
	s_branch .LBB80_272
.LBB80_251:
	s_mov_b64 s[14:15], -1
                                        ; implicit-def: $sgpr4_sgpr5
	s_branch .LBB80_23
.LBB80_252:
	s_mov_b64 s[16:17], -1
                                        ; implicit-def: $sgpr6_sgpr7
	s_branch .LBB80_36
.LBB80_253:
	s_mov_b64 s[18:19], -1
                                        ; implicit-def: $sgpr14_sgpr15
	s_branch .LBB80_49
.LBB80_254:
	s_mov_b64 s[20:21], -1
                                        ; implicit-def: $sgpr16_sgpr17
	s_branch .LBB80_62
.LBB80_255:
	s_mov_b64 s[22:23], -1
                                        ; implicit-def: $sgpr18_sgpr19
	s_branch .LBB80_75
.LBB80_256:
	s_mov_b64 s[24:25], -1
                                        ; implicit-def: $sgpr20_sgpr21
	s_branch .LBB80_88
.LBB80_257:
	s_mov_b64 s[26:27], -1
                                        ; implicit-def: $sgpr22_sgpr23
	s_branch .LBB80_101
.LBB80_258:
	s_mov_b64 s[28:29], -1
                                        ; implicit-def: $sgpr24_sgpr25
	s_branch .LBB80_114
.LBB80_259:
	s_mov_b64 s[30:31], -1
                                        ; implicit-def: $sgpr26_sgpr27
	s_branch .LBB80_127
.LBB80_260:
	s_mov_b64 s[34:35], -1
                                        ; implicit-def: $sgpr28_sgpr29
	s_branch .LBB80_140
.LBB80_261:
	s_mov_b64 s[36:37], -1
                                        ; implicit-def: $sgpr30_sgpr31
	s_branch .LBB80_153
.LBB80_262:
	s_mov_b64 s[38:39], -1
                                        ; implicit-def: $sgpr34_sgpr35
	s_branch .LBB80_166
.LBB80_263:
	s_mov_b64 s[40:41], -1
                                        ; implicit-def: $sgpr36_sgpr37
	s_branch .LBB80_179
.LBB80_264:
	s_mov_b64 s[42:43], -1
                                        ; implicit-def: $sgpr38_sgpr39
	s_branch .LBB80_192
.LBB80_265:
	s_mov_b64 s[44:45], -1
                                        ; implicit-def: $sgpr40_sgpr41
	s_branch .LBB80_205
.LBB80_266:
	s_mov_b64 s[14:15], 0
                                        ; implicit-def: $sgpr12_sgpr13
	s_cbranch_execnz .LBB80_269
	s_branch .LBB80_270
.LBB80_267:
	s_mov_b64 s[14:15], -1
                                        ; implicit-def: $sgpr12_sgpr13
.LBB80_268:
	s_branch .LBB80_270
.LBB80_269:
	s_waitcnt vmcnt(0)
	v_cmp_lt_f64_e32 vcc, s[8:9], v[32:33]
	s_andn2_b64 s[12:13], s[12:13], exec
	s_and_b64 s[16:17], vcc, exec
	s_or_b64 s[12:13], s[12:13], s[16:17]
.LBB80_270:
	s_branch .LBB80_272
.LBB80_271:
	s_cmp_lg_u32 s48, 0
	s_mov_b64 s[6:7], -1
	s_cselect_b64 s[14:15], -1, 0
.LBB80_272:
	s_andn2_b64 vcc, exec, s[14:15]
	s_cbranch_vccz .LBB80_281
; %bb.273:
	s_andn2_b64 vcc, exec, s[6:7]
	s_cbranch_vccnz .LBB80_275
.LBB80_274:
	s_waitcnt vmcnt(0)
	v_cmp_le_f64_e32 vcc, s[8:9], v[32:33]
	s_andn2_b64 s[6:7], s[12:13], exec
	s_and_b64 s[12:13], vcc, exec
	s_or_b64 s[12:13], s[6:7], s[12:13]
.LBB80_275:
	v_cndmask_b32_e64 v34, 0, 1, s[12:13]
.LBB80_276:
	s_or_b64 exec, exec, s[4:5]
	s_waitcnt vmcnt(0)
	v_or_b32_e32 v32, 0x100, v0
	v_cmp_gt_i32_e32 vcc, s33, v32
                                        ; implicit-def: $vgpr33
	s_and_saveexec_b64 s[4:5], vcc
	s_cbranch_execz .LBB80_291
; %bb.277:
	s_cmp_lt_i32 s48, 1
	s_mov_b64 s[6:7], 0
	s_cbranch_scc1 .LBB80_282
; %bb.278:
	s_cmp_gt_i32 s48, 1
	s_cbranch_scc0 .LBB80_283
; %bb.279:
	s_cmp_eq_u32 s48, 2
	s_cbranch_scc0 .LBB80_535
; %bb.280:
	v_cmp_ge_f64_e64 s[12:13], s[8:9], v[30:31]
	s_mov_b64 s[14:15], 0
	s_branch .LBB80_285
.LBB80_281:
	s_waitcnt vmcnt(0)
	v_cmp_gt_f64_e32 vcc, s[8:9], v[32:33]
	s_andn2_b64 s[12:13], s[12:13], exec
	s_and_b64 s[14:15], vcc, exec
	s_or_b64 s[12:13], s[12:13], s[14:15]
	s_cbranch_execz .LBB80_274
	s_branch .LBB80_275
.LBB80_282:
                                        ; implicit-def: $sgpr12_sgpr13
	s_mov_b64 s[14:15], 0
	s_cbranch_execnz .LBB80_286
	s_branch .LBB80_287
.LBB80_283:
	s_mov_b64 s[14:15], 0
                                        ; implicit-def: $sgpr12_sgpr13
	s_cbranch_execz .LBB80_285
; %bb.284:
	v_cmp_lt_f64_e32 vcc, s[8:9], v[30:31]
	s_andn2_b64 s[12:13], s[12:13], exec
	s_and_b64 s[16:17], vcc, exec
	s_or_b64 s[12:13], s[12:13], s[16:17]
.LBB80_285:
	s_branch .LBB80_287
.LBB80_286:
	s_cmp_lg_u32 s48, 0
	s_mov_b64 s[6:7], -1
	s_cselect_b64 s[14:15], -1, 0
.LBB80_287:
	s_andn2_b64 vcc, exec, s[14:15]
	s_cbranch_vccz .LBB80_296
; %bb.288:
	s_andn2_b64 vcc, exec, s[6:7]
	s_cbranch_vccnz .LBB80_290
.LBB80_289:
	v_cmp_le_f64_e32 vcc, s[8:9], v[30:31]
	s_andn2_b64 s[6:7], s[12:13], exec
	s_and_b64 s[12:13], vcc, exec
	s_or_b64 s[12:13], s[6:7], s[12:13]
.LBB80_290:
	v_cndmask_b32_e64 v33, 0, 1, s[12:13]
.LBB80_291:
	s_or_b64 exec, exec, s[4:5]
	v_or_b32_e32 v30, 0x200, v0
	v_cmp_gt_i32_e32 vcc, s33, v30
                                        ; implicit-def: $vgpr30
	s_and_saveexec_b64 s[4:5], vcc
	s_cbranch_execz .LBB80_306
; %bb.292:
	s_cmp_lt_i32 s48, 1
	s_mov_b64 s[6:7], 0
	s_cbranch_scc1 .LBB80_297
; %bb.293:
	s_cmp_gt_i32 s48, 1
	s_cbranch_scc0 .LBB80_298
; %bb.294:
	s_cmp_eq_u32 s48, 2
	s_cbranch_scc0 .LBB80_536
; %bb.295:
	v_cmp_ge_f64_e64 s[12:13], s[8:9], v[28:29]
	s_mov_b64 s[14:15], 0
	s_branch .LBB80_300
.LBB80_296:
	v_cmp_gt_f64_e32 vcc, s[8:9], v[30:31]
	s_andn2_b64 s[12:13], s[12:13], exec
	s_and_b64 s[14:15], vcc, exec
	s_or_b64 s[12:13], s[12:13], s[14:15]
	s_cbranch_execz .LBB80_289
	s_branch .LBB80_290
.LBB80_297:
                                        ; implicit-def: $sgpr12_sgpr13
	s_mov_b64 s[14:15], 0
	s_cbranch_execnz .LBB80_301
	s_branch .LBB80_302
.LBB80_298:
	s_mov_b64 s[14:15], 0
                                        ; implicit-def: $sgpr12_sgpr13
	s_cbranch_execz .LBB80_300
; %bb.299:
	v_cmp_lt_f64_e32 vcc, s[8:9], v[28:29]
	s_andn2_b64 s[12:13], s[12:13], exec
	s_and_b64 s[16:17], vcc, exec
	s_or_b64 s[12:13], s[12:13], s[16:17]
.LBB80_300:
	s_branch .LBB80_302
.LBB80_301:
	s_cmp_lg_u32 s48, 0
	s_mov_b64 s[6:7], -1
	s_cselect_b64 s[14:15], -1, 0
.LBB80_302:
	s_andn2_b64 vcc, exec, s[14:15]
	s_cbranch_vccz .LBB80_311
; %bb.303:
	s_andn2_b64 vcc, exec, s[6:7]
	s_cbranch_vccnz .LBB80_305
.LBB80_304:
	v_cmp_le_f64_e32 vcc, s[8:9], v[28:29]
	s_andn2_b64 s[6:7], s[12:13], exec
	s_and_b64 s[12:13], vcc, exec
	s_or_b64 s[12:13], s[6:7], s[12:13]
.LBB80_305:
	v_cndmask_b32_e64 v30, 0, 1, s[12:13]
.LBB80_306:
	s_or_b64 exec, exec, s[4:5]
	v_or_b32_e32 v28, 0x300, v0
	v_cmp_gt_i32_e32 vcc, s33, v28
                                        ; implicit-def: $vgpr28
	s_and_saveexec_b64 s[4:5], vcc
	s_cbranch_execz .LBB80_321
; %bb.307:
	s_cmp_lt_i32 s48, 1
	s_mov_b64 s[6:7], 0
	s_cbranch_scc1 .LBB80_312
; %bb.308:
	s_cmp_gt_i32 s48, 1
	s_cbranch_scc0 .LBB80_313
; %bb.309:
	s_cmp_eq_u32 s48, 2
	s_cbranch_scc0 .LBB80_537
; %bb.310:
	v_cmp_ge_f64_e64 s[12:13], s[8:9], v[26:27]
	s_mov_b64 s[14:15], 0
	s_branch .LBB80_315
.LBB80_311:
	v_cmp_gt_f64_e32 vcc, s[8:9], v[28:29]
	s_andn2_b64 s[12:13], s[12:13], exec
	s_and_b64 s[14:15], vcc, exec
	s_or_b64 s[12:13], s[12:13], s[14:15]
	s_cbranch_execz .LBB80_304
	s_branch .LBB80_305
.LBB80_312:
                                        ; implicit-def: $sgpr12_sgpr13
	s_mov_b64 s[14:15], 0
	s_cbranch_execnz .LBB80_316
	s_branch .LBB80_317
.LBB80_313:
	s_mov_b64 s[14:15], 0
                                        ; implicit-def: $sgpr12_sgpr13
	s_cbranch_execz .LBB80_315
; %bb.314:
	v_cmp_lt_f64_e32 vcc, s[8:9], v[26:27]
	s_andn2_b64 s[12:13], s[12:13], exec
	s_and_b64 s[16:17], vcc, exec
	s_or_b64 s[12:13], s[12:13], s[16:17]
.LBB80_315:
	s_branch .LBB80_317
.LBB80_316:
	s_cmp_lg_u32 s48, 0
	s_mov_b64 s[6:7], -1
	s_cselect_b64 s[14:15], -1, 0
.LBB80_317:
	s_andn2_b64 vcc, exec, s[14:15]
	s_cbranch_vccz .LBB80_326
; %bb.318:
	s_andn2_b64 vcc, exec, s[6:7]
	s_cbranch_vccnz .LBB80_320
.LBB80_319:
	v_cmp_le_f64_e32 vcc, s[8:9], v[26:27]
	s_andn2_b64 s[6:7], s[12:13], exec
	s_and_b64 s[12:13], vcc, exec
	s_or_b64 s[12:13], s[6:7], s[12:13]
.LBB80_320:
	v_cndmask_b32_e64 v28, 0, 1, s[12:13]
.LBB80_321:
	s_or_b64 exec, exec, s[4:5]
	v_or_b32_e32 v26, 0x400, v0
	v_cmp_gt_i32_e32 vcc, s33, v26
                                        ; implicit-def: $vgpr26
	s_and_saveexec_b64 s[4:5], vcc
	s_cbranch_execz .LBB80_336
; %bb.322:
	s_cmp_lt_i32 s48, 1
	s_mov_b64 s[6:7], 0
	s_cbranch_scc1 .LBB80_327
; %bb.323:
	s_cmp_gt_i32 s48, 1
	s_cbranch_scc0 .LBB80_328
; %bb.324:
	s_cmp_eq_u32 s48, 2
	s_cbranch_scc0 .LBB80_538
; %bb.325:
	v_cmp_ge_f64_e64 s[12:13], s[8:9], v[24:25]
	s_mov_b64 s[14:15], 0
	s_branch .LBB80_330
.LBB80_326:
	v_cmp_gt_f64_e32 vcc, s[8:9], v[26:27]
	s_andn2_b64 s[12:13], s[12:13], exec
	s_and_b64 s[14:15], vcc, exec
	s_or_b64 s[12:13], s[12:13], s[14:15]
	s_cbranch_execz .LBB80_319
	s_branch .LBB80_320
.LBB80_327:
                                        ; implicit-def: $sgpr12_sgpr13
	s_mov_b64 s[14:15], 0
	s_cbranch_execnz .LBB80_331
	s_branch .LBB80_332
.LBB80_328:
	s_mov_b64 s[14:15], 0
                                        ; implicit-def: $sgpr12_sgpr13
	s_cbranch_execz .LBB80_330
; %bb.329:
	v_cmp_lt_f64_e32 vcc, s[8:9], v[24:25]
	s_andn2_b64 s[12:13], s[12:13], exec
	s_and_b64 s[16:17], vcc, exec
	s_or_b64 s[12:13], s[12:13], s[16:17]
.LBB80_330:
	s_branch .LBB80_332
.LBB80_331:
	s_cmp_lg_u32 s48, 0
	s_mov_b64 s[6:7], -1
	s_cselect_b64 s[14:15], -1, 0
.LBB80_332:
	s_andn2_b64 vcc, exec, s[14:15]
	s_cbranch_vccz .LBB80_341
; %bb.333:
	s_andn2_b64 vcc, exec, s[6:7]
	s_cbranch_vccnz .LBB80_335
.LBB80_334:
	v_cmp_le_f64_e32 vcc, s[8:9], v[24:25]
	s_andn2_b64 s[6:7], s[12:13], exec
	s_and_b64 s[12:13], vcc, exec
	s_or_b64 s[12:13], s[6:7], s[12:13]
.LBB80_335:
	v_cndmask_b32_e64 v26, 0, 1, s[12:13]
.LBB80_336:
	s_or_b64 exec, exec, s[4:5]
	v_or_b32_e32 v24, 0x500, v0
	v_cmp_gt_i32_e32 vcc, s33, v24
                                        ; implicit-def: $vgpr24
	s_and_saveexec_b64 s[4:5], vcc
	s_cbranch_execz .LBB80_351
; %bb.337:
	s_cmp_lt_i32 s48, 1
	s_mov_b64 s[6:7], 0
	s_cbranch_scc1 .LBB80_342
; %bb.338:
	s_cmp_gt_i32 s48, 1
	s_cbranch_scc0 .LBB80_343
; %bb.339:
	s_cmp_eq_u32 s48, 2
	s_cbranch_scc0 .LBB80_539
; %bb.340:
	v_cmp_ge_f64_e64 s[12:13], s[8:9], v[22:23]
	s_mov_b64 s[14:15], 0
	s_branch .LBB80_345
.LBB80_341:
	v_cmp_gt_f64_e32 vcc, s[8:9], v[24:25]
	s_andn2_b64 s[12:13], s[12:13], exec
	s_and_b64 s[14:15], vcc, exec
	s_or_b64 s[12:13], s[12:13], s[14:15]
	s_cbranch_execz .LBB80_334
	s_branch .LBB80_335
.LBB80_342:
                                        ; implicit-def: $sgpr12_sgpr13
	s_mov_b64 s[14:15], 0
	s_cbranch_execnz .LBB80_346
	s_branch .LBB80_347
.LBB80_343:
	s_mov_b64 s[14:15], 0
                                        ; implicit-def: $sgpr12_sgpr13
	s_cbranch_execz .LBB80_345
; %bb.344:
	v_cmp_lt_f64_e32 vcc, s[8:9], v[22:23]
	s_andn2_b64 s[12:13], s[12:13], exec
	s_and_b64 s[16:17], vcc, exec
	s_or_b64 s[12:13], s[12:13], s[16:17]
.LBB80_345:
	s_branch .LBB80_347
.LBB80_346:
	s_cmp_lg_u32 s48, 0
	s_mov_b64 s[6:7], -1
	s_cselect_b64 s[14:15], -1, 0
.LBB80_347:
	s_andn2_b64 vcc, exec, s[14:15]
	s_cbranch_vccz .LBB80_356
; %bb.348:
	s_andn2_b64 vcc, exec, s[6:7]
	s_cbranch_vccnz .LBB80_350
.LBB80_349:
	v_cmp_le_f64_e32 vcc, s[8:9], v[22:23]
	s_andn2_b64 s[6:7], s[12:13], exec
	s_and_b64 s[12:13], vcc, exec
	s_or_b64 s[12:13], s[6:7], s[12:13]
.LBB80_350:
	v_cndmask_b32_e64 v24, 0, 1, s[12:13]
.LBB80_351:
	s_or_b64 exec, exec, s[4:5]
	v_or_b32_e32 v22, 0x600, v0
	v_cmp_gt_i32_e32 vcc, s33, v22
                                        ; implicit-def: $vgpr22
	s_and_saveexec_b64 s[4:5], vcc
	s_cbranch_execz .LBB80_366
; %bb.352:
	s_cmp_lt_i32 s48, 1
	s_mov_b64 s[6:7], 0
	s_cbranch_scc1 .LBB80_357
; %bb.353:
	s_cmp_gt_i32 s48, 1
	s_cbranch_scc0 .LBB80_358
; %bb.354:
	s_cmp_eq_u32 s48, 2
	s_cbranch_scc0 .LBB80_540
; %bb.355:
	v_cmp_ge_f64_e64 s[12:13], s[8:9], v[20:21]
	s_mov_b64 s[14:15], 0
	s_branch .LBB80_360
.LBB80_356:
	v_cmp_gt_f64_e32 vcc, s[8:9], v[22:23]
	s_andn2_b64 s[12:13], s[12:13], exec
	s_and_b64 s[14:15], vcc, exec
	s_or_b64 s[12:13], s[12:13], s[14:15]
	s_cbranch_execz .LBB80_349
	s_branch .LBB80_350
.LBB80_357:
                                        ; implicit-def: $sgpr12_sgpr13
	s_mov_b64 s[14:15], 0
	s_cbranch_execnz .LBB80_361
	s_branch .LBB80_362
.LBB80_358:
	s_mov_b64 s[14:15], 0
                                        ; implicit-def: $sgpr12_sgpr13
	s_cbranch_execz .LBB80_360
; %bb.359:
	v_cmp_lt_f64_e32 vcc, s[8:9], v[20:21]
	s_andn2_b64 s[12:13], s[12:13], exec
	s_and_b64 s[16:17], vcc, exec
	s_or_b64 s[12:13], s[12:13], s[16:17]
.LBB80_360:
	s_branch .LBB80_362
.LBB80_361:
	s_cmp_lg_u32 s48, 0
	s_mov_b64 s[6:7], -1
	s_cselect_b64 s[14:15], -1, 0
.LBB80_362:
	s_andn2_b64 vcc, exec, s[14:15]
	s_cbranch_vccz .LBB80_371
; %bb.363:
	s_andn2_b64 vcc, exec, s[6:7]
	s_cbranch_vccnz .LBB80_365
.LBB80_364:
	v_cmp_le_f64_e32 vcc, s[8:9], v[20:21]
	s_andn2_b64 s[6:7], s[12:13], exec
	s_and_b64 s[12:13], vcc, exec
	s_or_b64 s[12:13], s[6:7], s[12:13]
.LBB80_365:
	v_cndmask_b32_e64 v22, 0, 1, s[12:13]
.LBB80_366:
	s_or_b64 exec, exec, s[4:5]
	v_or_b32_e32 v20, 0x700, v0
	v_cmp_gt_i32_e32 vcc, s33, v20
                                        ; implicit-def: $vgpr20
	s_and_saveexec_b64 s[4:5], vcc
	s_cbranch_execz .LBB80_381
; %bb.367:
	s_cmp_lt_i32 s48, 1
	s_mov_b64 s[6:7], 0
	s_cbranch_scc1 .LBB80_372
; %bb.368:
	s_cmp_gt_i32 s48, 1
	s_cbranch_scc0 .LBB80_373
; %bb.369:
	s_cmp_eq_u32 s48, 2
	s_cbranch_scc0 .LBB80_541
; %bb.370:
	v_cmp_ge_f64_e64 s[12:13], s[8:9], v[18:19]
	s_mov_b64 s[14:15], 0
	s_branch .LBB80_375
.LBB80_371:
	v_cmp_gt_f64_e32 vcc, s[8:9], v[20:21]
	s_andn2_b64 s[12:13], s[12:13], exec
	s_and_b64 s[14:15], vcc, exec
	s_or_b64 s[12:13], s[12:13], s[14:15]
	s_cbranch_execz .LBB80_364
	s_branch .LBB80_365
.LBB80_372:
                                        ; implicit-def: $sgpr12_sgpr13
	s_mov_b64 s[14:15], 0
	s_cbranch_execnz .LBB80_376
	s_branch .LBB80_377
.LBB80_373:
	s_mov_b64 s[14:15], 0
                                        ; implicit-def: $sgpr12_sgpr13
	s_cbranch_execz .LBB80_375
; %bb.374:
	v_cmp_lt_f64_e32 vcc, s[8:9], v[18:19]
	s_andn2_b64 s[12:13], s[12:13], exec
	s_and_b64 s[16:17], vcc, exec
	s_or_b64 s[12:13], s[12:13], s[16:17]
.LBB80_375:
	s_branch .LBB80_377
.LBB80_376:
	s_cmp_lg_u32 s48, 0
	s_mov_b64 s[6:7], -1
	s_cselect_b64 s[14:15], -1, 0
.LBB80_377:
	s_andn2_b64 vcc, exec, s[14:15]
	s_cbranch_vccz .LBB80_386
; %bb.378:
	s_andn2_b64 vcc, exec, s[6:7]
	s_cbranch_vccnz .LBB80_380
.LBB80_379:
	v_cmp_le_f64_e32 vcc, s[8:9], v[18:19]
	s_andn2_b64 s[6:7], s[12:13], exec
	s_and_b64 s[12:13], vcc, exec
	s_or_b64 s[12:13], s[6:7], s[12:13]
.LBB80_380:
	v_cndmask_b32_e64 v20, 0, 1, s[12:13]
.LBB80_381:
	s_or_b64 exec, exec, s[4:5]
	v_or_b32_e32 v18, 0x800, v0
	v_cmp_gt_i32_e32 vcc, s33, v18
                                        ; implicit-def: $vgpr18
	s_and_saveexec_b64 s[4:5], vcc
	s_cbranch_execz .LBB80_396
; %bb.382:
	s_cmp_lt_i32 s48, 1
	s_mov_b64 s[6:7], 0
	s_cbranch_scc1 .LBB80_387
; %bb.383:
	s_cmp_gt_i32 s48, 1
	s_cbranch_scc0 .LBB80_388
; %bb.384:
	s_cmp_eq_u32 s48, 2
	s_cbranch_scc0 .LBB80_542
; %bb.385:
	v_cmp_ge_f64_e64 s[12:13], s[8:9], v[16:17]
	s_mov_b64 s[14:15], 0
	s_branch .LBB80_390
.LBB80_386:
	v_cmp_gt_f64_e32 vcc, s[8:9], v[18:19]
	s_andn2_b64 s[12:13], s[12:13], exec
	s_and_b64 s[14:15], vcc, exec
	s_or_b64 s[12:13], s[12:13], s[14:15]
	s_cbranch_execz .LBB80_379
	s_branch .LBB80_380
.LBB80_387:
                                        ; implicit-def: $sgpr12_sgpr13
	s_mov_b64 s[14:15], 0
	s_cbranch_execnz .LBB80_391
	s_branch .LBB80_392
.LBB80_388:
	s_mov_b64 s[14:15], 0
                                        ; implicit-def: $sgpr12_sgpr13
	s_cbranch_execz .LBB80_390
; %bb.389:
	v_cmp_lt_f64_e32 vcc, s[8:9], v[16:17]
	s_andn2_b64 s[12:13], s[12:13], exec
	s_and_b64 s[16:17], vcc, exec
	s_or_b64 s[12:13], s[12:13], s[16:17]
.LBB80_390:
	s_branch .LBB80_392
.LBB80_391:
	s_cmp_lg_u32 s48, 0
	s_mov_b64 s[6:7], -1
	s_cselect_b64 s[14:15], -1, 0
.LBB80_392:
	s_andn2_b64 vcc, exec, s[14:15]
	s_cbranch_vccz .LBB80_401
; %bb.393:
	s_andn2_b64 vcc, exec, s[6:7]
	s_cbranch_vccnz .LBB80_395
.LBB80_394:
	v_cmp_le_f64_e32 vcc, s[8:9], v[16:17]
	s_andn2_b64 s[6:7], s[12:13], exec
	s_and_b64 s[12:13], vcc, exec
	s_or_b64 s[12:13], s[6:7], s[12:13]
.LBB80_395:
	v_cndmask_b32_e64 v18, 0, 1, s[12:13]
.LBB80_396:
	s_or_b64 exec, exec, s[4:5]
	v_or_b32_e32 v16, 0x900, v0
	v_cmp_gt_i32_e32 vcc, s33, v16
                                        ; implicit-def: $vgpr16
	s_and_saveexec_b64 s[4:5], vcc
	s_cbranch_execz .LBB80_411
; %bb.397:
	s_cmp_lt_i32 s48, 1
	s_mov_b64 s[6:7], 0
	s_cbranch_scc1 .LBB80_402
; %bb.398:
	s_cmp_gt_i32 s48, 1
	s_cbranch_scc0 .LBB80_403
; %bb.399:
	s_cmp_eq_u32 s48, 2
	s_cbranch_scc0 .LBB80_543
; %bb.400:
	v_cmp_ge_f64_e64 s[12:13], s[8:9], v[14:15]
	s_mov_b64 s[14:15], 0
	s_branch .LBB80_405
.LBB80_401:
	v_cmp_gt_f64_e32 vcc, s[8:9], v[16:17]
	s_andn2_b64 s[12:13], s[12:13], exec
	s_and_b64 s[14:15], vcc, exec
	s_or_b64 s[12:13], s[12:13], s[14:15]
	s_cbranch_execz .LBB80_394
	s_branch .LBB80_395
.LBB80_402:
                                        ; implicit-def: $sgpr12_sgpr13
	s_mov_b64 s[14:15], 0
	s_cbranch_execnz .LBB80_406
	s_branch .LBB80_407
.LBB80_403:
	s_mov_b64 s[14:15], 0
                                        ; implicit-def: $sgpr12_sgpr13
	s_cbranch_execz .LBB80_405
; %bb.404:
	v_cmp_lt_f64_e32 vcc, s[8:9], v[14:15]
	s_andn2_b64 s[12:13], s[12:13], exec
	s_and_b64 s[16:17], vcc, exec
	s_or_b64 s[12:13], s[12:13], s[16:17]
.LBB80_405:
	s_branch .LBB80_407
.LBB80_406:
	s_cmp_lg_u32 s48, 0
	s_mov_b64 s[6:7], -1
	s_cselect_b64 s[14:15], -1, 0
.LBB80_407:
	s_andn2_b64 vcc, exec, s[14:15]
	s_cbranch_vccz .LBB80_416
; %bb.408:
	s_andn2_b64 vcc, exec, s[6:7]
	s_cbranch_vccnz .LBB80_410
.LBB80_409:
	v_cmp_le_f64_e32 vcc, s[8:9], v[14:15]
	s_andn2_b64 s[6:7], s[12:13], exec
	s_and_b64 s[12:13], vcc, exec
	s_or_b64 s[12:13], s[6:7], s[12:13]
.LBB80_410:
	v_cndmask_b32_e64 v16, 0, 1, s[12:13]
.LBB80_411:
	s_or_b64 exec, exec, s[4:5]
	v_or_b32_e32 v14, 0xa00, v0
	v_cmp_gt_i32_e32 vcc, s33, v14
                                        ; implicit-def: $vgpr14
	s_and_saveexec_b64 s[4:5], vcc
	s_cbranch_execz .LBB80_426
; %bb.412:
	s_cmp_lt_i32 s48, 1
	s_mov_b64 s[6:7], 0
	s_cbranch_scc1 .LBB80_417
; %bb.413:
	s_cmp_gt_i32 s48, 1
	s_cbranch_scc0 .LBB80_418
; %bb.414:
	s_cmp_eq_u32 s48, 2
	s_cbranch_scc0 .LBB80_544
; %bb.415:
	v_cmp_ge_f64_e64 s[12:13], s[8:9], v[12:13]
	s_mov_b64 s[14:15], 0
	s_branch .LBB80_420
.LBB80_416:
	v_cmp_gt_f64_e32 vcc, s[8:9], v[14:15]
	s_andn2_b64 s[12:13], s[12:13], exec
	s_and_b64 s[14:15], vcc, exec
	s_or_b64 s[12:13], s[12:13], s[14:15]
	s_cbranch_execz .LBB80_409
	s_branch .LBB80_410
.LBB80_417:
                                        ; implicit-def: $sgpr12_sgpr13
	s_mov_b64 s[14:15], 0
	s_cbranch_execnz .LBB80_421
	s_branch .LBB80_422
.LBB80_418:
	s_mov_b64 s[14:15], 0
                                        ; implicit-def: $sgpr12_sgpr13
	s_cbranch_execz .LBB80_420
; %bb.419:
	v_cmp_lt_f64_e32 vcc, s[8:9], v[12:13]
	s_andn2_b64 s[12:13], s[12:13], exec
	s_and_b64 s[16:17], vcc, exec
	s_or_b64 s[12:13], s[12:13], s[16:17]
.LBB80_420:
	s_branch .LBB80_422
.LBB80_421:
	s_cmp_lg_u32 s48, 0
	s_mov_b64 s[6:7], -1
	s_cselect_b64 s[14:15], -1, 0
.LBB80_422:
	s_andn2_b64 vcc, exec, s[14:15]
	s_cbranch_vccz .LBB80_431
; %bb.423:
	s_andn2_b64 vcc, exec, s[6:7]
	s_cbranch_vccnz .LBB80_425
.LBB80_424:
	v_cmp_le_f64_e32 vcc, s[8:9], v[12:13]
	s_andn2_b64 s[6:7], s[12:13], exec
	s_and_b64 s[12:13], vcc, exec
	s_or_b64 s[12:13], s[6:7], s[12:13]
.LBB80_425:
	v_cndmask_b32_e64 v14, 0, 1, s[12:13]
.LBB80_426:
	s_or_b64 exec, exec, s[4:5]
	v_or_b32_e32 v12, 0xb00, v0
	v_cmp_gt_i32_e32 vcc, s33, v12
                                        ; implicit-def: $vgpr12
	s_and_saveexec_b64 s[4:5], vcc
	s_cbranch_execz .LBB80_441
; %bb.427:
	s_cmp_lt_i32 s48, 1
	s_mov_b64 s[6:7], 0
	s_cbranch_scc1 .LBB80_432
; %bb.428:
	s_cmp_gt_i32 s48, 1
	s_cbranch_scc0 .LBB80_433
; %bb.429:
	s_cmp_eq_u32 s48, 2
	s_cbranch_scc0 .LBB80_545
; %bb.430:
	v_cmp_ge_f64_e64 s[12:13], s[8:9], v[10:11]
	s_mov_b64 s[14:15], 0
	s_branch .LBB80_435
.LBB80_431:
	v_cmp_gt_f64_e32 vcc, s[8:9], v[12:13]
	s_andn2_b64 s[12:13], s[12:13], exec
	s_and_b64 s[14:15], vcc, exec
	s_or_b64 s[12:13], s[12:13], s[14:15]
	s_cbranch_execz .LBB80_424
	s_branch .LBB80_425
.LBB80_432:
                                        ; implicit-def: $sgpr12_sgpr13
	s_mov_b64 s[14:15], 0
	s_cbranch_execnz .LBB80_436
	s_branch .LBB80_437
.LBB80_433:
	s_mov_b64 s[14:15], 0
                                        ; implicit-def: $sgpr12_sgpr13
	s_cbranch_execz .LBB80_435
; %bb.434:
	v_cmp_lt_f64_e32 vcc, s[8:9], v[10:11]
	s_andn2_b64 s[12:13], s[12:13], exec
	s_and_b64 s[16:17], vcc, exec
	s_or_b64 s[12:13], s[12:13], s[16:17]
.LBB80_435:
	s_branch .LBB80_437
.LBB80_436:
	s_cmp_lg_u32 s48, 0
	s_mov_b64 s[6:7], -1
	s_cselect_b64 s[14:15], -1, 0
.LBB80_437:
	s_andn2_b64 vcc, exec, s[14:15]
	s_cbranch_vccz .LBB80_446
; %bb.438:
	s_andn2_b64 vcc, exec, s[6:7]
	s_cbranch_vccnz .LBB80_440
.LBB80_439:
	v_cmp_le_f64_e32 vcc, s[8:9], v[10:11]
	s_andn2_b64 s[6:7], s[12:13], exec
	s_and_b64 s[12:13], vcc, exec
	s_or_b64 s[12:13], s[6:7], s[12:13]
.LBB80_440:
	v_cndmask_b32_e64 v12, 0, 1, s[12:13]
.LBB80_441:
	s_or_b64 exec, exec, s[4:5]
	v_or_b32_e32 v10, 0xc00, v0
	v_cmp_gt_i32_e32 vcc, s33, v10
                                        ; implicit-def: $vgpr10
	s_and_saveexec_b64 s[4:5], vcc
	s_cbranch_execz .LBB80_456
; %bb.442:
	s_cmp_lt_i32 s48, 1
	s_mov_b64 s[6:7], 0
	s_cbranch_scc1 .LBB80_447
; %bb.443:
	s_cmp_gt_i32 s48, 1
	s_cbranch_scc0 .LBB80_448
; %bb.444:
	s_cmp_eq_u32 s48, 2
	s_cbranch_scc0 .LBB80_546
; %bb.445:
	v_cmp_ge_f64_e64 s[12:13], s[8:9], v[8:9]
	s_mov_b64 s[14:15], 0
	s_branch .LBB80_450
.LBB80_446:
	v_cmp_gt_f64_e32 vcc, s[8:9], v[10:11]
	s_andn2_b64 s[12:13], s[12:13], exec
	s_and_b64 s[14:15], vcc, exec
	s_or_b64 s[12:13], s[12:13], s[14:15]
	s_cbranch_execz .LBB80_439
	s_branch .LBB80_440
.LBB80_447:
                                        ; implicit-def: $sgpr12_sgpr13
	s_mov_b64 s[14:15], 0
	s_cbranch_execnz .LBB80_451
	s_branch .LBB80_452
.LBB80_448:
	s_mov_b64 s[14:15], 0
                                        ; implicit-def: $sgpr12_sgpr13
	s_cbranch_execz .LBB80_450
; %bb.449:
	v_cmp_lt_f64_e32 vcc, s[8:9], v[8:9]
	s_andn2_b64 s[12:13], s[12:13], exec
	s_and_b64 s[16:17], vcc, exec
	s_or_b64 s[12:13], s[12:13], s[16:17]
.LBB80_450:
	s_branch .LBB80_452
.LBB80_451:
	s_cmp_lg_u32 s48, 0
	s_mov_b64 s[6:7], -1
	s_cselect_b64 s[14:15], -1, 0
.LBB80_452:
	s_andn2_b64 vcc, exec, s[14:15]
	s_cbranch_vccz .LBB80_461
; %bb.453:
	s_andn2_b64 vcc, exec, s[6:7]
	s_cbranch_vccnz .LBB80_455
.LBB80_454:
	v_cmp_le_f64_e32 vcc, s[8:9], v[8:9]
	s_andn2_b64 s[6:7], s[12:13], exec
	s_and_b64 s[12:13], vcc, exec
	s_or_b64 s[12:13], s[6:7], s[12:13]
.LBB80_455:
	v_cndmask_b32_e64 v10, 0, 1, s[12:13]
.LBB80_456:
	s_or_b64 exec, exec, s[4:5]
	v_or_b32_e32 v8, 0xd00, v0
	v_cmp_gt_i32_e32 vcc, s33, v8
                                        ; implicit-def: $vgpr8
	s_and_saveexec_b64 s[4:5], vcc
	s_cbranch_execz .LBB80_471
; %bb.457:
	s_cmp_lt_i32 s48, 1
	s_mov_b64 s[6:7], 0
	s_cbranch_scc1 .LBB80_462
; %bb.458:
	s_cmp_gt_i32 s48, 1
	s_cbranch_scc0 .LBB80_463
; %bb.459:
	s_cmp_eq_u32 s48, 2
	s_cbranch_scc0 .LBB80_547
; %bb.460:
	v_cmp_ge_f64_e64 s[12:13], s[8:9], v[6:7]
	s_mov_b64 s[14:15], 0
	s_branch .LBB80_465
.LBB80_461:
	v_cmp_gt_f64_e32 vcc, s[8:9], v[8:9]
	s_andn2_b64 s[12:13], s[12:13], exec
	s_and_b64 s[14:15], vcc, exec
	s_or_b64 s[12:13], s[12:13], s[14:15]
	s_cbranch_execz .LBB80_454
	s_branch .LBB80_455
.LBB80_462:
                                        ; implicit-def: $sgpr12_sgpr13
	s_mov_b64 s[14:15], 0
	s_cbranch_execnz .LBB80_466
	s_branch .LBB80_467
.LBB80_463:
	s_mov_b64 s[14:15], 0
                                        ; implicit-def: $sgpr12_sgpr13
	s_cbranch_execz .LBB80_465
; %bb.464:
	v_cmp_lt_f64_e32 vcc, s[8:9], v[6:7]
	s_andn2_b64 s[12:13], s[12:13], exec
	s_and_b64 s[16:17], vcc, exec
	s_or_b64 s[12:13], s[12:13], s[16:17]
.LBB80_465:
	s_branch .LBB80_467
.LBB80_466:
	s_cmp_lg_u32 s48, 0
	s_mov_b64 s[6:7], -1
	s_cselect_b64 s[14:15], -1, 0
.LBB80_467:
	s_andn2_b64 vcc, exec, s[14:15]
	s_cbranch_vccz .LBB80_476
; %bb.468:
	s_andn2_b64 vcc, exec, s[6:7]
	s_cbranch_vccnz .LBB80_470
.LBB80_469:
	v_cmp_le_f64_e32 vcc, s[8:9], v[6:7]
	s_andn2_b64 s[6:7], s[12:13], exec
	s_and_b64 s[12:13], vcc, exec
	s_or_b64 s[12:13], s[6:7], s[12:13]
.LBB80_470:
	v_cndmask_b32_e64 v8, 0, 1, s[12:13]
.LBB80_471:
	s_or_b64 exec, exec, s[4:5]
	v_or_b32_e32 v6, 0xe00, v0
	v_cmp_gt_i32_e32 vcc, s33, v6
                                        ; implicit-def: $vgpr6
	s_and_saveexec_b64 s[4:5], vcc
	s_cbranch_execz .LBB80_486
; %bb.472:
	s_cmp_lt_i32 s48, 1
	s_mov_b64 s[6:7], 0
	s_cbranch_scc1 .LBB80_477
; %bb.473:
	s_cmp_gt_i32 s48, 1
	s_cbranch_scc0 .LBB80_478
; %bb.474:
	s_cmp_eq_u32 s48, 2
	s_cbranch_scc0 .LBB80_548
; %bb.475:
	v_cmp_ge_f64_e64 s[12:13], s[8:9], v[4:5]
	s_mov_b64 s[14:15], 0
	s_branch .LBB80_480
.LBB80_476:
	v_cmp_gt_f64_e32 vcc, s[8:9], v[6:7]
	s_andn2_b64 s[12:13], s[12:13], exec
	s_and_b64 s[14:15], vcc, exec
	s_or_b64 s[12:13], s[12:13], s[14:15]
	s_cbranch_execz .LBB80_469
	s_branch .LBB80_470
.LBB80_477:
                                        ; implicit-def: $sgpr12_sgpr13
	s_mov_b64 s[14:15], 0
	s_cbranch_execnz .LBB80_481
	s_branch .LBB80_482
.LBB80_478:
	s_mov_b64 s[14:15], 0
                                        ; implicit-def: $sgpr12_sgpr13
	s_cbranch_execz .LBB80_480
; %bb.479:
	v_cmp_lt_f64_e32 vcc, s[8:9], v[4:5]
	s_andn2_b64 s[12:13], s[12:13], exec
	s_and_b64 s[16:17], vcc, exec
	s_or_b64 s[12:13], s[12:13], s[16:17]
.LBB80_480:
	s_branch .LBB80_482
.LBB80_481:
	s_cmp_lg_u32 s48, 0
	s_mov_b64 s[6:7], -1
	s_cselect_b64 s[14:15], -1, 0
.LBB80_482:
	s_andn2_b64 vcc, exec, s[14:15]
	s_cbranch_vccz .LBB80_491
; %bb.483:
	s_andn2_b64 vcc, exec, s[6:7]
	s_cbranch_vccnz .LBB80_485
.LBB80_484:
	v_cmp_le_f64_e32 vcc, s[8:9], v[4:5]
	s_andn2_b64 s[6:7], s[12:13], exec
	s_and_b64 s[12:13], vcc, exec
	s_or_b64 s[12:13], s[6:7], s[12:13]
.LBB80_485:
	v_cndmask_b32_e64 v6, 0, 1, s[12:13]
.LBB80_486:
	s_or_b64 exec, exec, s[4:5]
	v_or_b32_e32 v4, 0xf00, v0
	v_cmp_gt_i32_e32 vcc, s33, v4
                                        ; implicit-def: $vgpr4
	s_and_saveexec_b64 s[4:5], vcc
	s_cbranch_execz .LBB80_501
; %bb.487:
	s_cmp_lt_i32 s48, 1
	s_mov_b64 s[6:7], 0
	s_cbranch_scc1 .LBB80_492
; %bb.488:
	s_cmp_gt_i32 s48, 1
	s_cbranch_scc0 .LBB80_493
; %bb.489:
	s_cmp_eq_u32 s48, 2
	s_cbranch_scc0 .LBB80_549
; %bb.490:
	v_cmp_ge_f64_e64 s[12:13], s[8:9], v[2:3]
	s_mov_b64 s[14:15], 0
	s_branch .LBB80_495
.LBB80_491:
	v_cmp_gt_f64_e32 vcc, s[8:9], v[4:5]
	s_andn2_b64 s[12:13], s[12:13], exec
	s_and_b64 s[14:15], vcc, exec
	s_or_b64 s[12:13], s[12:13], s[14:15]
	s_cbranch_execz .LBB80_484
	s_branch .LBB80_485
.LBB80_492:
                                        ; implicit-def: $sgpr12_sgpr13
	s_mov_b64 s[14:15], 0
	s_cbranch_execnz .LBB80_496
	s_branch .LBB80_497
.LBB80_493:
	s_mov_b64 s[14:15], 0
                                        ; implicit-def: $sgpr12_sgpr13
	s_cbranch_execz .LBB80_495
; %bb.494:
	v_cmp_lt_f64_e32 vcc, s[8:9], v[2:3]
	s_andn2_b64 s[12:13], s[12:13], exec
	s_and_b64 s[16:17], vcc, exec
	s_or_b64 s[12:13], s[12:13], s[16:17]
.LBB80_495:
	s_branch .LBB80_497
.LBB80_496:
	s_cmp_lg_u32 s48, 0
	s_mov_b64 s[6:7], -1
	s_cselect_b64 s[14:15], -1, 0
.LBB80_497:
	s_andn2_b64 vcc, exec, s[14:15]
	s_cbranch_vccz .LBB80_534
; %bb.498:
	s_andn2_b64 vcc, exec, s[6:7]
	s_cbranch_vccnz .LBB80_500
.LBB80_499:
	v_cmp_le_f64_e32 vcc, s[8:9], v[2:3]
	s_andn2_b64 s[6:7], s[12:13], exec
	s_and_b64 s[8:9], vcc, exec
	s_or_b64 s[12:13], s[6:7], s[8:9]
.LBB80_500:
	v_cndmask_b32_e64 v4, 0, 1, s[12:13]
.LBB80_501:
	s_or_b64 exec, exec, s[4:5]
	s_and_saveexec_b64 s[4:5], s[0:1]
	s_xor_b64 s[0:1], exec, s[4:5]
	s_cbranch_execz .LBB80_503
; %bb.502:
	v_mov_b32_e32 v0, v32
	global_store_byte v1, v34, s[10:11]
.LBB80_503:
	s_or_b64 exec, exec, s[0:1]
	v_cmp_gt_i32_e32 vcc, s33, v0
	s_and_saveexec_b64 s[0:1], vcc
	s_cbranch_execnz .LBB80_520
; %bb.504:
	s_or_b64 exec, exec, s[0:1]
	v_cmp_gt_i32_e32 vcc, s33, v0
	s_and_saveexec_b64 s[0:1], vcc
	s_cbranch_execnz .LBB80_521
.LBB80_505:
	s_or_b64 exec, exec, s[0:1]
	v_cmp_gt_i32_e32 vcc, s33, v0
	s_and_saveexec_b64 s[0:1], vcc
	s_cbranch_execnz .LBB80_522
.LBB80_506:
	s_or_b64 exec, exec, s[0:1]
	v_cmp_gt_i32_e32 vcc, s33, v0
	s_and_saveexec_b64 s[0:1], vcc
	s_cbranch_execnz .LBB80_523
.LBB80_507:
	s_or_b64 exec, exec, s[0:1]
	v_cmp_gt_i32_e32 vcc, s33, v0
	s_and_saveexec_b64 s[0:1], vcc
	s_cbranch_execnz .LBB80_524
.LBB80_508:
	s_or_b64 exec, exec, s[0:1]
	v_cmp_gt_i32_e32 vcc, s33, v0
	s_and_saveexec_b64 s[0:1], vcc
	s_cbranch_execnz .LBB80_525
.LBB80_509:
	s_or_b64 exec, exec, s[0:1]
	v_cmp_gt_i32_e32 vcc, s33, v0
	s_and_saveexec_b64 s[0:1], vcc
	s_cbranch_execnz .LBB80_526
.LBB80_510:
	s_or_b64 exec, exec, s[0:1]
	v_cmp_gt_i32_e32 vcc, s33, v0
	s_and_saveexec_b64 s[0:1], vcc
	s_cbranch_execnz .LBB80_527
.LBB80_511:
	s_or_b64 exec, exec, s[0:1]
	v_cmp_gt_i32_e32 vcc, s33, v0
	s_and_saveexec_b64 s[0:1], vcc
	s_cbranch_execnz .LBB80_528
.LBB80_512:
	s_or_b64 exec, exec, s[0:1]
	v_cmp_gt_i32_e32 vcc, s33, v0
	s_and_saveexec_b64 s[0:1], vcc
	s_cbranch_execnz .LBB80_529
.LBB80_513:
	s_or_b64 exec, exec, s[0:1]
	v_cmp_gt_i32_e32 vcc, s33, v0
	s_and_saveexec_b64 s[0:1], vcc
	s_cbranch_execnz .LBB80_530
.LBB80_514:
	s_or_b64 exec, exec, s[0:1]
	v_cmp_gt_i32_e32 vcc, s33, v0
	s_and_saveexec_b64 s[0:1], vcc
	s_cbranch_execnz .LBB80_531
.LBB80_515:
	s_or_b64 exec, exec, s[0:1]
	v_cmp_gt_i32_e32 vcc, s33, v0
	s_and_saveexec_b64 s[0:1], vcc
	s_cbranch_execnz .LBB80_532
.LBB80_516:
	s_or_b64 exec, exec, s[0:1]
	v_cmp_gt_i32_e32 vcc, s33, v0
	s_and_saveexec_b64 s[0:1], vcc
	s_cbranch_execnz .LBB80_533
.LBB80_517:
	s_or_b64 exec, exec, s[0:1]
	v_cmp_gt_i32_e32 vcc, s33, v0
	s_and_saveexec_b64 s[0:1], vcc
	s_cbranch_execz .LBB80_519
.LBB80_518:
	v_add_u32_e32 v0, s2, v0
	global_store_byte v0, v4, s[10:11]
.LBB80_519:
	s_endpgm
.LBB80_520:
	v_add_u32_e32 v1, s2, v0
	v_add_u32_e32 v0, 0x100, v0
	global_store_byte v1, v33, s[10:11]
	s_or_b64 exec, exec, s[0:1]
	v_cmp_gt_i32_e32 vcc, s33, v0
	s_and_saveexec_b64 s[0:1], vcc
	s_cbranch_execz .LBB80_505
.LBB80_521:
	v_add_u32_e32 v1, s2, v0
	v_add_u32_e32 v0, 0x100, v0
	global_store_byte v1, v30, s[10:11]
	s_or_b64 exec, exec, s[0:1]
	v_cmp_gt_i32_e32 vcc, s33, v0
	s_and_saveexec_b64 s[0:1], vcc
	s_cbranch_execz .LBB80_506
.LBB80_522:
	v_add_u32_e32 v1, s2, v0
	v_add_u32_e32 v0, 0x100, v0
	global_store_byte v1, v28, s[10:11]
	s_or_b64 exec, exec, s[0:1]
	v_cmp_gt_i32_e32 vcc, s33, v0
	s_and_saveexec_b64 s[0:1], vcc
	s_cbranch_execz .LBB80_507
.LBB80_523:
	v_add_u32_e32 v1, s2, v0
	v_add_u32_e32 v0, 0x100, v0
	global_store_byte v1, v26, s[10:11]
	s_or_b64 exec, exec, s[0:1]
	v_cmp_gt_i32_e32 vcc, s33, v0
	s_and_saveexec_b64 s[0:1], vcc
	s_cbranch_execz .LBB80_508
.LBB80_524:
	v_add_u32_e32 v1, s2, v0
	v_add_u32_e32 v0, 0x100, v0
	global_store_byte v1, v24, s[10:11]
	s_or_b64 exec, exec, s[0:1]
	v_cmp_gt_i32_e32 vcc, s33, v0
	s_and_saveexec_b64 s[0:1], vcc
	s_cbranch_execz .LBB80_509
.LBB80_525:
	v_add_u32_e32 v1, s2, v0
	v_add_u32_e32 v0, 0x100, v0
	global_store_byte v1, v22, s[10:11]
	s_or_b64 exec, exec, s[0:1]
	v_cmp_gt_i32_e32 vcc, s33, v0
	s_and_saveexec_b64 s[0:1], vcc
	s_cbranch_execz .LBB80_510
.LBB80_526:
	v_add_u32_e32 v1, s2, v0
	v_add_u32_e32 v0, 0x100, v0
	global_store_byte v1, v20, s[10:11]
	s_or_b64 exec, exec, s[0:1]
	v_cmp_gt_i32_e32 vcc, s33, v0
	s_and_saveexec_b64 s[0:1], vcc
	s_cbranch_execz .LBB80_511
.LBB80_527:
	v_add_u32_e32 v1, s2, v0
	v_add_u32_e32 v0, 0x100, v0
	global_store_byte v1, v18, s[10:11]
	s_or_b64 exec, exec, s[0:1]
	v_cmp_gt_i32_e32 vcc, s33, v0
	s_and_saveexec_b64 s[0:1], vcc
	s_cbranch_execz .LBB80_512
.LBB80_528:
	v_add_u32_e32 v1, s2, v0
	v_add_u32_e32 v0, 0x100, v0
	global_store_byte v1, v16, s[10:11]
	s_or_b64 exec, exec, s[0:1]
	v_cmp_gt_i32_e32 vcc, s33, v0
	s_and_saveexec_b64 s[0:1], vcc
	s_cbranch_execz .LBB80_513
.LBB80_529:
	v_add_u32_e32 v1, s2, v0
	v_add_u32_e32 v0, 0x100, v0
	global_store_byte v1, v14, s[10:11]
	s_or_b64 exec, exec, s[0:1]
	v_cmp_gt_i32_e32 vcc, s33, v0
	s_and_saveexec_b64 s[0:1], vcc
	s_cbranch_execz .LBB80_514
.LBB80_530:
	v_add_u32_e32 v1, s2, v0
	v_add_u32_e32 v0, 0x100, v0
	global_store_byte v1, v12, s[10:11]
	s_or_b64 exec, exec, s[0:1]
	v_cmp_gt_i32_e32 vcc, s33, v0
	s_and_saveexec_b64 s[0:1], vcc
	s_cbranch_execz .LBB80_515
.LBB80_531:
	v_add_u32_e32 v1, s2, v0
	v_add_u32_e32 v0, 0x100, v0
	global_store_byte v1, v10, s[10:11]
	s_or_b64 exec, exec, s[0:1]
	v_cmp_gt_i32_e32 vcc, s33, v0
	s_and_saveexec_b64 s[0:1], vcc
	s_cbranch_execz .LBB80_516
.LBB80_532:
	v_add_u32_e32 v1, s2, v0
	v_add_u32_e32 v0, 0x100, v0
	global_store_byte v1, v8, s[10:11]
	s_or_b64 exec, exec, s[0:1]
	v_cmp_gt_i32_e32 vcc, s33, v0
	s_and_saveexec_b64 s[0:1], vcc
	s_cbranch_execz .LBB80_517
.LBB80_533:
	v_add_u32_e32 v1, s2, v0
	v_add_u32_e32 v0, 0x100, v0
	global_store_byte v1, v6, s[10:11]
	s_or_b64 exec, exec, s[0:1]
	v_cmp_gt_i32_e32 vcc, s33, v0
	s_and_saveexec_b64 s[0:1], vcc
	s_cbranch_execnz .LBB80_518
	s_branch .LBB80_519
.LBB80_534:
	v_cmp_gt_f64_e32 vcc, s[8:9], v[2:3]
	s_andn2_b64 s[12:13], s[12:13], exec
	s_and_b64 s[14:15], vcc, exec
	s_or_b64 s[12:13], s[12:13], s[14:15]
	s_cbranch_execz .LBB80_499
	s_branch .LBB80_500
.LBB80_535:
	s_mov_b64 s[14:15], -1
                                        ; implicit-def: $sgpr12_sgpr13
	s_branch .LBB80_285
.LBB80_536:
	s_mov_b64 s[14:15], -1
                                        ; implicit-def: $sgpr12_sgpr13
	s_branch .LBB80_300
.LBB80_537:
	s_mov_b64 s[14:15], -1
                                        ; implicit-def: $sgpr12_sgpr13
	s_branch .LBB80_315
.LBB80_538:
	s_mov_b64 s[14:15], -1
                                        ; implicit-def: $sgpr12_sgpr13
	s_branch .LBB80_330
.LBB80_539:
	s_mov_b64 s[14:15], -1
                                        ; implicit-def: $sgpr12_sgpr13
	s_branch .LBB80_345
.LBB80_540:
	s_mov_b64 s[14:15], -1
                                        ; implicit-def: $sgpr12_sgpr13
	s_branch .LBB80_360
.LBB80_541:
	s_mov_b64 s[14:15], -1
                                        ; implicit-def: $sgpr12_sgpr13
	s_branch .LBB80_375
.LBB80_542:
	s_mov_b64 s[14:15], -1
                                        ; implicit-def: $sgpr12_sgpr13
	s_branch .LBB80_390
.LBB80_543:
	s_mov_b64 s[14:15], -1
                                        ; implicit-def: $sgpr12_sgpr13
	s_branch .LBB80_405
.LBB80_544:
	s_mov_b64 s[14:15], -1
                                        ; implicit-def: $sgpr12_sgpr13
	s_branch .LBB80_420
.LBB80_545:
	s_mov_b64 s[14:15], -1
                                        ; implicit-def: $sgpr12_sgpr13
	s_branch .LBB80_435
.LBB80_546:
	s_mov_b64 s[14:15], -1
                                        ; implicit-def: $sgpr12_sgpr13
	s_branch .LBB80_450
.LBB80_547:
	s_mov_b64 s[14:15], -1
                                        ; implicit-def: $sgpr12_sgpr13
	s_branch .LBB80_465
.LBB80_548:
	s_mov_b64 s[14:15], -1
                                        ; implicit-def: $sgpr12_sgpr13
	s_branch .LBB80_480
.LBB80_549:
	s_mov_b64 s[14:15], -1
                                        ; implicit-def: $sgpr12_sgpr13
	s_branch .LBB80_495
	.section	.rodata,"a",@progbits
	.p2align	6, 0x0
	.amdhsa_kernel _ZN2at6native29vectorized_elementwise_kernelILi16EZNS0_21compare_scalar_kernelIdEEvRNS_18TensorIteratorBaseENS0_12_GLOBAL__N_16OpTypeET_EUldE_St5arrayIPcLm2EEEEviT0_T1_
		.amdhsa_group_segment_fixed_size 0
		.amdhsa_private_segment_fixed_size 0
		.amdhsa_kernarg_size 40
		.amdhsa_user_sgpr_count 6
		.amdhsa_user_sgpr_private_segment_buffer 1
		.amdhsa_user_sgpr_dispatch_ptr 0
		.amdhsa_user_sgpr_queue_ptr 0
		.amdhsa_user_sgpr_kernarg_segment_ptr 1
		.amdhsa_user_sgpr_dispatch_id 0
		.amdhsa_user_sgpr_flat_scratch_init 0
		.amdhsa_user_sgpr_private_segment_size 0
		.amdhsa_uses_dynamic_stack 0
		.amdhsa_system_sgpr_private_segment_wavefront_offset 0
		.amdhsa_system_sgpr_workgroup_id_x 1
		.amdhsa_system_sgpr_workgroup_id_y 0
		.amdhsa_system_sgpr_workgroup_id_z 0
		.amdhsa_system_sgpr_workgroup_info 0
		.amdhsa_system_vgpr_workitem_id 0
		.amdhsa_next_free_vgpr 36
		.amdhsa_next_free_sgpr 49
		.amdhsa_reserve_vcc 1
		.amdhsa_reserve_flat_scratch 0
		.amdhsa_float_round_mode_32 0
		.amdhsa_float_round_mode_16_64 0
		.amdhsa_float_denorm_mode_32 3
		.amdhsa_float_denorm_mode_16_64 3
		.amdhsa_dx10_clamp 1
		.amdhsa_ieee_mode 1
		.amdhsa_fp16_overflow 0
		.amdhsa_exception_fp_ieee_invalid_op 0
		.amdhsa_exception_fp_denorm_src 0
		.amdhsa_exception_fp_ieee_div_zero 0
		.amdhsa_exception_fp_ieee_overflow 0
		.amdhsa_exception_fp_ieee_underflow 0
		.amdhsa_exception_fp_ieee_inexact 0
		.amdhsa_exception_int_div_zero 0
	.end_amdhsa_kernel
	.section	.text._ZN2at6native29vectorized_elementwise_kernelILi16EZNS0_21compare_scalar_kernelIdEEvRNS_18TensorIteratorBaseENS0_12_GLOBAL__N_16OpTypeET_EUldE_St5arrayIPcLm2EEEEviT0_T1_,"axG",@progbits,_ZN2at6native29vectorized_elementwise_kernelILi16EZNS0_21compare_scalar_kernelIdEEvRNS_18TensorIteratorBaseENS0_12_GLOBAL__N_16OpTypeET_EUldE_St5arrayIPcLm2EEEEviT0_T1_,comdat
.Lfunc_end80:
	.size	_ZN2at6native29vectorized_elementwise_kernelILi16EZNS0_21compare_scalar_kernelIdEEvRNS_18TensorIteratorBaseENS0_12_GLOBAL__N_16OpTypeET_EUldE_St5arrayIPcLm2EEEEviT0_T1_, .Lfunc_end80-_ZN2at6native29vectorized_elementwise_kernelILi16EZNS0_21compare_scalar_kernelIdEEvRNS_18TensorIteratorBaseENS0_12_GLOBAL__N_16OpTypeET_EUldE_St5arrayIPcLm2EEEEviT0_T1_
                                        ; -- End function
	.set _ZN2at6native29vectorized_elementwise_kernelILi16EZNS0_21compare_scalar_kernelIdEEvRNS_18TensorIteratorBaseENS0_12_GLOBAL__N_16OpTypeET_EUldE_St5arrayIPcLm2EEEEviT0_T1_.num_vgpr, 36
	.set _ZN2at6native29vectorized_elementwise_kernelILi16EZNS0_21compare_scalar_kernelIdEEvRNS_18TensorIteratorBaseENS0_12_GLOBAL__N_16OpTypeET_EUldE_St5arrayIPcLm2EEEEviT0_T1_.num_agpr, 0
	.set _ZN2at6native29vectorized_elementwise_kernelILi16EZNS0_21compare_scalar_kernelIdEEvRNS_18TensorIteratorBaseENS0_12_GLOBAL__N_16OpTypeET_EUldE_St5arrayIPcLm2EEEEviT0_T1_.numbered_sgpr, 49
	.set _ZN2at6native29vectorized_elementwise_kernelILi16EZNS0_21compare_scalar_kernelIdEEvRNS_18TensorIteratorBaseENS0_12_GLOBAL__N_16OpTypeET_EUldE_St5arrayIPcLm2EEEEviT0_T1_.num_named_barrier, 0
	.set _ZN2at6native29vectorized_elementwise_kernelILi16EZNS0_21compare_scalar_kernelIdEEvRNS_18TensorIteratorBaseENS0_12_GLOBAL__N_16OpTypeET_EUldE_St5arrayIPcLm2EEEEviT0_T1_.private_seg_size, 0
	.set _ZN2at6native29vectorized_elementwise_kernelILi16EZNS0_21compare_scalar_kernelIdEEvRNS_18TensorIteratorBaseENS0_12_GLOBAL__N_16OpTypeET_EUldE_St5arrayIPcLm2EEEEviT0_T1_.uses_vcc, 1
	.set _ZN2at6native29vectorized_elementwise_kernelILi16EZNS0_21compare_scalar_kernelIdEEvRNS_18TensorIteratorBaseENS0_12_GLOBAL__N_16OpTypeET_EUldE_St5arrayIPcLm2EEEEviT0_T1_.uses_flat_scratch, 0
	.set _ZN2at6native29vectorized_elementwise_kernelILi16EZNS0_21compare_scalar_kernelIdEEvRNS_18TensorIteratorBaseENS0_12_GLOBAL__N_16OpTypeET_EUldE_St5arrayIPcLm2EEEEviT0_T1_.has_dyn_sized_stack, 0
	.set _ZN2at6native29vectorized_elementwise_kernelILi16EZNS0_21compare_scalar_kernelIdEEvRNS_18TensorIteratorBaseENS0_12_GLOBAL__N_16OpTypeET_EUldE_St5arrayIPcLm2EEEEviT0_T1_.has_recursion, 0
	.set _ZN2at6native29vectorized_elementwise_kernelILi16EZNS0_21compare_scalar_kernelIdEEvRNS_18TensorIteratorBaseENS0_12_GLOBAL__N_16OpTypeET_EUldE_St5arrayIPcLm2EEEEviT0_T1_.has_indirect_call, 0
	.section	.AMDGPU.csdata,"",@progbits
; Kernel info:
; codeLenInByte = 8356
; TotalNumSgprs: 53
; NumVgprs: 36
; ScratchSize: 0
; MemoryBound: 1
; FloatMode: 240
; IeeeMode: 1
; LDSByteSize: 0 bytes/workgroup (compile time only)
; SGPRBlocks: 6
; VGPRBlocks: 8
; NumSGPRsForWavesPerEU: 53
; NumVGPRsForWavesPerEU: 36
; Occupancy: 7
; WaveLimiterHint : 0
; COMPUTE_PGM_RSRC2:SCRATCH_EN: 0
; COMPUTE_PGM_RSRC2:USER_SGPR: 6
; COMPUTE_PGM_RSRC2:TRAP_HANDLER: 0
; COMPUTE_PGM_RSRC2:TGID_X_EN: 1
; COMPUTE_PGM_RSRC2:TGID_Y_EN: 0
; COMPUTE_PGM_RSRC2:TGID_Z_EN: 0
; COMPUTE_PGM_RSRC2:TIDIG_COMP_CNT: 0
	.section	.text._ZN2at6native29vectorized_elementwise_kernelILi8EZNS0_21compare_scalar_kernelIdEEvRNS_18TensorIteratorBaseENS0_12_GLOBAL__N_16OpTypeET_EUldE_St5arrayIPcLm2EEEEviT0_T1_,"axG",@progbits,_ZN2at6native29vectorized_elementwise_kernelILi8EZNS0_21compare_scalar_kernelIdEEvRNS_18TensorIteratorBaseENS0_12_GLOBAL__N_16OpTypeET_EUldE_St5arrayIPcLm2EEEEviT0_T1_,comdat
	.globl	_ZN2at6native29vectorized_elementwise_kernelILi8EZNS0_21compare_scalar_kernelIdEEvRNS_18TensorIteratorBaseENS0_12_GLOBAL__N_16OpTypeET_EUldE_St5arrayIPcLm2EEEEviT0_T1_ ; -- Begin function _ZN2at6native29vectorized_elementwise_kernelILi8EZNS0_21compare_scalar_kernelIdEEvRNS_18TensorIteratorBaseENS0_12_GLOBAL__N_16OpTypeET_EUldE_St5arrayIPcLm2EEEEviT0_T1_
	.p2align	8
	.type	_ZN2at6native29vectorized_elementwise_kernelILi8EZNS0_21compare_scalar_kernelIdEEvRNS_18TensorIteratorBaseENS0_12_GLOBAL__N_16OpTypeET_EUldE_St5arrayIPcLm2EEEEviT0_T1_,@function
_ZN2at6native29vectorized_elementwise_kernelILi8EZNS0_21compare_scalar_kernelIdEEvRNS_18TensorIteratorBaseENS0_12_GLOBAL__N_16OpTypeET_EUldE_St5arrayIPcLm2EEEEviT0_T1_: ; @_ZN2at6native29vectorized_elementwise_kernelILi8EZNS0_21compare_scalar_kernelIdEEvRNS_18TensorIteratorBaseENS0_12_GLOBAL__N_16OpTypeET_EUldE_St5arrayIPcLm2EEEEviT0_T1_
; %bb.0:
	s_load_dword s0, s[4:5], 0x0
	s_load_dword s48, s[4:5], 0x8
	s_load_dwordx4 s[8:11], s[4:5], 0x10
	s_load_dwordx2 s[12:13], s[4:5], 0x20
	s_lshl_b32 s2, s6, 12
	s_waitcnt lgkmcnt(0)
	s_sub_i32 s33, s0, s2
	s_cmpk_gt_i32 s33, 0xfff
	s_mov_b64 s[0:1], -1
	s_cbranch_scc0 .LBB81_211
; %bb.1:
	s_ashr_i32 s3, s2, 31
	s_lshl_b64 s[0:1], s[2:3], 3
	s_add_u32 s0, s12, s0
	s_addc_u32 s1, s13, s1
	v_lshlrev_b32_e32 v1, 6, v0
	v_mov_b32_e32 v2, s1
	v_add_co_u32_e32 v3, vcc, s0, v1
	v_addc_co_u32_e32 v2, vcc, 0, v2, vcc
	global_load_dwordx4 v[17:20], v1, s[0:1] offset:48
	global_load_dwordx4 v[21:24], v1, s[0:1] offset:32
	;; [unrolled: 1-line block ×3, first 2 shown]
	global_load_dwordx4 v[29:32], v1, s[0:1]
	s_movk_i32 s0, 0x4000
	v_add_co_u32_e32 v33, vcc, s0, v3
	v_addc_co_u32_e32 v34, vcc, 0, v2, vcc
	v_add_co_u32_e32 v35, vcc, 0x4000, v3
	v_addc_co_u32_e32 v36, vcc, 0, v2, vcc
	global_load_dwordx4 v[13:16], v[35:36], off
	global_load_dwordx4 v[1:4], v[33:34], off offset:48
	global_load_dwordx4 v[5:8], v[33:34], off offset:32
	;; [unrolled: 1-line block ×3, first 2 shown]
	s_cmp_lt_i32 s48, 1
	s_mov_b64 s[4:5], 0
	s_cbranch_scc1 .LBB81_5
; %bb.2:
	s_cmp_gt_i32 s48, 1
	s_cbranch_scc0 .LBB81_6
; %bb.3:
	s_cmp_eq_u32 s48, 2
	s_cbranch_scc0 .LBB81_7
; %bb.4:
	s_waitcnt vmcnt(4)
	v_cmp_ge_f64_e64 s[0:1], s[8:9], v[29:30]
	s_mov_b64 s[6:7], 0
	s_branch .LBB81_8
.LBB81_5:
                                        ; implicit-def: $sgpr0_sgpr1
	s_mov_b64 s[6:7], 0
	s_cbranch_execnz .LBB81_11
	s_branch .LBB81_12
.LBB81_6:
	s_mov_b64 s[6:7], 0
                                        ; implicit-def: $sgpr0_sgpr1
	s_cbranch_execnz .LBB81_9
	s_branch .LBB81_10
.LBB81_7:
	s_mov_b64 s[6:7], -1
                                        ; implicit-def: $sgpr0_sgpr1
.LBB81_8:
	s_branch .LBB81_10
.LBB81_9:
	s_waitcnt vmcnt(4)
	v_cmp_lt_f64_e32 vcc, s[8:9], v[29:30]
	s_andn2_b64 s[0:1], s[0:1], exec
	s_and_b64 s[14:15], vcc, exec
	s_or_b64 s[0:1], s[0:1], s[14:15]
.LBB81_10:
	s_branch .LBB81_12
.LBB81_11:
	s_cmp_lg_u32 s48, 0
	s_mov_b64 s[4:5], -1
	s_cselect_b64 s[6:7], -1, 0
.LBB81_12:
	s_andn2_b64 vcc, exec, s[6:7]
	s_cbranch_vccz .LBB81_18
; %bb.13:
	s_andn2_b64 vcc, exec, s[4:5]
	s_cbranch_vccz .LBB81_19
.LBB81_14:
	s_cmp_lt_i32 s48, 1
	s_mov_b64 s[6:7], 0
	s_cbranch_scc1 .LBB81_20
.LBB81_15:
	s_cmp_gt_i32 s48, 1
	s_cbranch_scc0 .LBB81_21
; %bb.16:
	s_cmp_eq_u32 s48, 2
	s_cbranch_scc0 .LBB81_251
; %bb.17:
	s_waitcnt vmcnt(4)
	v_cmp_ge_f64_e64 s[4:5], s[8:9], v[31:32]
	s_mov_b64 s[14:15], 0
	s_branch .LBB81_23
.LBB81_18:
	s_waitcnt vmcnt(4)
	v_cmp_gt_f64_e32 vcc, s[8:9], v[29:30]
	s_andn2_b64 s[0:1], s[0:1], exec
	s_and_b64 s[6:7], vcc, exec
	s_or_b64 s[0:1], s[0:1], s[6:7]
	s_cbranch_execnz .LBB81_14
.LBB81_19:
	s_waitcnt vmcnt(4)
	v_cmp_le_f64_e32 vcc, s[8:9], v[29:30]
	s_andn2_b64 s[0:1], s[0:1], exec
	s_and_b64 s[4:5], vcc, exec
	s_or_b64 s[0:1], s[0:1], s[4:5]
	s_cmp_lt_i32 s48, 1
	s_mov_b64 s[6:7], 0
	s_cbranch_scc0 .LBB81_15
.LBB81_20:
                                        ; implicit-def: $sgpr4_sgpr5
	s_mov_b64 s[14:15], 0
	s_cbranch_execnz .LBB81_24
	s_branch .LBB81_25
.LBB81_21:
	s_mov_b64 s[14:15], 0
                                        ; implicit-def: $sgpr4_sgpr5
	s_cbranch_execz .LBB81_23
; %bb.22:
	s_waitcnt vmcnt(4)
	v_cmp_lt_f64_e32 vcc, s[8:9], v[31:32]
	s_andn2_b64 s[4:5], s[4:5], exec
	s_and_b64 s[16:17], vcc, exec
	s_or_b64 s[4:5], s[4:5], s[16:17]
.LBB81_23:
	s_branch .LBB81_25
.LBB81_24:
	s_cmp_lg_u32 s48, 0
	s_mov_b64 s[6:7], -1
	s_cselect_b64 s[14:15], -1, 0
.LBB81_25:
	s_andn2_b64 vcc, exec, s[14:15]
	s_cbranch_vccz .LBB81_31
; %bb.26:
	s_andn2_b64 vcc, exec, s[6:7]
	s_cbranch_vccz .LBB81_32
.LBB81_27:
	s_cmp_lt_i32 s48, 1
	s_mov_b64 s[14:15], 0
	s_cbranch_scc1 .LBB81_33
.LBB81_28:
	s_cmp_gt_i32 s48, 1
	s_cbranch_scc0 .LBB81_34
; %bb.29:
	s_cmp_eq_u32 s48, 2
	s_cbranch_scc0 .LBB81_252
; %bb.30:
	s_waitcnt vmcnt(5)
	v_cmp_ge_f64_e64 s[6:7], s[8:9], v[25:26]
	s_mov_b64 s[16:17], 0
	s_branch .LBB81_36
.LBB81_31:
	s_waitcnt vmcnt(4)
	v_cmp_gt_f64_e32 vcc, s[8:9], v[31:32]
	s_andn2_b64 s[4:5], s[4:5], exec
	s_and_b64 s[14:15], vcc, exec
	s_or_b64 s[4:5], s[4:5], s[14:15]
	s_cbranch_execnz .LBB81_27
.LBB81_32:
	s_waitcnt vmcnt(4)
	v_cmp_le_f64_e32 vcc, s[8:9], v[31:32]
	s_andn2_b64 s[4:5], s[4:5], exec
	s_and_b64 s[6:7], vcc, exec
	s_or_b64 s[4:5], s[4:5], s[6:7]
	s_cmp_lt_i32 s48, 1
	s_mov_b64 s[14:15], 0
	s_cbranch_scc0 .LBB81_28
.LBB81_33:
                                        ; implicit-def: $sgpr6_sgpr7
	s_mov_b64 s[16:17], 0
	s_cbranch_execnz .LBB81_37
	s_branch .LBB81_38
.LBB81_34:
	s_mov_b64 s[16:17], 0
                                        ; implicit-def: $sgpr6_sgpr7
	s_cbranch_execz .LBB81_36
; %bb.35:
	s_waitcnt vmcnt(5)
	v_cmp_lt_f64_e32 vcc, s[8:9], v[25:26]
	s_andn2_b64 s[6:7], s[6:7], exec
	s_and_b64 s[18:19], vcc, exec
	s_or_b64 s[6:7], s[6:7], s[18:19]
.LBB81_36:
	s_branch .LBB81_38
.LBB81_37:
	s_cmp_lg_u32 s48, 0
	s_mov_b64 s[14:15], -1
	s_cselect_b64 s[16:17], -1, 0
.LBB81_38:
	s_andn2_b64 vcc, exec, s[16:17]
	s_cbranch_vccz .LBB81_44
; %bb.39:
	s_andn2_b64 vcc, exec, s[14:15]
	s_cbranch_vccz .LBB81_45
.LBB81_40:
	s_cmp_lt_i32 s48, 1
	s_mov_b64 s[16:17], 0
	s_cbranch_scc1 .LBB81_46
.LBB81_41:
	s_cmp_gt_i32 s48, 1
	s_cbranch_scc0 .LBB81_47
; %bb.42:
	s_cmp_eq_u32 s48, 2
	s_cbranch_scc0 .LBB81_253
; %bb.43:
	s_waitcnt vmcnt(5)
	v_cmp_ge_f64_e64 s[14:15], s[8:9], v[27:28]
	s_mov_b64 s[18:19], 0
	s_branch .LBB81_49
.LBB81_44:
	s_waitcnt vmcnt(5)
	v_cmp_gt_f64_e32 vcc, s[8:9], v[25:26]
	s_andn2_b64 s[6:7], s[6:7], exec
	s_and_b64 s[16:17], vcc, exec
	s_or_b64 s[6:7], s[6:7], s[16:17]
	s_cbranch_execnz .LBB81_40
.LBB81_45:
	s_waitcnt vmcnt(5)
	v_cmp_le_f64_e32 vcc, s[8:9], v[25:26]
	s_andn2_b64 s[6:7], s[6:7], exec
	s_and_b64 s[14:15], vcc, exec
	s_or_b64 s[6:7], s[6:7], s[14:15]
	s_cmp_lt_i32 s48, 1
	s_mov_b64 s[16:17], 0
	s_cbranch_scc0 .LBB81_41
.LBB81_46:
                                        ; implicit-def: $sgpr14_sgpr15
	s_mov_b64 s[18:19], 0
	s_cbranch_execnz .LBB81_50
	s_branch .LBB81_51
.LBB81_47:
	s_mov_b64 s[18:19], 0
                                        ; implicit-def: $sgpr14_sgpr15
	s_cbranch_execz .LBB81_49
; %bb.48:
	s_waitcnt vmcnt(5)
	v_cmp_lt_f64_e32 vcc, s[8:9], v[27:28]
	s_andn2_b64 s[14:15], s[14:15], exec
	s_and_b64 s[20:21], vcc, exec
	s_or_b64 s[14:15], s[14:15], s[20:21]
.LBB81_49:
	s_branch .LBB81_51
.LBB81_50:
	s_cmp_lg_u32 s48, 0
	s_mov_b64 s[16:17], -1
	s_cselect_b64 s[18:19], -1, 0
.LBB81_51:
	s_andn2_b64 vcc, exec, s[18:19]
	s_cbranch_vccz .LBB81_57
; %bb.52:
	s_andn2_b64 vcc, exec, s[16:17]
	s_cbranch_vccz .LBB81_58
.LBB81_53:
	s_cmp_lt_i32 s48, 1
	s_mov_b64 s[18:19], 0
	s_cbranch_scc1 .LBB81_59
.LBB81_54:
	s_cmp_gt_i32 s48, 1
	s_cbranch_scc0 .LBB81_60
; %bb.55:
	s_cmp_eq_u32 s48, 2
	s_cbranch_scc0 .LBB81_254
; %bb.56:
	s_waitcnt vmcnt(6)
	v_cmp_ge_f64_e64 s[16:17], s[8:9], v[21:22]
	s_mov_b64 s[20:21], 0
	s_branch .LBB81_62
.LBB81_57:
	s_waitcnt vmcnt(5)
	v_cmp_gt_f64_e32 vcc, s[8:9], v[27:28]
	s_andn2_b64 s[14:15], s[14:15], exec
	s_and_b64 s[18:19], vcc, exec
	s_or_b64 s[14:15], s[14:15], s[18:19]
	s_cbranch_execnz .LBB81_53
.LBB81_58:
	s_waitcnt vmcnt(5)
	v_cmp_le_f64_e32 vcc, s[8:9], v[27:28]
	s_andn2_b64 s[14:15], s[14:15], exec
	s_and_b64 s[16:17], vcc, exec
	s_or_b64 s[14:15], s[14:15], s[16:17]
	s_cmp_lt_i32 s48, 1
	s_mov_b64 s[18:19], 0
	s_cbranch_scc0 .LBB81_54
.LBB81_59:
                                        ; implicit-def: $sgpr16_sgpr17
	s_mov_b64 s[20:21], 0
	s_cbranch_execnz .LBB81_63
	s_branch .LBB81_64
.LBB81_60:
	s_mov_b64 s[20:21], 0
                                        ; implicit-def: $sgpr16_sgpr17
	s_cbranch_execz .LBB81_62
; %bb.61:
	s_waitcnt vmcnt(6)
	v_cmp_lt_f64_e32 vcc, s[8:9], v[21:22]
	s_andn2_b64 s[16:17], s[16:17], exec
	s_and_b64 s[22:23], vcc, exec
	s_or_b64 s[16:17], s[16:17], s[22:23]
.LBB81_62:
	s_branch .LBB81_64
.LBB81_63:
	s_cmp_lg_u32 s48, 0
	s_mov_b64 s[18:19], -1
	s_cselect_b64 s[20:21], -1, 0
.LBB81_64:
	s_andn2_b64 vcc, exec, s[20:21]
	s_cbranch_vccz .LBB81_70
; %bb.65:
	s_andn2_b64 vcc, exec, s[18:19]
	s_cbranch_vccz .LBB81_71
.LBB81_66:
	s_cmp_lt_i32 s48, 1
	s_mov_b64 s[20:21], 0
	s_cbranch_scc1 .LBB81_72
.LBB81_67:
	s_cmp_gt_i32 s48, 1
	s_cbranch_scc0 .LBB81_73
; %bb.68:
	s_cmp_eq_u32 s48, 2
	s_cbranch_scc0 .LBB81_255
; %bb.69:
	s_waitcnt vmcnt(6)
	v_cmp_ge_f64_e64 s[18:19], s[8:9], v[23:24]
	s_mov_b64 s[22:23], 0
	s_branch .LBB81_75
.LBB81_70:
	s_waitcnt vmcnt(6)
	v_cmp_gt_f64_e32 vcc, s[8:9], v[21:22]
	s_andn2_b64 s[16:17], s[16:17], exec
	s_and_b64 s[20:21], vcc, exec
	s_or_b64 s[16:17], s[16:17], s[20:21]
	s_cbranch_execnz .LBB81_66
.LBB81_71:
	s_waitcnt vmcnt(6)
	v_cmp_le_f64_e32 vcc, s[8:9], v[21:22]
	s_andn2_b64 s[16:17], s[16:17], exec
	s_and_b64 s[18:19], vcc, exec
	s_or_b64 s[16:17], s[16:17], s[18:19]
	s_cmp_lt_i32 s48, 1
	s_mov_b64 s[20:21], 0
	s_cbranch_scc0 .LBB81_67
.LBB81_72:
                                        ; implicit-def: $sgpr18_sgpr19
	s_mov_b64 s[22:23], 0
	s_cbranch_execnz .LBB81_76
	s_branch .LBB81_77
.LBB81_73:
	s_mov_b64 s[22:23], 0
                                        ; implicit-def: $sgpr18_sgpr19
	s_cbranch_execz .LBB81_75
; %bb.74:
	s_waitcnt vmcnt(6)
	v_cmp_lt_f64_e32 vcc, s[8:9], v[23:24]
	s_andn2_b64 s[18:19], s[18:19], exec
	s_and_b64 s[24:25], vcc, exec
	s_or_b64 s[18:19], s[18:19], s[24:25]
.LBB81_75:
	s_branch .LBB81_77
.LBB81_76:
	s_cmp_lg_u32 s48, 0
	s_mov_b64 s[20:21], -1
	s_cselect_b64 s[22:23], -1, 0
.LBB81_77:
	s_andn2_b64 vcc, exec, s[22:23]
	s_cbranch_vccz .LBB81_83
; %bb.78:
	s_andn2_b64 vcc, exec, s[20:21]
	s_cbranch_vccz .LBB81_84
.LBB81_79:
	s_cmp_lt_i32 s48, 1
	s_mov_b64 s[22:23], 0
	s_cbranch_scc1 .LBB81_85
.LBB81_80:
	s_cmp_gt_i32 s48, 1
	s_cbranch_scc0 .LBB81_86
; %bb.81:
	s_cmp_eq_u32 s48, 2
	s_cbranch_scc0 .LBB81_256
; %bb.82:
	s_waitcnt vmcnt(7)
	v_cmp_ge_f64_e64 s[20:21], s[8:9], v[17:18]
	s_mov_b64 s[24:25], 0
	s_branch .LBB81_88
.LBB81_83:
	s_waitcnt vmcnt(6)
	v_cmp_gt_f64_e32 vcc, s[8:9], v[23:24]
	s_andn2_b64 s[18:19], s[18:19], exec
	s_and_b64 s[22:23], vcc, exec
	s_or_b64 s[18:19], s[18:19], s[22:23]
	s_cbranch_execnz .LBB81_79
.LBB81_84:
	s_waitcnt vmcnt(6)
	v_cmp_le_f64_e32 vcc, s[8:9], v[23:24]
	s_andn2_b64 s[18:19], s[18:19], exec
	s_and_b64 s[20:21], vcc, exec
	s_or_b64 s[18:19], s[18:19], s[20:21]
	s_cmp_lt_i32 s48, 1
	s_mov_b64 s[22:23], 0
	s_cbranch_scc0 .LBB81_80
.LBB81_85:
                                        ; implicit-def: $sgpr20_sgpr21
	s_mov_b64 s[24:25], 0
	s_cbranch_execnz .LBB81_89
	s_branch .LBB81_90
.LBB81_86:
	s_mov_b64 s[24:25], 0
                                        ; implicit-def: $sgpr20_sgpr21
	s_cbranch_execz .LBB81_88
; %bb.87:
	s_waitcnt vmcnt(7)
	v_cmp_lt_f64_e32 vcc, s[8:9], v[17:18]
	s_andn2_b64 s[20:21], s[20:21], exec
	s_and_b64 s[26:27], vcc, exec
	s_or_b64 s[20:21], s[20:21], s[26:27]
.LBB81_88:
	s_branch .LBB81_90
.LBB81_89:
	s_cmp_lg_u32 s48, 0
	s_mov_b64 s[22:23], -1
	s_cselect_b64 s[24:25], -1, 0
.LBB81_90:
	s_andn2_b64 vcc, exec, s[24:25]
	s_cbranch_vccz .LBB81_96
; %bb.91:
	s_andn2_b64 vcc, exec, s[22:23]
	s_cbranch_vccz .LBB81_97
.LBB81_92:
	s_cmp_lt_i32 s48, 1
	s_mov_b64 s[24:25], 0
	s_cbranch_scc1 .LBB81_98
.LBB81_93:
	s_cmp_gt_i32 s48, 1
	s_cbranch_scc0 .LBB81_99
; %bb.94:
	s_cmp_eq_u32 s48, 2
	s_cbranch_scc0 .LBB81_257
; %bb.95:
	s_waitcnt vmcnt(7)
	v_cmp_ge_f64_e64 s[22:23], s[8:9], v[19:20]
	s_mov_b64 s[26:27], 0
	s_branch .LBB81_101
.LBB81_96:
	s_waitcnt vmcnt(7)
	v_cmp_gt_f64_e32 vcc, s[8:9], v[17:18]
	s_andn2_b64 s[20:21], s[20:21], exec
	s_and_b64 s[24:25], vcc, exec
	s_or_b64 s[20:21], s[20:21], s[24:25]
	s_cbranch_execnz .LBB81_92
.LBB81_97:
	s_waitcnt vmcnt(7)
	v_cmp_le_f64_e32 vcc, s[8:9], v[17:18]
	s_andn2_b64 s[20:21], s[20:21], exec
	s_and_b64 s[22:23], vcc, exec
	s_or_b64 s[20:21], s[20:21], s[22:23]
	s_cmp_lt_i32 s48, 1
	s_mov_b64 s[24:25], 0
	s_cbranch_scc0 .LBB81_93
.LBB81_98:
                                        ; implicit-def: $sgpr22_sgpr23
	s_mov_b64 s[26:27], 0
	s_cbranch_execnz .LBB81_102
	s_branch .LBB81_103
.LBB81_99:
	s_mov_b64 s[26:27], 0
                                        ; implicit-def: $sgpr22_sgpr23
	s_cbranch_execz .LBB81_101
; %bb.100:
	s_waitcnt vmcnt(7)
	v_cmp_lt_f64_e32 vcc, s[8:9], v[19:20]
	s_andn2_b64 s[22:23], s[22:23], exec
	s_and_b64 s[28:29], vcc, exec
	s_or_b64 s[22:23], s[22:23], s[28:29]
.LBB81_101:
	s_branch .LBB81_103
.LBB81_102:
	s_cmp_lg_u32 s48, 0
	s_mov_b64 s[24:25], -1
	s_cselect_b64 s[26:27], -1, 0
.LBB81_103:
	s_andn2_b64 vcc, exec, s[26:27]
	s_cbranch_vccz .LBB81_109
; %bb.104:
	s_andn2_b64 vcc, exec, s[24:25]
	s_cbranch_vccz .LBB81_110
.LBB81_105:
	s_cmp_lt_i32 s48, 1
	s_mov_b64 s[26:27], 0
	s_cbranch_scc1 .LBB81_111
.LBB81_106:
	s_cmp_gt_i32 s48, 1
	s_cbranch_scc0 .LBB81_112
; %bb.107:
	s_cmp_eq_u32 s48, 2
	s_cbranch_scc0 .LBB81_258
; %bb.108:
	s_waitcnt vmcnt(3)
	v_cmp_ge_f64_e64 s[24:25], s[8:9], v[13:14]
	s_mov_b64 s[28:29], 0
	s_branch .LBB81_114
.LBB81_109:
	s_waitcnt vmcnt(7)
	v_cmp_gt_f64_e32 vcc, s[8:9], v[19:20]
	s_andn2_b64 s[22:23], s[22:23], exec
	s_and_b64 s[26:27], vcc, exec
	s_or_b64 s[22:23], s[22:23], s[26:27]
	s_cbranch_execnz .LBB81_105
.LBB81_110:
	s_waitcnt vmcnt(7)
	v_cmp_le_f64_e32 vcc, s[8:9], v[19:20]
	s_andn2_b64 s[22:23], s[22:23], exec
	s_and_b64 s[24:25], vcc, exec
	s_or_b64 s[22:23], s[22:23], s[24:25]
	s_cmp_lt_i32 s48, 1
	s_mov_b64 s[26:27], 0
	s_cbranch_scc0 .LBB81_106
.LBB81_111:
                                        ; implicit-def: $sgpr24_sgpr25
	s_mov_b64 s[28:29], 0
	s_cbranch_execnz .LBB81_115
	s_branch .LBB81_116
.LBB81_112:
	s_mov_b64 s[28:29], 0
                                        ; implicit-def: $sgpr24_sgpr25
	s_cbranch_execz .LBB81_114
; %bb.113:
	s_waitcnt vmcnt(3)
	v_cmp_lt_f64_e32 vcc, s[8:9], v[13:14]
	s_andn2_b64 s[24:25], s[24:25], exec
	s_and_b64 s[30:31], vcc, exec
	s_or_b64 s[24:25], s[24:25], s[30:31]
.LBB81_114:
	s_branch .LBB81_116
.LBB81_115:
	s_cmp_lg_u32 s48, 0
	s_mov_b64 s[26:27], -1
	s_cselect_b64 s[28:29], -1, 0
.LBB81_116:
	s_andn2_b64 vcc, exec, s[28:29]
	s_cbranch_vccz .LBB81_122
; %bb.117:
	s_andn2_b64 vcc, exec, s[26:27]
	s_cbranch_vccz .LBB81_123
.LBB81_118:
	s_cmp_lt_i32 s48, 1
	s_mov_b64 s[28:29], 0
	s_cbranch_scc1 .LBB81_124
.LBB81_119:
	s_cmp_gt_i32 s48, 1
	s_cbranch_scc0 .LBB81_125
; %bb.120:
	s_cmp_eq_u32 s48, 2
	s_cbranch_scc0 .LBB81_259
; %bb.121:
	s_waitcnt vmcnt(3)
	v_cmp_ge_f64_e64 s[26:27], s[8:9], v[15:16]
	s_mov_b64 s[30:31], 0
	s_branch .LBB81_127
.LBB81_122:
	s_waitcnt vmcnt(3)
	v_cmp_gt_f64_e32 vcc, s[8:9], v[13:14]
	s_andn2_b64 s[24:25], s[24:25], exec
	s_and_b64 s[28:29], vcc, exec
	s_or_b64 s[24:25], s[24:25], s[28:29]
	s_cbranch_execnz .LBB81_118
.LBB81_123:
	s_waitcnt vmcnt(3)
	v_cmp_le_f64_e32 vcc, s[8:9], v[13:14]
	s_andn2_b64 s[24:25], s[24:25], exec
	s_and_b64 s[26:27], vcc, exec
	s_or_b64 s[24:25], s[24:25], s[26:27]
	s_cmp_lt_i32 s48, 1
	s_mov_b64 s[28:29], 0
	s_cbranch_scc0 .LBB81_119
.LBB81_124:
                                        ; implicit-def: $sgpr26_sgpr27
	s_mov_b64 s[30:31], 0
	s_cbranch_execnz .LBB81_128
	s_branch .LBB81_129
.LBB81_125:
	s_mov_b64 s[30:31], 0
                                        ; implicit-def: $sgpr26_sgpr27
	s_cbranch_execz .LBB81_127
; %bb.126:
	s_waitcnt vmcnt(3)
	v_cmp_lt_f64_e32 vcc, s[8:9], v[15:16]
	s_andn2_b64 s[26:27], s[26:27], exec
	s_and_b64 s[34:35], vcc, exec
	s_or_b64 s[26:27], s[26:27], s[34:35]
.LBB81_127:
	s_branch .LBB81_129
.LBB81_128:
	s_cmp_lg_u32 s48, 0
	s_mov_b64 s[28:29], -1
	s_cselect_b64 s[30:31], -1, 0
.LBB81_129:
	s_andn2_b64 vcc, exec, s[30:31]
	s_cbranch_vccz .LBB81_135
; %bb.130:
	s_andn2_b64 vcc, exec, s[28:29]
	s_cbranch_vccz .LBB81_136
.LBB81_131:
	s_cmp_lt_i32 s48, 1
	s_mov_b64 s[30:31], 0
	s_cbranch_scc1 .LBB81_137
.LBB81_132:
	s_cmp_gt_i32 s48, 1
	s_cbranch_scc0 .LBB81_138
; %bb.133:
	s_cmp_eq_u32 s48, 2
	s_cbranch_scc0 .LBB81_260
; %bb.134:
	s_waitcnt vmcnt(0)
	v_cmp_ge_f64_e64 s[28:29], s[8:9], v[9:10]
	s_mov_b64 s[34:35], 0
	s_branch .LBB81_140
.LBB81_135:
	s_waitcnt vmcnt(3)
	v_cmp_gt_f64_e32 vcc, s[8:9], v[15:16]
	s_andn2_b64 s[26:27], s[26:27], exec
	s_and_b64 s[30:31], vcc, exec
	s_or_b64 s[26:27], s[26:27], s[30:31]
	s_cbranch_execnz .LBB81_131
.LBB81_136:
	s_waitcnt vmcnt(3)
	v_cmp_le_f64_e32 vcc, s[8:9], v[15:16]
	s_andn2_b64 s[26:27], s[26:27], exec
	s_and_b64 s[28:29], vcc, exec
	s_or_b64 s[26:27], s[26:27], s[28:29]
	s_cmp_lt_i32 s48, 1
	s_mov_b64 s[30:31], 0
	s_cbranch_scc0 .LBB81_132
.LBB81_137:
                                        ; implicit-def: $sgpr28_sgpr29
	s_mov_b64 s[34:35], 0
	s_cbranch_execnz .LBB81_141
	s_branch .LBB81_142
.LBB81_138:
	s_mov_b64 s[34:35], 0
                                        ; implicit-def: $sgpr28_sgpr29
	s_cbranch_execz .LBB81_140
; %bb.139:
	s_waitcnt vmcnt(0)
	v_cmp_lt_f64_e32 vcc, s[8:9], v[9:10]
	s_andn2_b64 s[28:29], s[28:29], exec
	s_and_b64 s[36:37], vcc, exec
	s_or_b64 s[28:29], s[28:29], s[36:37]
.LBB81_140:
	s_branch .LBB81_142
.LBB81_141:
	s_cmp_lg_u32 s48, 0
	s_mov_b64 s[30:31], -1
	s_cselect_b64 s[34:35], -1, 0
.LBB81_142:
	s_andn2_b64 vcc, exec, s[34:35]
	s_cbranch_vccz .LBB81_148
; %bb.143:
	s_andn2_b64 vcc, exec, s[30:31]
	s_cbranch_vccz .LBB81_149
.LBB81_144:
	s_cmp_lt_i32 s48, 1
	s_mov_b64 s[34:35], 0
	s_cbranch_scc1 .LBB81_150
.LBB81_145:
	s_cmp_gt_i32 s48, 1
	s_cbranch_scc0 .LBB81_151
; %bb.146:
	s_cmp_eq_u32 s48, 2
	s_cbranch_scc0 .LBB81_261
; %bb.147:
	s_waitcnt vmcnt(0)
	v_cmp_ge_f64_e64 s[30:31], s[8:9], v[11:12]
	s_mov_b64 s[36:37], 0
	s_branch .LBB81_153
.LBB81_148:
	s_waitcnt vmcnt(0)
	v_cmp_gt_f64_e32 vcc, s[8:9], v[9:10]
	s_andn2_b64 s[28:29], s[28:29], exec
	s_and_b64 s[34:35], vcc, exec
	s_or_b64 s[28:29], s[28:29], s[34:35]
	s_cbranch_execnz .LBB81_144
.LBB81_149:
	s_waitcnt vmcnt(0)
	v_cmp_le_f64_e32 vcc, s[8:9], v[9:10]
	s_andn2_b64 s[28:29], s[28:29], exec
	s_and_b64 s[30:31], vcc, exec
	s_or_b64 s[28:29], s[28:29], s[30:31]
	s_cmp_lt_i32 s48, 1
	s_mov_b64 s[34:35], 0
	s_cbranch_scc0 .LBB81_145
.LBB81_150:
                                        ; implicit-def: $sgpr30_sgpr31
	s_mov_b64 s[36:37], 0
	s_cbranch_execnz .LBB81_154
	s_branch .LBB81_155
.LBB81_151:
	s_mov_b64 s[36:37], 0
                                        ; implicit-def: $sgpr30_sgpr31
	s_cbranch_execz .LBB81_153
; %bb.152:
	s_waitcnt vmcnt(0)
	v_cmp_lt_f64_e32 vcc, s[8:9], v[11:12]
	s_andn2_b64 s[30:31], s[30:31], exec
	s_and_b64 s[38:39], vcc, exec
	s_or_b64 s[30:31], s[30:31], s[38:39]
.LBB81_153:
	s_branch .LBB81_155
.LBB81_154:
	s_cmp_lg_u32 s48, 0
	s_mov_b64 s[34:35], -1
	s_cselect_b64 s[36:37], -1, 0
.LBB81_155:
	s_andn2_b64 vcc, exec, s[36:37]
	s_cbranch_vccz .LBB81_161
; %bb.156:
	s_andn2_b64 vcc, exec, s[34:35]
	s_cbranch_vccz .LBB81_162
.LBB81_157:
	s_cmp_lt_i32 s48, 1
	s_mov_b64 s[36:37], 0
	s_cbranch_scc1 .LBB81_163
.LBB81_158:
	s_cmp_gt_i32 s48, 1
	s_cbranch_scc0 .LBB81_164
; %bb.159:
	s_cmp_eq_u32 s48, 2
	s_cbranch_scc0 .LBB81_262
; %bb.160:
	s_waitcnt vmcnt(1)
	v_cmp_ge_f64_e64 s[34:35], s[8:9], v[5:6]
	s_mov_b64 s[38:39], 0
	s_branch .LBB81_166
.LBB81_161:
	s_waitcnt vmcnt(0)
	v_cmp_gt_f64_e32 vcc, s[8:9], v[11:12]
	s_andn2_b64 s[30:31], s[30:31], exec
	s_and_b64 s[36:37], vcc, exec
	s_or_b64 s[30:31], s[30:31], s[36:37]
	s_cbranch_execnz .LBB81_157
.LBB81_162:
	s_waitcnt vmcnt(0)
	v_cmp_le_f64_e32 vcc, s[8:9], v[11:12]
	s_andn2_b64 s[30:31], s[30:31], exec
	s_and_b64 s[34:35], vcc, exec
	s_or_b64 s[30:31], s[30:31], s[34:35]
	s_cmp_lt_i32 s48, 1
	s_mov_b64 s[36:37], 0
	s_cbranch_scc0 .LBB81_158
.LBB81_163:
                                        ; implicit-def: $sgpr34_sgpr35
	s_mov_b64 s[38:39], 0
	s_cbranch_execnz .LBB81_167
	s_branch .LBB81_168
.LBB81_164:
	s_mov_b64 s[38:39], 0
                                        ; implicit-def: $sgpr34_sgpr35
	s_cbranch_execz .LBB81_166
; %bb.165:
	s_waitcnt vmcnt(1)
	v_cmp_lt_f64_e32 vcc, s[8:9], v[5:6]
	s_andn2_b64 s[34:35], s[34:35], exec
	s_and_b64 s[40:41], vcc, exec
	s_or_b64 s[34:35], s[34:35], s[40:41]
.LBB81_166:
	s_branch .LBB81_168
.LBB81_167:
	s_cmp_lg_u32 s48, 0
	s_mov_b64 s[36:37], -1
	s_cselect_b64 s[38:39], -1, 0
.LBB81_168:
	s_andn2_b64 vcc, exec, s[38:39]
	s_cbranch_vccz .LBB81_174
; %bb.169:
	s_andn2_b64 vcc, exec, s[36:37]
	s_cbranch_vccz .LBB81_175
.LBB81_170:
	s_cmp_lt_i32 s48, 1
	s_mov_b64 s[38:39], 0
	s_cbranch_scc1 .LBB81_176
.LBB81_171:
	s_cmp_gt_i32 s48, 1
	s_cbranch_scc0 .LBB81_177
; %bb.172:
	s_cmp_eq_u32 s48, 2
	s_cbranch_scc0 .LBB81_263
; %bb.173:
	s_waitcnt vmcnt(1)
	v_cmp_ge_f64_e64 s[36:37], s[8:9], v[7:8]
	s_mov_b64 s[40:41], 0
	s_branch .LBB81_179
.LBB81_174:
	s_waitcnt vmcnt(1)
	v_cmp_gt_f64_e32 vcc, s[8:9], v[5:6]
	s_andn2_b64 s[34:35], s[34:35], exec
	s_and_b64 s[38:39], vcc, exec
	s_or_b64 s[34:35], s[34:35], s[38:39]
	s_cbranch_execnz .LBB81_170
.LBB81_175:
	s_waitcnt vmcnt(1)
	v_cmp_le_f64_e32 vcc, s[8:9], v[5:6]
	s_andn2_b64 s[34:35], s[34:35], exec
	s_and_b64 s[36:37], vcc, exec
	s_or_b64 s[34:35], s[34:35], s[36:37]
	s_cmp_lt_i32 s48, 1
	s_mov_b64 s[38:39], 0
	s_cbranch_scc0 .LBB81_171
.LBB81_176:
                                        ; implicit-def: $sgpr36_sgpr37
	s_mov_b64 s[40:41], 0
	s_cbranch_execnz .LBB81_180
	s_branch .LBB81_181
.LBB81_177:
	s_mov_b64 s[40:41], 0
                                        ; implicit-def: $sgpr36_sgpr37
	s_cbranch_execz .LBB81_179
; %bb.178:
	s_waitcnt vmcnt(1)
	v_cmp_lt_f64_e32 vcc, s[8:9], v[7:8]
	s_andn2_b64 s[36:37], s[36:37], exec
	s_and_b64 s[42:43], vcc, exec
	s_or_b64 s[36:37], s[36:37], s[42:43]
.LBB81_179:
	s_branch .LBB81_181
.LBB81_180:
	s_cmp_lg_u32 s48, 0
	s_mov_b64 s[38:39], -1
	s_cselect_b64 s[40:41], -1, 0
.LBB81_181:
	s_andn2_b64 vcc, exec, s[40:41]
	s_cbranch_vccz .LBB81_187
; %bb.182:
	s_andn2_b64 vcc, exec, s[38:39]
	s_cbranch_vccz .LBB81_188
.LBB81_183:
	s_cmp_lt_i32 s48, 1
	s_mov_b64 s[40:41], 0
	s_cbranch_scc1 .LBB81_189
.LBB81_184:
	s_cmp_gt_i32 s48, 1
	s_cbranch_scc0 .LBB81_190
; %bb.185:
	s_cmp_eq_u32 s48, 2
	s_cbranch_scc0 .LBB81_264
; %bb.186:
	s_waitcnt vmcnt(2)
	v_cmp_ge_f64_e64 s[38:39], s[8:9], v[1:2]
	s_mov_b64 s[42:43], 0
	s_branch .LBB81_192
.LBB81_187:
	s_waitcnt vmcnt(1)
	v_cmp_gt_f64_e32 vcc, s[8:9], v[7:8]
	s_andn2_b64 s[36:37], s[36:37], exec
	s_and_b64 s[40:41], vcc, exec
	s_or_b64 s[36:37], s[36:37], s[40:41]
	s_cbranch_execnz .LBB81_183
.LBB81_188:
	s_waitcnt vmcnt(1)
	v_cmp_le_f64_e32 vcc, s[8:9], v[7:8]
	s_andn2_b64 s[36:37], s[36:37], exec
	s_and_b64 s[38:39], vcc, exec
	s_or_b64 s[36:37], s[36:37], s[38:39]
	s_cmp_lt_i32 s48, 1
	s_mov_b64 s[40:41], 0
	s_cbranch_scc0 .LBB81_184
.LBB81_189:
                                        ; implicit-def: $sgpr38_sgpr39
	s_mov_b64 s[42:43], 0
	s_cbranch_execnz .LBB81_193
	s_branch .LBB81_194
.LBB81_190:
	s_mov_b64 s[42:43], 0
                                        ; implicit-def: $sgpr38_sgpr39
	s_cbranch_execz .LBB81_192
; %bb.191:
	s_waitcnt vmcnt(2)
	v_cmp_lt_f64_e32 vcc, s[8:9], v[1:2]
	s_andn2_b64 s[38:39], s[38:39], exec
	s_and_b64 s[44:45], vcc, exec
	s_or_b64 s[38:39], s[38:39], s[44:45]
.LBB81_192:
	s_branch .LBB81_194
.LBB81_193:
	s_cmp_lg_u32 s48, 0
	s_mov_b64 s[40:41], -1
	s_cselect_b64 s[42:43], -1, 0
.LBB81_194:
	s_andn2_b64 vcc, exec, s[42:43]
	s_cbranch_vccz .LBB81_200
; %bb.195:
	s_andn2_b64 vcc, exec, s[40:41]
	s_cbranch_vccz .LBB81_201
.LBB81_196:
	s_cmp_lt_i32 s48, 1
	s_mov_b64 s[42:43], 0
	s_cbranch_scc1 .LBB81_202
.LBB81_197:
	s_cmp_gt_i32 s48, 1
	s_cbranch_scc0 .LBB81_203
; %bb.198:
	s_cmp_eq_u32 s48, 2
	s_cbranch_scc0 .LBB81_265
; %bb.199:
	s_waitcnt vmcnt(2)
	v_cmp_ge_f64_e64 s[40:41], s[8:9], v[3:4]
	s_mov_b64 s[44:45], 0
	s_branch .LBB81_205
.LBB81_200:
	s_waitcnt vmcnt(2)
	v_cmp_gt_f64_e32 vcc, s[8:9], v[1:2]
	s_andn2_b64 s[38:39], s[38:39], exec
	s_and_b64 s[42:43], vcc, exec
	s_or_b64 s[38:39], s[38:39], s[42:43]
	s_cbranch_execnz .LBB81_196
.LBB81_201:
	s_waitcnt vmcnt(2)
	v_cmp_le_f64_e32 vcc, s[8:9], v[1:2]
	s_andn2_b64 s[38:39], s[38:39], exec
	s_and_b64 s[40:41], vcc, exec
	s_or_b64 s[38:39], s[38:39], s[40:41]
	s_cmp_lt_i32 s48, 1
	s_mov_b64 s[42:43], 0
	s_cbranch_scc0 .LBB81_197
.LBB81_202:
                                        ; implicit-def: $sgpr40_sgpr41
	s_mov_b64 s[44:45], 0
	s_cbranch_execnz .LBB81_206
	s_branch .LBB81_207
.LBB81_203:
	s_mov_b64 s[44:45], 0
                                        ; implicit-def: $sgpr40_sgpr41
	s_cbranch_execz .LBB81_205
; %bb.204:
	s_waitcnt vmcnt(2)
	v_cmp_lt_f64_e32 vcc, s[8:9], v[3:4]
	s_andn2_b64 s[40:41], s[40:41], exec
	s_and_b64 s[46:47], vcc, exec
	s_or_b64 s[40:41], s[40:41], s[46:47]
.LBB81_205:
	s_branch .LBB81_207
.LBB81_206:
	s_cmp_lg_u32 s48, 0
	s_mov_b64 s[42:43], -1
	s_cselect_b64 s[44:45], -1, 0
.LBB81_207:
	s_andn2_b64 vcc, exec, s[44:45]
	s_cbranch_vccz .LBB81_243
; %bb.208:
	s_andn2_b64 vcc, exec, s[42:43]
	s_cbranch_vccnz .LBB81_210
.LBB81_209:
	s_waitcnt vmcnt(2)
	v_cmp_le_f64_e32 vcc, s[8:9], v[3:4]
	s_andn2_b64 s[40:41], s[40:41], exec
	s_and_b64 s[42:43], vcc, exec
	s_or_b64 s[40:41], s[40:41], s[42:43]
.LBB81_210:
	s_waitcnt vmcnt(2)
	v_mov_b32_e32 v1, 0x100
	v_cndmask_b32_e64 v2, 0, v1, s[26:27]
	v_cndmask_b32_e64 v3, 0, 1, s[24:25]
	v_or_b32_e32 v2, v2, v3
	v_mov_b32_e32 v3, 0x10000
	s_waitcnt vmcnt(1)
	v_mov_b32_e32 v5, 0x1000000
	v_cndmask_b32_e64 v4, 0, v3, s[28:29]
	v_cndmask_b32_e64 v6, 0, v5, s[30:31]
	v_or3_b32 v7, 0, 0, 0
	v_or3_b32 v2, v2, v4, v6
	v_cndmask_b32_e64 v4, 0, 1, s[34:35]
	v_cndmask_b32_e64 v6, 0, v1, s[36:37]
	v_or3_b32 v4, v7, v4, v6
	v_or3_b32 v6, v2, 0, 0
	v_cndmask_b32_e64 v2, 0, v1, s[4:5]
	s_waitcnt vmcnt(0)
	v_cndmask_b32_e64 v9, 0, 1, s[0:1]
	v_or_b32_e32 v2, v2, v9
	v_cndmask_b32_e64 v9, 0, v3, s[6:7]
	v_cndmask_b32_e64 v10, 0, v5, s[14:15]
	v_or3_b32 v2, v2, v9, v10
	v_cndmask_b32_e64 v9, 0, 1, s[16:17]
	v_cndmask_b32_e64 v1, 0, v1, s[18:19]
	;; [unrolled: 1-line block ×3, first 2 shown]
	v_or3_b32 v1, v7, v9, v1
	v_or3_b32 v7, v2, 0, 0
	v_cndmask_b32_e64 v2, 0, v3, s[20:21]
	v_cndmask_b32_e64 v3, 0, v5, s[22:23]
	s_add_u32 s0, s10, s2
	v_or3_b32 v2, v1, v2, v3
	v_or3_b32 v1, v7, 0, 0
	v_cndmask_b32_e64 v3, 0, v5, s[40:41]
	s_addc_u32 s1, s11, s3
	v_lshlrev_b32_e32 v5, 3, v0
	v_or3_b32 v4, v4, v8, v3
	v_or3_b32 v3, v6, 0, 0
	global_store_dwordx2 v5, v[1:2], s[0:1]
	global_store_dwordx2 v5, v[3:4], s[0:1] offset:2048
	s_mov_b64 s[0:1], 0
.LBB81_211:
	s_and_b64 vcc, exec, s[0:1]
	s_cbranch_vccz .LBB81_519
; %bb.212:
	v_mov_b32_e32 v30, 0
	v_mov_b32_e32 v32, 0
	v_cmp_gt_i32_e64 s[0:1], s33, v0
	v_mov_b32_e32 v31, 0
	v_or_b32_e32 v1, s2, v0
	v_mov_b32_e32 v33, 0
	v_mov_b32_e32 v34, v0
	s_and_saveexec_b64 s[4:5], s[0:1]
	s_cbranch_execz .LBB81_214
; %bb.213:
	v_mov_b32_e32 v2, 0
	v_lshlrev_b64 v[2:3], 3, v[1:2]
	v_mov_b32_e32 v4, s13
	v_add_co_u32_e32 v2, vcc, s12, v2
	v_addc_co_u32_e32 v3, vcc, v4, v3, vcc
	global_load_dwordx2 v[32:33], v[2:3], off
	v_or_b32_e32 v34, 0x100, v0
.LBB81_214:
	s_or_b64 exec, exec, s[4:5]
	v_cmp_gt_i32_e32 vcc, s33, v34
	s_and_saveexec_b64 s[4:5], vcc
	s_cbranch_execz .LBB81_216
; %bb.215:
	v_add_u32_e32 v2, s2, v34
	v_mov_b32_e32 v3, 0
	v_lshlrev_b64 v[2:3], 3, v[2:3]
	v_mov_b32_e32 v4, s13
	v_add_co_u32_e32 v2, vcc, s12, v2
	v_addc_co_u32_e32 v3, vcc, v4, v3, vcc
	global_load_dwordx2 v[30:31], v[2:3], off
	v_add_u32_e32 v34, 0x100, v34
.LBB81_216:
	s_or_b64 exec, exec, s[4:5]
	v_mov_b32_e32 v26, 0
	v_mov_b32_e32 v28, 0
	v_mov_b32_e32 v27, 0
	v_mov_b32_e32 v29, 0
	v_cmp_gt_i32_e32 vcc, s33, v34
	s_and_saveexec_b64 s[4:5], vcc
	s_cbranch_execz .LBB81_218
; %bb.217:
	v_add_u32_e32 v2, s2, v34
	v_mov_b32_e32 v3, 0
	v_lshlrev_b64 v[2:3], 3, v[2:3]
	v_mov_b32_e32 v4, s13
	v_add_co_u32_e32 v2, vcc, s12, v2
	v_addc_co_u32_e32 v3, vcc, v4, v3, vcc
	global_load_dwordx2 v[28:29], v[2:3], off
	v_add_u32_e32 v34, 0x100, v34
.LBB81_218:
	s_or_b64 exec, exec, s[4:5]
	v_cmp_gt_i32_e32 vcc, s33, v34
	s_and_saveexec_b64 s[4:5], vcc
	s_cbranch_execz .LBB81_220
; %bb.219:
	v_add_u32_e32 v2, s2, v34
	v_mov_b32_e32 v3, 0
	v_lshlrev_b64 v[2:3], 3, v[2:3]
	v_mov_b32_e32 v4, s13
	v_add_co_u32_e32 v2, vcc, s12, v2
	v_addc_co_u32_e32 v3, vcc, v4, v3, vcc
	global_load_dwordx2 v[26:27], v[2:3], off
	v_add_u32_e32 v34, 0x100, v34
.LBB81_220:
	s_or_b64 exec, exec, s[4:5]
	v_mov_b32_e32 v22, 0
	v_mov_b32_e32 v24, 0
	v_mov_b32_e32 v23, 0
	v_mov_b32_e32 v25, 0
	v_cmp_gt_i32_e32 vcc, s33, v34
	s_and_saveexec_b64 s[4:5], vcc
	s_cbranch_execz .LBB81_222
; %bb.221:
	v_add_u32_e32 v2, s2, v34
	v_mov_b32_e32 v3, 0
	v_lshlrev_b64 v[2:3], 3, v[2:3]
	v_mov_b32_e32 v4, s13
	v_add_co_u32_e32 v2, vcc, s12, v2
	v_addc_co_u32_e32 v3, vcc, v4, v3, vcc
	global_load_dwordx2 v[24:25], v[2:3], off
	v_add_u32_e32 v34, 0x100, v34
.LBB81_222:
	;; [unrolled: 32-line block ×6, first 2 shown]
	s_or_b64 exec, exec, s[4:5]
	v_cmp_gt_i32_e32 vcc, s33, v34
	s_and_saveexec_b64 s[4:5], vcc
	s_cbranch_execz .LBB81_240
; %bb.239:
	v_add_u32_e32 v2, s2, v34
	v_mov_b32_e32 v3, 0
	v_lshlrev_b64 v[2:3], 3, v[2:3]
	v_mov_b32_e32 v4, s13
	v_add_co_u32_e32 v2, vcc, s12, v2
	v_addc_co_u32_e32 v3, vcc, v4, v3, vcc
	global_load_dwordx2 v[6:7], v[2:3], off
	v_add_u32_e32 v34, 0x100, v34
.LBB81_240:
	s_or_b64 exec, exec, s[4:5]
	v_mov_b32_e32 v2, 0
	v_mov_b32_e32 v4, 0
	;; [unrolled: 1-line block ×4, first 2 shown]
	v_cmp_gt_i32_e32 vcc, s33, v34
	s_and_saveexec_b64 s[4:5], vcc
	s_cbranch_execnz .LBB81_244
; %bb.241:
	s_or_b64 exec, exec, s[4:5]
	v_cmp_gt_i32_e32 vcc, s33, v34
	s_and_saveexec_b64 s[4:5], vcc
	s_cbranch_execnz .LBB81_245
.LBB81_242:
	s_or_b64 exec, exec, s[4:5]
                                        ; implicit-def: $vgpr34
	s_and_saveexec_b64 s[4:5], s[0:1]
	s_cbranch_execnz .LBB81_246
	s_branch .LBB81_276
.LBB81_243:
	s_waitcnt vmcnt(2)
	v_cmp_gt_f64_e32 vcc, s[8:9], v[3:4]
	s_andn2_b64 s[40:41], s[40:41], exec
	s_and_b64 s[44:45], vcc, exec
	s_or_b64 s[40:41], s[40:41], s[44:45]
	s_cbranch_execz .LBB81_209
	s_branch .LBB81_210
.LBB81_244:
	v_add_u32_e32 v4, s2, v34
	v_mov_b32_e32 v5, 0
	v_lshlrev_b64 v[4:5], 3, v[4:5]
	v_mov_b32_e32 v35, s13
	v_add_co_u32_e32 v4, vcc, s12, v4
	v_addc_co_u32_e32 v5, vcc, v35, v5, vcc
	global_load_dwordx2 v[4:5], v[4:5], off
	v_add_u32_e32 v34, 0x100, v34
	s_or_b64 exec, exec, s[4:5]
	v_cmp_gt_i32_e32 vcc, s33, v34
	s_and_saveexec_b64 s[4:5], vcc
	s_cbranch_execz .LBB81_242
.LBB81_245:
	v_add_u32_e32 v2, s2, v34
	v_mov_b32_e32 v3, 0
	v_lshlrev_b64 v[2:3], 3, v[2:3]
	v_mov_b32_e32 v34, s13
	v_add_co_u32_e32 v2, vcc, s12, v2
	v_addc_co_u32_e32 v3, vcc, v34, v3, vcc
	global_load_dwordx2 v[2:3], v[2:3], off
	s_or_b64 exec, exec, s[4:5]
                                        ; implicit-def: $vgpr34
	s_and_saveexec_b64 s[4:5], s[0:1]
	s_cbranch_execz .LBB81_276
.LBB81_246:
	s_cmp_lt_i32 s48, 1
	s_mov_b64 s[6:7], 0
	s_cbranch_scc1 .LBB81_250
; %bb.247:
	s_cmp_gt_i32 s48, 1
	s_cbranch_scc0 .LBB81_266
; %bb.248:
	s_cmp_eq_u32 s48, 2
	s_cbranch_scc0 .LBB81_267
; %bb.249:
	s_waitcnt vmcnt(0)
	v_cmp_ge_f64_e64 s[12:13], s[8:9], v[32:33]
	s_mov_b64 s[14:15], 0
	s_branch .LBB81_268
.LBB81_250:
                                        ; implicit-def: $sgpr12_sgpr13
	s_mov_b64 s[14:15], 0
	s_cbranch_execnz .LBB81_271
	s_branch .LBB81_272
.LBB81_251:
	s_mov_b64 s[14:15], -1
                                        ; implicit-def: $sgpr4_sgpr5
	s_branch .LBB81_23
.LBB81_252:
	s_mov_b64 s[16:17], -1
                                        ; implicit-def: $sgpr6_sgpr7
	s_branch .LBB81_36
.LBB81_253:
	s_mov_b64 s[18:19], -1
                                        ; implicit-def: $sgpr14_sgpr15
	s_branch .LBB81_49
.LBB81_254:
	s_mov_b64 s[20:21], -1
                                        ; implicit-def: $sgpr16_sgpr17
	s_branch .LBB81_62
.LBB81_255:
	s_mov_b64 s[22:23], -1
                                        ; implicit-def: $sgpr18_sgpr19
	s_branch .LBB81_75
.LBB81_256:
	s_mov_b64 s[24:25], -1
                                        ; implicit-def: $sgpr20_sgpr21
	s_branch .LBB81_88
.LBB81_257:
	s_mov_b64 s[26:27], -1
                                        ; implicit-def: $sgpr22_sgpr23
	s_branch .LBB81_101
.LBB81_258:
	s_mov_b64 s[28:29], -1
                                        ; implicit-def: $sgpr24_sgpr25
	s_branch .LBB81_114
.LBB81_259:
	s_mov_b64 s[30:31], -1
                                        ; implicit-def: $sgpr26_sgpr27
	s_branch .LBB81_127
.LBB81_260:
	s_mov_b64 s[34:35], -1
                                        ; implicit-def: $sgpr28_sgpr29
	s_branch .LBB81_140
.LBB81_261:
	s_mov_b64 s[36:37], -1
                                        ; implicit-def: $sgpr30_sgpr31
	s_branch .LBB81_153
.LBB81_262:
	s_mov_b64 s[38:39], -1
                                        ; implicit-def: $sgpr34_sgpr35
	s_branch .LBB81_166
.LBB81_263:
	s_mov_b64 s[40:41], -1
                                        ; implicit-def: $sgpr36_sgpr37
	s_branch .LBB81_179
.LBB81_264:
	s_mov_b64 s[42:43], -1
                                        ; implicit-def: $sgpr38_sgpr39
	s_branch .LBB81_192
.LBB81_265:
	s_mov_b64 s[44:45], -1
                                        ; implicit-def: $sgpr40_sgpr41
	s_branch .LBB81_205
.LBB81_266:
	s_mov_b64 s[14:15], 0
                                        ; implicit-def: $sgpr12_sgpr13
	s_cbranch_execnz .LBB81_269
	s_branch .LBB81_270
.LBB81_267:
	s_mov_b64 s[14:15], -1
                                        ; implicit-def: $sgpr12_sgpr13
.LBB81_268:
	s_branch .LBB81_270
.LBB81_269:
	s_waitcnt vmcnt(0)
	v_cmp_lt_f64_e32 vcc, s[8:9], v[32:33]
	s_andn2_b64 s[12:13], s[12:13], exec
	s_and_b64 s[16:17], vcc, exec
	s_or_b64 s[12:13], s[12:13], s[16:17]
.LBB81_270:
	s_branch .LBB81_272
.LBB81_271:
	s_cmp_lg_u32 s48, 0
	s_mov_b64 s[6:7], -1
	s_cselect_b64 s[14:15], -1, 0
.LBB81_272:
	s_andn2_b64 vcc, exec, s[14:15]
	s_cbranch_vccz .LBB81_281
; %bb.273:
	s_andn2_b64 vcc, exec, s[6:7]
	s_cbranch_vccnz .LBB81_275
.LBB81_274:
	s_waitcnt vmcnt(0)
	v_cmp_le_f64_e32 vcc, s[8:9], v[32:33]
	s_andn2_b64 s[6:7], s[12:13], exec
	s_and_b64 s[12:13], vcc, exec
	s_or_b64 s[12:13], s[6:7], s[12:13]
.LBB81_275:
	v_cndmask_b32_e64 v34, 0, 1, s[12:13]
.LBB81_276:
	s_or_b64 exec, exec, s[4:5]
	s_waitcnt vmcnt(0)
	v_or_b32_e32 v32, 0x100, v0
	v_cmp_gt_i32_e32 vcc, s33, v32
                                        ; implicit-def: $vgpr33
	s_and_saveexec_b64 s[4:5], vcc
	s_cbranch_execz .LBB81_291
; %bb.277:
	s_cmp_lt_i32 s48, 1
	s_mov_b64 s[6:7], 0
	s_cbranch_scc1 .LBB81_282
; %bb.278:
	s_cmp_gt_i32 s48, 1
	s_cbranch_scc0 .LBB81_283
; %bb.279:
	s_cmp_eq_u32 s48, 2
	s_cbranch_scc0 .LBB81_535
; %bb.280:
	v_cmp_ge_f64_e64 s[12:13], s[8:9], v[30:31]
	s_mov_b64 s[14:15], 0
	s_branch .LBB81_285
.LBB81_281:
	s_waitcnt vmcnt(0)
	v_cmp_gt_f64_e32 vcc, s[8:9], v[32:33]
	s_andn2_b64 s[12:13], s[12:13], exec
	s_and_b64 s[14:15], vcc, exec
	s_or_b64 s[12:13], s[12:13], s[14:15]
	s_cbranch_execz .LBB81_274
	s_branch .LBB81_275
.LBB81_282:
                                        ; implicit-def: $sgpr12_sgpr13
	s_mov_b64 s[14:15], 0
	s_cbranch_execnz .LBB81_286
	s_branch .LBB81_287
.LBB81_283:
	s_mov_b64 s[14:15], 0
                                        ; implicit-def: $sgpr12_sgpr13
	s_cbranch_execz .LBB81_285
; %bb.284:
	v_cmp_lt_f64_e32 vcc, s[8:9], v[30:31]
	s_andn2_b64 s[12:13], s[12:13], exec
	s_and_b64 s[16:17], vcc, exec
	s_or_b64 s[12:13], s[12:13], s[16:17]
.LBB81_285:
	s_branch .LBB81_287
.LBB81_286:
	s_cmp_lg_u32 s48, 0
	s_mov_b64 s[6:7], -1
	s_cselect_b64 s[14:15], -1, 0
.LBB81_287:
	s_andn2_b64 vcc, exec, s[14:15]
	s_cbranch_vccz .LBB81_296
; %bb.288:
	s_andn2_b64 vcc, exec, s[6:7]
	s_cbranch_vccnz .LBB81_290
.LBB81_289:
	v_cmp_le_f64_e32 vcc, s[8:9], v[30:31]
	s_andn2_b64 s[6:7], s[12:13], exec
	s_and_b64 s[12:13], vcc, exec
	s_or_b64 s[12:13], s[6:7], s[12:13]
.LBB81_290:
	v_cndmask_b32_e64 v33, 0, 1, s[12:13]
.LBB81_291:
	s_or_b64 exec, exec, s[4:5]
	v_or_b32_e32 v30, 0x200, v0
	v_cmp_gt_i32_e32 vcc, s33, v30
                                        ; implicit-def: $vgpr30
	s_and_saveexec_b64 s[4:5], vcc
	s_cbranch_execz .LBB81_306
; %bb.292:
	s_cmp_lt_i32 s48, 1
	s_mov_b64 s[6:7], 0
	s_cbranch_scc1 .LBB81_297
; %bb.293:
	s_cmp_gt_i32 s48, 1
	s_cbranch_scc0 .LBB81_298
; %bb.294:
	s_cmp_eq_u32 s48, 2
	s_cbranch_scc0 .LBB81_536
; %bb.295:
	v_cmp_ge_f64_e64 s[12:13], s[8:9], v[28:29]
	s_mov_b64 s[14:15], 0
	s_branch .LBB81_300
.LBB81_296:
	v_cmp_gt_f64_e32 vcc, s[8:9], v[30:31]
	s_andn2_b64 s[12:13], s[12:13], exec
	s_and_b64 s[14:15], vcc, exec
	s_or_b64 s[12:13], s[12:13], s[14:15]
	s_cbranch_execz .LBB81_289
	s_branch .LBB81_290
.LBB81_297:
                                        ; implicit-def: $sgpr12_sgpr13
	s_mov_b64 s[14:15], 0
	s_cbranch_execnz .LBB81_301
	s_branch .LBB81_302
.LBB81_298:
	s_mov_b64 s[14:15], 0
                                        ; implicit-def: $sgpr12_sgpr13
	s_cbranch_execz .LBB81_300
; %bb.299:
	v_cmp_lt_f64_e32 vcc, s[8:9], v[28:29]
	s_andn2_b64 s[12:13], s[12:13], exec
	s_and_b64 s[16:17], vcc, exec
	s_or_b64 s[12:13], s[12:13], s[16:17]
.LBB81_300:
	s_branch .LBB81_302
.LBB81_301:
	s_cmp_lg_u32 s48, 0
	s_mov_b64 s[6:7], -1
	s_cselect_b64 s[14:15], -1, 0
.LBB81_302:
	s_andn2_b64 vcc, exec, s[14:15]
	s_cbranch_vccz .LBB81_311
; %bb.303:
	s_andn2_b64 vcc, exec, s[6:7]
	s_cbranch_vccnz .LBB81_305
.LBB81_304:
	v_cmp_le_f64_e32 vcc, s[8:9], v[28:29]
	s_andn2_b64 s[6:7], s[12:13], exec
	s_and_b64 s[12:13], vcc, exec
	s_or_b64 s[12:13], s[6:7], s[12:13]
.LBB81_305:
	v_cndmask_b32_e64 v30, 0, 1, s[12:13]
.LBB81_306:
	s_or_b64 exec, exec, s[4:5]
	v_or_b32_e32 v28, 0x300, v0
	v_cmp_gt_i32_e32 vcc, s33, v28
                                        ; implicit-def: $vgpr28
	s_and_saveexec_b64 s[4:5], vcc
	s_cbranch_execz .LBB81_321
; %bb.307:
	s_cmp_lt_i32 s48, 1
	s_mov_b64 s[6:7], 0
	s_cbranch_scc1 .LBB81_312
; %bb.308:
	s_cmp_gt_i32 s48, 1
	s_cbranch_scc0 .LBB81_313
; %bb.309:
	s_cmp_eq_u32 s48, 2
	s_cbranch_scc0 .LBB81_537
; %bb.310:
	v_cmp_ge_f64_e64 s[12:13], s[8:9], v[26:27]
	s_mov_b64 s[14:15], 0
	s_branch .LBB81_315
.LBB81_311:
	v_cmp_gt_f64_e32 vcc, s[8:9], v[28:29]
	s_andn2_b64 s[12:13], s[12:13], exec
	s_and_b64 s[14:15], vcc, exec
	s_or_b64 s[12:13], s[12:13], s[14:15]
	s_cbranch_execz .LBB81_304
	s_branch .LBB81_305
.LBB81_312:
                                        ; implicit-def: $sgpr12_sgpr13
	s_mov_b64 s[14:15], 0
	s_cbranch_execnz .LBB81_316
	s_branch .LBB81_317
.LBB81_313:
	s_mov_b64 s[14:15], 0
                                        ; implicit-def: $sgpr12_sgpr13
	s_cbranch_execz .LBB81_315
; %bb.314:
	v_cmp_lt_f64_e32 vcc, s[8:9], v[26:27]
	s_andn2_b64 s[12:13], s[12:13], exec
	s_and_b64 s[16:17], vcc, exec
	s_or_b64 s[12:13], s[12:13], s[16:17]
.LBB81_315:
	s_branch .LBB81_317
.LBB81_316:
	s_cmp_lg_u32 s48, 0
	s_mov_b64 s[6:7], -1
	s_cselect_b64 s[14:15], -1, 0
.LBB81_317:
	s_andn2_b64 vcc, exec, s[14:15]
	s_cbranch_vccz .LBB81_326
; %bb.318:
	s_andn2_b64 vcc, exec, s[6:7]
	s_cbranch_vccnz .LBB81_320
.LBB81_319:
	v_cmp_le_f64_e32 vcc, s[8:9], v[26:27]
	s_andn2_b64 s[6:7], s[12:13], exec
	s_and_b64 s[12:13], vcc, exec
	s_or_b64 s[12:13], s[6:7], s[12:13]
.LBB81_320:
	v_cndmask_b32_e64 v28, 0, 1, s[12:13]
.LBB81_321:
	s_or_b64 exec, exec, s[4:5]
	v_or_b32_e32 v26, 0x400, v0
	v_cmp_gt_i32_e32 vcc, s33, v26
                                        ; implicit-def: $vgpr26
	s_and_saveexec_b64 s[4:5], vcc
	s_cbranch_execz .LBB81_336
; %bb.322:
	s_cmp_lt_i32 s48, 1
	s_mov_b64 s[6:7], 0
	s_cbranch_scc1 .LBB81_327
; %bb.323:
	s_cmp_gt_i32 s48, 1
	s_cbranch_scc0 .LBB81_328
; %bb.324:
	s_cmp_eq_u32 s48, 2
	s_cbranch_scc0 .LBB81_538
; %bb.325:
	v_cmp_ge_f64_e64 s[12:13], s[8:9], v[24:25]
	s_mov_b64 s[14:15], 0
	s_branch .LBB81_330
.LBB81_326:
	v_cmp_gt_f64_e32 vcc, s[8:9], v[26:27]
	s_andn2_b64 s[12:13], s[12:13], exec
	s_and_b64 s[14:15], vcc, exec
	s_or_b64 s[12:13], s[12:13], s[14:15]
	s_cbranch_execz .LBB81_319
	s_branch .LBB81_320
.LBB81_327:
                                        ; implicit-def: $sgpr12_sgpr13
	s_mov_b64 s[14:15], 0
	s_cbranch_execnz .LBB81_331
	s_branch .LBB81_332
.LBB81_328:
	s_mov_b64 s[14:15], 0
                                        ; implicit-def: $sgpr12_sgpr13
	s_cbranch_execz .LBB81_330
; %bb.329:
	v_cmp_lt_f64_e32 vcc, s[8:9], v[24:25]
	s_andn2_b64 s[12:13], s[12:13], exec
	s_and_b64 s[16:17], vcc, exec
	s_or_b64 s[12:13], s[12:13], s[16:17]
.LBB81_330:
	s_branch .LBB81_332
.LBB81_331:
	s_cmp_lg_u32 s48, 0
	s_mov_b64 s[6:7], -1
	s_cselect_b64 s[14:15], -1, 0
.LBB81_332:
	s_andn2_b64 vcc, exec, s[14:15]
	s_cbranch_vccz .LBB81_341
; %bb.333:
	s_andn2_b64 vcc, exec, s[6:7]
	s_cbranch_vccnz .LBB81_335
.LBB81_334:
	v_cmp_le_f64_e32 vcc, s[8:9], v[24:25]
	s_andn2_b64 s[6:7], s[12:13], exec
	s_and_b64 s[12:13], vcc, exec
	s_or_b64 s[12:13], s[6:7], s[12:13]
.LBB81_335:
	v_cndmask_b32_e64 v26, 0, 1, s[12:13]
.LBB81_336:
	s_or_b64 exec, exec, s[4:5]
	v_or_b32_e32 v24, 0x500, v0
	v_cmp_gt_i32_e32 vcc, s33, v24
                                        ; implicit-def: $vgpr24
	s_and_saveexec_b64 s[4:5], vcc
	s_cbranch_execz .LBB81_351
; %bb.337:
	s_cmp_lt_i32 s48, 1
	s_mov_b64 s[6:7], 0
	s_cbranch_scc1 .LBB81_342
; %bb.338:
	s_cmp_gt_i32 s48, 1
	s_cbranch_scc0 .LBB81_343
; %bb.339:
	s_cmp_eq_u32 s48, 2
	s_cbranch_scc0 .LBB81_539
; %bb.340:
	v_cmp_ge_f64_e64 s[12:13], s[8:9], v[22:23]
	s_mov_b64 s[14:15], 0
	s_branch .LBB81_345
.LBB81_341:
	v_cmp_gt_f64_e32 vcc, s[8:9], v[24:25]
	s_andn2_b64 s[12:13], s[12:13], exec
	s_and_b64 s[14:15], vcc, exec
	s_or_b64 s[12:13], s[12:13], s[14:15]
	s_cbranch_execz .LBB81_334
	s_branch .LBB81_335
.LBB81_342:
                                        ; implicit-def: $sgpr12_sgpr13
	s_mov_b64 s[14:15], 0
	s_cbranch_execnz .LBB81_346
	s_branch .LBB81_347
.LBB81_343:
	s_mov_b64 s[14:15], 0
                                        ; implicit-def: $sgpr12_sgpr13
	s_cbranch_execz .LBB81_345
; %bb.344:
	v_cmp_lt_f64_e32 vcc, s[8:9], v[22:23]
	s_andn2_b64 s[12:13], s[12:13], exec
	s_and_b64 s[16:17], vcc, exec
	s_or_b64 s[12:13], s[12:13], s[16:17]
.LBB81_345:
	s_branch .LBB81_347
.LBB81_346:
	s_cmp_lg_u32 s48, 0
	s_mov_b64 s[6:7], -1
	s_cselect_b64 s[14:15], -1, 0
.LBB81_347:
	s_andn2_b64 vcc, exec, s[14:15]
	s_cbranch_vccz .LBB81_356
; %bb.348:
	s_andn2_b64 vcc, exec, s[6:7]
	s_cbranch_vccnz .LBB81_350
.LBB81_349:
	v_cmp_le_f64_e32 vcc, s[8:9], v[22:23]
	s_andn2_b64 s[6:7], s[12:13], exec
	s_and_b64 s[12:13], vcc, exec
	s_or_b64 s[12:13], s[6:7], s[12:13]
.LBB81_350:
	v_cndmask_b32_e64 v24, 0, 1, s[12:13]
.LBB81_351:
	s_or_b64 exec, exec, s[4:5]
	v_or_b32_e32 v22, 0x600, v0
	v_cmp_gt_i32_e32 vcc, s33, v22
                                        ; implicit-def: $vgpr22
	s_and_saveexec_b64 s[4:5], vcc
	s_cbranch_execz .LBB81_366
; %bb.352:
	s_cmp_lt_i32 s48, 1
	s_mov_b64 s[6:7], 0
	s_cbranch_scc1 .LBB81_357
; %bb.353:
	s_cmp_gt_i32 s48, 1
	s_cbranch_scc0 .LBB81_358
; %bb.354:
	s_cmp_eq_u32 s48, 2
	s_cbranch_scc0 .LBB81_540
; %bb.355:
	v_cmp_ge_f64_e64 s[12:13], s[8:9], v[20:21]
	s_mov_b64 s[14:15], 0
	s_branch .LBB81_360
.LBB81_356:
	v_cmp_gt_f64_e32 vcc, s[8:9], v[22:23]
	s_andn2_b64 s[12:13], s[12:13], exec
	s_and_b64 s[14:15], vcc, exec
	s_or_b64 s[12:13], s[12:13], s[14:15]
	s_cbranch_execz .LBB81_349
	s_branch .LBB81_350
.LBB81_357:
                                        ; implicit-def: $sgpr12_sgpr13
	s_mov_b64 s[14:15], 0
	s_cbranch_execnz .LBB81_361
	s_branch .LBB81_362
.LBB81_358:
	s_mov_b64 s[14:15], 0
                                        ; implicit-def: $sgpr12_sgpr13
	s_cbranch_execz .LBB81_360
; %bb.359:
	v_cmp_lt_f64_e32 vcc, s[8:9], v[20:21]
	s_andn2_b64 s[12:13], s[12:13], exec
	s_and_b64 s[16:17], vcc, exec
	s_or_b64 s[12:13], s[12:13], s[16:17]
.LBB81_360:
	s_branch .LBB81_362
.LBB81_361:
	s_cmp_lg_u32 s48, 0
	s_mov_b64 s[6:7], -1
	s_cselect_b64 s[14:15], -1, 0
.LBB81_362:
	s_andn2_b64 vcc, exec, s[14:15]
	s_cbranch_vccz .LBB81_371
; %bb.363:
	s_andn2_b64 vcc, exec, s[6:7]
	s_cbranch_vccnz .LBB81_365
.LBB81_364:
	v_cmp_le_f64_e32 vcc, s[8:9], v[20:21]
	s_andn2_b64 s[6:7], s[12:13], exec
	s_and_b64 s[12:13], vcc, exec
	s_or_b64 s[12:13], s[6:7], s[12:13]
.LBB81_365:
	v_cndmask_b32_e64 v22, 0, 1, s[12:13]
.LBB81_366:
	s_or_b64 exec, exec, s[4:5]
	v_or_b32_e32 v20, 0x700, v0
	v_cmp_gt_i32_e32 vcc, s33, v20
                                        ; implicit-def: $vgpr20
	s_and_saveexec_b64 s[4:5], vcc
	s_cbranch_execz .LBB81_381
; %bb.367:
	s_cmp_lt_i32 s48, 1
	s_mov_b64 s[6:7], 0
	s_cbranch_scc1 .LBB81_372
; %bb.368:
	s_cmp_gt_i32 s48, 1
	s_cbranch_scc0 .LBB81_373
; %bb.369:
	s_cmp_eq_u32 s48, 2
	s_cbranch_scc0 .LBB81_541
; %bb.370:
	v_cmp_ge_f64_e64 s[12:13], s[8:9], v[18:19]
	s_mov_b64 s[14:15], 0
	s_branch .LBB81_375
.LBB81_371:
	v_cmp_gt_f64_e32 vcc, s[8:9], v[20:21]
	s_andn2_b64 s[12:13], s[12:13], exec
	s_and_b64 s[14:15], vcc, exec
	s_or_b64 s[12:13], s[12:13], s[14:15]
	s_cbranch_execz .LBB81_364
	s_branch .LBB81_365
.LBB81_372:
                                        ; implicit-def: $sgpr12_sgpr13
	s_mov_b64 s[14:15], 0
	s_cbranch_execnz .LBB81_376
	s_branch .LBB81_377
.LBB81_373:
	s_mov_b64 s[14:15], 0
                                        ; implicit-def: $sgpr12_sgpr13
	s_cbranch_execz .LBB81_375
; %bb.374:
	v_cmp_lt_f64_e32 vcc, s[8:9], v[18:19]
	s_andn2_b64 s[12:13], s[12:13], exec
	s_and_b64 s[16:17], vcc, exec
	s_or_b64 s[12:13], s[12:13], s[16:17]
.LBB81_375:
	s_branch .LBB81_377
.LBB81_376:
	s_cmp_lg_u32 s48, 0
	s_mov_b64 s[6:7], -1
	s_cselect_b64 s[14:15], -1, 0
.LBB81_377:
	s_andn2_b64 vcc, exec, s[14:15]
	s_cbranch_vccz .LBB81_386
; %bb.378:
	s_andn2_b64 vcc, exec, s[6:7]
	s_cbranch_vccnz .LBB81_380
.LBB81_379:
	v_cmp_le_f64_e32 vcc, s[8:9], v[18:19]
	s_andn2_b64 s[6:7], s[12:13], exec
	s_and_b64 s[12:13], vcc, exec
	s_or_b64 s[12:13], s[6:7], s[12:13]
.LBB81_380:
	v_cndmask_b32_e64 v20, 0, 1, s[12:13]
.LBB81_381:
	s_or_b64 exec, exec, s[4:5]
	v_or_b32_e32 v18, 0x800, v0
	v_cmp_gt_i32_e32 vcc, s33, v18
                                        ; implicit-def: $vgpr18
	s_and_saveexec_b64 s[4:5], vcc
	s_cbranch_execz .LBB81_396
; %bb.382:
	s_cmp_lt_i32 s48, 1
	s_mov_b64 s[6:7], 0
	s_cbranch_scc1 .LBB81_387
; %bb.383:
	s_cmp_gt_i32 s48, 1
	s_cbranch_scc0 .LBB81_388
; %bb.384:
	s_cmp_eq_u32 s48, 2
	s_cbranch_scc0 .LBB81_542
; %bb.385:
	v_cmp_ge_f64_e64 s[12:13], s[8:9], v[16:17]
	s_mov_b64 s[14:15], 0
	s_branch .LBB81_390
.LBB81_386:
	v_cmp_gt_f64_e32 vcc, s[8:9], v[18:19]
	s_andn2_b64 s[12:13], s[12:13], exec
	s_and_b64 s[14:15], vcc, exec
	s_or_b64 s[12:13], s[12:13], s[14:15]
	s_cbranch_execz .LBB81_379
	s_branch .LBB81_380
.LBB81_387:
                                        ; implicit-def: $sgpr12_sgpr13
	s_mov_b64 s[14:15], 0
	s_cbranch_execnz .LBB81_391
	s_branch .LBB81_392
.LBB81_388:
	s_mov_b64 s[14:15], 0
                                        ; implicit-def: $sgpr12_sgpr13
	s_cbranch_execz .LBB81_390
; %bb.389:
	v_cmp_lt_f64_e32 vcc, s[8:9], v[16:17]
	s_andn2_b64 s[12:13], s[12:13], exec
	s_and_b64 s[16:17], vcc, exec
	s_or_b64 s[12:13], s[12:13], s[16:17]
.LBB81_390:
	s_branch .LBB81_392
.LBB81_391:
	s_cmp_lg_u32 s48, 0
	s_mov_b64 s[6:7], -1
	s_cselect_b64 s[14:15], -1, 0
.LBB81_392:
	s_andn2_b64 vcc, exec, s[14:15]
	s_cbranch_vccz .LBB81_401
; %bb.393:
	s_andn2_b64 vcc, exec, s[6:7]
	s_cbranch_vccnz .LBB81_395
.LBB81_394:
	v_cmp_le_f64_e32 vcc, s[8:9], v[16:17]
	s_andn2_b64 s[6:7], s[12:13], exec
	s_and_b64 s[12:13], vcc, exec
	s_or_b64 s[12:13], s[6:7], s[12:13]
.LBB81_395:
	v_cndmask_b32_e64 v18, 0, 1, s[12:13]
.LBB81_396:
	s_or_b64 exec, exec, s[4:5]
	v_or_b32_e32 v16, 0x900, v0
	v_cmp_gt_i32_e32 vcc, s33, v16
                                        ; implicit-def: $vgpr16
	s_and_saveexec_b64 s[4:5], vcc
	s_cbranch_execz .LBB81_411
; %bb.397:
	s_cmp_lt_i32 s48, 1
	s_mov_b64 s[6:7], 0
	s_cbranch_scc1 .LBB81_402
; %bb.398:
	s_cmp_gt_i32 s48, 1
	s_cbranch_scc0 .LBB81_403
; %bb.399:
	s_cmp_eq_u32 s48, 2
	s_cbranch_scc0 .LBB81_543
; %bb.400:
	v_cmp_ge_f64_e64 s[12:13], s[8:9], v[14:15]
	s_mov_b64 s[14:15], 0
	s_branch .LBB81_405
.LBB81_401:
	v_cmp_gt_f64_e32 vcc, s[8:9], v[16:17]
	s_andn2_b64 s[12:13], s[12:13], exec
	s_and_b64 s[14:15], vcc, exec
	s_or_b64 s[12:13], s[12:13], s[14:15]
	s_cbranch_execz .LBB81_394
	s_branch .LBB81_395
.LBB81_402:
                                        ; implicit-def: $sgpr12_sgpr13
	s_mov_b64 s[14:15], 0
	s_cbranch_execnz .LBB81_406
	s_branch .LBB81_407
.LBB81_403:
	s_mov_b64 s[14:15], 0
                                        ; implicit-def: $sgpr12_sgpr13
	s_cbranch_execz .LBB81_405
; %bb.404:
	v_cmp_lt_f64_e32 vcc, s[8:9], v[14:15]
	s_andn2_b64 s[12:13], s[12:13], exec
	s_and_b64 s[16:17], vcc, exec
	s_or_b64 s[12:13], s[12:13], s[16:17]
.LBB81_405:
	s_branch .LBB81_407
.LBB81_406:
	s_cmp_lg_u32 s48, 0
	s_mov_b64 s[6:7], -1
	s_cselect_b64 s[14:15], -1, 0
.LBB81_407:
	s_andn2_b64 vcc, exec, s[14:15]
	s_cbranch_vccz .LBB81_416
; %bb.408:
	s_andn2_b64 vcc, exec, s[6:7]
	s_cbranch_vccnz .LBB81_410
.LBB81_409:
	v_cmp_le_f64_e32 vcc, s[8:9], v[14:15]
	s_andn2_b64 s[6:7], s[12:13], exec
	s_and_b64 s[12:13], vcc, exec
	s_or_b64 s[12:13], s[6:7], s[12:13]
.LBB81_410:
	v_cndmask_b32_e64 v16, 0, 1, s[12:13]
.LBB81_411:
	s_or_b64 exec, exec, s[4:5]
	v_or_b32_e32 v14, 0xa00, v0
	v_cmp_gt_i32_e32 vcc, s33, v14
                                        ; implicit-def: $vgpr14
	s_and_saveexec_b64 s[4:5], vcc
	s_cbranch_execz .LBB81_426
; %bb.412:
	s_cmp_lt_i32 s48, 1
	s_mov_b64 s[6:7], 0
	s_cbranch_scc1 .LBB81_417
; %bb.413:
	s_cmp_gt_i32 s48, 1
	s_cbranch_scc0 .LBB81_418
; %bb.414:
	s_cmp_eq_u32 s48, 2
	s_cbranch_scc0 .LBB81_544
; %bb.415:
	v_cmp_ge_f64_e64 s[12:13], s[8:9], v[12:13]
	s_mov_b64 s[14:15], 0
	s_branch .LBB81_420
.LBB81_416:
	v_cmp_gt_f64_e32 vcc, s[8:9], v[14:15]
	s_andn2_b64 s[12:13], s[12:13], exec
	s_and_b64 s[14:15], vcc, exec
	s_or_b64 s[12:13], s[12:13], s[14:15]
	s_cbranch_execz .LBB81_409
	s_branch .LBB81_410
.LBB81_417:
                                        ; implicit-def: $sgpr12_sgpr13
	s_mov_b64 s[14:15], 0
	s_cbranch_execnz .LBB81_421
	s_branch .LBB81_422
.LBB81_418:
	s_mov_b64 s[14:15], 0
                                        ; implicit-def: $sgpr12_sgpr13
	s_cbranch_execz .LBB81_420
; %bb.419:
	v_cmp_lt_f64_e32 vcc, s[8:9], v[12:13]
	s_andn2_b64 s[12:13], s[12:13], exec
	s_and_b64 s[16:17], vcc, exec
	s_or_b64 s[12:13], s[12:13], s[16:17]
.LBB81_420:
	s_branch .LBB81_422
.LBB81_421:
	s_cmp_lg_u32 s48, 0
	s_mov_b64 s[6:7], -1
	s_cselect_b64 s[14:15], -1, 0
.LBB81_422:
	s_andn2_b64 vcc, exec, s[14:15]
	s_cbranch_vccz .LBB81_431
; %bb.423:
	s_andn2_b64 vcc, exec, s[6:7]
	s_cbranch_vccnz .LBB81_425
.LBB81_424:
	v_cmp_le_f64_e32 vcc, s[8:9], v[12:13]
	s_andn2_b64 s[6:7], s[12:13], exec
	s_and_b64 s[12:13], vcc, exec
	s_or_b64 s[12:13], s[6:7], s[12:13]
.LBB81_425:
	v_cndmask_b32_e64 v14, 0, 1, s[12:13]
.LBB81_426:
	s_or_b64 exec, exec, s[4:5]
	v_or_b32_e32 v12, 0xb00, v0
	v_cmp_gt_i32_e32 vcc, s33, v12
                                        ; implicit-def: $vgpr12
	s_and_saveexec_b64 s[4:5], vcc
	s_cbranch_execz .LBB81_441
; %bb.427:
	s_cmp_lt_i32 s48, 1
	s_mov_b64 s[6:7], 0
	s_cbranch_scc1 .LBB81_432
; %bb.428:
	s_cmp_gt_i32 s48, 1
	s_cbranch_scc0 .LBB81_433
; %bb.429:
	s_cmp_eq_u32 s48, 2
	s_cbranch_scc0 .LBB81_545
; %bb.430:
	v_cmp_ge_f64_e64 s[12:13], s[8:9], v[10:11]
	s_mov_b64 s[14:15], 0
	s_branch .LBB81_435
.LBB81_431:
	v_cmp_gt_f64_e32 vcc, s[8:9], v[12:13]
	s_andn2_b64 s[12:13], s[12:13], exec
	s_and_b64 s[14:15], vcc, exec
	s_or_b64 s[12:13], s[12:13], s[14:15]
	s_cbranch_execz .LBB81_424
	s_branch .LBB81_425
.LBB81_432:
                                        ; implicit-def: $sgpr12_sgpr13
	s_mov_b64 s[14:15], 0
	s_cbranch_execnz .LBB81_436
	s_branch .LBB81_437
.LBB81_433:
	s_mov_b64 s[14:15], 0
                                        ; implicit-def: $sgpr12_sgpr13
	s_cbranch_execz .LBB81_435
; %bb.434:
	v_cmp_lt_f64_e32 vcc, s[8:9], v[10:11]
	s_andn2_b64 s[12:13], s[12:13], exec
	s_and_b64 s[16:17], vcc, exec
	s_or_b64 s[12:13], s[12:13], s[16:17]
.LBB81_435:
	s_branch .LBB81_437
.LBB81_436:
	s_cmp_lg_u32 s48, 0
	s_mov_b64 s[6:7], -1
	s_cselect_b64 s[14:15], -1, 0
.LBB81_437:
	s_andn2_b64 vcc, exec, s[14:15]
	s_cbranch_vccz .LBB81_446
; %bb.438:
	s_andn2_b64 vcc, exec, s[6:7]
	s_cbranch_vccnz .LBB81_440
.LBB81_439:
	v_cmp_le_f64_e32 vcc, s[8:9], v[10:11]
	s_andn2_b64 s[6:7], s[12:13], exec
	s_and_b64 s[12:13], vcc, exec
	s_or_b64 s[12:13], s[6:7], s[12:13]
.LBB81_440:
	v_cndmask_b32_e64 v12, 0, 1, s[12:13]
.LBB81_441:
	s_or_b64 exec, exec, s[4:5]
	v_or_b32_e32 v10, 0xc00, v0
	v_cmp_gt_i32_e32 vcc, s33, v10
                                        ; implicit-def: $vgpr10
	s_and_saveexec_b64 s[4:5], vcc
	s_cbranch_execz .LBB81_456
; %bb.442:
	s_cmp_lt_i32 s48, 1
	s_mov_b64 s[6:7], 0
	s_cbranch_scc1 .LBB81_447
; %bb.443:
	s_cmp_gt_i32 s48, 1
	s_cbranch_scc0 .LBB81_448
; %bb.444:
	s_cmp_eq_u32 s48, 2
	s_cbranch_scc0 .LBB81_546
; %bb.445:
	v_cmp_ge_f64_e64 s[12:13], s[8:9], v[8:9]
	s_mov_b64 s[14:15], 0
	s_branch .LBB81_450
.LBB81_446:
	v_cmp_gt_f64_e32 vcc, s[8:9], v[10:11]
	s_andn2_b64 s[12:13], s[12:13], exec
	s_and_b64 s[14:15], vcc, exec
	s_or_b64 s[12:13], s[12:13], s[14:15]
	s_cbranch_execz .LBB81_439
	s_branch .LBB81_440
.LBB81_447:
                                        ; implicit-def: $sgpr12_sgpr13
	s_mov_b64 s[14:15], 0
	s_cbranch_execnz .LBB81_451
	s_branch .LBB81_452
.LBB81_448:
	s_mov_b64 s[14:15], 0
                                        ; implicit-def: $sgpr12_sgpr13
	s_cbranch_execz .LBB81_450
; %bb.449:
	v_cmp_lt_f64_e32 vcc, s[8:9], v[8:9]
	s_andn2_b64 s[12:13], s[12:13], exec
	s_and_b64 s[16:17], vcc, exec
	s_or_b64 s[12:13], s[12:13], s[16:17]
.LBB81_450:
	s_branch .LBB81_452
.LBB81_451:
	s_cmp_lg_u32 s48, 0
	s_mov_b64 s[6:7], -1
	s_cselect_b64 s[14:15], -1, 0
.LBB81_452:
	s_andn2_b64 vcc, exec, s[14:15]
	s_cbranch_vccz .LBB81_461
; %bb.453:
	s_andn2_b64 vcc, exec, s[6:7]
	s_cbranch_vccnz .LBB81_455
.LBB81_454:
	v_cmp_le_f64_e32 vcc, s[8:9], v[8:9]
	s_andn2_b64 s[6:7], s[12:13], exec
	s_and_b64 s[12:13], vcc, exec
	s_or_b64 s[12:13], s[6:7], s[12:13]
.LBB81_455:
	v_cndmask_b32_e64 v10, 0, 1, s[12:13]
.LBB81_456:
	s_or_b64 exec, exec, s[4:5]
	v_or_b32_e32 v8, 0xd00, v0
	v_cmp_gt_i32_e32 vcc, s33, v8
                                        ; implicit-def: $vgpr8
	s_and_saveexec_b64 s[4:5], vcc
	s_cbranch_execz .LBB81_471
; %bb.457:
	s_cmp_lt_i32 s48, 1
	s_mov_b64 s[6:7], 0
	s_cbranch_scc1 .LBB81_462
; %bb.458:
	s_cmp_gt_i32 s48, 1
	s_cbranch_scc0 .LBB81_463
; %bb.459:
	s_cmp_eq_u32 s48, 2
	s_cbranch_scc0 .LBB81_547
; %bb.460:
	v_cmp_ge_f64_e64 s[12:13], s[8:9], v[6:7]
	s_mov_b64 s[14:15], 0
	s_branch .LBB81_465
.LBB81_461:
	v_cmp_gt_f64_e32 vcc, s[8:9], v[8:9]
	s_andn2_b64 s[12:13], s[12:13], exec
	s_and_b64 s[14:15], vcc, exec
	s_or_b64 s[12:13], s[12:13], s[14:15]
	s_cbranch_execz .LBB81_454
	s_branch .LBB81_455
.LBB81_462:
                                        ; implicit-def: $sgpr12_sgpr13
	s_mov_b64 s[14:15], 0
	s_cbranch_execnz .LBB81_466
	s_branch .LBB81_467
.LBB81_463:
	s_mov_b64 s[14:15], 0
                                        ; implicit-def: $sgpr12_sgpr13
	s_cbranch_execz .LBB81_465
; %bb.464:
	v_cmp_lt_f64_e32 vcc, s[8:9], v[6:7]
	s_andn2_b64 s[12:13], s[12:13], exec
	s_and_b64 s[16:17], vcc, exec
	s_or_b64 s[12:13], s[12:13], s[16:17]
.LBB81_465:
	s_branch .LBB81_467
.LBB81_466:
	s_cmp_lg_u32 s48, 0
	s_mov_b64 s[6:7], -1
	s_cselect_b64 s[14:15], -1, 0
.LBB81_467:
	s_andn2_b64 vcc, exec, s[14:15]
	s_cbranch_vccz .LBB81_476
; %bb.468:
	s_andn2_b64 vcc, exec, s[6:7]
	s_cbranch_vccnz .LBB81_470
.LBB81_469:
	v_cmp_le_f64_e32 vcc, s[8:9], v[6:7]
	s_andn2_b64 s[6:7], s[12:13], exec
	s_and_b64 s[12:13], vcc, exec
	s_or_b64 s[12:13], s[6:7], s[12:13]
.LBB81_470:
	v_cndmask_b32_e64 v8, 0, 1, s[12:13]
.LBB81_471:
	s_or_b64 exec, exec, s[4:5]
	v_or_b32_e32 v6, 0xe00, v0
	v_cmp_gt_i32_e32 vcc, s33, v6
                                        ; implicit-def: $vgpr6
	s_and_saveexec_b64 s[4:5], vcc
	s_cbranch_execz .LBB81_486
; %bb.472:
	s_cmp_lt_i32 s48, 1
	s_mov_b64 s[6:7], 0
	s_cbranch_scc1 .LBB81_477
; %bb.473:
	s_cmp_gt_i32 s48, 1
	s_cbranch_scc0 .LBB81_478
; %bb.474:
	s_cmp_eq_u32 s48, 2
	s_cbranch_scc0 .LBB81_548
; %bb.475:
	v_cmp_ge_f64_e64 s[12:13], s[8:9], v[4:5]
	s_mov_b64 s[14:15], 0
	s_branch .LBB81_480
.LBB81_476:
	v_cmp_gt_f64_e32 vcc, s[8:9], v[6:7]
	s_andn2_b64 s[12:13], s[12:13], exec
	s_and_b64 s[14:15], vcc, exec
	s_or_b64 s[12:13], s[12:13], s[14:15]
	s_cbranch_execz .LBB81_469
	s_branch .LBB81_470
.LBB81_477:
                                        ; implicit-def: $sgpr12_sgpr13
	s_mov_b64 s[14:15], 0
	s_cbranch_execnz .LBB81_481
	s_branch .LBB81_482
.LBB81_478:
	s_mov_b64 s[14:15], 0
                                        ; implicit-def: $sgpr12_sgpr13
	s_cbranch_execz .LBB81_480
; %bb.479:
	v_cmp_lt_f64_e32 vcc, s[8:9], v[4:5]
	s_andn2_b64 s[12:13], s[12:13], exec
	s_and_b64 s[16:17], vcc, exec
	s_or_b64 s[12:13], s[12:13], s[16:17]
.LBB81_480:
	s_branch .LBB81_482
.LBB81_481:
	s_cmp_lg_u32 s48, 0
	s_mov_b64 s[6:7], -1
	s_cselect_b64 s[14:15], -1, 0
.LBB81_482:
	s_andn2_b64 vcc, exec, s[14:15]
	s_cbranch_vccz .LBB81_491
; %bb.483:
	s_andn2_b64 vcc, exec, s[6:7]
	s_cbranch_vccnz .LBB81_485
.LBB81_484:
	v_cmp_le_f64_e32 vcc, s[8:9], v[4:5]
	s_andn2_b64 s[6:7], s[12:13], exec
	s_and_b64 s[12:13], vcc, exec
	s_or_b64 s[12:13], s[6:7], s[12:13]
.LBB81_485:
	v_cndmask_b32_e64 v6, 0, 1, s[12:13]
.LBB81_486:
	s_or_b64 exec, exec, s[4:5]
	v_or_b32_e32 v4, 0xf00, v0
	v_cmp_gt_i32_e32 vcc, s33, v4
                                        ; implicit-def: $vgpr4
	s_and_saveexec_b64 s[4:5], vcc
	s_cbranch_execz .LBB81_501
; %bb.487:
	s_cmp_lt_i32 s48, 1
	s_mov_b64 s[6:7], 0
	s_cbranch_scc1 .LBB81_492
; %bb.488:
	s_cmp_gt_i32 s48, 1
	s_cbranch_scc0 .LBB81_493
; %bb.489:
	s_cmp_eq_u32 s48, 2
	s_cbranch_scc0 .LBB81_549
; %bb.490:
	v_cmp_ge_f64_e64 s[12:13], s[8:9], v[2:3]
	s_mov_b64 s[14:15], 0
	s_branch .LBB81_495
.LBB81_491:
	v_cmp_gt_f64_e32 vcc, s[8:9], v[4:5]
	s_andn2_b64 s[12:13], s[12:13], exec
	s_and_b64 s[14:15], vcc, exec
	s_or_b64 s[12:13], s[12:13], s[14:15]
	s_cbranch_execz .LBB81_484
	s_branch .LBB81_485
.LBB81_492:
                                        ; implicit-def: $sgpr12_sgpr13
	s_mov_b64 s[14:15], 0
	s_cbranch_execnz .LBB81_496
	s_branch .LBB81_497
.LBB81_493:
	s_mov_b64 s[14:15], 0
                                        ; implicit-def: $sgpr12_sgpr13
	s_cbranch_execz .LBB81_495
; %bb.494:
	v_cmp_lt_f64_e32 vcc, s[8:9], v[2:3]
	s_andn2_b64 s[12:13], s[12:13], exec
	s_and_b64 s[16:17], vcc, exec
	s_or_b64 s[12:13], s[12:13], s[16:17]
.LBB81_495:
	s_branch .LBB81_497
.LBB81_496:
	s_cmp_lg_u32 s48, 0
	s_mov_b64 s[6:7], -1
	s_cselect_b64 s[14:15], -1, 0
.LBB81_497:
	s_andn2_b64 vcc, exec, s[14:15]
	s_cbranch_vccz .LBB81_534
; %bb.498:
	s_andn2_b64 vcc, exec, s[6:7]
	s_cbranch_vccnz .LBB81_500
.LBB81_499:
	v_cmp_le_f64_e32 vcc, s[8:9], v[2:3]
	s_andn2_b64 s[6:7], s[12:13], exec
	s_and_b64 s[8:9], vcc, exec
	s_or_b64 s[12:13], s[6:7], s[8:9]
.LBB81_500:
	v_cndmask_b32_e64 v4, 0, 1, s[12:13]
.LBB81_501:
	s_or_b64 exec, exec, s[4:5]
	s_and_saveexec_b64 s[4:5], s[0:1]
	s_xor_b64 s[0:1], exec, s[4:5]
	s_cbranch_execz .LBB81_503
; %bb.502:
	v_mov_b32_e32 v0, v32
	global_store_byte v1, v34, s[10:11]
.LBB81_503:
	s_or_b64 exec, exec, s[0:1]
	v_cmp_gt_i32_e32 vcc, s33, v0
	s_and_saveexec_b64 s[0:1], vcc
	s_cbranch_execnz .LBB81_520
; %bb.504:
	s_or_b64 exec, exec, s[0:1]
	v_cmp_gt_i32_e32 vcc, s33, v0
	s_and_saveexec_b64 s[0:1], vcc
	s_cbranch_execnz .LBB81_521
.LBB81_505:
	s_or_b64 exec, exec, s[0:1]
	v_cmp_gt_i32_e32 vcc, s33, v0
	s_and_saveexec_b64 s[0:1], vcc
	s_cbranch_execnz .LBB81_522
.LBB81_506:
	s_or_b64 exec, exec, s[0:1]
	v_cmp_gt_i32_e32 vcc, s33, v0
	s_and_saveexec_b64 s[0:1], vcc
	s_cbranch_execnz .LBB81_523
.LBB81_507:
	s_or_b64 exec, exec, s[0:1]
	v_cmp_gt_i32_e32 vcc, s33, v0
	s_and_saveexec_b64 s[0:1], vcc
	s_cbranch_execnz .LBB81_524
.LBB81_508:
	s_or_b64 exec, exec, s[0:1]
	v_cmp_gt_i32_e32 vcc, s33, v0
	s_and_saveexec_b64 s[0:1], vcc
	s_cbranch_execnz .LBB81_525
.LBB81_509:
	s_or_b64 exec, exec, s[0:1]
	v_cmp_gt_i32_e32 vcc, s33, v0
	s_and_saveexec_b64 s[0:1], vcc
	s_cbranch_execnz .LBB81_526
.LBB81_510:
	s_or_b64 exec, exec, s[0:1]
	v_cmp_gt_i32_e32 vcc, s33, v0
	s_and_saveexec_b64 s[0:1], vcc
	s_cbranch_execnz .LBB81_527
.LBB81_511:
	s_or_b64 exec, exec, s[0:1]
	v_cmp_gt_i32_e32 vcc, s33, v0
	s_and_saveexec_b64 s[0:1], vcc
	s_cbranch_execnz .LBB81_528
.LBB81_512:
	s_or_b64 exec, exec, s[0:1]
	v_cmp_gt_i32_e32 vcc, s33, v0
	s_and_saveexec_b64 s[0:1], vcc
	s_cbranch_execnz .LBB81_529
.LBB81_513:
	s_or_b64 exec, exec, s[0:1]
	v_cmp_gt_i32_e32 vcc, s33, v0
	s_and_saveexec_b64 s[0:1], vcc
	s_cbranch_execnz .LBB81_530
.LBB81_514:
	s_or_b64 exec, exec, s[0:1]
	v_cmp_gt_i32_e32 vcc, s33, v0
	s_and_saveexec_b64 s[0:1], vcc
	s_cbranch_execnz .LBB81_531
.LBB81_515:
	s_or_b64 exec, exec, s[0:1]
	v_cmp_gt_i32_e32 vcc, s33, v0
	s_and_saveexec_b64 s[0:1], vcc
	s_cbranch_execnz .LBB81_532
.LBB81_516:
	s_or_b64 exec, exec, s[0:1]
	v_cmp_gt_i32_e32 vcc, s33, v0
	s_and_saveexec_b64 s[0:1], vcc
	s_cbranch_execnz .LBB81_533
.LBB81_517:
	s_or_b64 exec, exec, s[0:1]
	v_cmp_gt_i32_e32 vcc, s33, v0
	s_and_saveexec_b64 s[0:1], vcc
	s_cbranch_execz .LBB81_519
.LBB81_518:
	v_add_u32_e32 v0, s2, v0
	global_store_byte v0, v4, s[10:11]
.LBB81_519:
	s_endpgm
.LBB81_520:
	v_add_u32_e32 v1, s2, v0
	v_add_u32_e32 v0, 0x100, v0
	global_store_byte v1, v33, s[10:11]
	s_or_b64 exec, exec, s[0:1]
	v_cmp_gt_i32_e32 vcc, s33, v0
	s_and_saveexec_b64 s[0:1], vcc
	s_cbranch_execz .LBB81_505
.LBB81_521:
	v_add_u32_e32 v1, s2, v0
	v_add_u32_e32 v0, 0x100, v0
	global_store_byte v1, v30, s[10:11]
	s_or_b64 exec, exec, s[0:1]
	v_cmp_gt_i32_e32 vcc, s33, v0
	s_and_saveexec_b64 s[0:1], vcc
	s_cbranch_execz .LBB81_506
.LBB81_522:
	v_add_u32_e32 v1, s2, v0
	v_add_u32_e32 v0, 0x100, v0
	global_store_byte v1, v28, s[10:11]
	s_or_b64 exec, exec, s[0:1]
	v_cmp_gt_i32_e32 vcc, s33, v0
	s_and_saveexec_b64 s[0:1], vcc
	s_cbranch_execz .LBB81_507
.LBB81_523:
	v_add_u32_e32 v1, s2, v0
	v_add_u32_e32 v0, 0x100, v0
	global_store_byte v1, v26, s[10:11]
	s_or_b64 exec, exec, s[0:1]
	v_cmp_gt_i32_e32 vcc, s33, v0
	s_and_saveexec_b64 s[0:1], vcc
	s_cbranch_execz .LBB81_508
.LBB81_524:
	v_add_u32_e32 v1, s2, v0
	v_add_u32_e32 v0, 0x100, v0
	global_store_byte v1, v24, s[10:11]
	s_or_b64 exec, exec, s[0:1]
	v_cmp_gt_i32_e32 vcc, s33, v0
	s_and_saveexec_b64 s[0:1], vcc
	s_cbranch_execz .LBB81_509
.LBB81_525:
	v_add_u32_e32 v1, s2, v0
	v_add_u32_e32 v0, 0x100, v0
	global_store_byte v1, v22, s[10:11]
	s_or_b64 exec, exec, s[0:1]
	v_cmp_gt_i32_e32 vcc, s33, v0
	s_and_saveexec_b64 s[0:1], vcc
	s_cbranch_execz .LBB81_510
.LBB81_526:
	v_add_u32_e32 v1, s2, v0
	v_add_u32_e32 v0, 0x100, v0
	global_store_byte v1, v20, s[10:11]
	s_or_b64 exec, exec, s[0:1]
	v_cmp_gt_i32_e32 vcc, s33, v0
	s_and_saveexec_b64 s[0:1], vcc
	s_cbranch_execz .LBB81_511
.LBB81_527:
	v_add_u32_e32 v1, s2, v0
	v_add_u32_e32 v0, 0x100, v0
	global_store_byte v1, v18, s[10:11]
	s_or_b64 exec, exec, s[0:1]
	v_cmp_gt_i32_e32 vcc, s33, v0
	s_and_saveexec_b64 s[0:1], vcc
	s_cbranch_execz .LBB81_512
.LBB81_528:
	v_add_u32_e32 v1, s2, v0
	v_add_u32_e32 v0, 0x100, v0
	global_store_byte v1, v16, s[10:11]
	s_or_b64 exec, exec, s[0:1]
	v_cmp_gt_i32_e32 vcc, s33, v0
	s_and_saveexec_b64 s[0:1], vcc
	s_cbranch_execz .LBB81_513
.LBB81_529:
	v_add_u32_e32 v1, s2, v0
	v_add_u32_e32 v0, 0x100, v0
	global_store_byte v1, v14, s[10:11]
	s_or_b64 exec, exec, s[0:1]
	v_cmp_gt_i32_e32 vcc, s33, v0
	s_and_saveexec_b64 s[0:1], vcc
	s_cbranch_execz .LBB81_514
.LBB81_530:
	v_add_u32_e32 v1, s2, v0
	v_add_u32_e32 v0, 0x100, v0
	global_store_byte v1, v12, s[10:11]
	s_or_b64 exec, exec, s[0:1]
	v_cmp_gt_i32_e32 vcc, s33, v0
	s_and_saveexec_b64 s[0:1], vcc
	s_cbranch_execz .LBB81_515
.LBB81_531:
	v_add_u32_e32 v1, s2, v0
	v_add_u32_e32 v0, 0x100, v0
	global_store_byte v1, v10, s[10:11]
	s_or_b64 exec, exec, s[0:1]
	v_cmp_gt_i32_e32 vcc, s33, v0
	s_and_saveexec_b64 s[0:1], vcc
	s_cbranch_execz .LBB81_516
.LBB81_532:
	v_add_u32_e32 v1, s2, v0
	v_add_u32_e32 v0, 0x100, v0
	global_store_byte v1, v8, s[10:11]
	s_or_b64 exec, exec, s[0:1]
	v_cmp_gt_i32_e32 vcc, s33, v0
	s_and_saveexec_b64 s[0:1], vcc
	s_cbranch_execz .LBB81_517
.LBB81_533:
	v_add_u32_e32 v1, s2, v0
	v_add_u32_e32 v0, 0x100, v0
	global_store_byte v1, v6, s[10:11]
	s_or_b64 exec, exec, s[0:1]
	v_cmp_gt_i32_e32 vcc, s33, v0
	s_and_saveexec_b64 s[0:1], vcc
	s_cbranch_execnz .LBB81_518
	s_branch .LBB81_519
.LBB81_534:
	v_cmp_gt_f64_e32 vcc, s[8:9], v[2:3]
	s_andn2_b64 s[12:13], s[12:13], exec
	s_and_b64 s[14:15], vcc, exec
	s_or_b64 s[12:13], s[12:13], s[14:15]
	s_cbranch_execz .LBB81_499
	s_branch .LBB81_500
.LBB81_535:
	s_mov_b64 s[14:15], -1
                                        ; implicit-def: $sgpr12_sgpr13
	s_branch .LBB81_285
.LBB81_536:
	s_mov_b64 s[14:15], -1
                                        ; implicit-def: $sgpr12_sgpr13
	s_branch .LBB81_300
.LBB81_537:
	s_mov_b64 s[14:15], -1
                                        ; implicit-def: $sgpr12_sgpr13
	s_branch .LBB81_315
.LBB81_538:
	s_mov_b64 s[14:15], -1
                                        ; implicit-def: $sgpr12_sgpr13
	s_branch .LBB81_330
.LBB81_539:
	s_mov_b64 s[14:15], -1
                                        ; implicit-def: $sgpr12_sgpr13
	s_branch .LBB81_345
.LBB81_540:
	s_mov_b64 s[14:15], -1
                                        ; implicit-def: $sgpr12_sgpr13
	s_branch .LBB81_360
.LBB81_541:
	s_mov_b64 s[14:15], -1
                                        ; implicit-def: $sgpr12_sgpr13
	s_branch .LBB81_375
.LBB81_542:
	s_mov_b64 s[14:15], -1
                                        ; implicit-def: $sgpr12_sgpr13
	s_branch .LBB81_390
.LBB81_543:
	s_mov_b64 s[14:15], -1
                                        ; implicit-def: $sgpr12_sgpr13
	s_branch .LBB81_405
.LBB81_544:
	s_mov_b64 s[14:15], -1
                                        ; implicit-def: $sgpr12_sgpr13
	s_branch .LBB81_420
.LBB81_545:
	s_mov_b64 s[14:15], -1
                                        ; implicit-def: $sgpr12_sgpr13
	s_branch .LBB81_435
.LBB81_546:
	s_mov_b64 s[14:15], -1
                                        ; implicit-def: $sgpr12_sgpr13
	s_branch .LBB81_450
.LBB81_547:
	s_mov_b64 s[14:15], -1
                                        ; implicit-def: $sgpr12_sgpr13
	s_branch .LBB81_465
.LBB81_548:
	s_mov_b64 s[14:15], -1
                                        ; implicit-def: $sgpr12_sgpr13
	s_branch .LBB81_480
.LBB81_549:
	s_mov_b64 s[14:15], -1
                                        ; implicit-def: $sgpr12_sgpr13
	s_branch .LBB81_495
	.section	.rodata,"a",@progbits
	.p2align	6, 0x0
	.amdhsa_kernel _ZN2at6native29vectorized_elementwise_kernelILi8EZNS0_21compare_scalar_kernelIdEEvRNS_18TensorIteratorBaseENS0_12_GLOBAL__N_16OpTypeET_EUldE_St5arrayIPcLm2EEEEviT0_T1_
		.amdhsa_group_segment_fixed_size 0
		.amdhsa_private_segment_fixed_size 0
		.amdhsa_kernarg_size 40
		.amdhsa_user_sgpr_count 6
		.amdhsa_user_sgpr_private_segment_buffer 1
		.amdhsa_user_sgpr_dispatch_ptr 0
		.amdhsa_user_sgpr_queue_ptr 0
		.amdhsa_user_sgpr_kernarg_segment_ptr 1
		.amdhsa_user_sgpr_dispatch_id 0
		.amdhsa_user_sgpr_flat_scratch_init 0
		.amdhsa_user_sgpr_private_segment_size 0
		.amdhsa_uses_dynamic_stack 0
		.amdhsa_system_sgpr_private_segment_wavefront_offset 0
		.amdhsa_system_sgpr_workgroup_id_x 1
		.amdhsa_system_sgpr_workgroup_id_y 0
		.amdhsa_system_sgpr_workgroup_id_z 0
		.amdhsa_system_sgpr_workgroup_info 0
		.amdhsa_system_vgpr_workitem_id 0
		.amdhsa_next_free_vgpr 37
		.amdhsa_next_free_sgpr 49
		.amdhsa_reserve_vcc 1
		.amdhsa_reserve_flat_scratch 0
		.amdhsa_float_round_mode_32 0
		.amdhsa_float_round_mode_16_64 0
		.amdhsa_float_denorm_mode_32 3
		.amdhsa_float_denorm_mode_16_64 3
		.amdhsa_dx10_clamp 1
		.amdhsa_ieee_mode 1
		.amdhsa_fp16_overflow 0
		.amdhsa_exception_fp_ieee_invalid_op 0
		.amdhsa_exception_fp_denorm_src 0
		.amdhsa_exception_fp_ieee_div_zero 0
		.amdhsa_exception_fp_ieee_overflow 0
		.amdhsa_exception_fp_ieee_underflow 0
		.amdhsa_exception_fp_ieee_inexact 0
		.amdhsa_exception_int_div_zero 0
	.end_amdhsa_kernel
	.section	.text._ZN2at6native29vectorized_elementwise_kernelILi8EZNS0_21compare_scalar_kernelIdEEvRNS_18TensorIteratorBaseENS0_12_GLOBAL__N_16OpTypeET_EUldE_St5arrayIPcLm2EEEEviT0_T1_,"axG",@progbits,_ZN2at6native29vectorized_elementwise_kernelILi8EZNS0_21compare_scalar_kernelIdEEvRNS_18TensorIteratorBaseENS0_12_GLOBAL__N_16OpTypeET_EUldE_St5arrayIPcLm2EEEEviT0_T1_,comdat
.Lfunc_end81:
	.size	_ZN2at6native29vectorized_elementwise_kernelILi8EZNS0_21compare_scalar_kernelIdEEvRNS_18TensorIteratorBaseENS0_12_GLOBAL__N_16OpTypeET_EUldE_St5arrayIPcLm2EEEEviT0_T1_, .Lfunc_end81-_ZN2at6native29vectorized_elementwise_kernelILi8EZNS0_21compare_scalar_kernelIdEEvRNS_18TensorIteratorBaseENS0_12_GLOBAL__N_16OpTypeET_EUldE_St5arrayIPcLm2EEEEviT0_T1_
                                        ; -- End function
	.set _ZN2at6native29vectorized_elementwise_kernelILi8EZNS0_21compare_scalar_kernelIdEEvRNS_18TensorIteratorBaseENS0_12_GLOBAL__N_16OpTypeET_EUldE_St5arrayIPcLm2EEEEviT0_T1_.num_vgpr, 37
	.set _ZN2at6native29vectorized_elementwise_kernelILi8EZNS0_21compare_scalar_kernelIdEEvRNS_18TensorIteratorBaseENS0_12_GLOBAL__N_16OpTypeET_EUldE_St5arrayIPcLm2EEEEviT0_T1_.num_agpr, 0
	.set _ZN2at6native29vectorized_elementwise_kernelILi8EZNS0_21compare_scalar_kernelIdEEvRNS_18TensorIteratorBaseENS0_12_GLOBAL__N_16OpTypeET_EUldE_St5arrayIPcLm2EEEEviT0_T1_.numbered_sgpr, 49
	.set _ZN2at6native29vectorized_elementwise_kernelILi8EZNS0_21compare_scalar_kernelIdEEvRNS_18TensorIteratorBaseENS0_12_GLOBAL__N_16OpTypeET_EUldE_St5arrayIPcLm2EEEEviT0_T1_.num_named_barrier, 0
	.set _ZN2at6native29vectorized_elementwise_kernelILi8EZNS0_21compare_scalar_kernelIdEEvRNS_18TensorIteratorBaseENS0_12_GLOBAL__N_16OpTypeET_EUldE_St5arrayIPcLm2EEEEviT0_T1_.private_seg_size, 0
	.set _ZN2at6native29vectorized_elementwise_kernelILi8EZNS0_21compare_scalar_kernelIdEEvRNS_18TensorIteratorBaseENS0_12_GLOBAL__N_16OpTypeET_EUldE_St5arrayIPcLm2EEEEviT0_T1_.uses_vcc, 1
	.set _ZN2at6native29vectorized_elementwise_kernelILi8EZNS0_21compare_scalar_kernelIdEEvRNS_18TensorIteratorBaseENS0_12_GLOBAL__N_16OpTypeET_EUldE_St5arrayIPcLm2EEEEviT0_T1_.uses_flat_scratch, 0
	.set _ZN2at6native29vectorized_elementwise_kernelILi8EZNS0_21compare_scalar_kernelIdEEvRNS_18TensorIteratorBaseENS0_12_GLOBAL__N_16OpTypeET_EUldE_St5arrayIPcLm2EEEEviT0_T1_.has_dyn_sized_stack, 0
	.set _ZN2at6native29vectorized_elementwise_kernelILi8EZNS0_21compare_scalar_kernelIdEEvRNS_18TensorIteratorBaseENS0_12_GLOBAL__N_16OpTypeET_EUldE_St5arrayIPcLm2EEEEviT0_T1_.has_recursion, 0
	.set _ZN2at6native29vectorized_elementwise_kernelILi8EZNS0_21compare_scalar_kernelIdEEvRNS_18TensorIteratorBaseENS0_12_GLOBAL__N_16OpTypeET_EUldE_St5arrayIPcLm2EEEEviT0_T1_.has_indirect_call, 0
	.section	.AMDGPU.csdata,"",@progbits
; Kernel info:
; codeLenInByte = 8408
; TotalNumSgprs: 53
; NumVgprs: 37
; ScratchSize: 0
; MemoryBound: 1
; FloatMode: 240
; IeeeMode: 1
; LDSByteSize: 0 bytes/workgroup (compile time only)
; SGPRBlocks: 6
; VGPRBlocks: 9
; NumSGPRsForWavesPerEU: 53
; NumVGPRsForWavesPerEU: 37
; Occupancy: 6
; WaveLimiterHint : 1
; COMPUTE_PGM_RSRC2:SCRATCH_EN: 0
; COMPUTE_PGM_RSRC2:USER_SGPR: 6
; COMPUTE_PGM_RSRC2:TRAP_HANDLER: 0
; COMPUTE_PGM_RSRC2:TGID_X_EN: 1
; COMPUTE_PGM_RSRC2:TGID_Y_EN: 0
; COMPUTE_PGM_RSRC2:TGID_Z_EN: 0
; COMPUTE_PGM_RSRC2:TIDIG_COMP_CNT: 0
	.section	.text._ZN2at6native29vectorized_elementwise_kernelILi4EZNS0_21compare_scalar_kernelIdEEvRNS_18TensorIteratorBaseENS0_12_GLOBAL__N_16OpTypeET_EUldE_St5arrayIPcLm2EEEEviT0_T1_,"axG",@progbits,_ZN2at6native29vectorized_elementwise_kernelILi4EZNS0_21compare_scalar_kernelIdEEvRNS_18TensorIteratorBaseENS0_12_GLOBAL__N_16OpTypeET_EUldE_St5arrayIPcLm2EEEEviT0_T1_,comdat
	.globl	_ZN2at6native29vectorized_elementwise_kernelILi4EZNS0_21compare_scalar_kernelIdEEvRNS_18TensorIteratorBaseENS0_12_GLOBAL__N_16OpTypeET_EUldE_St5arrayIPcLm2EEEEviT0_T1_ ; -- Begin function _ZN2at6native29vectorized_elementwise_kernelILi4EZNS0_21compare_scalar_kernelIdEEvRNS_18TensorIteratorBaseENS0_12_GLOBAL__N_16OpTypeET_EUldE_St5arrayIPcLm2EEEEviT0_T1_
	.p2align	8
	.type	_ZN2at6native29vectorized_elementwise_kernelILi4EZNS0_21compare_scalar_kernelIdEEvRNS_18TensorIteratorBaseENS0_12_GLOBAL__N_16OpTypeET_EUldE_St5arrayIPcLm2EEEEviT0_T1_,@function
_ZN2at6native29vectorized_elementwise_kernelILi4EZNS0_21compare_scalar_kernelIdEEvRNS_18TensorIteratorBaseENS0_12_GLOBAL__N_16OpTypeET_EUldE_St5arrayIPcLm2EEEEviT0_T1_: ; @_ZN2at6native29vectorized_elementwise_kernelILi4EZNS0_21compare_scalar_kernelIdEEvRNS_18TensorIteratorBaseENS0_12_GLOBAL__N_16OpTypeET_EUldE_St5arrayIPcLm2EEEEviT0_T1_
; %bb.0:
	s_load_dword s0, s[4:5], 0x0
	s_load_dword s48, s[4:5], 0x8
	s_load_dwordx4 s[8:11], s[4:5], 0x10
	s_load_dwordx2 s[12:13], s[4:5], 0x20
	s_lshl_b32 s2, s6, 12
	s_waitcnt lgkmcnt(0)
	s_sub_i32 s33, s0, s2
	s_cmpk_gt_i32 s33, 0xfff
	s_mov_b64 s[0:1], -1
	s_cbranch_scc0 .LBB82_211
; %bb.1:
	s_ashr_i32 s3, s2, 31
	s_lshl_b64 s[0:1], s[2:3], 3
	s_add_u32 s0, s12, s0
	s_addc_u32 s1, s13, s1
	v_lshlrev_b32_e32 v1, 5, v0
	v_mov_b32_e32 v2, s1
	v_add_co_u32_e32 v5, vcc, s0, v1
	v_addc_co_u32_e32 v6, vcc, 0, v2, vcc
	global_load_dwordx4 v[25:28], v1, s[0:1] offset:16
	global_load_dwordx4 v[29:32], v1, s[0:1]
	v_add_co_u32_e32 v1, vcc, 0x2000, v5
	v_addc_co_u32_e64 v2, s[0:1], 0, v6, vcc
	v_addc_co_u32_e32 v4, vcc, 0, v6, vcc
	v_mov_b32_e32 v3, v1
	global_load_dwordx4 v[21:24], v[3:4], off
	global_load_dwordx4 v[17:20], v[1:2], off offset:16
	v_add_co_u32_e32 v1, vcc, 0x4000, v5
	v_addc_co_u32_e64 v2, s[0:1], 0, v6, vcc
	v_addc_co_u32_e32 v4, vcc, 0, v6, vcc
	v_add_co_u32_e32 v33, vcc, 0x6000, v5
	v_mov_b32_e32 v3, v1
	v_addc_co_u32_e64 v34, s[0:1], 0, v6, vcc
	v_addc_co_u32_e32 v36, vcc, 0, v6, vcc
	v_mov_b32_e32 v35, v33
	global_load_dwordx4 v[13:16], v[3:4], off
	global_load_dwordx4 v[9:12], v[1:2], off offset:16
	global_load_dwordx4 v[5:8], v[35:36], off
	s_nop 0
	global_load_dwordx4 v[1:4], v[33:34], off offset:16
	s_cmp_lt_i32 s48, 1
	s_mov_b64 s[4:5], 0
	s_cbranch_scc1 .LBB82_5
; %bb.2:
	s_cmp_gt_i32 s48, 1
	s_cbranch_scc0 .LBB82_6
; %bb.3:
	s_cmp_eq_u32 s48, 2
	s_cbranch_scc0 .LBB82_7
; %bb.4:
	s_waitcnt vmcnt(6)
	v_cmp_ge_f64_e64 s[0:1], s[8:9], v[29:30]
	s_mov_b64 s[6:7], 0
	s_branch .LBB82_8
.LBB82_5:
                                        ; implicit-def: $sgpr0_sgpr1
	s_mov_b64 s[6:7], 0
	s_cbranch_execnz .LBB82_11
	s_branch .LBB82_12
.LBB82_6:
	s_mov_b64 s[6:7], 0
                                        ; implicit-def: $sgpr0_sgpr1
	s_cbranch_execnz .LBB82_9
	s_branch .LBB82_10
.LBB82_7:
	s_mov_b64 s[6:7], -1
                                        ; implicit-def: $sgpr0_sgpr1
.LBB82_8:
	s_branch .LBB82_10
.LBB82_9:
	s_waitcnt vmcnt(6)
	v_cmp_lt_f64_e32 vcc, s[8:9], v[29:30]
	s_andn2_b64 s[0:1], s[0:1], exec
	s_and_b64 s[14:15], vcc, exec
	s_or_b64 s[0:1], s[0:1], s[14:15]
.LBB82_10:
	s_branch .LBB82_12
.LBB82_11:
	s_cmp_lg_u32 s48, 0
	s_mov_b64 s[4:5], -1
	s_cselect_b64 s[6:7], -1, 0
.LBB82_12:
	s_andn2_b64 vcc, exec, s[6:7]
	s_cbranch_vccz .LBB82_18
; %bb.13:
	s_andn2_b64 vcc, exec, s[4:5]
	s_cbranch_vccz .LBB82_19
.LBB82_14:
	s_cmp_lt_i32 s48, 1
	s_mov_b64 s[6:7], 0
	s_cbranch_scc1 .LBB82_20
.LBB82_15:
	s_cmp_gt_i32 s48, 1
	s_cbranch_scc0 .LBB82_21
; %bb.16:
	s_cmp_eq_u32 s48, 2
	s_cbranch_scc0 .LBB82_251
; %bb.17:
	s_waitcnt vmcnt(6)
	v_cmp_ge_f64_e64 s[4:5], s[8:9], v[31:32]
	s_mov_b64 s[14:15], 0
	s_branch .LBB82_23
.LBB82_18:
	s_waitcnt vmcnt(6)
	v_cmp_gt_f64_e32 vcc, s[8:9], v[29:30]
	s_andn2_b64 s[0:1], s[0:1], exec
	s_and_b64 s[6:7], vcc, exec
	s_or_b64 s[0:1], s[0:1], s[6:7]
	s_cbranch_execnz .LBB82_14
.LBB82_19:
	s_waitcnt vmcnt(6)
	v_cmp_le_f64_e32 vcc, s[8:9], v[29:30]
	s_andn2_b64 s[0:1], s[0:1], exec
	s_and_b64 s[4:5], vcc, exec
	s_or_b64 s[0:1], s[0:1], s[4:5]
	s_cmp_lt_i32 s48, 1
	s_mov_b64 s[6:7], 0
	s_cbranch_scc0 .LBB82_15
.LBB82_20:
                                        ; implicit-def: $sgpr4_sgpr5
	s_mov_b64 s[14:15], 0
	s_cbranch_execnz .LBB82_24
	s_branch .LBB82_25
.LBB82_21:
	s_mov_b64 s[14:15], 0
                                        ; implicit-def: $sgpr4_sgpr5
	s_cbranch_execz .LBB82_23
; %bb.22:
	s_waitcnt vmcnt(6)
	v_cmp_lt_f64_e32 vcc, s[8:9], v[31:32]
	s_andn2_b64 s[4:5], s[4:5], exec
	s_and_b64 s[16:17], vcc, exec
	s_or_b64 s[4:5], s[4:5], s[16:17]
.LBB82_23:
	s_branch .LBB82_25
.LBB82_24:
	s_cmp_lg_u32 s48, 0
	s_mov_b64 s[6:7], -1
	s_cselect_b64 s[14:15], -1, 0
.LBB82_25:
	s_andn2_b64 vcc, exec, s[14:15]
	s_cbranch_vccz .LBB82_31
; %bb.26:
	s_andn2_b64 vcc, exec, s[6:7]
	s_cbranch_vccz .LBB82_32
.LBB82_27:
	s_cmp_lt_i32 s48, 1
	s_mov_b64 s[14:15], 0
	s_cbranch_scc1 .LBB82_33
.LBB82_28:
	s_cmp_gt_i32 s48, 1
	s_cbranch_scc0 .LBB82_34
; %bb.29:
	s_cmp_eq_u32 s48, 2
	s_cbranch_scc0 .LBB82_252
; %bb.30:
	s_waitcnt vmcnt(7)
	v_cmp_ge_f64_e64 s[6:7], s[8:9], v[25:26]
	s_mov_b64 s[16:17], 0
	s_branch .LBB82_36
.LBB82_31:
	s_waitcnt vmcnt(6)
	v_cmp_gt_f64_e32 vcc, s[8:9], v[31:32]
	s_andn2_b64 s[4:5], s[4:5], exec
	s_and_b64 s[14:15], vcc, exec
	s_or_b64 s[4:5], s[4:5], s[14:15]
	s_cbranch_execnz .LBB82_27
.LBB82_32:
	s_waitcnt vmcnt(6)
	v_cmp_le_f64_e32 vcc, s[8:9], v[31:32]
	s_andn2_b64 s[4:5], s[4:5], exec
	s_and_b64 s[6:7], vcc, exec
	s_or_b64 s[4:5], s[4:5], s[6:7]
	s_cmp_lt_i32 s48, 1
	s_mov_b64 s[14:15], 0
	s_cbranch_scc0 .LBB82_28
.LBB82_33:
                                        ; implicit-def: $sgpr6_sgpr7
	s_mov_b64 s[16:17], 0
	s_cbranch_execnz .LBB82_37
	s_branch .LBB82_38
.LBB82_34:
	s_mov_b64 s[16:17], 0
                                        ; implicit-def: $sgpr6_sgpr7
	s_cbranch_execz .LBB82_36
; %bb.35:
	s_waitcnt vmcnt(7)
	v_cmp_lt_f64_e32 vcc, s[8:9], v[25:26]
	s_andn2_b64 s[6:7], s[6:7], exec
	s_and_b64 s[18:19], vcc, exec
	s_or_b64 s[6:7], s[6:7], s[18:19]
.LBB82_36:
	s_branch .LBB82_38
.LBB82_37:
	s_cmp_lg_u32 s48, 0
	s_mov_b64 s[14:15], -1
	s_cselect_b64 s[16:17], -1, 0
.LBB82_38:
	s_andn2_b64 vcc, exec, s[16:17]
	s_cbranch_vccz .LBB82_44
; %bb.39:
	s_andn2_b64 vcc, exec, s[14:15]
	s_cbranch_vccz .LBB82_45
.LBB82_40:
	s_cmp_lt_i32 s48, 1
	s_mov_b64 s[16:17], 0
	s_cbranch_scc1 .LBB82_46
.LBB82_41:
	s_cmp_gt_i32 s48, 1
	s_cbranch_scc0 .LBB82_47
; %bb.42:
	s_cmp_eq_u32 s48, 2
	s_cbranch_scc0 .LBB82_253
; %bb.43:
	s_waitcnt vmcnt(7)
	v_cmp_ge_f64_e64 s[14:15], s[8:9], v[27:28]
	s_mov_b64 s[18:19], 0
	s_branch .LBB82_49
.LBB82_44:
	s_waitcnt vmcnt(7)
	v_cmp_gt_f64_e32 vcc, s[8:9], v[25:26]
	s_andn2_b64 s[6:7], s[6:7], exec
	s_and_b64 s[16:17], vcc, exec
	s_or_b64 s[6:7], s[6:7], s[16:17]
	s_cbranch_execnz .LBB82_40
.LBB82_45:
	s_waitcnt vmcnt(7)
	v_cmp_le_f64_e32 vcc, s[8:9], v[25:26]
	s_andn2_b64 s[6:7], s[6:7], exec
	s_and_b64 s[14:15], vcc, exec
	s_or_b64 s[6:7], s[6:7], s[14:15]
	s_cmp_lt_i32 s48, 1
	s_mov_b64 s[16:17], 0
	s_cbranch_scc0 .LBB82_41
.LBB82_46:
                                        ; implicit-def: $sgpr14_sgpr15
	s_mov_b64 s[18:19], 0
	s_cbranch_execnz .LBB82_50
	s_branch .LBB82_51
.LBB82_47:
	s_mov_b64 s[18:19], 0
                                        ; implicit-def: $sgpr14_sgpr15
	s_cbranch_execz .LBB82_49
; %bb.48:
	s_waitcnt vmcnt(7)
	v_cmp_lt_f64_e32 vcc, s[8:9], v[27:28]
	s_andn2_b64 s[14:15], s[14:15], exec
	s_and_b64 s[20:21], vcc, exec
	s_or_b64 s[14:15], s[14:15], s[20:21]
.LBB82_49:
	s_branch .LBB82_51
.LBB82_50:
	s_cmp_lg_u32 s48, 0
	s_mov_b64 s[16:17], -1
	s_cselect_b64 s[18:19], -1, 0
.LBB82_51:
	s_andn2_b64 vcc, exec, s[18:19]
	s_cbranch_vccz .LBB82_57
; %bb.52:
	s_andn2_b64 vcc, exec, s[16:17]
	s_cbranch_vccz .LBB82_58
.LBB82_53:
	s_cmp_lt_i32 s48, 1
	s_mov_b64 s[18:19], 0
	s_cbranch_scc1 .LBB82_59
.LBB82_54:
	s_cmp_gt_i32 s48, 1
	s_cbranch_scc0 .LBB82_60
; %bb.55:
	s_cmp_eq_u32 s48, 2
	s_cbranch_scc0 .LBB82_254
; %bb.56:
	s_waitcnt vmcnt(5)
	v_cmp_ge_f64_e64 s[16:17], s[8:9], v[21:22]
	s_mov_b64 s[20:21], 0
	s_branch .LBB82_62
.LBB82_57:
	s_waitcnt vmcnt(7)
	v_cmp_gt_f64_e32 vcc, s[8:9], v[27:28]
	s_andn2_b64 s[14:15], s[14:15], exec
	s_and_b64 s[18:19], vcc, exec
	s_or_b64 s[14:15], s[14:15], s[18:19]
	s_cbranch_execnz .LBB82_53
.LBB82_58:
	s_waitcnt vmcnt(7)
	v_cmp_le_f64_e32 vcc, s[8:9], v[27:28]
	s_andn2_b64 s[14:15], s[14:15], exec
	s_and_b64 s[16:17], vcc, exec
	s_or_b64 s[14:15], s[14:15], s[16:17]
	s_cmp_lt_i32 s48, 1
	s_mov_b64 s[18:19], 0
	s_cbranch_scc0 .LBB82_54
.LBB82_59:
                                        ; implicit-def: $sgpr16_sgpr17
	s_mov_b64 s[20:21], 0
	s_cbranch_execnz .LBB82_63
	s_branch .LBB82_64
.LBB82_60:
	s_mov_b64 s[20:21], 0
                                        ; implicit-def: $sgpr16_sgpr17
	s_cbranch_execz .LBB82_62
; %bb.61:
	s_waitcnt vmcnt(5)
	v_cmp_lt_f64_e32 vcc, s[8:9], v[21:22]
	s_andn2_b64 s[16:17], s[16:17], exec
	s_and_b64 s[22:23], vcc, exec
	s_or_b64 s[16:17], s[16:17], s[22:23]
.LBB82_62:
	s_branch .LBB82_64
.LBB82_63:
	s_cmp_lg_u32 s48, 0
	s_mov_b64 s[18:19], -1
	s_cselect_b64 s[20:21], -1, 0
.LBB82_64:
	s_andn2_b64 vcc, exec, s[20:21]
	s_cbranch_vccz .LBB82_70
; %bb.65:
	s_andn2_b64 vcc, exec, s[18:19]
	s_cbranch_vccz .LBB82_71
.LBB82_66:
	s_cmp_lt_i32 s48, 1
	s_mov_b64 s[20:21], 0
	s_cbranch_scc1 .LBB82_72
.LBB82_67:
	s_cmp_gt_i32 s48, 1
	s_cbranch_scc0 .LBB82_73
; %bb.68:
	s_cmp_eq_u32 s48, 2
	s_cbranch_scc0 .LBB82_255
; %bb.69:
	s_waitcnt vmcnt(5)
	v_cmp_ge_f64_e64 s[18:19], s[8:9], v[23:24]
	s_mov_b64 s[22:23], 0
	s_branch .LBB82_75
.LBB82_70:
	s_waitcnt vmcnt(5)
	v_cmp_gt_f64_e32 vcc, s[8:9], v[21:22]
	s_andn2_b64 s[16:17], s[16:17], exec
	s_and_b64 s[20:21], vcc, exec
	s_or_b64 s[16:17], s[16:17], s[20:21]
	s_cbranch_execnz .LBB82_66
.LBB82_71:
	s_waitcnt vmcnt(5)
	v_cmp_le_f64_e32 vcc, s[8:9], v[21:22]
	s_andn2_b64 s[16:17], s[16:17], exec
	s_and_b64 s[18:19], vcc, exec
	s_or_b64 s[16:17], s[16:17], s[18:19]
	s_cmp_lt_i32 s48, 1
	s_mov_b64 s[20:21], 0
	s_cbranch_scc0 .LBB82_67
.LBB82_72:
                                        ; implicit-def: $sgpr18_sgpr19
	s_mov_b64 s[22:23], 0
	s_cbranch_execnz .LBB82_76
	s_branch .LBB82_77
.LBB82_73:
	s_mov_b64 s[22:23], 0
                                        ; implicit-def: $sgpr18_sgpr19
	s_cbranch_execz .LBB82_75
; %bb.74:
	s_waitcnt vmcnt(5)
	v_cmp_lt_f64_e32 vcc, s[8:9], v[23:24]
	s_andn2_b64 s[18:19], s[18:19], exec
	s_and_b64 s[24:25], vcc, exec
	s_or_b64 s[18:19], s[18:19], s[24:25]
.LBB82_75:
	s_branch .LBB82_77
.LBB82_76:
	s_cmp_lg_u32 s48, 0
	s_mov_b64 s[20:21], -1
	s_cselect_b64 s[22:23], -1, 0
.LBB82_77:
	s_andn2_b64 vcc, exec, s[22:23]
	s_cbranch_vccz .LBB82_83
; %bb.78:
	s_andn2_b64 vcc, exec, s[20:21]
	s_cbranch_vccz .LBB82_84
.LBB82_79:
	s_cmp_lt_i32 s48, 1
	s_mov_b64 s[22:23], 0
	s_cbranch_scc1 .LBB82_85
.LBB82_80:
	s_cmp_gt_i32 s48, 1
	s_cbranch_scc0 .LBB82_86
; %bb.81:
	s_cmp_eq_u32 s48, 2
	s_cbranch_scc0 .LBB82_256
; %bb.82:
	s_waitcnt vmcnt(4)
	v_cmp_ge_f64_e64 s[20:21], s[8:9], v[17:18]
	s_mov_b64 s[24:25], 0
	s_branch .LBB82_88
.LBB82_83:
	s_waitcnt vmcnt(5)
	v_cmp_gt_f64_e32 vcc, s[8:9], v[23:24]
	s_andn2_b64 s[18:19], s[18:19], exec
	s_and_b64 s[22:23], vcc, exec
	s_or_b64 s[18:19], s[18:19], s[22:23]
	s_cbranch_execnz .LBB82_79
.LBB82_84:
	s_waitcnt vmcnt(5)
	v_cmp_le_f64_e32 vcc, s[8:9], v[23:24]
	s_andn2_b64 s[18:19], s[18:19], exec
	s_and_b64 s[20:21], vcc, exec
	s_or_b64 s[18:19], s[18:19], s[20:21]
	s_cmp_lt_i32 s48, 1
	s_mov_b64 s[22:23], 0
	s_cbranch_scc0 .LBB82_80
.LBB82_85:
                                        ; implicit-def: $sgpr20_sgpr21
	s_mov_b64 s[24:25], 0
	s_cbranch_execnz .LBB82_89
	s_branch .LBB82_90
.LBB82_86:
	s_mov_b64 s[24:25], 0
                                        ; implicit-def: $sgpr20_sgpr21
	s_cbranch_execz .LBB82_88
; %bb.87:
	s_waitcnt vmcnt(4)
	v_cmp_lt_f64_e32 vcc, s[8:9], v[17:18]
	s_andn2_b64 s[20:21], s[20:21], exec
	s_and_b64 s[26:27], vcc, exec
	s_or_b64 s[20:21], s[20:21], s[26:27]
.LBB82_88:
	s_branch .LBB82_90
.LBB82_89:
	s_cmp_lg_u32 s48, 0
	s_mov_b64 s[22:23], -1
	s_cselect_b64 s[24:25], -1, 0
.LBB82_90:
	s_andn2_b64 vcc, exec, s[24:25]
	s_cbranch_vccz .LBB82_96
; %bb.91:
	s_andn2_b64 vcc, exec, s[22:23]
	s_cbranch_vccz .LBB82_97
.LBB82_92:
	s_cmp_lt_i32 s48, 1
	s_mov_b64 s[24:25], 0
	s_cbranch_scc1 .LBB82_98
.LBB82_93:
	s_cmp_gt_i32 s48, 1
	s_cbranch_scc0 .LBB82_99
; %bb.94:
	s_cmp_eq_u32 s48, 2
	s_cbranch_scc0 .LBB82_257
; %bb.95:
	s_waitcnt vmcnt(4)
	v_cmp_ge_f64_e64 s[22:23], s[8:9], v[19:20]
	s_mov_b64 s[26:27], 0
	s_branch .LBB82_101
.LBB82_96:
	s_waitcnt vmcnt(4)
	v_cmp_gt_f64_e32 vcc, s[8:9], v[17:18]
	s_andn2_b64 s[20:21], s[20:21], exec
	s_and_b64 s[24:25], vcc, exec
	s_or_b64 s[20:21], s[20:21], s[24:25]
	s_cbranch_execnz .LBB82_92
.LBB82_97:
	s_waitcnt vmcnt(4)
	v_cmp_le_f64_e32 vcc, s[8:9], v[17:18]
	s_andn2_b64 s[20:21], s[20:21], exec
	s_and_b64 s[22:23], vcc, exec
	s_or_b64 s[20:21], s[20:21], s[22:23]
	s_cmp_lt_i32 s48, 1
	s_mov_b64 s[24:25], 0
	s_cbranch_scc0 .LBB82_93
.LBB82_98:
                                        ; implicit-def: $sgpr22_sgpr23
	s_mov_b64 s[26:27], 0
	s_cbranch_execnz .LBB82_102
	s_branch .LBB82_103
.LBB82_99:
	s_mov_b64 s[26:27], 0
                                        ; implicit-def: $sgpr22_sgpr23
	s_cbranch_execz .LBB82_101
; %bb.100:
	s_waitcnt vmcnt(4)
	v_cmp_lt_f64_e32 vcc, s[8:9], v[19:20]
	s_andn2_b64 s[22:23], s[22:23], exec
	s_and_b64 s[28:29], vcc, exec
	s_or_b64 s[22:23], s[22:23], s[28:29]
.LBB82_101:
	s_branch .LBB82_103
.LBB82_102:
	s_cmp_lg_u32 s48, 0
	s_mov_b64 s[24:25], -1
	s_cselect_b64 s[26:27], -1, 0
.LBB82_103:
	s_andn2_b64 vcc, exec, s[26:27]
	s_cbranch_vccz .LBB82_109
; %bb.104:
	s_andn2_b64 vcc, exec, s[24:25]
	s_cbranch_vccz .LBB82_110
.LBB82_105:
	s_cmp_lt_i32 s48, 1
	s_mov_b64 s[26:27], 0
	s_cbranch_scc1 .LBB82_111
.LBB82_106:
	s_cmp_gt_i32 s48, 1
	s_cbranch_scc0 .LBB82_112
; %bb.107:
	s_cmp_eq_u32 s48, 2
	s_cbranch_scc0 .LBB82_258
; %bb.108:
	s_waitcnt vmcnt(3)
	v_cmp_ge_f64_e64 s[24:25], s[8:9], v[13:14]
	s_mov_b64 s[28:29], 0
	s_branch .LBB82_114
.LBB82_109:
	s_waitcnt vmcnt(4)
	v_cmp_gt_f64_e32 vcc, s[8:9], v[19:20]
	s_andn2_b64 s[22:23], s[22:23], exec
	s_and_b64 s[26:27], vcc, exec
	s_or_b64 s[22:23], s[22:23], s[26:27]
	s_cbranch_execnz .LBB82_105
.LBB82_110:
	s_waitcnt vmcnt(4)
	v_cmp_le_f64_e32 vcc, s[8:9], v[19:20]
	s_andn2_b64 s[22:23], s[22:23], exec
	s_and_b64 s[24:25], vcc, exec
	s_or_b64 s[22:23], s[22:23], s[24:25]
	s_cmp_lt_i32 s48, 1
	s_mov_b64 s[26:27], 0
	s_cbranch_scc0 .LBB82_106
.LBB82_111:
                                        ; implicit-def: $sgpr24_sgpr25
	s_mov_b64 s[28:29], 0
	s_cbranch_execnz .LBB82_115
	s_branch .LBB82_116
.LBB82_112:
	s_mov_b64 s[28:29], 0
                                        ; implicit-def: $sgpr24_sgpr25
	s_cbranch_execz .LBB82_114
; %bb.113:
	s_waitcnt vmcnt(3)
	v_cmp_lt_f64_e32 vcc, s[8:9], v[13:14]
	s_andn2_b64 s[24:25], s[24:25], exec
	s_and_b64 s[30:31], vcc, exec
	s_or_b64 s[24:25], s[24:25], s[30:31]
.LBB82_114:
	s_branch .LBB82_116
.LBB82_115:
	s_cmp_lg_u32 s48, 0
	s_mov_b64 s[26:27], -1
	s_cselect_b64 s[28:29], -1, 0
.LBB82_116:
	s_andn2_b64 vcc, exec, s[28:29]
	s_cbranch_vccz .LBB82_122
; %bb.117:
	s_andn2_b64 vcc, exec, s[26:27]
	s_cbranch_vccz .LBB82_123
.LBB82_118:
	s_cmp_lt_i32 s48, 1
	s_mov_b64 s[28:29], 0
	s_cbranch_scc1 .LBB82_124
.LBB82_119:
	s_cmp_gt_i32 s48, 1
	s_cbranch_scc0 .LBB82_125
; %bb.120:
	s_cmp_eq_u32 s48, 2
	s_cbranch_scc0 .LBB82_259
; %bb.121:
	s_waitcnt vmcnt(3)
	v_cmp_ge_f64_e64 s[26:27], s[8:9], v[15:16]
	s_mov_b64 s[30:31], 0
	s_branch .LBB82_127
.LBB82_122:
	s_waitcnt vmcnt(3)
	v_cmp_gt_f64_e32 vcc, s[8:9], v[13:14]
	s_andn2_b64 s[24:25], s[24:25], exec
	s_and_b64 s[28:29], vcc, exec
	s_or_b64 s[24:25], s[24:25], s[28:29]
	s_cbranch_execnz .LBB82_118
.LBB82_123:
	s_waitcnt vmcnt(3)
	v_cmp_le_f64_e32 vcc, s[8:9], v[13:14]
	s_andn2_b64 s[24:25], s[24:25], exec
	s_and_b64 s[26:27], vcc, exec
	s_or_b64 s[24:25], s[24:25], s[26:27]
	s_cmp_lt_i32 s48, 1
	s_mov_b64 s[28:29], 0
	s_cbranch_scc0 .LBB82_119
.LBB82_124:
                                        ; implicit-def: $sgpr26_sgpr27
	s_mov_b64 s[30:31], 0
	s_cbranch_execnz .LBB82_128
	s_branch .LBB82_129
.LBB82_125:
	s_mov_b64 s[30:31], 0
                                        ; implicit-def: $sgpr26_sgpr27
	s_cbranch_execz .LBB82_127
; %bb.126:
	s_waitcnt vmcnt(3)
	v_cmp_lt_f64_e32 vcc, s[8:9], v[15:16]
	s_andn2_b64 s[26:27], s[26:27], exec
	s_and_b64 s[34:35], vcc, exec
	s_or_b64 s[26:27], s[26:27], s[34:35]
.LBB82_127:
	s_branch .LBB82_129
.LBB82_128:
	s_cmp_lg_u32 s48, 0
	s_mov_b64 s[28:29], -1
	s_cselect_b64 s[30:31], -1, 0
.LBB82_129:
	s_andn2_b64 vcc, exec, s[30:31]
	s_cbranch_vccz .LBB82_135
; %bb.130:
	s_andn2_b64 vcc, exec, s[28:29]
	s_cbranch_vccz .LBB82_136
.LBB82_131:
	s_cmp_lt_i32 s48, 1
	s_mov_b64 s[30:31], 0
	s_cbranch_scc1 .LBB82_137
.LBB82_132:
	s_cmp_gt_i32 s48, 1
	s_cbranch_scc0 .LBB82_138
; %bb.133:
	s_cmp_eq_u32 s48, 2
	s_cbranch_scc0 .LBB82_260
; %bb.134:
	s_waitcnt vmcnt(2)
	v_cmp_ge_f64_e64 s[28:29], s[8:9], v[9:10]
	s_mov_b64 s[34:35], 0
	s_branch .LBB82_140
.LBB82_135:
	s_waitcnt vmcnt(3)
	v_cmp_gt_f64_e32 vcc, s[8:9], v[15:16]
	s_andn2_b64 s[26:27], s[26:27], exec
	s_and_b64 s[30:31], vcc, exec
	s_or_b64 s[26:27], s[26:27], s[30:31]
	s_cbranch_execnz .LBB82_131
.LBB82_136:
	s_waitcnt vmcnt(3)
	v_cmp_le_f64_e32 vcc, s[8:9], v[15:16]
	s_andn2_b64 s[26:27], s[26:27], exec
	s_and_b64 s[28:29], vcc, exec
	s_or_b64 s[26:27], s[26:27], s[28:29]
	s_cmp_lt_i32 s48, 1
	s_mov_b64 s[30:31], 0
	s_cbranch_scc0 .LBB82_132
.LBB82_137:
                                        ; implicit-def: $sgpr28_sgpr29
	s_mov_b64 s[34:35], 0
	s_cbranch_execnz .LBB82_141
	s_branch .LBB82_142
.LBB82_138:
	s_mov_b64 s[34:35], 0
                                        ; implicit-def: $sgpr28_sgpr29
	s_cbranch_execz .LBB82_140
; %bb.139:
	s_waitcnt vmcnt(2)
	v_cmp_lt_f64_e32 vcc, s[8:9], v[9:10]
	s_andn2_b64 s[28:29], s[28:29], exec
	s_and_b64 s[36:37], vcc, exec
	s_or_b64 s[28:29], s[28:29], s[36:37]
.LBB82_140:
	s_branch .LBB82_142
.LBB82_141:
	s_cmp_lg_u32 s48, 0
	s_mov_b64 s[30:31], -1
	s_cselect_b64 s[34:35], -1, 0
.LBB82_142:
	s_andn2_b64 vcc, exec, s[34:35]
	s_cbranch_vccz .LBB82_148
; %bb.143:
	s_andn2_b64 vcc, exec, s[30:31]
	s_cbranch_vccz .LBB82_149
.LBB82_144:
	s_cmp_lt_i32 s48, 1
	s_mov_b64 s[34:35], 0
	s_cbranch_scc1 .LBB82_150
.LBB82_145:
	s_cmp_gt_i32 s48, 1
	s_cbranch_scc0 .LBB82_151
; %bb.146:
	s_cmp_eq_u32 s48, 2
	s_cbranch_scc0 .LBB82_261
; %bb.147:
	s_waitcnt vmcnt(2)
	v_cmp_ge_f64_e64 s[30:31], s[8:9], v[11:12]
	s_mov_b64 s[36:37], 0
	s_branch .LBB82_153
.LBB82_148:
	s_waitcnt vmcnt(2)
	v_cmp_gt_f64_e32 vcc, s[8:9], v[9:10]
	s_andn2_b64 s[28:29], s[28:29], exec
	s_and_b64 s[34:35], vcc, exec
	s_or_b64 s[28:29], s[28:29], s[34:35]
	s_cbranch_execnz .LBB82_144
.LBB82_149:
	s_waitcnt vmcnt(2)
	v_cmp_le_f64_e32 vcc, s[8:9], v[9:10]
	s_andn2_b64 s[28:29], s[28:29], exec
	s_and_b64 s[30:31], vcc, exec
	s_or_b64 s[28:29], s[28:29], s[30:31]
	s_cmp_lt_i32 s48, 1
	s_mov_b64 s[34:35], 0
	s_cbranch_scc0 .LBB82_145
.LBB82_150:
                                        ; implicit-def: $sgpr30_sgpr31
	s_mov_b64 s[36:37], 0
	s_cbranch_execnz .LBB82_154
	s_branch .LBB82_155
.LBB82_151:
	s_mov_b64 s[36:37], 0
                                        ; implicit-def: $sgpr30_sgpr31
	s_cbranch_execz .LBB82_153
; %bb.152:
	s_waitcnt vmcnt(2)
	v_cmp_lt_f64_e32 vcc, s[8:9], v[11:12]
	s_andn2_b64 s[30:31], s[30:31], exec
	s_and_b64 s[38:39], vcc, exec
	s_or_b64 s[30:31], s[30:31], s[38:39]
.LBB82_153:
	s_branch .LBB82_155
.LBB82_154:
	s_cmp_lg_u32 s48, 0
	s_mov_b64 s[34:35], -1
	s_cselect_b64 s[36:37], -1, 0
.LBB82_155:
	s_andn2_b64 vcc, exec, s[36:37]
	s_cbranch_vccz .LBB82_161
; %bb.156:
	s_andn2_b64 vcc, exec, s[34:35]
	s_cbranch_vccz .LBB82_162
.LBB82_157:
	s_cmp_lt_i32 s48, 1
	s_mov_b64 s[36:37], 0
	s_cbranch_scc1 .LBB82_163
.LBB82_158:
	s_cmp_gt_i32 s48, 1
	s_cbranch_scc0 .LBB82_164
; %bb.159:
	s_cmp_eq_u32 s48, 2
	s_cbranch_scc0 .LBB82_262
; %bb.160:
	s_waitcnt vmcnt(1)
	v_cmp_ge_f64_e64 s[34:35], s[8:9], v[5:6]
	s_mov_b64 s[38:39], 0
	s_branch .LBB82_166
.LBB82_161:
	s_waitcnt vmcnt(2)
	v_cmp_gt_f64_e32 vcc, s[8:9], v[11:12]
	s_andn2_b64 s[30:31], s[30:31], exec
	s_and_b64 s[36:37], vcc, exec
	s_or_b64 s[30:31], s[30:31], s[36:37]
	s_cbranch_execnz .LBB82_157
.LBB82_162:
	s_waitcnt vmcnt(2)
	v_cmp_le_f64_e32 vcc, s[8:9], v[11:12]
	s_andn2_b64 s[30:31], s[30:31], exec
	s_and_b64 s[34:35], vcc, exec
	s_or_b64 s[30:31], s[30:31], s[34:35]
	s_cmp_lt_i32 s48, 1
	s_mov_b64 s[36:37], 0
	s_cbranch_scc0 .LBB82_158
.LBB82_163:
                                        ; implicit-def: $sgpr34_sgpr35
	s_mov_b64 s[38:39], 0
	s_cbranch_execnz .LBB82_167
	s_branch .LBB82_168
.LBB82_164:
	s_mov_b64 s[38:39], 0
                                        ; implicit-def: $sgpr34_sgpr35
	s_cbranch_execz .LBB82_166
; %bb.165:
	s_waitcnt vmcnt(1)
	v_cmp_lt_f64_e32 vcc, s[8:9], v[5:6]
	s_andn2_b64 s[34:35], s[34:35], exec
	s_and_b64 s[40:41], vcc, exec
	s_or_b64 s[34:35], s[34:35], s[40:41]
.LBB82_166:
	s_branch .LBB82_168
.LBB82_167:
	s_cmp_lg_u32 s48, 0
	s_mov_b64 s[36:37], -1
	s_cselect_b64 s[38:39], -1, 0
.LBB82_168:
	s_andn2_b64 vcc, exec, s[38:39]
	s_cbranch_vccz .LBB82_174
; %bb.169:
	s_andn2_b64 vcc, exec, s[36:37]
	s_cbranch_vccz .LBB82_175
.LBB82_170:
	s_cmp_lt_i32 s48, 1
	s_mov_b64 s[38:39], 0
	s_cbranch_scc1 .LBB82_176
.LBB82_171:
	s_cmp_gt_i32 s48, 1
	s_cbranch_scc0 .LBB82_177
; %bb.172:
	s_cmp_eq_u32 s48, 2
	s_cbranch_scc0 .LBB82_263
; %bb.173:
	s_waitcnt vmcnt(1)
	v_cmp_ge_f64_e64 s[36:37], s[8:9], v[7:8]
	s_mov_b64 s[40:41], 0
	s_branch .LBB82_179
.LBB82_174:
	s_waitcnt vmcnt(1)
	v_cmp_gt_f64_e32 vcc, s[8:9], v[5:6]
	s_andn2_b64 s[34:35], s[34:35], exec
	s_and_b64 s[38:39], vcc, exec
	s_or_b64 s[34:35], s[34:35], s[38:39]
	s_cbranch_execnz .LBB82_170
.LBB82_175:
	s_waitcnt vmcnt(1)
	v_cmp_le_f64_e32 vcc, s[8:9], v[5:6]
	s_andn2_b64 s[34:35], s[34:35], exec
	s_and_b64 s[36:37], vcc, exec
	s_or_b64 s[34:35], s[34:35], s[36:37]
	s_cmp_lt_i32 s48, 1
	s_mov_b64 s[38:39], 0
	s_cbranch_scc0 .LBB82_171
.LBB82_176:
                                        ; implicit-def: $sgpr36_sgpr37
	s_mov_b64 s[40:41], 0
	s_cbranch_execnz .LBB82_180
	s_branch .LBB82_181
.LBB82_177:
	s_mov_b64 s[40:41], 0
                                        ; implicit-def: $sgpr36_sgpr37
	s_cbranch_execz .LBB82_179
; %bb.178:
	s_waitcnt vmcnt(1)
	v_cmp_lt_f64_e32 vcc, s[8:9], v[7:8]
	s_andn2_b64 s[36:37], s[36:37], exec
	s_and_b64 s[42:43], vcc, exec
	s_or_b64 s[36:37], s[36:37], s[42:43]
.LBB82_179:
	s_branch .LBB82_181
.LBB82_180:
	s_cmp_lg_u32 s48, 0
	s_mov_b64 s[38:39], -1
	s_cselect_b64 s[40:41], -1, 0
.LBB82_181:
	s_andn2_b64 vcc, exec, s[40:41]
	s_cbranch_vccz .LBB82_187
; %bb.182:
	s_andn2_b64 vcc, exec, s[38:39]
	s_cbranch_vccz .LBB82_188
.LBB82_183:
	s_cmp_lt_i32 s48, 1
	s_mov_b64 s[40:41], 0
	s_cbranch_scc1 .LBB82_189
.LBB82_184:
	s_cmp_gt_i32 s48, 1
	s_cbranch_scc0 .LBB82_190
; %bb.185:
	s_cmp_eq_u32 s48, 2
	s_cbranch_scc0 .LBB82_264
; %bb.186:
	s_waitcnt vmcnt(0)
	v_cmp_ge_f64_e64 s[38:39], s[8:9], v[1:2]
	s_mov_b64 s[42:43], 0
	s_branch .LBB82_192
.LBB82_187:
	s_waitcnt vmcnt(1)
	v_cmp_gt_f64_e32 vcc, s[8:9], v[7:8]
	s_andn2_b64 s[36:37], s[36:37], exec
	s_and_b64 s[40:41], vcc, exec
	s_or_b64 s[36:37], s[36:37], s[40:41]
	s_cbranch_execnz .LBB82_183
.LBB82_188:
	s_waitcnt vmcnt(1)
	v_cmp_le_f64_e32 vcc, s[8:9], v[7:8]
	s_andn2_b64 s[36:37], s[36:37], exec
	s_and_b64 s[38:39], vcc, exec
	s_or_b64 s[36:37], s[36:37], s[38:39]
	s_cmp_lt_i32 s48, 1
	s_mov_b64 s[40:41], 0
	s_cbranch_scc0 .LBB82_184
.LBB82_189:
                                        ; implicit-def: $sgpr38_sgpr39
	s_mov_b64 s[42:43], 0
	s_cbranch_execnz .LBB82_193
	s_branch .LBB82_194
.LBB82_190:
	s_mov_b64 s[42:43], 0
                                        ; implicit-def: $sgpr38_sgpr39
	s_cbranch_execz .LBB82_192
; %bb.191:
	s_waitcnt vmcnt(0)
	v_cmp_lt_f64_e32 vcc, s[8:9], v[1:2]
	s_andn2_b64 s[38:39], s[38:39], exec
	s_and_b64 s[44:45], vcc, exec
	s_or_b64 s[38:39], s[38:39], s[44:45]
.LBB82_192:
	s_branch .LBB82_194
.LBB82_193:
	s_cmp_lg_u32 s48, 0
	s_mov_b64 s[40:41], -1
	s_cselect_b64 s[42:43], -1, 0
.LBB82_194:
	s_andn2_b64 vcc, exec, s[42:43]
	s_cbranch_vccz .LBB82_200
; %bb.195:
	s_andn2_b64 vcc, exec, s[40:41]
	s_cbranch_vccz .LBB82_201
.LBB82_196:
	s_cmp_lt_i32 s48, 1
	s_mov_b64 s[42:43], 0
	s_cbranch_scc1 .LBB82_202
.LBB82_197:
	s_cmp_gt_i32 s48, 1
	s_cbranch_scc0 .LBB82_203
; %bb.198:
	s_cmp_eq_u32 s48, 2
	s_cbranch_scc0 .LBB82_265
; %bb.199:
	s_waitcnt vmcnt(0)
	v_cmp_ge_f64_e64 s[40:41], s[8:9], v[3:4]
	s_mov_b64 s[44:45], 0
	s_branch .LBB82_205
.LBB82_200:
	s_waitcnt vmcnt(0)
	v_cmp_gt_f64_e32 vcc, s[8:9], v[1:2]
	s_andn2_b64 s[38:39], s[38:39], exec
	s_and_b64 s[42:43], vcc, exec
	s_or_b64 s[38:39], s[38:39], s[42:43]
	s_cbranch_execnz .LBB82_196
.LBB82_201:
	s_waitcnt vmcnt(0)
	v_cmp_le_f64_e32 vcc, s[8:9], v[1:2]
	s_andn2_b64 s[38:39], s[38:39], exec
	s_and_b64 s[40:41], vcc, exec
	s_or_b64 s[38:39], s[38:39], s[40:41]
	s_cmp_lt_i32 s48, 1
	s_mov_b64 s[42:43], 0
	s_cbranch_scc0 .LBB82_197
.LBB82_202:
                                        ; implicit-def: $sgpr40_sgpr41
	s_mov_b64 s[44:45], 0
	s_cbranch_execnz .LBB82_206
	s_branch .LBB82_207
.LBB82_203:
	s_mov_b64 s[44:45], 0
                                        ; implicit-def: $sgpr40_sgpr41
	s_cbranch_execz .LBB82_205
; %bb.204:
	s_waitcnt vmcnt(0)
	v_cmp_lt_f64_e32 vcc, s[8:9], v[3:4]
	s_andn2_b64 s[40:41], s[40:41], exec
	s_and_b64 s[46:47], vcc, exec
	s_or_b64 s[40:41], s[40:41], s[46:47]
.LBB82_205:
	s_branch .LBB82_207
.LBB82_206:
	s_cmp_lg_u32 s48, 0
	s_mov_b64 s[42:43], -1
	s_cselect_b64 s[44:45], -1, 0
.LBB82_207:
	s_andn2_b64 vcc, exec, s[44:45]
	s_cbranch_vccz .LBB82_243
; %bb.208:
	s_andn2_b64 vcc, exec, s[42:43]
	s_cbranch_vccnz .LBB82_210
.LBB82_209:
	s_waitcnt vmcnt(0)
	v_cmp_le_f64_e32 vcc, s[8:9], v[3:4]
	s_andn2_b64 s[40:41], s[40:41], exec
	s_and_b64 s[42:43], vcc, exec
	s_or_b64 s[40:41], s[40:41], s[42:43]
.LBB82_210:
	s_waitcnt vmcnt(0)
	v_mov_b32_e32 v1, 0x100
	v_cndmask_b32_e64 v2, 0, v1, s[36:37]
	v_cndmask_b32_e64 v3, 0, 1, s[34:35]
	v_or_b32_e32 v2, v2, v3
	v_mov_b32_e32 v3, 0x10000
	v_cndmask_b32_e64 v5, 0, v1, s[26:27]
	v_cndmask_b32_e64 v6, 0, 1, s[24:25]
	v_mov_b32_e32 v7, 0x1000000
	v_or_b32_e32 v5, v5, v6
	v_cndmask_b32_e64 v6, 0, v3, s[28:29]
	v_cndmask_b32_e64 v8, 0, v7, s[30:31]
	v_or3_b32 v5, v5, v6, v8
	v_cndmask_b32_e64 v6, 0, v1, s[18:19]
	v_cndmask_b32_e64 v8, 0, 1, s[16:17]
	v_or_b32_e32 v6, v6, v8
	v_cndmask_b32_e64 v8, 0, v3, s[20:21]
	v_cndmask_b32_e64 v9, 0, v7, s[22:23]
	v_or3_b32 v6, v6, v8, v9
	v_cndmask_b32_e64 v1, 0, v1, s[4:5]
	v_cndmask_b32_e64 v8, 0, 1, s[0:1]
	;; [unrolled: 1-line block ×3, first 2 shown]
	v_or_b32_e32 v1, v1, v8
	v_cndmask_b32_e64 v3, 0, v3, s[6:7]
	v_cndmask_b32_e64 v8, 0, v7, s[14:15]
	v_or3_b32 v1, v1, v3, v8
	v_cndmask_b32_e64 v3, 0, v7, s[40:41]
	s_add_u32 s0, s10, s2
	v_or3_b32 v2, v2, v4, v3
	s_addc_u32 s1, s11, s3
	v_lshlrev_b32_e32 v3, 2, v0
	global_store_dword v3, v1, s[0:1]
	global_store_dword v3, v6, s[0:1] offset:1024
	global_store_dword v3, v5, s[0:1] offset:2048
	;; [unrolled: 1-line block ×3, first 2 shown]
	s_mov_b64 s[0:1], 0
.LBB82_211:
	s_and_b64 vcc, exec, s[0:1]
	s_cbranch_vccz .LBB82_519
; %bb.212:
	v_mov_b32_e32 v30, 0
	v_mov_b32_e32 v32, 0
	v_cmp_gt_i32_e64 s[0:1], s33, v0
	v_mov_b32_e32 v31, 0
	v_or_b32_e32 v1, s2, v0
	v_mov_b32_e32 v33, 0
	v_mov_b32_e32 v34, v0
	s_and_saveexec_b64 s[4:5], s[0:1]
	s_cbranch_execz .LBB82_214
; %bb.213:
	v_mov_b32_e32 v2, 0
	v_lshlrev_b64 v[2:3], 3, v[1:2]
	v_mov_b32_e32 v4, s13
	v_add_co_u32_e32 v2, vcc, s12, v2
	v_addc_co_u32_e32 v3, vcc, v4, v3, vcc
	global_load_dwordx2 v[32:33], v[2:3], off
	v_or_b32_e32 v34, 0x100, v0
.LBB82_214:
	s_or_b64 exec, exec, s[4:5]
	v_cmp_gt_i32_e32 vcc, s33, v34
	s_and_saveexec_b64 s[4:5], vcc
	s_cbranch_execz .LBB82_216
; %bb.215:
	v_add_u32_e32 v2, s2, v34
	v_mov_b32_e32 v3, 0
	v_lshlrev_b64 v[2:3], 3, v[2:3]
	v_mov_b32_e32 v4, s13
	v_add_co_u32_e32 v2, vcc, s12, v2
	v_addc_co_u32_e32 v3, vcc, v4, v3, vcc
	global_load_dwordx2 v[30:31], v[2:3], off
	v_add_u32_e32 v34, 0x100, v34
.LBB82_216:
	s_or_b64 exec, exec, s[4:5]
	v_mov_b32_e32 v26, 0
	v_mov_b32_e32 v28, 0
	v_mov_b32_e32 v27, 0
	v_mov_b32_e32 v29, 0
	v_cmp_gt_i32_e32 vcc, s33, v34
	s_and_saveexec_b64 s[4:5], vcc
	s_cbranch_execz .LBB82_218
; %bb.217:
	v_add_u32_e32 v2, s2, v34
	v_mov_b32_e32 v3, 0
	v_lshlrev_b64 v[2:3], 3, v[2:3]
	v_mov_b32_e32 v4, s13
	v_add_co_u32_e32 v2, vcc, s12, v2
	v_addc_co_u32_e32 v3, vcc, v4, v3, vcc
	global_load_dwordx2 v[28:29], v[2:3], off
	v_add_u32_e32 v34, 0x100, v34
.LBB82_218:
	s_or_b64 exec, exec, s[4:5]
	v_cmp_gt_i32_e32 vcc, s33, v34
	s_and_saveexec_b64 s[4:5], vcc
	s_cbranch_execz .LBB82_220
; %bb.219:
	v_add_u32_e32 v2, s2, v34
	v_mov_b32_e32 v3, 0
	v_lshlrev_b64 v[2:3], 3, v[2:3]
	v_mov_b32_e32 v4, s13
	v_add_co_u32_e32 v2, vcc, s12, v2
	v_addc_co_u32_e32 v3, vcc, v4, v3, vcc
	global_load_dwordx2 v[26:27], v[2:3], off
	v_add_u32_e32 v34, 0x100, v34
.LBB82_220:
	s_or_b64 exec, exec, s[4:5]
	v_mov_b32_e32 v22, 0
	v_mov_b32_e32 v24, 0
	v_mov_b32_e32 v23, 0
	v_mov_b32_e32 v25, 0
	v_cmp_gt_i32_e32 vcc, s33, v34
	s_and_saveexec_b64 s[4:5], vcc
	s_cbranch_execz .LBB82_222
; %bb.221:
	v_add_u32_e32 v2, s2, v34
	v_mov_b32_e32 v3, 0
	v_lshlrev_b64 v[2:3], 3, v[2:3]
	v_mov_b32_e32 v4, s13
	v_add_co_u32_e32 v2, vcc, s12, v2
	v_addc_co_u32_e32 v3, vcc, v4, v3, vcc
	global_load_dwordx2 v[24:25], v[2:3], off
	v_add_u32_e32 v34, 0x100, v34
.LBB82_222:
	s_or_b64 exec, exec, s[4:5]
	v_cmp_gt_i32_e32 vcc, s33, v34
	s_and_saveexec_b64 s[4:5], vcc
	s_cbranch_execz .LBB82_224
; %bb.223:
	v_add_u32_e32 v2, s2, v34
	v_mov_b32_e32 v3, 0
	v_lshlrev_b64 v[2:3], 3, v[2:3]
	v_mov_b32_e32 v4, s13
	v_add_co_u32_e32 v2, vcc, s12, v2
	v_addc_co_u32_e32 v3, vcc, v4, v3, vcc
	global_load_dwordx2 v[22:23], v[2:3], off
	v_add_u32_e32 v34, 0x100, v34
.LBB82_224:
	s_or_b64 exec, exec, s[4:5]
	v_mov_b32_e32 v18, 0
	v_mov_b32_e32 v20, 0
	v_mov_b32_e32 v19, 0
	v_mov_b32_e32 v21, 0
	v_cmp_gt_i32_e32 vcc, s33, v34
	s_and_saveexec_b64 s[4:5], vcc
	s_cbranch_execz .LBB82_226
; %bb.225:
	v_add_u32_e32 v2, s2, v34
	v_mov_b32_e32 v3, 0
	v_lshlrev_b64 v[2:3], 3, v[2:3]
	v_mov_b32_e32 v4, s13
	v_add_co_u32_e32 v2, vcc, s12, v2
	v_addc_co_u32_e32 v3, vcc, v4, v3, vcc
	global_load_dwordx2 v[20:21], v[2:3], off
	v_add_u32_e32 v34, 0x100, v34
.LBB82_226:
	s_or_b64 exec, exec, s[4:5]
	v_cmp_gt_i32_e32 vcc, s33, v34
	s_and_saveexec_b64 s[4:5], vcc
	s_cbranch_execz .LBB82_228
; %bb.227:
	v_add_u32_e32 v2, s2, v34
	v_mov_b32_e32 v3, 0
	v_lshlrev_b64 v[2:3], 3, v[2:3]
	v_mov_b32_e32 v4, s13
	v_add_co_u32_e32 v2, vcc, s12, v2
	v_addc_co_u32_e32 v3, vcc, v4, v3, vcc
	global_load_dwordx2 v[18:19], v[2:3], off
	v_add_u32_e32 v34, 0x100, v34
.LBB82_228:
	s_or_b64 exec, exec, s[4:5]
	v_mov_b32_e32 v14, 0
	v_mov_b32_e32 v16, 0
	v_mov_b32_e32 v15, 0
	v_mov_b32_e32 v17, 0
	v_cmp_gt_i32_e32 vcc, s33, v34
	s_and_saveexec_b64 s[4:5], vcc
	s_cbranch_execz .LBB82_230
; %bb.229:
	v_add_u32_e32 v2, s2, v34
	v_mov_b32_e32 v3, 0
	v_lshlrev_b64 v[2:3], 3, v[2:3]
	v_mov_b32_e32 v4, s13
	v_add_co_u32_e32 v2, vcc, s12, v2
	v_addc_co_u32_e32 v3, vcc, v4, v3, vcc
	global_load_dwordx2 v[16:17], v[2:3], off
	v_add_u32_e32 v34, 0x100, v34
.LBB82_230:
	s_or_b64 exec, exec, s[4:5]
	v_cmp_gt_i32_e32 vcc, s33, v34
	s_and_saveexec_b64 s[4:5], vcc
	s_cbranch_execz .LBB82_232
; %bb.231:
	v_add_u32_e32 v2, s2, v34
	v_mov_b32_e32 v3, 0
	v_lshlrev_b64 v[2:3], 3, v[2:3]
	v_mov_b32_e32 v4, s13
	v_add_co_u32_e32 v2, vcc, s12, v2
	v_addc_co_u32_e32 v3, vcc, v4, v3, vcc
	global_load_dwordx2 v[14:15], v[2:3], off
	v_add_u32_e32 v34, 0x100, v34
.LBB82_232:
	s_or_b64 exec, exec, s[4:5]
	v_mov_b32_e32 v10, 0
	v_mov_b32_e32 v12, 0
	v_mov_b32_e32 v11, 0
	v_mov_b32_e32 v13, 0
	v_cmp_gt_i32_e32 vcc, s33, v34
	s_and_saveexec_b64 s[4:5], vcc
	s_cbranch_execz .LBB82_234
; %bb.233:
	v_add_u32_e32 v2, s2, v34
	v_mov_b32_e32 v3, 0
	v_lshlrev_b64 v[2:3], 3, v[2:3]
	v_mov_b32_e32 v4, s13
	v_add_co_u32_e32 v2, vcc, s12, v2
	v_addc_co_u32_e32 v3, vcc, v4, v3, vcc
	global_load_dwordx2 v[12:13], v[2:3], off
	v_add_u32_e32 v34, 0x100, v34
.LBB82_234:
	s_or_b64 exec, exec, s[4:5]
	v_cmp_gt_i32_e32 vcc, s33, v34
	s_and_saveexec_b64 s[4:5], vcc
	s_cbranch_execz .LBB82_236
; %bb.235:
	v_add_u32_e32 v2, s2, v34
	v_mov_b32_e32 v3, 0
	v_lshlrev_b64 v[2:3], 3, v[2:3]
	v_mov_b32_e32 v4, s13
	v_add_co_u32_e32 v2, vcc, s12, v2
	v_addc_co_u32_e32 v3, vcc, v4, v3, vcc
	global_load_dwordx2 v[10:11], v[2:3], off
	v_add_u32_e32 v34, 0x100, v34
.LBB82_236:
	s_or_b64 exec, exec, s[4:5]
	v_mov_b32_e32 v6, 0
	v_mov_b32_e32 v8, 0
	v_mov_b32_e32 v7, 0
	v_mov_b32_e32 v9, 0
	v_cmp_gt_i32_e32 vcc, s33, v34
	s_and_saveexec_b64 s[4:5], vcc
	s_cbranch_execz .LBB82_238
; %bb.237:
	v_add_u32_e32 v2, s2, v34
	v_mov_b32_e32 v3, 0
	v_lshlrev_b64 v[2:3], 3, v[2:3]
	v_mov_b32_e32 v4, s13
	v_add_co_u32_e32 v2, vcc, s12, v2
	v_addc_co_u32_e32 v3, vcc, v4, v3, vcc
	global_load_dwordx2 v[8:9], v[2:3], off
	v_add_u32_e32 v34, 0x100, v34
.LBB82_238:
	s_or_b64 exec, exec, s[4:5]
	v_cmp_gt_i32_e32 vcc, s33, v34
	s_and_saveexec_b64 s[4:5], vcc
	s_cbranch_execz .LBB82_240
; %bb.239:
	v_add_u32_e32 v2, s2, v34
	v_mov_b32_e32 v3, 0
	v_lshlrev_b64 v[2:3], 3, v[2:3]
	v_mov_b32_e32 v4, s13
	v_add_co_u32_e32 v2, vcc, s12, v2
	v_addc_co_u32_e32 v3, vcc, v4, v3, vcc
	global_load_dwordx2 v[6:7], v[2:3], off
	v_add_u32_e32 v34, 0x100, v34
.LBB82_240:
	s_or_b64 exec, exec, s[4:5]
	v_mov_b32_e32 v2, 0
	v_mov_b32_e32 v4, 0
	;; [unrolled: 1-line block ×4, first 2 shown]
	v_cmp_gt_i32_e32 vcc, s33, v34
	s_and_saveexec_b64 s[4:5], vcc
	s_cbranch_execnz .LBB82_244
; %bb.241:
	s_or_b64 exec, exec, s[4:5]
	v_cmp_gt_i32_e32 vcc, s33, v34
	s_and_saveexec_b64 s[4:5], vcc
	s_cbranch_execnz .LBB82_245
.LBB82_242:
	s_or_b64 exec, exec, s[4:5]
                                        ; implicit-def: $vgpr34
	s_and_saveexec_b64 s[4:5], s[0:1]
	s_cbranch_execnz .LBB82_246
	s_branch .LBB82_276
.LBB82_243:
	s_waitcnt vmcnt(0)
	v_cmp_gt_f64_e32 vcc, s[8:9], v[3:4]
	s_andn2_b64 s[40:41], s[40:41], exec
	s_and_b64 s[44:45], vcc, exec
	s_or_b64 s[40:41], s[40:41], s[44:45]
	s_cbranch_execz .LBB82_209
	s_branch .LBB82_210
.LBB82_244:
	v_add_u32_e32 v4, s2, v34
	v_mov_b32_e32 v5, 0
	v_lshlrev_b64 v[4:5], 3, v[4:5]
	v_mov_b32_e32 v35, s13
	v_add_co_u32_e32 v4, vcc, s12, v4
	v_addc_co_u32_e32 v5, vcc, v35, v5, vcc
	global_load_dwordx2 v[4:5], v[4:5], off
	v_add_u32_e32 v34, 0x100, v34
	s_or_b64 exec, exec, s[4:5]
	v_cmp_gt_i32_e32 vcc, s33, v34
	s_and_saveexec_b64 s[4:5], vcc
	s_cbranch_execz .LBB82_242
.LBB82_245:
	v_add_u32_e32 v2, s2, v34
	v_mov_b32_e32 v3, 0
	v_lshlrev_b64 v[2:3], 3, v[2:3]
	v_mov_b32_e32 v34, s13
	v_add_co_u32_e32 v2, vcc, s12, v2
	v_addc_co_u32_e32 v3, vcc, v34, v3, vcc
	global_load_dwordx2 v[2:3], v[2:3], off
	s_or_b64 exec, exec, s[4:5]
                                        ; implicit-def: $vgpr34
	s_and_saveexec_b64 s[4:5], s[0:1]
	s_cbranch_execz .LBB82_276
.LBB82_246:
	s_cmp_lt_i32 s48, 1
	s_mov_b64 s[6:7], 0
	s_cbranch_scc1 .LBB82_250
; %bb.247:
	s_cmp_gt_i32 s48, 1
	s_cbranch_scc0 .LBB82_266
; %bb.248:
	s_cmp_eq_u32 s48, 2
	s_cbranch_scc0 .LBB82_267
; %bb.249:
	s_waitcnt vmcnt(0)
	v_cmp_ge_f64_e64 s[12:13], s[8:9], v[32:33]
	s_mov_b64 s[14:15], 0
	s_branch .LBB82_268
.LBB82_250:
                                        ; implicit-def: $sgpr12_sgpr13
	s_mov_b64 s[14:15], 0
	s_cbranch_execnz .LBB82_271
	s_branch .LBB82_272
.LBB82_251:
	s_mov_b64 s[14:15], -1
                                        ; implicit-def: $sgpr4_sgpr5
	s_branch .LBB82_23
.LBB82_252:
	s_mov_b64 s[16:17], -1
                                        ; implicit-def: $sgpr6_sgpr7
	s_branch .LBB82_36
.LBB82_253:
	s_mov_b64 s[18:19], -1
                                        ; implicit-def: $sgpr14_sgpr15
	s_branch .LBB82_49
.LBB82_254:
	s_mov_b64 s[20:21], -1
                                        ; implicit-def: $sgpr16_sgpr17
	s_branch .LBB82_62
.LBB82_255:
	s_mov_b64 s[22:23], -1
                                        ; implicit-def: $sgpr18_sgpr19
	s_branch .LBB82_75
.LBB82_256:
	s_mov_b64 s[24:25], -1
                                        ; implicit-def: $sgpr20_sgpr21
	s_branch .LBB82_88
.LBB82_257:
	s_mov_b64 s[26:27], -1
                                        ; implicit-def: $sgpr22_sgpr23
	s_branch .LBB82_101
.LBB82_258:
	s_mov_b64 s[28:29], -1
                                        ; implicit-def: $sgpr24_sgpr25
	s_branch .LBB82_114
.LBB82_259:
	s_mov_b64 s[30:31], -1
                                        ; implicit-def: $sgpr26_sgpr27
	s_branch .LBB82_127
.LBB82_260:
	s_mov_b64 s[34:35], -1
                                        ; implicit-def: $sgpr28_sgpr29
	s_branch .LBB82_140
.LBB82_261:
	s_mov_b64 s[36:37], -1
                                        ; implicit-def: $sgpr30_sgpr31
	s_branch .LBB82_153
.LBB82_262:
	s_mov_b64 s[38:39], -1
                                        ; implicit-def: $sgpr34_sgpr35
	s_branch .LBB82_166
.LBB82_263:
	s_mov_b64 s[40:41], -1
                                        ; implicit-def: $sgpr36_sgpr37
	s_branch .LBB82_179
.LBB82_264:
	s_mov_b64 s[42:43], -1
                                        ; implicit-def: $sgpr38_sgpr39
	s_branch .LBB82_192
.LBB82_265:
	s_mov_b64 s[44:45], -1
                                        ; implicit-def: $sgpr40_sgpr41
	s_branch .LBB82_205
.LBB82_266:
	s_mov_b64 s[14:15], 0
                                        ; implicit-def: $sgpr12_sgpr13
	s_cbranch_execnz .LBB82_269
	s_branch .LBB82_270
.LBB82_267:
	s_mov_b64 s[14:15], -1
                                        ; implicit-def: $sgpr12_sgpr13
.LBB82_268:
	s_branch .LBB82_270
.LBB82_269:
	s_waitcnt vmcnt(0)
	v_cmp_lt_f64_e32 vcc, s[8:9], v[32:33]
	s_andn2_b64 s[12:13], s[12:13], exec
	s_and_b64 s[16:17], vcc, exec
	s_or_b64 s[12:13], s[12:13], s[16:17]
.LBB82_270:
	s_branch .LBB82_272
.LBB82_271:
	s_cmp_lg_u32 s48, 0
	s_mov_b64 s[6:7], -1
	s_cselect_b64 s[14:15], -1, 0
.LBB82_272:
	s_andn2_b64 vcc, exec, s[14:15]
	s_cbranch_vccz .LBB82_281
; %bb.273:
	s_andn2_b64 vcc, exec, s[6:7]
	s_cbranch_vccnz .LBB82_275
.LBB82_274:
	s_waitcnt vmcnt(0)
	v_cmp_le_f64_e32 vcc, s[8:9], v[32:33]
	s_andn2_b64 s[6:7], s[12:13], exec
	s_and_b64 s[12:13], vcc, exec
	s_or_b64 s[12:13], s[6:7], s[12:13]
.LBB82_275:
	v_cndmask_b32_e64 v34, 0, 1, s[12:13]
.LBB82_276:
	s_or_b64 exec, exec, s[4:5]
	s_waitcnt vmcnt(0)
	v_or_b32_e32 v32, 0x100, v0
	v_cmp_gt_i32_e32 vcc, s33, v32
                                        ; implicit-def: $vgpr33
	s_and_saveexec_b64 s[4:5], vcc
	s_cbranch_execz .LBB82_291
; %bb.277:
	s_cmp_lt_i32 s48, 1
	s_mov_b64 s[6:7], 0
	s_cbranch_scc1 .LBB82_282
; %bb.278:
	s_cmp_gt_i32 s48, 1
	s_cbranch_scc0 .LBB82_283
; %bb.279:
	s_cmp_eq_u32 s48, 2
	s_cbranch_scc0 .LBB82_535
; %bb.280:
	v_cmp_ge_f64_e64 s[12:13], s[8:9], v[30:31]
	s_mov_b64 s[14:15], 0
	s_branch .LBB82_285
.LBB82_281:
	s_waitcnt vmcnt(0)
	v_cmp_gt_f64_e32 vcc, s[8:9], v[32:33]
	s_andn2_b64 s[12:13], s[12:13], exec
	s_and_b64 s[14:15], vcc, exec
	s_or_b64 s[12:13], s[12:13], s[14:15]
	s_cbranch_execz .LBB82_274
	s_branch .LBB82_275
.LBB82_282:
                                        ; implicit-def: $sgpr12_sgpr13
	s_mov_b64 s[14:15], 0
	s_cbranch_execnz .LBB82_286
	s_branch .LBB82_287
.LBB82_283:
	s_mov_b64 s[14:15], 0
                                        ; implicit-def: $sgpr12_sgpr13
	s_cbranch_execz .LBB82_285
; %bb.284:
	v_cmp_lt_f64_e32 vcc, s[8:9], v[30:31]
	s_andn2_b64 s[12:13], s[12:13], exec
	s_and_b64 s[16:17], vcc, exec
	s_or_b64 s[12:13], s[12:13], s[16:17]
.LBB82_285:
	s_branch .LBB82_287
.LBB82_286:
	s_cmp_lg_u32 s48, 0
	s_mov_b64 s[6:7], -1
	s_cselect_b64 s[14:15], -1, 0
.LBB82_287:
	s_andn2_b64 vcc, exec, s[14:15]
	s_cbranch_vccz .LBB82_296
; %bb.288:
	s_andn2_b64 vcc, exec, s[6:7]
	s_cbranch_vccnz .LBB82_290
.LBB82_289:
	v_cmp_le_f64_e32 vcc, s[8:9], v[30:31]
	s_andn2_b64 s[6:7], s[12:13], exec
	s_and_b64 s[12:13], vcc, exec
	s_or_b64 s[12:13], s[6:7], s[12:13]
.LBB82_290:
	v_cndmask_b32_e64 v33, 0, 1, s[12:13]
.LBB82_291:
	s_or_b64 exec, exec, s[4:5]
	v_or_b32_e32 v30, 0x200, v0
	v_cmp_gt_i32_e32 vcc, s33, v30
                                        ; implicit-def: $vgpr30
	s_and_saveexec_b64 s[4:5], vcc
	s_cbranch_execz .LBB82_306
; %bb.292:
	s_cmp_lt_i32 s48, 1
	s_mov_b64 s[6:7], 0
	s_cbranch_scc1 .LBB82_297
; %bb.293:
	s_cmp_gt_i32 s48, 1
	s_cbranch_scc0 .LBB82_298
; %bb.294:
	s_cmp_eq_u32 s48, 2
	s_cbranch_scc0 .LBB82_536
; %bb.295:
	v_cmp_ge_f64_e64 s[12:13], s[8:9], v[28:29]
	s_mov_b64 s[14:15], 0
	s_branch .LBB82_300
.LBB82_296:
	v_cmp_gt_f64_e32 vcc, s[8:9], v[30:31]
	s_andn2_b64 s[12:13], s[12:13], exec
	s_and_b64 s[14:15], vcc, exec
	s_or_b64 s[12:13], s[12:13], s[14:15]
	s_cbranch_execz .LBB82_289
	s_branch .LBB82_290
.LBB82_297:
                                        ; implicit-def: $sgpr12_sgpr13
	s_mov_b64 s[14:15], 0
	s_cbranch_execnz .LBB82_301
	s_branch .LBB82_302
.LBB82_298:
	s_mov_b64 s[14:15], 0
                                        ; implicit-def: $sgpr12_sgpr13
	s_cbranch_execz .LBB82_300
; %bb.299:
	v_cmp_lt_f64_e32 vcc, s[8:9], v[28:29]
	s_andn2_b64 s[12:13], s[12:13], exec
	s_and_b64 s[16:17], vcc, exec
	s_or_b64 s[12:13], s[12:13], s[16:17]
.LBB82_300:
	s_branch .LBB82_302
.LBB82_301:
	s_cmp_lg_u32 s48, 0
	s_mov_b64 s[6:7], -1
	s_cselect_b64 s[14:15], -1, 0
.LBB82_302:
	s_andn2_b64 vcc, exec, s[14:15]
	s_cbranch_vccz .LBB82_311
; %bb.303:
	s_andn2_b64 vcc, exec, s[6:7]
	s_cbranch_vccnz .LBB82_305
.LBB82_304:
	v_cmp_le_f64_e32 vcc, s[8:9], v[28:29]
	s_andn2_b64 s[6:7], s[12:13], exec
	s_and_b64 s[12:13], vcc, exec
	s_or_b64 s[12:13], s[6:7], s[12:13]
.LBB82_305:
	v_cndmask_b32_e64 v30, 0, 1, s[12:13]
.LBB82_306:
	s_or_b64 exec, exec, s[4:5]
	v_or_b32_e32 v28, 0x300, v0
	v_cmp_gt_i32_e32 vcc, s33, v28
                                        ; implicit-def: $vgpr28
	s_and_saveexec_b64 s[4:5], vcc
	s_cbranch_execz .LBB82_321
; %bb.307:
	s_cmp_lt_i32 s48, 1
	s_mov_b64 s[6:7], 0
	s_cbranch_scc1 .LBB82_312
; %bb.308:
	s_cmp_gt_i32 s48, 1
	s_cbranch_scc0 .LBB82_313
; %bb.309:
	s_cmp_eq_u32 s48, 2
	s_cbranch_scc0 .LBB82_537
; %bb.310:
	v_cmp_ge_f64_e64 s[12:13], s[8:9], v[26:27]
	s_mov_b64 s[14:15], 0
	s_branch .LBB82_315
.LBB82_311:
	v_cmp_gt_f64_e32 vcc, s[8:9], v[28:29]
	s_andn2_b64 s[12:13], s[12:13], exec
	s_and_b64 s[14:15], vcc, exec
	s_or_b64 s[12:13], s[12:13], s[14:15]
	s_cbranch_execz .LBB82_304
	s_branch .LBB82_305
.LBB82_312:
                                        ; implicit-def: $sgpr12_sgpr13
	s_mov_b64 s[14:15], 0
	s_cbranch_execnz .LBB82_316
	s_branch .LBB82_317
.LBB82_313:
	s_mov_b64 s[14:15], 0
                                        ; implicit-def: $sgpr12_sgpr13
	s_cbranch_execz .LBB82_315
; %bb.314:
	v_cmp_lt_f64_e32 vcc, s[8:9], v[26:27]
	s_andn2_b64 s[12:13], s[12:13], exec
	s_and_b64 s[16:17], vcc, exec
	s_or_b64 s[12:13], s[12:13], s[16:17]
.LBB82_315:
	s_branch .LBB82_317
.LBB82_316:
	s_cmp_lg_u32 s48, 0
	s_mov_b64 s[6:7], -1
	s_cselect_b64 s[14:15], -1, 0
.LBB82_317:
	s_andn2_b64 vcc, exec, s[14:15]
	s_cbranch_vccz .LBB82_326
; %bb.318:
	s_andn2_b64 vcc, exec, s[6:7]
	s_cbranch_vccnz .LBB82_320
.LBB82_319:
	v_cmp_le_f64_e32 vcc, s[8:9], v[26:27]
	s_andn2_b64 s[6:7], s[12:13], exec
	s_and_b64 s[12:13], vcc, exec
	s_or_b64 s[12:13], s[6:7], s[12:13]
.LBB82_320:
	v_cndmask_b32_e64 v28, 0, 1, s[12:13]
.LBB82_321:
	s_or_b64 exec, exec, s[4:5]
	v_or_b32_e32 v26, 0x400, v0
	v_cmp_gt_i32_e32 vcc, s33, v26
                                        ; implicit-def: $vgpr26
	s_and_saveexec_b64 s[4:5], vcc
	s_cbranch_execz .LBB82_336
; %bb.322:
	s_cmp_lt_i32 s48, 1
	s_mov_b64 s[6:7], 0
	s_cbranch_scc1 .LBB82_327
; %bb.323:
	s_cmp_gt_i32 s48, 1
	s_cbranch_scc0 .LBB82_328
; %bb.324:
	s_cmp_eq_u32 s48, 2
	s_cbranch_scc0 .LBB82_538
; %bb.325:
	v_cmp_ge_f64_e64 s[12:13], s[8:9], v[24:25]
	s_mov_b64 s[14:15], 0
	s_branch .LBB82_330
.LBB82_326:
	v_cmp_gt_f64_e32 vcc, s[8:9], v[26:27]
	s_andn2_b64 s[12:13], s[12:13], exec
	s_and_b64 s[14:15], vcc, exec
	s_or_b64 s[12:13], s[12:13], s[14:15]
	s_cbranch_execz .LBB82_319
	s_branch .LBB82_320
.LBB82_327:
                                        ; implicit-def: $sgpr12_sgpr13
	s_mov_b64 s[14:15], 0
	s_cbranch_execnz .LBB82_331
	s_branch .LBB82_332
.LBB82_328:
	s_mov_b64 s[14:15], 0
                                        ; implicit-def: $sgpr12_sgpr13
	s_cbranch_execz .LBB82_330
; %bb.329:
	v_cmp_lt_f64_e32 vcc, s[8:9], v[24:25]
	s_andn2_b64 s[12:13], s[12:13], exec
	s_and_b64 s[16:17], vcc, exec
	s_or_b64 s[12:13], s[12:13], s[16:17]
.LBB82_330:
	s_branch .LBB82_332
.LBB82_331:
	s_cmp_lg_u32 s48, 0
	s_mov_b64 s[6:7], -1
	s_cselect_b64 s[14:15], -1, 0
.LBB82_332:
	s_andn2_b64 vcc, exec, s[14:15]
	s_cbranch_vccz .LBB82_341
; %bb.333:
	s_andn2_b64 vcc, exec, s[6:7]
	s_cbranch_vccnz .LBB82_335
.LBB82_334:
	v_cmp_le_f64_e32 vcc, s[8:9], v[24:25]
	s_andn2_b64 s[6:7], s[12:13], exec
	s_and_b64 s[12:13], vcc, exec
	s_or_b64 s[12:13], s[6:7], s[12:13]
.LBB82_335:
	v_cndmask_b32_e64 v26, 0, 1, s[12:13]
.LBB82_336:
	s_or_b64 exec, exec, s[4:5]
	v_or_b32_e32 v24, 0x500, v0
	v_cmp_gt_i32_e32 vcc, s33, v24
                                        ; implicit-def: $vgpr24
	s_and_saveexec_b64 s[4:5], vcc
	s_cbranch_execz .LBB82_351
; %bb.337:
	s_cmp_lt_i32 s48, 1
	s_mov_b64 s[6:7], 0
	s_cbranch_scc1 .LBB82_342
; %bb.338:
	s_cmp_gt_i32 s48, 1
	s_cbranch_scc0 .LBB82_343
; %bb.339:
	s_cmp_eq_u32 s48, 2
	s_cbranch_scc0 .LBB82_539
; %bb.340:
	v_cmp_ge_f64_e64 s[12:13], s[8:9], v[22:23]
	s_mov_b64 s[14:15], 0
	s_branch .LBB82_345
.LBB82_341:
	v_cmp_gt_f64_e32 vcc, s[8:9], v[24:25]
	s_andn2_b64 s[12:13], s[12:13], exec
	s_and_b64 s[14:15], vcc, exec
	s_or_b64 s[12:13], s[12:13], s[14:15]
	s_cbranch_execz .LBB82_334
	s_branch .LBB82_335
.LBB82_342:
                                        ; implicit-def: $sgpr12_sgpr13
	s_mov_b64 s[14:15], 0
	s_cbranch_execnz .LBB82_346
	s_branch .LBB82_347
.LBB82_343:
	s_mov_b64 s[14:15], 0
                                        ; implicit-def: $sgpr12_sgpr13
	s_cbranch_execz .LBB82_345
; %bb.344:
	v_cmp_lt_f64_e32 vcc, s[8:9], v[22:23]
	s_andn2_b64 s[12:13], s[12:13], exec
	s_and_b64 s[16:17], vcc, exec
	s_or_b64 s[12:13], s[12:13], s[16:17]
.LBB82_345:
	s_branch .LBB82_347
.LBB82_346:
	s_cmp_lg_u32 s48, 0
	s_mov_b64 s[6:7], -1
	s_cselect_b64 s[14:15], -1, 0
.LBB82_347:
	s_andn2_b64 vcc, exec, s[14:15]
	s_cbranch_vccz .LBB82_356
; %bb.348:
	s_andn2_b64 vcc, exec, s[6:7]
	s_cbranch_vccnz .LBB82_350
.LBB82_349:
	v_cmp_le_f64_e32 vcc, s[8:9], v[22:23]
	s_andn2_b64 s[6:7], s[12:13], exec
	s_and_b64 s[12:13], vcc, exec
	s_or_b64 s[12:13], s[6:7], s[12:13]
.LBB82_350:
	v_cndmask_b32_e64 v24, 0, 1, s[12:13]
.LBB82_351:
	s_or_b64 exec, exec, s[4:5]
	v_or_b32_e32 v22, 0x600, v0
	v_cmp_gt_i32_e32 vcc, s33, v22
                                        ; implicit-def: $vgpr22
	s_and_saveexec_b64 s[4:5], vcc
	s_cbranch_execz .LBB82_366
; %bb.352:
	s_cmp_lt_i32 s48, 1
	s_mov_b64 s[6:7], 0
	s_cbranch_scc1 .LBB82_357
; %bb.353:
	s_cmp_gt_i32 s48, 1
	s_cbranch_scc0 .LBB82_358
; %bb.354:
	s_cmp_eq_u32 s48, 2
	s_cbranch_scc0 .LBB82_540
; %bb.355:
	v_cmp_ge_f64_e64 s[12:13], s[8:9], v[20:21]
	s_mov_b64 s[14:15], 0
	s_branch .LBB82_360
.LBB82_356:
	v_cmp_gt_f64_e32 vcc, s[8:9], v[22:23]
	s_andn2_b64 s[12:13], s[12:13], exec
	s_and_b64 s[14:15], vcc, exec
	s_or_b64 s[12:13], s[12:13], s[14:15]
	s_cbranch_execz .LBB82_349
	s_branch .LBB82_350
.LBB82_357:
                                        ; implicit-def: $sgpr12_sgpr13
	s_mov_b64 s[14:15], 0
	s_cbranch_execnz .LBB82_361
	s_branch .LBB82_362
.LBB82_358:
	s_mov_b64 s[14:15], 0
                                        ; implicit-def: $sgpr12_sgpr13
	s_cbranch_execz .LBB82_360
; %bb.359:
	v_cmp_lt_f64_e32 vcc, s[8:9], v[20:21]
	s_andn2_b64 s[12:13], s[12:13], exec
	s_and_b64 s[16:17], vcc, exec
	s_or_b64 s[12:13], s[12:13], s[16:17]
.LBB82_360:
	s_branch .LBB82_362
.LBB82_361:
	s_cmp_lg_u32 s48, 0
	s_mov_b64 s[6:7], -1
	s_cselect_b64 s[14:15], -1, 0
.LBB82_362:
	s_andn2_b64 vcc, exec, s[14:15]
	s_cbranch_vccz .LBB82_371
; %bb.363:
	s_andn2_b64 vcc, exec, s[6:7]
	s_cbranch_vccnz .LBB82_365
.LBB82_364:
	v_cmp_le_f64_e32 vcc, s[8:9], v[20:21]
	s_andn2_b64 s[6:7], s[12:13], exec
	s_and_b64 s[12:13], vcc, exec
	s_or_b64 s[12:13], s[6:7], s[12:13]
.LBB82_365:
	v_cndmask_b32_e64 v22, 0, 1, s[12:13]
.LBB82_366:
	s_or_b64 exec, exec, s[4:5]
	v_or_b32_e32 v20, 0x700, v0
	v_cmp_gt_i32_e32 vcc, s33, v20
                                        ; implicit-def: $vgpr20
	s_and_saveexec_b64 s[4:5], vcc
	s_cbranch_execz .LBB82_381
; %bb.367:
	s_cmp_lt_i32 s48, 1
	s_mov_b64 s[6:7], 0
	s_cbranch_scc1 .LBB82_372
; %bb.368:
	s_cmp_gt_i32 s48, 1
	s_cbranch_scc0 .LBB82_373
; %bb.369:
	s_cmp_eq_u32 s48, 2
	s_cbranch_scc0 .LBB82_541
; %bb.370:
	v_cmp_ge_f64_e64 s[12:13], s[8:9], v[18:19]
	s_mov_b64 s[14:15], 0
	s_branch .LBB82_375
.LBB82_371:
	v_cmp_gt_f64_e32 vcc, s[8:9], v[20:21]
	s_andn2_b64 s[12:13], s[12:13], exec
	s_and_b64 s[14:15], vcc, exec
	s_or_b64 s[12:13], s[12:13], s[14:15]
	s_cbranch_execz .LBB82_364
	s_branch .LBB82_365
.LBB82_372:
                                        ; implicit-def: $sgpr12_sgpr13
	s_mov_b64 s[14:15], 0
	s_cbranch_execnz .LBB82_376
	s_branch .LBB82_377
.LBB82_373:
	s_mov_b64 s[14:15], 0
                                        ; implicit-def: $sgpr12_sgpr13
	s_cbranch_execz .LBB82_375
; %bb.374:
	v_cmp_lt_f64_e32 vcc, s[8:9], v[18:19]
	s_andn2_b64 s[12:13], s[12:13], exec
	s_and_b64 s[16:17], vcc, exec
	s_or_b64 s[12:13], s[12:13], s[16:17]
.LBB82_375:
	s_branch .LBB82_377
.LBB82_376:
	s_cmp_lg_u32 s48, 0
	s_mov_b64 s[6:7], -1
	s_cselect_b64 s[14:15], -1, 0
.LBB82_377:
	s_andn2_b64 vcc, exec, s[14:15]
	s_cbranch_vccz .LBB82_386
; %bb.378:
	s_andn2_b64 vcc, exec, s[6:7]
	s_cbranch_vccnz .LBB82_380
.LBB82_379:
	v_cmp_le_f64_e32 vcc, s[8:9], v[18:19]
	s_andn2_b64 s[6:7], s[12:13], exec
	s_and_b64 s[12:13], vcc, exec
	s_or_b64 s[12:13], s[6:7], s[12:13]
.LBB82_380:
	v_cndmask_b32_e64 v20, 0, 1, s[12:13]
.LBB82_381:
	s_or_b64 exec, exec, s[4:5]
	v_or_b32_e32 v18, 0x800, v0
	v_cmp_gt_i32_e32 vcc, s33, v18
                                        ; implicit-def: $vgpr18
	s_and_saveexec_b64 s[4:5], vcc
	s_cbranch_execz .LBB82_396
; %bb.382:
	s_cmp_lt_i32 s48, 1
	s_mov_b64 s[6:7], 0
	s_cbranch_scc1 .LBB82_387
; %bb.383:
	s_cmp_gt_i32 s48, 1
	s_cbranch_scc0 .LBB82_388
; %bb.384:
	s_cmp_eq_u32 s48, 2
	s_cbranch_scc0 .LBB82_542
; %bb.385:
	v_cmp_ge_f64_e64 s[12:13], s[8:9], v[16:17]
	s_mov_b64 s[14:15], 0
	s_branch .LBB82_390
.LBB82_386:
	v_cmp_gt_f64_e32 vcc, s[8:9], v[18:19]
	s_andn2_b64 s[12:13], s[12:13], exec
	s_and_b64 s[14:15], vcc, exec
	s_or_b64 s[12:13], s[12:13], s[14:15]
	s_cbranch_execz .LBB82_379
	s_branch .LBB82_380
.LBB82_387:
                                        ; implicit-def: $sgpr12_sgpr13
	s_mov_b64 s[14:15], 0
	s_cbranch_execnz .LBB82_391
	s_branch .LBB82_392
.LBB82_388:
	s_mov_b64 s[14:15], 0
                                        ; implicit-def: $sgpr12_sgpr13
	s_cbranch_execz .LBB82_390
; %bb.389:
	v_cmp_lt_f64_e32 vcc, s[8:9], v[16:17]
	s_andn2_b64 s[12:13], s[12:13], exec
	s_and_b64 s[16:17], vcc, exec
	s_or_b64 s[12:13], s[12:13], s[16:17]
.LBB82_390:
	s_branch .LBB82_392
.LBB82_391:
	s_cmp_lg_u32 s48, 0
	s_mov_b64 s[6:7], -1
	s_cselect_b64 s[14:15], -1, 0
.LBB82_392:
	s_andn2_b64 vcc, exec, s[14:15]
	s_cbranch_vccz .LBB82_401
; %bb.393:
	s_andn2_b64 vcc, exec, s[6:7]
	s_cbranch_vccnz .LBB82_395
.LBB82_394:
	v_cmp_le_f64_e32 vcc, s[8:9], v[16:17]
	s_andn2_b64 s[6:7], s[12:13], exec
	s_and_b64 s[12:13], vcc, exec
	s_or_b64 s[12:13], s[6:7], s[12:13]
.LBB82_395:
	v_cndmask_b32_e64 v18, 0, 1, s[12:13]
.LBB82_396:
	s_or_b64 exec, exec, s[4:5]
	v_or_b32_e32 v16, 0x900, v0
	v_cmp_gt_i32_e32 vcc, s33, v16
                                        ; implicit-def: $vgpr16
	s_and_saveexec_b64 s[4:5], vcc
	s_cbranch_execz .LBB82_411
; %bb.397:
	s_cmp_lt_i32 s48, 1
	s_mov_b64 s[6:7], 0
	s_cbranch_scc1 .LBB82_402
; %bb.398:
	s_cmp_gt_i32 s48, 1
	s_cbranch_scc0 .LBB82_403
; %bb.399:
	s_cmp_eq_u32 s48, 2
	s_cbranch_scc0 .LBB82_543
; %bb.400:
	v_cmp_ge_f64_e64 s[12:13], s[8:9], v[14:15]
	s_mov_b64 s[14:15], 0
	s_branch .LBB82_405
.LBB82_401:
	v_cmp_gt_f64_e32 vcc, s[8:9], v[16:17]
	s_andn2_b64 s[12:13], s[12:13], exec
	s_and_b64 s[14:15], vcc, exec
	s_or_b64 s[12:13], s[12:13], s[14:15]
	s_cbranch_execz .LBB82_394
	s_branch .LBB82_395
.LBB82_402:
                                        ; implicit-def: $sgpr12_sgpr13
	s_mov_b64 s[14:15], 0
	s_cbranch_execnz .LBB82_406
	s_branch .LBB82_407
.LBB82_403:
	s_mov_b64 s[14:15], 0
                                        ; implicit-def: $sgpr12_sgpr13
	s_cbranch_execz .LBB82_405
; %bb.404:
	v_cmp_lt_f64_e32 vcc, s[8:9], v[14:15]
	s_andn2_b64 s[12:13], s[12:13], exec
	s_and_b64 s[16:17], vcc, exec
	s_or_b64 s[12:13], s[12:13], s[16:17]
.LBB82_405:
	s_branch .LBB82_407
.LBB82_406:
	s_cmp_lg_u32 s48, 0
	s_mov_b64 s[6:7], -1
	s_cselect_b64 s[14:15], -1, 0
.LBB82_407:
	s_andn2_b64 vcc, exec, s[14:15]
	s_cbranch_vccz .LBB82_416
; %bb.408:
	s_andn2_b64 vcc, exec, s[6:7]
	s_cbranch_vccnz .LBB82_410
.LBB82_409:
	v_cmp_le_f64_e32 vcc, s[8:9], v[14:15]
	s_andn2_b64 s[6:7], s[12:13], exec
	s_and_b64 s[12:13], vcc, exec
	s_or_b64 s[12:13], s[6:7], s[12:13]
.LBB82_410:
	v_cndmask_b32_e64 v16, 0, 1, s[12:13]
.LBB82_411:
	s_or_b64 exec, exec, s[4:5]
	v_or_b32_e32 v14, 0xa00, v0
	v_cmp_gt_i32_e32 vcc, s33, v14
                                        ; implicit-def: $vgpr14
	s_and_saveexec_b64 s[4:5], vcc
	s_cbranch_execz .LBB82_426
; %bb.412:
	s_cmp_lt_i32 s48, 1
	s_mov_b64 s[6:7], 0
	s_cbranch_scc1 .LBB82_417
; %bb.413:
	s_cmp_gt_i32 s48, 1
	s_cbranch_scc0 .LBB82_418
; %bb.414:
	s_cmp_eq_u32 s48, 2
	s_cbranch_scc0 .LBB82_544
; %bb.415:
	v_cmp_ge_f64_e64 s[12:13], s[8:9], v[12:13]
	s_mov_b64 s[14:15], 0
	s_branch .LBB82_420
.LBB82_416:
	v_cmp_gt_f64_e32 vcc, s[8:9], v[14:15]
	s_andn2_b64 s[12:13], s[12:13], exec
	s_and_b64 s[14:15], vcc, exec
	s_or_b64 s[12:13], s[12:13], s[14:15]
	s_cbranch_execz .LBB82_409
	s_branch .LBB82_410
.LBB82_417:
                                        ; implicit-def: $sgpr12_sgpr13
	s_mov_b64 s[14:15], 0
	s_cbranch_execnz .LBB82_421
	s_branch .LBB82_422
.LBB82_418:
	s_mov_b64 s[14:15], 0
                                        ; implicit-def: $sgpr12_sgpr13
	s_cbranch_execz .LBB82_420
; %bb.419:
	v_cmp_lt_f64_e32 vcc, s[8:9], v[12:13]
	s_andn2_b64 s[12:13], s[12:13], exec
	s_and_b64 s[16:17], vcc, exec
	s_or_b64 s[12:13], s[12:13], s[16:17]
.LBB82_420:
	s_branch .LBB82_422
.LBB82_421:
	s_cmp_lg_u32 s48, 0
	s_mov_b64 s[6:7], -1
	s_cselect_b64 s[14:15], -1, 0
.LBB82_422:
	s_andn2_b64 vcc, exec, s[14:15]
	s_cbranch_vccz .LBB82_431
; %bb.423:
	s_andn2_b64 vcc, exec, s[6:7]
	s_cbranch_vccnz .LBB82_425
.LBB82_424:
	v_cmp_le_f64_e32 vcc, s[8:9], v[12:13]
	s_andn2_b64 s[6:7], s[12:13], exec
	s_and_b64 s[12:13], vcc, exec
	s_or_b64 s[12:13], s[6:7], s[12:13]
.LBB82_425:
	v_cndmask_b32_e64 v14, 0, 1, s[12:13]
.LBB82_426:
	s_or_b64 exec, exec, s[4:5]
	v_or_b32_e32 v12, 0xb00, v0
	v_cmp_gt_i32_e32 vcc, s33, v12
                                        ; implicit-def: $vgpr12
	s_and_saveexec_b64 s[4:5], vcc
	s_cbranch_execz .LBB82_441
; %bb.427:
	s_cmp_lt_i32 s48, 1
	s_mov_b64 s[6:7], 0
	s_cbranch_scc1 .LBB82_432
; %bb.428:
	s_cmp_gt_i32 s48, 1
	s_cbranch_scc0 .LBB82_433
; %bb.429:
	s_cmp_eq_u32 s48, 2
	s_cbranch_scc0 .LBB82_545
; %bb.430:
	v_cmp_ge_f64_e64 s[12:13], s[8:9], v[10:11]
	s_mov_b64 s[14:15], 0
	s_branch .LBB82_435
.LBB82_431:
	v_cmp_gt_f64_e32 vcc, s[8:9], v[12:13]
	s_andn2_b64 s[12:13], s[12:13], exec
	s_and_b64 s[14:15], vcc, exec
	s_or_b64 s[12:13], s[12:13], s[14:15]
	s_cbranch_execz .LBB82_424
	s_branch .LBB82_425
.LBB82_432:
                                        ; implicit-def: $sgpr12_sgpr13
	s_mov_b64 s[14:15], 0
	s_cbranch_execnz .LBB82_436
	s_branch .LBB82_437
.LBB82_433:
	s_mov_b64 s[14:15], 0
                                        ; implicit-def: $sgpr12_sgpr13
	s_cbranch_execz .LBB82_435
; %bb.434:
	v_cmp_lt_f64_e32 vcc, s[8:9], v[10:11]
	s_andn2_b64 s[12:13], s[12:13], exec
	s_and_b64 s[16:17], vcc, exec
	s_or_b64 s[12:13], s[12:13], s[16:17]
.LBB82_435:
	s_branch .LBB82_437
.LBB82_436:
	s_cmp_lg_u32 s48, 0
	s_mov_b64 s[6:7], -1
	s_cselect_b64 s[14:15], -1, 0
.LBB82_437:
	s_andn2_b64 vcc, exec, s[14:15]
	s_cbranch_vccz .LBB82_446
; %bb.438:
	s_andn2_b64 vcc, exec, s[6:7]
	s_cbranch_vccnz .LBB82_440
.LBB82_439:
	v_cmp_le_f64_e32 vcc, s[8:9], v[10:11]
	s_andn2_b64 s[6:7], s[12:13], exec
	s_and_b64 s[12:13], vcc, exec
	s_or_b64 s[12:13], s[6:7], s[12:13]
.LBB82_440:
	v_cndmask_b32_e64 v12, 0, 1, s[12:13]
.LBB82_441:
	s_or_b64 exec, exec, s[4:5]
	v_or_b32_e32 v10, 0xc00, v0
	v_cmp_gt_i32_e32 vcc, s33, v10
                                        ; implicit-def: $vgpr10
	s_and_saveexec_b64 s[4:5], vcc
	s_cbranch_execz .LBB82_456
; %bb.442:
	s_cmp_lt_i32 s48, 1
	s_mov_b64 s[6:7], 0
	s_cbranch_scc1 .LBB82_447
; %bb.443:
	s_cmp_gt_i32 s48, 1
	s_cbranch_scc0 .LBB82_448
; %bb.444:
	s_cmp_eq_u32 s48, 2
	s_cbranch_scc0 .LBB82_546
; %bb.445:
	v_cmp_ge_f64_e64 s[12:13], s[8:9], v[8:9]
	s_mov_b64 s[14:15], 0
	s_branch .LBB82_450
.LBB82_446:
	v_cmp_gt_f64_e32 vcc, s[8:9], v[10:11]
	s_andn2_b64 s[12:13], s[12:13], exec
	s_and_b64 s[14:15], vcc, exec
	s_or_b64 s[12:13], s[12:13], s[14:15]
	s_cbranch_execz .LBB82_439
	s_branch .LBB82_440
.LBB82_447:
                                        ; implicit-def: $sgpr12_sgpr13
	s_mov_b64 s[14:15], 0
	s_cbranch_execnz .LBB82_451
	s_branch .LBB82_452
.LBB82_448:
	s_mov_b64 s[14:15], 0
                                        ; implicit-def: $sgpr12_sgpr13
	s_cbranch_execz .LBB82_450
; %bb.449:
	v_cmp_lt_f64_e32 vcc, s[8:9], v[8:9]
	s_andn2_b64 s[12:13], s[12:13], exec
	s_and_b64 s[16:17], vcc, exec
	s_or_b64 s[12:13], s[12:13], s[16:17]
.LBB82_450:
	s_branch .LBB82_452
.LBB82_451:
	s_cmp_lg_u32 s48, 0
	s_mov_b64 s[6:7], -1
	s_cselect_b64 s[14:15], -1, 0
.LBB82_452:
	s_andn2_b64 vcc, exec, s[14:15]
	s_cbranch_vccz .LBB82_461
; %bb.453:
	s_andn2_b64 vcc, exec, s[6:7]
	s_cbranch_vccnz .LBB82_455
.LBB82_454:
	v_cmp_le_f64_e32 vcc, s[8:9], v[8:9]
	s_andn2_b64 s[6:7], s[12:13], exec
	s_and_b64 s[12:13], vcc, exec
	s_or_b64 s[12:13], s[6:7], s[12:13]
.LBB82_455:
	v_cndmask_b32_e64 v10, 0, 1, s[12:13]
.LBB82_456:
	s_or_b64 exec, exec, s[4:5]
	v_or_b32_e32 v8, 0xd00, v0
	v_cmp_gt_i32_e32 vcc, s33, v8
                                        ; implicit-def: $vgpr8
	s_and_saveexec_b64 s[4:5], vcc
	s_cbranch_execz .LBB82_471
; %bb.457:
	s_cmp_lt_i32 s48, 1
	s_mov_b64 s[6:7], 0
	s_cbranch_scc1 .LBB82_462
; %bb.458:
	s_cmp_gt_i32 s48, 1
	s_cbranch_scc0 .LBB82_463
; %bb.459:
	s_cmp_eq_u32 s48, 2
	s_cbranch_scc0 .LBB82_547
; %bb.460:
	v_cmp_ge_f64_e64 s[12:13], s[8:9], v[6:7]
	s_mov_b64 s[14:15], 0
	s_branch .LBB82_465
.LBB82_461:
	v_cmp_gt_f64_e32 vcc, s[8:9], v[8:9]
	s_andn2_b64 s[12:13], s[12:13], exec
	s_and_b64 s[14:15], vcc, exec
	s_or_b64 s[12:13], s[12:13], s[14:15]
	s_cbranch_execz .LBB82_454
	s_branch .LBB82_455
.LBB82_462:
                                        ; implicit-def: $sgpr12_sgpr13
	s_mov_b64 s[14:15], 0
	s_cbranch_execnz .LBB82_466
	s_branch .LBB82_467
.LBB82_463:
	s_mov_b64 s[14:15], 0
                                        ; implicit-def: $sgpr12_sgpr13
	s_cbranch_execz .LBB82_465
; %bb.464:
	v_cmp_lt_f64_e32 vcc, s[8:9], v[6:7]
	s_andn2_b64 s[12:13], s[12:13], exec
	s_and_b64 s[16:17], vcc, exec
	s_or_b64 s[12:13], s[12:13], s[16:17]
.LBB82_465:
	s_branch .LBB82_467
.LBB82_466:
	s_cmp_lg_u32 s48, 0
	s_mov_b64 s[6:7], -1
	s_cselect_b64 s[14:15], -1, 0
.LBB82_467:
	s_andn2_b64 vcc, exec, s[14:15]
	s_cbranch_vccz .LBB82_476
; %bb.468:
	s_andn2_b64 vcc, exec, s[6:7]
	s_cbranch_vccnz .LBB82_470
.LBB82_469:
	v_cmp_le_f64_e32 vcc, s[8:9], v[6:7]
	s_andn2_b64 s[6:7], s[12:13], exec
	s_and_b64 s[12:13], vcc, exec
	s_or_b64 s[12:13], s[6:7], s[12:13]
.LBB82_470:
	v_cndmask_b32_e64 v8, 0, 1, s[12:13]
.LBB82_471:
	s_or_b64 exec, exec, s[4:5]
	v_or_b32_e32 v6, 0xe00, v0
	v_cmp_gt_i32_e32 vcc, s33, v6
                                        ; implicit-def: $vgpr6
	s_and_saveexec_b64 s[4:5], vcc
	s_cbranch_execz .LBB82_486
; %bb.472:
	s_cmp_lt_i32 s48, 1
	s_mov_b64 s[6:7], 0
	s_cbranch_scc1 .LBB82_477
; %bb.473:
	s_cmp_gt_i32 s48, 1
	s_cbranch_scc0 .LBB82_478
; %bb.474:
	s_cmp_eq_u32 s48, 2
	s_cbranch_scc0 .LBB82_548
; %bb.475:
	v_cmp_ge_f64_e64 s[12:13], s[8:9], v[4:5]
	s_mov_b64 s[14:15], 0
	s_branch .LBB82_480
.LBB82_476:
	v_cmp_gt_f64_e32 vcc, s[8:9], v[6:7]
	s_andn2_b64 s[12:13], s[12:13], exec
	s_and_b64 s[14:15], vcc, exec
	s_or_b64 s[12:13], s[12:13], s[14:15]
	s_cbranch_execz .LBB82_469
	s_branch .LBB82_470
.LBB82_477:
                                        ; implicit-def: $sgpr12_sgpr13
	s_mov_b64 s[14:15], 0
	s_cbranch_execnz .LBB82_481
	s_branch .LBB82_482
.LBB82_478:
	s_mov_b64 s[14:15], 0
                                        ; implicit-def: $sgpr12_sgpr13
	s_cbranch_execz .LBB82_480
; %bb.479:
	v_cmp_lt_f64_e32 vcc, s[8:9], v[4:5]
	s_andn2_b64 s[12:13], s[12:13], exec
	s_and_b64 s[16:17], vcc, exec
	s_or_b64 s[12:13], s[12:13], s[16:17]
.LBB82_480:
	s_branch .LBB82_482
.LBB82_481:
	s_cmp_lg_u32 s48, 0
	s_mov_b64 s[6:7], -1
	s_cselect_b64 s[14:15], -1, 0
.LBB82_482:
	s_andn2_b64 vcc, exec, s[14:15]
	s_cbranch_vccz .LBB82_491
; %bb.483:
	s_andn2_b64 vcc, exec, s[6:7]
	s_cbranch_vccnz .LBB82_485
.LBB82_484:
	v_cmp_le_f64_e32 vcc, s[8:9], v[4:5]
	s_andn2_b64 s[6:7], s[12:13], exec
	s_and_b64 s[12:13], vcc, exec
	s_or_b64 s[12:13], s[6:7], s[12:13]
.LBB82_485:
	v_cndmask_b32_e64 v6, 0, 1, s[12:13]
.LBB82_486:
	s_or_b64 exec, exec, s[4:5]
	v_or_b32_e32 v4, 0xf00, v0
	v_cmp_gt_i32_e32 vcc, s33, v4
                                        ; implicit-def: $vgpr4
	s_and_saveexec_b64 s[4:5], vcc
	s_cbranch_execz .LBB82_501
; %bb.487:
	s_cmp_lt_i32 s48, 1
	s_mov_b64 s[6:7], 0
	s_cbranch_scc1 .LBB82_492
; %bb.488:
	s_cmp_gt_i32 s48, 1
	s_cbranch_scc0 .LBB82_493
; %bb.489:
	s_cmp_eq_u32 s48, 2
	s_cbranch_scc0 .LBB82_549
; %bb.490:
	v_cmp_ge_f64_e64 s[12:13], s[8:9], v[2:3]
	s_mov_b64 s[14:15], 0
	s_branch .LBB82_495
.LBB82_491:
	v_cmp_gt_f64_e32 vcc, s[8:9], v[4:5]
	s_andn2_b64 s[12:13], s[12:13], exec
	s_and_b64 s[14:15], vcc, exec
	s_or_b64 s[12:13], s[12:13], s[14:15]
	s_cbranch_execz .LBB82_484
	s_branch .LBB82_485
.LBB82_492:
                                        ; implicit-def: $sgpr12_sgpr13
	s_mov_b64 s[14:15], 0
	s_cbranch_execnz .LBB82_496
	s_branch .LBB82_497
.LBB82_493:
	s_mov_b64 s[14:15], 0
                                        ; implicit-def: $sgpr12_sgpr13
	s_cbranch_execz .LBB82_495
; %bb.494:
	v_cmp_lt_f64_e32 vcc, s[8:9], v[2:3]
	s_andn2_b64 s[12:13], s[12:13], exec
	s_and_b64 s[16:17], vcc, exec
	s_or_b64 s[12:13], s[12:13], s[16:17]
.LBB82_495:
	s_branch .LBB82_497
.LBB82_496:
	s_cmp_lg_u32 s48, 0
	s_mov_b64 s[6:7], -1
	s_cselect_b64 s[14:15], -1, 0
.LBB82_497:
	s_andn2_b64 vcc, exec, s[14:15]
	s_cbranch_vccz .LBB82_534
; %bb.498:
	s_andn2_b64 vcc, exec, s[6:7]
	s_cbranch_vccnz .LBB82_500
.LBB82_499:
	v_cmp_le_f64_e32 vcc, s[8:9], v[2:3]
	s_andn2_b64 s[6:7], s[12:13], exec
	s_and_b64 s[8:9], vcc, exec
	s_or_b64 s[12:13], s[6:7], s[8:9]
.LBB82_500:
	v_cndmask_b32_e64 v4, 0, 1, s[12:13]
.LBB82_501:
	s_or_b64 exec, exec, s[4:5]
	s_and_saveexec_b64 s[4:5], s[0:1]
	s_xor_b64 s[0:1], exec, s[4:5]
	s_cbranch_execz .LBB82_503
; %bb.502:
	v_mov_b32_e32 v0, v32
	global_store_byte v1, v34, s[10:11]
.LBB82_503:
	s_or_b64 exec, exec, s[0:1]
	v_cmp_gt_i32_e32 vcc, s33, v0
	s_and_saveexec_b64 s[0:1], vcc
	s_cbranch_execnz .LBB82_520
; %bb.504:
	s_or_b64 exec, exec, s[0:1]
	v_cmp_gt_i32_e32 vcc, s33, v0
	s_and_saveexec_b64 s[0:1], vcc
	s_cbranch_execnz .LBB82_521
.LBB82_505:
	s_or_b64 exec, exec, s[0:1]
	v_cmp_gt_i32_e32 vcc, s33, v0
	s_and_saveexec_b64 s[0:1], vcc
	s_cbranch_execnz .LBB82_522
.LBB82_506:
	s_or_b64 exec, exec, s[0:1]
	v_cmp_gt_i32_e32 vcc, s33, v0
	s_and_saveexec_b64 s[0:1], vcc
	s_cbranch_execnz .LBB82_523
.LBB82_507:
	s_or_b64 exec, exec, s[0:1]
	v_cmp_gt_i32_e32 vcc, s33, v0
	s_and_saveexec_b64 s[0:1], vcc
	s_cbranch_execnz .LBB82_524
.LBB82_508:
	s_or_b64 exec, exec, s[0:1]
	v_cmp_gt_i32_e32 vcc, s33, v0
	s_and_saveexec_b64 s[0:1], vcc
	s_cbranch_execnz .LBB82_525
.LBB82_509:
	s_or_b64 exec, exec, s[0:1]
	v_cmp_gt_i32_e32 vcc, s33, v0
	s_and_saveexec_b64 s[0:1], vcc
	s_cbranch_execnz .LBB82_526
.LBB82_510:
	s_or_b64 exec, exec, s[0:1]
	v_cmp_gt_i32_e32 vcc, s33, v0
	s_and_saveexec_b64 s[0:1], vcc
	s_cbranch_execnz .LBB82_527
.LBB82_511:
	s_or_b64 exec, exec, s[0:1]
	v_cmp_gt_i32_e32 vcc, s33, v0
	s_and_saveexec_b64 s[0:1], vcc
	s_cbranch_execnz .LBB82_528
.LBB82_512:
	s_or_b64 exec, exec, s[0:1]
	v_cmp_gt_i32_e32 vcc, s33, v0
	s_and_saveexec_b64 s[0:1], vcc
	s_cbranch_execnz .LBB82_529
.LBB82_513:
	s_or_b64 exec, exec, s[0:1]
	v_cmp_gt_i32_e32 vcc, s33, v0
	s_and_saveexec_b64 s[0:1], vcc
	s_cbranch_execnz .LBB82_530
.LBB82_514:
	s_or_b64 exec, exec, s[0:1]
	v_cmp_gt_i32_e32 vcc, s33, v0
	s_and_saveexec_b64 s[0:1], vcc
	s_cbranch_execnz .LBB82_531
.LBB82_515:
	s_or_b64 exec, exec, s[0:1]
	v_cmp_gt_i32_e32 vcc, s33, v0
	s_and_saveexec_b64 s[0:1], vcc
	s_cbranch_execnz .LBB82_532
.LBB82_516:
	s_or_b64 exec, exec, s[0:1]
	v_cmp_gt_i32_e32 vcc, s33, v0
	s_and_saveexec_b64 s[0:1], vcc
	s_cbranch_execnz .LBB82_533
.LBB82_517:
	s_or_b64 exec, exec, s[0:1]
	v_cmp_gt_i32_e32 vcc, s33, v0
	s_and_saveexec_b64 s[0:1], vcc
	s_cbranch_execz .LBB82_519
.LBB82_518:
	v_add_u32_e32 v0, s2, v0
	global_store_byte v0, v4, s[10:11]
.LBB82_519:
	s_endpgm
.LBB82_520:
	v_add_u32_e32 v1, s2, v0
	v_add_u32_e32 v0, 0x100, v0
	global_store_byte v1, v33, s[10:11]
	s_or_b64 exec, exec, s[0:1]
	v_cmp_gt_i32_e32 vcc, s33, v0
	s_and_saveexec_b64 s[0:1], vcc
	s_cbranch_execz .LBB82_505
.LBB82_521:
	v_add_u32_e32 v1, s2, v0
	v_add_u32_e32 v0, 0x100, v0
	global_store_byte v1, v30, s[10:11]
	s_or_b64 exec, exec, s[0:1]
	v_cmp_gt_i32_e32 vcc, s33, v0
	s_and_saveexec_b64 s[0:1], vcc
	s_cbranch_execz .LBB82_506
.LBB82_522:
	v_add_u32_e32 v1, s2, v0
	v_add_u32_e32 v0, 0x100, v0
	global_store_byte v1, v28, s[10:11]
	s_or_b64 exec, exec, s[0:1]
	v_cmp_gt_i32_e32 vcc, s33, v0
	s_and_saveexec_b64 s[0:1], vcc
	s_cbranch_execz .LBB82_507
.LBB82_523:
	v_add_u32_e32 v1, s2, v0
	v_add_u32_e32 v0, 0x100, v0
	global_store_byte v1, v26, s[10:11]
	s_or_b64 exec, exec, s[0:1]
	v_cmp_gt_i32_e32 vcc, s33, v0
	s_and_saveexec_b64 s[0:1], vcc
	s_cbranch_execz .LBB82_508
.LBB82_524:
	v_add_u32_e32 v1, s2, v0
	v_add_u32_e32 v0, 0x100, v0
	global_store_byte v1, v24, s[10:11]
	s_or_b64 exec, exec, s[0:1]
	v_cmp_gt_i32_e32 vcc, s33, v0
	s_and_saveexec_b64 s[0:1], vcc
	s_cbranch_execz .LBB82_509
.LBB82_525:
	v_add_u32_e32 v1, s2, v0
	v_add_u32_e32 v0, 0x100, v0
	global_store_byte v1, v22, s[10:11]
	s_or_b64 exec, exec, s[0:1]
	v_cmp_gt_i32_e32 vcc, s33, v0
	s_and_saveexec_b64 s[0:1], vcc
	s_cbranch_execz .LBB82_510
.LBB82_526:
	v_add_u32_e32 v1, s2, v0
	v_add_u32_e32 v0, 0x100, v0
	global_store_byte v1, v20, s[10:11]
	s_or_b64 exec, exec, s[0:1]
	v_cmp_gt_i32_e32 vcc, s33, v0
	s_and_saveexec_b64 s[0:1], vcc
	s_cbranch_execz .LBB82_511
.LBB82_527:
	v_add_u32_e32 v1, s2, v0
	v_add_u32_e32 v0, 0x100, v0
	global_store_byte v1, v18, s[10:11]
	s_or_b64 exec, exec, s[0:1]
	v_cmp_gt_i32_e32 vcc, s33, v0
	s_and_saveexec_b64 s[0:1], vcc
	s_cbranch_execz .LBB82_512
.LBB82_528:
	v_add_u32_e32 v1, s2, v0
	v_add_u32_e32 v0, 0x100, v0
	global_store_byte v1, v16, s[10:11]
	s_or_b64 exec, exec, s[0:1]
	v_cmp_gt_i32_e32 vcc, s33, v0
	s_and_saveexec_b64 s[0:1], vcc
	s_cbranch_execz .LBB82_513
.LBB82_529:
	v_add_u32_e32 v1, s2, v0
	v_add_u32_e32 v0, 0x100, v0
	global_store_byte v1, v14, s[10:11]
	s_or_b64 exec, exec, s[0:1]
	v_cmp_gt_i32_e32 vcc, s33, v0
	s_and_saveexec_b64 s[0:1], vcc
	s_cbranch_execz .LBB82_514
.LBB82_530:
	v_add_u32_e32 v1, s2, v0
	v_add_u32_e32 v0, 0x100, v0
	global_store_byte v1, v12, s[10:11]
	s_or_b64 exec, exec, s[0:1]
	v_cmp_gt_i32_e32 vcc, s33, v0
	s_and_saveexec_b64 s[0:1], vcc
	s_cbranch_execz .LBB82_515
.LBB82_531:
	v_add_u32_e32 v1, s2, v0
	v_add_u32_e32 v0, 0x100, v0
	global_store_byte v1, v10, s[10:11]
	s_or_b64 exec, exec, s[0:1]
	v_cmp_gt_i32_e32 vcc, s33, v0
	s_and_saveexec_b64 s[0:1], vcc
	s_cbranch_execz .LBB82_516
.LBB82_532:
	v_add_u32_e32 v1, s2, v0
	v_add_u32_e32 v0, 0x100, v0
	global_store_byte v1, v8, s[10:11]
	s_or_b64 exec, exec, s[0:1]
	v_cmp_gt_i32_e32 vcc, s33, v0
	s_and_saveexec_b64 s[0:1], vcc
	s_cbranch_execz .LBB82_517
.LBB82_533:
	v_add_u32_e32 v1, s2, v0
	v_add_u32_e32 v0, 0x100, v0
	global_store_byte v1, v6, s[10:11]
	s_or_b64 exec, exec, s[0:1]
	v_cmp_gt_i32_e32 vcc, s33, v0
	s_and_saveexec_b64 s[0:1], vcc
	s_cbranch_execnz .LBB82_518
	s_branch .LBB82_519
.LBB82_534:
	v_cmp_gt_f64_e32 vcc, s[8:9], v[2:3]
	s_andn2_b64 s[12:13], s[12:13], exec
	s_and_b64 s[14:15], vcc, exec
	s_or_b64 s[12:13], s[12:13], s[14:15]
	s_cbranch_execz .LBB82_499
	s_branch .LBB82_500
.LBB82_535:
	s_mov_b64 s[14:15], -1
                                        ; implicit-def: $sgpr12_sgpr13
	s_branch .LBB82_285
.LBB82_536:
	s_mov_b64 s[14:15], -1
                                        ; implicit-def: $sgpr12_sgpr13
	s_branch .LBB82_300
.LBB82_537:
	s_mov_b64 s[14:15], -1
                                        ; implicit-def: $sgpr12_sgpr13
	s_branch .LBB82_315
.LBB82_538:
	s_mov_b64 s[14:15], -1
                                        ; implicit-def: $sgpr12_sgpr13
	s_branch .LBB82_330
.LBB82_539:
	s_mov_b64 s[14:15], -1
                                        ; implicit-def: $sgpr12_sgpr13
	s_branch .LBB82_345
.LBB82_540:
	s_mov_b64 s[14:15], -1
                                        ; implicit-def: $sgpr12_sgpr13
	s_branch .LBB82_360
.LBB82_541:
	s_mov_b64 s[14:15], -1
                                        ; implicit-def: $sgpr12_sgpr13
	s_branch .LBB82_375
.LBB82_542:
	s_mov_b64 s[14:15], -1
                                        ; implicit-def: $sgpr12_sgpr13
	s_branch .LBB82_390
.LBB82_543:
	s_mov_b64 s[14:15], -1
                                        ; implicit-def: $sgpr12_sgpr13
	s_branch .LBB82_405
.LBB82_544:
	s_mov_b64 s[14:15], -1
                                        ; implicit-def: $sgpr12_sgpr13
	s_branch .LBB82_420
.LBB82_545:
	s_mov_b64 s[14:15], -1
                                        ; implicit-def: $sgpr12_sgpr13
	s_branch .LBB82_435
.LBB82_546:
	s_mov_b64 s[14:15], -1
                                        ; implicit-def: $sgpr12_sgpr13
	s_branch .LBB82_450
.LBB82_547:
	s_mov_b64 s[14:15], -1
                                        ; implicit-def: $sgpr12_sgpr13
	s_branch .LBB82_465
.LBB82_548:
	s_mov_b64 s[14:15], -1
                                        ; implicit-def: $sgpr12_sgpr13
	s_branch .LBB82_480
.LBB82_549:
	s_mov_b64 s[14:15], -1
                                        ; implicit-def: $sgpr12_sgpr13
	s_branch .LBB82_495
	.section	.rodata,"a",@progbits
	.p2align	6, 0x0
	.amdhsa_kernel _ZN2at6native29vectorized_elementwise_kernelILi4EZNS0_21compare_scalar_kernelIdEEvRNS_18TensorIteratorBaseENS0_12_GLOBAL__N_16OpTypeET_EUldE_St5arrayIPcLm2EEEEviT0_T1_
		.amdhsa_group_segment_fixed_size 0
		.amdhsa_private_segment_fixed_size 0
		.amdhsa_kernarg_size 40
		.amdhsa_user_sgpr_count 6
		.amdhsa_user_sgpr_private_segment_buffer 1
		.amdhsa_user_sgpr_dispatch_ptr 0
		.amdhsa_user_sgpr_queue_ptr 0
		.amdhsa_user_sgpr_kernarg_segment_ptr 1
		.amdhsa_user_sgpr_dispatch_id 0
		.amdhsa_user_sgpr_flat_scratch_init 0
		.amdhsa_user_sgpr_private_segment_size 0
		.amdhsa_uses_dynamic_stack 0
		.amdhsa_system_sgpr_private_segment_wavefront_offset 0
		.amdhsa_system_sgpr_workgroup_id_x 1
		.amdhsa_system_sgpr_workgroup_id_y 0
		.amdhsa_system_sgpr_workgroup_id_z 0
		.amdhsa_system_sgpr_workgroup_info 0
		.amdhsa_system_vgpr_workitem_id 0
		.amdhsa_next_free_vgpr 37
		.amdhsa_next_free_sgpr 49
		.amdhsa_reserve_vcc 1
		.amdhsa_reserve_flat_scratch 0
		.amdhsa_float_round_mode_32 0
		.amdhsa_float_round_mode_16_64 0
		.amdhsa_float_denorm_mode_32 3
		.amdhsa_float_denorm_mode_16_64 3
		.amdhsa_dx10_clamp 1
		.amdhsa_ieee_mode 1
		.amdhsa_fp16_overflow 0
		.amdhsa_exception_fp_ieee_invalid_op 0
		.amdhsa_exception_fp_denorm_src 0
		.amdhsa_exception_fp_ieee_div_zero 0
		.amdhsa_exception_fp_ieee_overflow 0
		.amdhsa_exception_fp_ieee_underflow 0
		.amdhsa_exception_fp_ieee_inexact 0
		.amdhsa_exception_int_div_zero 0
	.end_amdhsa_kernel
	.section	.text._ZN2at6native29vectorized_elementwise_kernelILi4EZNS0_21compare_scalar_kernelIdEEvRNS_18TensorIteratorBaseENS0_12_GLOBAL__N_16OpTypeET_EUldE_St5arrayIPcLm2EEEEviT0_T1_,"axG",@progbits,_ZN2at6native29vectorized_elementwise_kernelILi4EZNS0_21compare_scalar_kernelIdEEvRNS_18TensorIteratorBaseENS0_12_GLOBAL__N_16OpTypeET_EUldE_St5arrayIPcLm2EEEEviT0_T1_,comdat
.Lfunc_end82:
	.size	_ZN2at6native29vectorized_elementwise_kernelILi4EZNS0_21compare_scalar_kernelIdEEvRNS_18TensorIteratorBaseENS0_12_GLOBAL__N_16OpTypeET_EUldE_St5arrayIPcLm2EEEEviT0_T1_, .Lfunc_end82-_ZN2at6native29vectorized_elementwise_kernelILi4EZNS0_21compare_scalar_kernelIdEEvRNS_18TensorIteratorBaseENS0_12_GLOBAL__N_16OpTypeET_EUldE_St5arrayIPcLm2EEEEviT0_T1_
                                        ; -- End function
	.set _ZN2at6native29vectorized_elementwise_kernelILi4EZNS0_21compare_scalar_kernelIdEEvRNS_18TensorIteratorBaseENS0_12_GLOBAL__N_16OpTypeET_EUldE_St5arrayIPcLm2EEEEviT0_T1_.num_vgpr, 37
	.set _ZN2at6native29vectorized_elementwise_kernelILi4EZNS0_21compare_scalar_kernelIdEEvRNS_18TensorIteratorBaseENS0_12_GLOBAL__N_16OpTypeET_EUldE_St5arrayIPcLm2EEEEviT0_T1_.num_agpr, 0
	.set _ZN2at6native29vectorized_elementwise_kernelILi4EZNS0_21compare_scalar_kernelIdEEvRNS_18TensorIteratorBaseENS0_12_GLOBAL__N_16OpTypeET_EUldE_St5arrayIPcLm2EEEEviT0_T1_.numbered_sgpr, 49
	.set _ZN2at6native29vectorized_elementwise_kernelILi4EZNS0_21compare_scalar_kernelIdEEvRNS_18TensorIteratorBaseENS0_12_GLOBAL__N_16OpTypeET_EUldE_St5arrayIPcLm2EEEEviT0_T1_.num_named_barrier, 0
	.set _ZN2at6native29vectorized_elementwise_kernelILi4EZNS0_21compare_scalar_kernelIdEEvRNS_18TensorIteratorBaseENS0_12_GLOBAL__N_16OpTypeET_EUldE_St5arrayIPcLm2EEEEviT0_T1_.private_seg_size, 0
	.set _ZN2at6native29vectorized_elementwise_kernelILi4EZNS0_21compare_scalar_kernelIdEEvRNS_18TensorIteratorBaseENS0_12_GLOBAL__N_16OpTypeET_EUldE_St5arrayIPcLm2EEEEviT0_T1_.uses_vcc, 1
	.set _ZN2at6native29vectorized_elementwise_kernelILi4EZNS0_21compare_scalar_kernelIdEEvRNS_18TensorIteratorBaseENS0_12_GLOBAL__N_16OpTypeET_EUldE_St5arrayIPcLm2EEEEviT0_T1_.uses_flat_scratch, 0
	.set _ZN2at6native29vectorized_elementwise_kernelILi4EZNS0_21compare_scalar_kernelIdEEvRNS_18TensorIteratorBaseENS0_12_GLOBAL__N_16OpTypeET_EUldE_St5arrayIPcLm2EEEEviT0_T1_.has_dyn_sized_stack, 0
	.set _ZN2at6native29vectorized_elementwise_kernelILi4EZNS0_21compare_scalar_kernelIdEEvRNS_18TensorIteratorBaseENS0_12_GLOBAL__N_16OpTypeET_EUldE_St5arrayIPcLm2EEEEviT0_T1_.has_recursion, 0
	.set _ZN2at6native29vectorized_elementwise_kernelILi4EZNS0_21compare_scalar_kernelIdEEvRNS_18TensorIteratorBaseENS0_12_GLOBAL__N_16OpTypeET_EUldE_St5arrayIPcLm2EEEEviT0_T1_.has_indirect_call, 0
	.section	.AMDGPU.csdata,"",@progbits
; Kernel info:
; codeLenInByte = 8420
; TotalNumSgprs: 53
; NumVgprs: 37
; ScratchSize: 0
; MemoryBound: 0
; FloatMode: 240
; IeeeMode: 1
; LDSByteSize: 0 bytes/workgroup (compile time only)
; SGPRBlocks: 6
; VGPRBlocks: 9
; NumSGPRsForWavesPerEU: 53
; NumVGPRsForWavesPerEU: 37
; Occupancy: 6
; WaveLimiterHint : 1
; COMPUTE_PGM_RSRC2:SCRATCH_EN: 0
; COMPUTE_PGM_RSRC2:USER_SGPR: 6
; COMPUTE_PGM_RSRC2:TRAP_HANDLER: 0
; COMPUTE_PGM_RSRC2:TGID_X_EN: 1
; COMPUTE_PGM_RSRC2:TGID_Y_EN: 0
; COMPUTE_PGM_RSRC2:TGID_Z_EN: 0
; COMPUTE_PGM_RSRC2:TIDIG_COMP_CNT: 0
	.section	.text._ZN2at6native29vectorized_elementwise_kernelILi2EZNS0_21compare_scalar_kernelIdEEvRNS_18TensorIteratorBaseENS0_12_GLOBAL__N_16OpTypeET_EUldE_St5arrayIPcLm2EEEEviT0_T1_,"axG",@progbits,_ZN2at6native29vectorized_elementwise_kernelILi2EZNS0_21compare_scalar_kernelIdEEvRNS_18TensorIteratorBaseENS0_12_GLOBAL__N_16OpTypeET_EUldE_St5arrayIPcLm2EEEEviT0_T1_,comdat
	.globl	_ZN2at6native29vectorized_elementwise_kernelILi2EZNS0_21compare_scalar_kernelIdEEvRNS_18TensorIteratorBaseENS0_12_GLOBAL__N_16OpTypeET_EUldE_St5arrayIPcLm2EEEEviT0_T1_ ; -- Begin function _ZN2at6native29vectorized_elementwise_kernelILi2EZNS0_21compare_scalar_kernelIdEEvRNS_18TensorIteratorBaseENS0_12_GLOBAL__N_16OpTypeET_EUldE_St5arrayIPcLm2EEEEviT0_T1_
	.p2align	8
	.type	_ZN2at6native29vectorized_elementwise_kernelILi2EZNS0_21compare_scalar_kernelIdEEvRNS_18TensorIteratorBaseENS0_12_GLOBAL__N_16OpTypeET_EUldE_St5arrayIPcLm2EEEEviT0_T1_,@function
_ZN2at6native29vectorized_elementwise_kernelILi2EZNS0_21compare_scalar_kernelIdEEvRNS_18TensorIteratorBaseENS0_12_GLOBAL__N_16OpTypeET_EUldE_St5arrayIPcLm2EEEEviT0_T1_: ; @_ZN2at6native29vectorized_elementwise_kernelILi2EZNS0_21compare_scalar_kernelIdEEvRNS_18TensorIteratorBaseENS0_12_GLOBAL__N_16OpTypeET_EUldE_St5arrayIPcLm2EEEEviT0_T1_
; %bb.0:
	s_load_dword s0, s[4:5], 0x0
	s_load_dword s48, s[4:5], 0x8
	s_load_dwordx4 s[8:11], s[4:5], 0x10
	s_load_dwordx2 s[12:13], s[4:5], 0x20
	s_lshl_b32 s2, s6, 12
	s_waitcnt lgkmcnt(0)
	s_sub_i32 s33, s0, s2
	s_cmpk_gt_i32 s33, 0xfff
	s_mov_b64 s[0:1], -1
	s_cbranch_scc0 .LBB83_211
; %bb.1:
	s_ashr_i32 s3, s2, 31
	s_lshl_b64 s[0:1], s[2:3], 3
	s_add_u32 s0, s12, s0
	s_addc_u32 s1, s13, s1
	v_lshlrev_b32_e32 v3, 4, v0
	v_mov_b32_e32 v1, s1
	v_add_co_u32_e32 v5, vcc, s0, v3
	v_addc_co_u32_e32 v6, vcc, 0, v1, vcc
	v_add_co_u32_e32 v1, vcc, 0x1000, v5
	v_addc_co_u32_e32 v2, vcc, 0, v6, vcc
	global_load_dwordx4 v[29:32], v3, s[0:1]
	global_load_dwordx4 v[25:28], v[1:2], off
	v_add_co_u32_e32 v1, vcc, 0x2000, v5
	v_addc_co_u32_e32 v2, vcc, 0, v6, vcc
	v_add_co_u32_e32 v3, vcc, 0x3000, v5
	v_addc_co_u32_e32 v4, vcc, 0, v6, vcc
	global_load_dwordx4 v[21:24], v[1:2], off
	global_load_dwordx4 v[17:20], v[3:4], off
	v_add_co_u32_e32 v1, vcc, 0x4000, v5
	v_addc_co_u32_e32 v2, vcc, 0, v6, vcc
	v_add_co_u32_e32 v3, vcc, 0x5000, v5
	v_addc_co_u32_e32 v4, vcc, 0, v6, vcc
	v_add_co_u32_e32 v33, vcc, 0x6000, v5
	v_addc_co_u32_e32 v34, vcc, 0, v6, vcc
	v_add_co_u32_e32 v35, vcc, 0x7000, v5
	global_load_dwordx4 v[13:16], v[1:2], off
	global_load_dwordx4 v[9:12], v[3:4], off
	v_addc_co_u32_e32 v36, vcc, 0, v6, vcc
	global_load_dwordx4 v[5:8], v[33:34], off
	global_load_dwordx4 v[1:4], v[35:36], off
	s_cmp_lt_i32 s48, 1
	s_mov_b64 s[4:5], 0
	s_cbranch_scc1 .LBB83_5
; %bb.2:
	s_cmp_gt_i32 s48, 1
	s_cbranch_scc0 .LBB83_6
; %bb.3:
	s_cmp_eq_u32 s48, 2
	s_cbranch_scc0 .LBB83_7
; %bb.4:
	s_waitcnt vmcnt(7)
	v_cmp_ge_f64_e64 s[0:1], s[8:9], v[29:30]
	s_mov_b64 s[6:7], 0
	s_branch .LBB83_8
.LBB83_5:
                                        ; implicit-def: $sgpr0_sgpr1
	s_mov_b64 s[6:7], 0
	s_cbranch_execnz .LBB83_11
	s_branch .LBB83_12
.LBB83_6:
	s_mov_b64 s[6:7], 0
                                        ; implicit-def: $sgpr0_sgpr1
	s_cbranch_execnz .LBB83_9
	s_branch .LBB83_10
.LBB83_7:
	s_mov_b64 s[6:7], -1
                                        ; implicit-def: $sgpr0_sgpr1
.LBB83_8:
	s_branch .LBB83_10
.LBB83_9:
	s_waitcnt vmcnt(7)
	v_cmp_lt_f64_e32 vcc, s[8:9], v[29:30]
	s_andn2_b64 s[0:1], s[0:1], exec
	s_and_b64 s[14:15], vcc, exec
	s_or_b64 s[0:1], s[0:1], s[14:15]
.LBB83_10:
	s_branch .LBB83_12
.LBB83_11:
	s_cmp_lg_u32 s48, 0
	s_mov_b64 s[4:5], -1
	s_cselect_b64 s[6:7], -1, 0
.LBB83_12:
	s_andn2_b64 vcc, exec, s[6:7]
	s_cbranch_vccz .LBB83_18
; %bb.13:
	s_andn2_b64 vcc, exec, s[4:5]
	s_cbranch_vccz .LBB83_19
.LBB83_14:
	s_cmp_lt_i32 s48, 1
	s_mov_b64 s[6:7], 0
	s_cbranch_scc1 .LBB83_20
.LBB83_15:
	s_cmp_gt_i32 s48, 1
	s_cbranch_scc0 .LBB83_21
; %bb.16:
	s_cmp_eq_u32 s48, 2
	s_cbranch_scc0 .LBB83_251
; %bb.17:
	s_waitcnt vmcnt(7)
	v_cmp_ge_f64_e64 s[4:5], s[8:9], v[31:32]
	s_mov_b64 s[14:15], 0
	s_branch .LBB83_23
.LBB83_18:
	s_waitcnt vmcnt(7)
	v_cmp_gt_f64_e32 vcc, s[8:9], v[29:30]
	s_andn2_b64 s[0:1], s[0:1], exec
	s_and_b64 s[6:7], vcc, exec
	s_or_b64 s[0:1], s[0:1], s[6:7]
	s_cbranch_execnz .LBB83_14
.LBB83_19:
	s_waitcnt vmcnt(7)
	v_cmp_le_f64_e32 vcc, s[8:9], v[29:30]
	s_andn2_b64 s[0:1], s[0:1], exec
	s_and_b64 s[4:5], vcc, exec
	s_or_b64 s[0:1], s[0:1], s[4:5]
	s_cmp_lt_i32 s48, 1
	s_mov_b64 s[6:7], 0
	s_cbranch_scc0 .LBB83_15
.LBB83_20:
                                        ; implicit-def: $sgpr4_sgpr5
	s_mov_b64 s[14:15], 0
	s_cbranch_execnz .LBB83_24
	s_branch .LBB83_25
.LBB83_21:
	s_mov_b64 s[14:15], 0
                                        ; implicit-def: $sgpr4_sgpr5
	s_cbranch_execz .LBB83_23
; %bb.22:
	s_waitcnt vmcnt(7)
	v_cmp_lt_f64_e32 vcc, s[8:9], v[31:32]
	s_andn2_b64 s[4:5], s[4:5], exec
	s_and_b64 s[16:17], vcc, exec
	s_or_b64 s[4:5], s[4:5], s[16:17]
.LBB83_23:
	s_branch .LBB83_25
.LBB83_24:
	s_cmp_lg_u32 s48, 0
	s_mov_b64 s[6:7], -1
	s_cselect_b64 s[14:15], -1, 0
.LBB83_25:
	s_andn2_b64 vcc, exec, s[14:15]
	s_cbranch_vccz .LBB83_31
; %bb.26:
	s_andn2_b64 vcc, exec, s[6:7]
	s_cbranch_vccz .LBB83_32
.LBB83_27:
	s_cmp_lt_i32 s48, 1
	s_mov_b64 s[14:15], 0
	s_cbranch_scc1 .LBB83_33
.LBB83_28:
	s_cmp_gt_i32 s48, 1
	s_cbranch_scc0 .LBB83_34
; %bb.29:
	s_cmp_eq_u32 s48, 2
	s_cbranch_scc0 .LBB83_252
; %bb.30:
	s_waitcnt vmcnt(6)
	v_cmp_ge_f64_e64 s[6:7], s[8:9], v[25:26]
	s_mov_b64 s[16:17], 0
	s_branch .LBB83_36
.LBB83_31:
	s_waitcnt vmcnt(7)
	v_cmp_gt_f64_e32 vcc, s[8:9], v[31:32]
	s_andn2_b64 s[4:5], s[4:5], exec
	s_and_b64 s[14:15], vcc, exec
	s_or_b64 s[4:5], s[4:5], s[14:15]
	s_cbranch_execnz .LBB83_27
.LBB83_32:
	s_waitcnt vmcnt(7)
	v_cmp_le_f64_e32 vcc, s[8:9], v[31:32]
	s_andn2_b64 s[4:5], s[4:5], exec
	s_and_b64 s[6:7], vcc, exec
	s_or_b64 s[4:5], s[4:5], s[6:7]
	s_cmp_lt_i32 s48, 1
	s_mov_b64 s[14:15], 0
	s_cbranch_scc0 .LBB83_28
.LBB83_33:
                                        ; implicit-def: $sgpr6_sgpr7
	s_mov_b64 s[16:17], 0
	s_cbranch_execnz .LBB83_37
	s_branch .LBB83_38
.LBB83_34:
	s_mov_b64 s[16:17], 0
                                        ; implicit-def: $sgpr6_sgpr7
	s_cbranch_execz .LBB83_36
; %bb.35:
	s_waitcnt vmcnt(6)
	v_cmp_lt_f64_e32 vcc, s[8:9], v[25:26]
	s_andn2_b64 s[6:7], s[6:7], exec
	s_and_b64 s[18:19], vcc, exec
	s_or_b64 s[6:7], s[6:7], s[18:19]
.LBB83_36:
	s_branch .LBB83_38
.LBB83_37:
	s_cmp_lg_u32 s48, 0
	s_mov_b64 s[14:15], -1
	s_cselect_b64 s[16:17], -1, 0
.LBB83_38:
	s_andn2_b64 vcc, exec, s[16:17]
	s_cbranch_vccz .LBB83_44
; %bb.39:
	s_andn2_b64 vcc, exec, s[14:15]
	s_cbranch_vccz .LBB83_45
.LBB83_40:
	s_cmp_lt_i32 s48, 1
	s_mov_b64 s[16:17], 0
	s_cbranch_scc1 .LBB83_46
.LBB83_41:
	s_cmp_gt_i32 s48, 1
	s_cbranch_scc0 .LBB83_47
; %bb.42:
	s_cmp_eq_u32 s48, 2
	s_cbranch_scc0 .LBB83_253
; %bb.43:
	s_waitcnt vmcnt(6)
	v_cmp_ge_f64_e64 s[14:15], s[8:9], v[27:28]
	s_mov_b64 s[18:19], 0
	s_branch .LBB83_49
.LBB83_44:
	s_waitcnt vmcnt(6)
	v_cmp_gt_f64_e32 vcc, s[8:9], v[25:26]
	s_andn2_b64 s[6:7], s[6:7], exec
	s_and_b64 s[16:17], vcc, exec
	s_or_b64 s[6:7], s[6:7], s[16:17]
	s_cbranch_execnz .LBB83_40
.LBB83_45:
	s_waitcnt vmcnt(6)
	v_cmp_le_f64_e32 vcc, s[8:9], v[25:26]
	s_andn2_b64 s[6:7], s[6:7], exec
	s_and_b64 s[14:15], vcc, exec
	s_or_b64 s[6:7], s[6:7], s[14:15]
	s_cmp_lt_i32 s48, 1
	s_mov_b64 s[16:17], 0
	s_cbranch_scc0 .LBB83_41
.LBB83_46:
                                        ; implicit-def: $sgpr14_sgpr15
	s_mov_b64 s[18:19], 0
	s_cbranch_execnz .LBB83_50
	s_branch .LBB83_51
.LBB83_47:
	s_mov_b64 s[18:19], 0
                                        ; implicit-def: $sgpr14_sgpr15
	s_cbranch_execz .LBB83_49
; %bb.48:
	s_waitcnt vmcnt(6)
	v_cmp_lt_f64_e32 vcc, s[8:9], v[27:28]
	s_andn2_b64 s[14:15], s[14:15], exec
	s_and_b64 s[20:21], vcc, exec
	s_or_b64 s[14:15], s[14:15], s[20:21]
.LBB83_49:
	s_branch .LBB83_51
.LBB83_50:
	s_cmp_lg_u32 s48, 0
	s_mov_b64 s[16:17], -1
	s_cselect_b64 s[18:19], -1, 0
.LBB83_51:
	s_andn2_b64 vcc, exec, s[18:19]
	s_cbranch_vccz .LBB83_57
; %bb.52:
	s_andn2_b64 vcc, exec, s[16:17]
	s_cbranch_vccz .LBB83_58
.LBB83_53:
	s_cmp_lt_i32 s48, 1
	s_mov_b64 s[18:19], 0
	s_cbranch_scc1 .LBB83_59
.LBB83_54:
	s_cmp_gt_i32 s48, 1
	s_cbranch_scc0 .LBB83_60
; %bb.55:
	s_cmp_eq_u32 s48, 2
	s_cbranch_scc0 .LBB83_254
; %bb.56:
	s_waitcnt vmcnt(5)
	v_cmp_ge_f64_e64 s[16:17], s[8:9], v[21:22]
	s_mov_b64 s[20:21], 0
	s_branch .LBB83_62
.LBB83_57:
	s_waitcnt vmcnt(6)
	v_cmp_gt_f64_e32 vcc, s[8:9], v[27:28]
	s_andn2_b64 s[14:15], s[14:15], exec
	s_and_b64 s[18:19], vcc, exec
	s_or_b64 s[14:15], s[14:15], s[18:19]
	s_cbranch_execnz .LBB83_53
.LBB83_58:
	s_waitcnt vmcnt(6)
	v_cmp_le_f64_e32 vcc, s[8:9], v[27:28]
	s_andn2_b64 s[14:15], s[14:15], exec
	s_and_b64 s[16:17], vcc, exec
	s_or_b64 s[14:15], s[14:15], s[16:17]
	s_cmp_lt_i32 s48, 1
	s_mov_b64 s[18:19], 0
	s_cbranch_scc0 .LBB83_54
.LBB83_59:
                                        ; implicit-def: $sgpr16_sgpr17
	s_mov_b64 s[20:21], 0
	s_cbranch_execnz .LBB83_63
	s_branch .LBB83_64
.LBB83_60:
	s_mov_b64 s[20:21], 0
                                        ; implicit-def: $sgpr16_sgpr17
	s_cbranch_execz .LBB83_62
; %bb.61:
	s_waitcnt vmcnt(5)
	v_cmp_lt_f64_e32 vcc, s[8:9], v[21:22]
	s_andn2_b64 s[16:17], s[16:17], exec
	s_and_b64 s[22:23], vcc, exec
	s_or_b64 s[16:17], s[16:17], s[22:23]
.LBB83_62:
	s_branch .LBB83_64
.LBB83_63:
	s_cmp_lg_u32 s48, 0
	s_mov_b64 s[18:19], -1
	s_cselect_b64 s[20:21], -1, 0
.LBB83_64:
	s_andn2_b64 vcc, exec, s[20:21]
	s_cbranch_vccz .LBB83_70
; %bb.65:
	s_andn2_b64 vcc, exec, s[18:19]
	s_cbranch_vccz .LBB83_71
.LBB83_66:
	s_cmp_lt_i32 s48, 1
	s_mov_b64 s[20:21], 0
	s_cbranch_scc1 .LBB83_72
.LBB83_67:
	s_cmp_gt_i32 s48, 1
	s_cbranch_scc0 .LBB83_73
; %bb.68:
	s_cmp_eq_u32 s48, 2
	s_cbranch_scc0 .LBB83_255
; %bb.69:
	s_waitcnt vmcnt(5)
	v_cmp_ge_f64_e64 s[18:19], s[8:9], v[23:24]
	s_mov_b64 s[22:23], 0
	s_branch .LBB83_75
.LBB83_70:
	s_waitcnt vmcnt(5)
	v_cmp_gt_f64_e32 vcc, s[8:9], v[21:22]
	s_andn2_b64 s[16:17], s[16:17], exec
	s_and_b64 s[20:21], vcc, exec
	s_or_b64 s[16:17], s[16:17], s[20:21]
	s_cbranch_execnz .LBB83_66
.LBB83_71:
	s_waitcnt vmcnt(5)
	v_cmp_le_f64_e32 vcc, s[8:9], v[21:22]
	s_andn2_b64 s[16:17], s[16:17], exec
	s_and_b64 s[18:19], vcc, exec
	s_or_b64 s[16:17], s[16:17], s[18:19]
	s_cmp_lt_i32 s48, 1
	s_mov_b64 s[20:21], 0
	s_cbranch_scc0 .LBB83_67
.LBB83_72:
                                        ; implicit-def: $sgpr18_sgpr19
	s_mov_b64 s[22:23], 0
	s_cbranch_execnz .LBB83_76
	s_branch .LBB83_77
.LBB83_73:
	s_mov_b64 s[22:23], 0
                                        ; implicit-def: $sgpr18_sgpr19
	s_cbranch_execz .LBB83_75
; %bb.74:
	s_waitcnt vmcnt(5)
	v_cmp_lt_f64_e32 vcc, s[8:9], v[23:24]
	s_andn2_b64 s[18:19], s[18:19], exec
	s_and_b64 s[24:25], vcc, exec
	s_or_b64 s[18:19], s[18:19], s[24:25]
.LBB83_75:
	s_branch .LBB83_77
.LBB83_76:
	s_cmp_lg_u32 s48, 0
	s_mov_b64 s[20:21], -1
	s_cselect_b64 s[22:23], -1, 0
.LBB83_77:
	s_andn2_b64 vcc, exec, s[22:23]
	s_cbranch_vccz .LBB83_83
; %bb.78:
	s_andn2_b64 vcc, exec, s[20:21]
	s_cbranch_vccz .LBB83_84
.LBB83_79:
	s_cmp_lt_i32 s48, 1
	s_mov_b64 s[22:23], 0
	s_cbranch_scc1 .LBB83_85
.LBB83_80:
	s_cmp_gt_i32 s48, 1
	s_cbranch_scc0 .LBB83_86
; %bb.81:
	s_cmp_eq_u32 s48, 2
	s_cbranch_scc0 .LBB83_256
; %bb.82:
	s_waitcnt vmcnt(4)
	v_cmp_ge_f64_e64 s[20:21], s[8:9], v[17:18]
	s_mov_b64 s[24:25], 0
	s_branch .LBB83_88
.LBB83_83:
	s_waitcnt vmcnt(5)
	v_cmp_gt_f64_e32 vcc, s[8:9], v[23:24]
	s_andn2_b64 s[18:19], s[18:19], exec
	s_and_b64 s[22:23], vcc, exec
	s_or_b64 s[18:19], s[18:19], s[22:23]
	s_cbranch_execnz .LBB83_79
.LBB83_84:
	s_waitcnt vmcnt(5)
	v_cmp_le_f64_e32 vcc, s[8:9], v[23:24]
	s_andn2_b64 s[18:19], s[18:19], exec
	s_and_b64 s[20:21], vcc, exec
	s_or_b64 s[18:19], s[18:19], s[20:21]
	s_cmp_lt_i32 s48, 1
	s_mov_b64 s[22:23], 0
	s_cbranch_scc0 .LBB83_80
.LBB83_85:
                                        ; implicit-def: $sgpr20_sgpr21
	s_mov_b64 s[24:25], 0
	s_cbranch_execnz .LBB83_89
	s_branch .LBB83_90
.LBB83_86:
	s_mov_b64 s[24:25], 0
                                        ; implicit-def: $sgpr20_sgpr21
	s_cbranch_execz .LBB83_88
; %bb.87:
	s_waitcnt vmcnt(4)
	v_cmp_lt_f64_e32 vcc, s[8:9], v[17:18]
	s_andn2_b64 s[20:21], s[20:21], exec
	s_and_b64 s[26:27], vcc, exec
	s_or_b64 s[20:21], s[20:21], s[26:27]
.LBB83_88:
	s_branch .LBB83_90
.LBB83_89:
	s_cmp_lg_u32 s48, 0
	s_mov_b64 s[22:23], -1
	s_cselect_b64 s[24:25], -1, 0
.LBB83_90:
	s_andn2_b64 vcc, exec, s[24:25]
	s_cbranch_vccz .LBB83_96
; %bb.91:
	s_andn2_b64 vcc, exec, s[22:23]
	s_cbranch_vccz .LBB83_97
.LBB83_92:
	s_cmp_lt_i32 s48, 1
	s_mov_b64 s[24:25], 0
	s_cbranch_scc1 .LBB83_98
.LBB83_93:
	s_cmp_gt_i32 s48, 1
	s_cbranch_scc0 .LBB83_99
; %bb.94:
	s_cmp_eq_u32 s48, 2
	s_cbranch_scc0 .LBB83_257
; %bb.95:
	s_waitcnt vmcnt(4)
	v_cmp_ge_f64_e64 s[22:23], s[8:9], v[19:20]
	s_mov_b64 s[26:27], 0
	s_branch .LBB83_101
.LBB83_96:
	s_waitcnt vmcnt(4)
	v_cmp_gt_f64_e32 vcc, s[8:9], v[17:18]
	s_andn2_b64 s[20:21], s[20:21], exec
	s_and_b64 s[24:25], vcc, exec
	s_or_b64 s[20:21], s[20:21], s[24:25]
	s_cbranch_execnz .LBB83_92
.LBB83_97:
	s_waitcnt vmcnt(4)
	v_cmp_le_f64_e32 vcc, s[8:9], v[17:18]
	s_andn2_b64 s[20:21], s[20:21], exec
	s_and_b64 s[22:23], vcc, exec
	s_or_b64 s[20:21], s[20:21], s[22:23]
	s_cmp_lt_i32 s48, 1
	s_mov_b64 s[24:25], 0
	s_cbranch_scc0 .LBB83_93
.LBB83_98:
                                        ; implicit-def: $sgpr22_sgpr23
	s_mov_b64 s[26:27], 0
	s_cbranch_execnz .LBB83_102
	s_branch .LBB83_103
.LBB83_99:
	s_mov_b64 s[26:27], 0
                                        ; implicit-def: $sgpr22_sgpr23
	s_cbranch_execz .LBB83_101
; %bb.100:
	s_waitcnt vmcnt(4)
	v_cmp_lt_f64_e32 vcc, s[8:9], v[19:20]
	s_andn2_b64 s[22:23], s[22:23], exec
	s_and_b64 s[28:29], vcc, exec
	s_or_b64 s[22:23], s[22:23], s[28:29]
.LBB83_101:
	s_branch .LBB83_103
.LBB83_102:
	s_cmp_lg_u32 s48, 0
	s_mov_b64 s[24:25], -1
	s_cselect_b64 s[26:27], -1, 0
.LBB83_103:
	s_andn2_b64 vcc, exec, s[26:27]
	s_cbranch_vccz .LBB83_109
; %bb.104:
	s_andn2_b64 vcc, exec, s[24:25]
	s_cbranch_vccz .LBB83_110
.LBB83_105:
	s_cmp_lt_i32 s48, 1
	s_mov_b64 s[26:27], 0
	s_cbranch_scc1 .LBB83_111
.LBB83_106:
	s_cmp_gt_i32 s48, 1
	s_cbranch_scc0 .LBB83_112
; %bb.107:
	s_cmp_eq_u32 s48, 2
	s_cbranch_scc0 .LBB83_258
; %bb.108:
	s_waitcnt vmcnt(3)
	v_cmp_ge_f64_e64 s[24:25], s[8:9], v[13:14]
	s_mov_b64 s[28:29], 0
	s_branch .LBB83_114
.LBB83_109:
	s_waitcnt vmcnt(4)
	v_cmp_gt_f64_e32 vcc, s[8:9], v[19:20]
	s_andn2_b64 s[22:23], s[22:23], exec
	s_and_b64 s[26:27], vcc, exec
	s_or_b64 s[22:23], s[22:23], s[26:27]
	s_cbranch_execnz .LBB83_105
.LBB83_110:
	s_waitcnt vmcnt(4)
	v_cmp_le_f64_e32 vcc, s[8:9], v[19:20]
	s_andn2_b64 s[22:23], s[22:23], exec
	s_and_b64 s[24:25], vcc, exec
	s_or_b64 s[22:23], s[22:23], s[24:25]
	s_cmp_lt_i32 s48, 1
	s_mov_b64 s[26:27], 0
	s_cbranch_scc0 .LBB83_106
.LBB83_111:
                                        ; implicit-def: $sgpr24_sgpr25
	s_mov_b64 s[28:29], 0
	s_cbranch_execnz .LBB83_115
	s_branch .LBB83_116
.LBB83_112:
	s_mov_b64 s[28:29], 0
                                        ; implicit-def: $sgpr24_sgpr25
	s_cbranch_execz .LBB83_114
; %bb.113:
	s_waitcnt vmcnt(3)
	v_cmp_lt_f64_e32 vcc, s[8:9], v[13:14]
	s_andn2_b64 s[24:25], s[24:25], exec
	s_and_b64 s[30:31], vcc, exec
	s_or_b64 s[24:25], s[24:25], s[30:31]
.LBB83_114:
	s_branch .LBB83_116
.LBB83_115:
	s_cmp_lg_u32 s48, 0
	s_mov_b64 s[26:27], -1
	s_cselect_b64 s[28:29], -1, 0
.LBB83_116:
	s_andn2_b64 vcc, exec, s[28:29]
	s_cbranch_vccz .LBB83_122
; %bb.117:
	s_andn2_b64 vcc, exec, s[26:27]
	s_cbranch_vccz .LBB83_123
.LBB83_118:
	s_cmp_lt_i32 s48, 1
	s_mov_b64 s[28:29], 0
	s_cbranch_scc1 .LBB83_124
.LBB83_119:
	s_cmp_gt_i32 s48, 1
	s_cbranch_scc0 .LBB83_125
; %bb.120:
	s_cmp_eq_u32 s48, 2
	s_cbranch_scc0 .LBB83_259
; %bb.121:
	s_waitcnt vmcnt(3)
	v_cmp_ge_f64_e64 s[26:27], s[8:9], v[15:16]
	s_mov_b64 s[30:31], 0
	s_branch .LBB83_127
.LBB83_122:
	s_waitcnt vmcnt(3)
	v_cmp_gt_f64_e32 vcc, s[8:9], v[13:14]
	s_andn2_b64 s[24:25], s[24:25], exec
	s_and_b64 s[28:29], vcc, exec
	s_or_b64 s[24:25], s[24:25], s[28:29]
	s_cbranch_execnz .LBB83_118
.LBB83_123:
	s_waitcnt vmcnt(3)
	v_cmp_le_f64_e32 vcc, s[8:9], v[13:14]
	s_andn2_b64 s[24:25], s[24:25], exec
	s_and_b64 s[26:27], vcc, exec
	s_or_b64 s[24:25], s[24:25], s[26:27]
	s_cmp_lt_i32 s48, 1
	s_mov_b64 s[28:29], 0
	s_cbranch_scc0 .LBB83_119
.LBB83_124:
                                        ; implicit-def: $sgpr26_sgpr27
	s_mov_b64 s[30:31], 0
	s_cbranch_execnz .LBB83_128
	s_branch .LBB83_129
.LBB83_125:
	s_mov_b64 s[30:31], 0
                                        ; implicit-def: $sgpr26_sgpr27
	s_cbranch_execz .LBB83_127
; %bb.126:
	s_waitcnt vmcnt(3)
	v_cmp_lt_f64_e32 vcc, s[8:9], v[15:16]
	s_andn2_b64 s[26:27], s[26:27], exec
	s_and_b64 s[34:35], vcc, exec
	s_or_b64 s[26:27], s[26:27], s[34:35]
.LBB83_127:
	s_branch .LBB83_129
.LBB83_128:
	s_cmp_lg_u32 s48, 0
	s_mov_b64 s[28:29], -1
	s_cselect_b64 s[30:31], -1, 0
.LBB83_129:
	s_andn2_b64 vcc, exec, s[30:31]
	s_cbranch_vccz .LBB83_135
; %bb.130:
	s_andn2_b64 vcc, exec, s[28:29]
	s_cbranch_vccz .LBB83_136
.LBB83_131:
	s_cmp_lt_i32 s48, 1
	s_mov_b64 s[30:31], 0
	s_cbranch_scc1 .LBB83_137
.LBB83_132:
	s_cmp_gt_i32 s48, 1
	s_cbranch_scc0 .LBB83_138
; %bb.133:
	s_cmp_eq_u32 s48, 2
	s_cbranch_scc0 .LBB83_260
; %bb.134:
	s_waitcnt vmcnt(2)
	v_cmp_ge_f64_e64 s[28:29], s[8:9], v[9:10]
	s_mov_b64 s[34:35], 0
	s_branch .LBB83_140
.LBB83_135:
	s_waitcnt vmcnt(3)
	v_cmp_gt_f64_e32 vcc, s[8:9], v[15:16]
	s_andn2_b64 s[26:27], s[26:27], exec
	s_and_b64 s[30:31], vcc, exec
	s_or_b64 s[26:27], s[26:27], s[30:31]
	s_cbranch_execnz .LBB83_131
.LBB83_136:
	s_waitcnt vmcnt(3)
	v_cmp_le_f64_e32 vcc, s[8:9], v[15:16]
	s_andn2_b64 s[26:27], s[26:27], exec
	s_and_b64 s[28:29], vcc, exec
	s_or_b64 s[26:27], s[26:27], s[28:29]
	s_cmp_lt_i32 s48, 1
	s_mov_b64 s[30:31], 0
	s_cbranch_scc0 .LBB83_132
.LBB83_137:
                                        ; implicit-def: $sgpr28_sgpr29
	s_mov_b64 s[34:35], 0
	s_cbranch_execnz .LBB83_141
	s_branch .LBB83_142
.LBB83_138:
	s_mov_b64 s[34:35], 0
                                        ; implicit-def: $sgpr28_sgpr29
	s_cbranch_execz .LBB83_140
; %bb.139:
	s_waitcnt vmcnt(2)
	v_cmp_lt_f64_e32 vcc, s[8:9], v[9:10]
	s_andn2_b64 s[28:29], s[28:29], exec
	s_and_b64 s[36:37], vcc, exec
	s_or_b64 s[28:29], s[28:29], s[36:37]
.LBB83_140:
	s_branch .LBB83_142
.LBB83_141:
	s_cmp_lg_u32 s48, 0
	s_mov_b64 s[30:31], -1
	s_cselect_b64 s[34:35], -1, 0
.LBB83_142:
	s_andn2_b64 vcc, exec, s[34:35]
	s_cbranch_vccz .LBB83_148
; %bb.143:
	s_andn2_b64 vcc, exec, s[30:31]
	s_cbranch_vccz .LBB83_149
.LBB83_144:
	s_cmp_lt_i32 s48, 1
	s_mov_b64 s[34:35], 0
	s_cbranch_scc1 .LBB83_150
.LBB83_145:
	s_cmp_gt_i32 s48, 1
	s_cbranch_scc0 .LBB83_151
; %bb.146:
	s_cmp_eq_u32 s48, 2
	s_cbranch_scc0 .LBB83_261
; %bb.147:
	s_waitcnt vmcnt(2)
	v_cmp_ge_f64_e64 s[30:31], s[8:9], v[11:12]
	s_mov_b64 s[36:37], 0
	s_branch .LBB83_153
.LBB83_148:
	s_waitcnt vmcnt(2)
	v_cmp_gt_f64_e32 vcc, s[8:9], v[9:10]
	s_andn2_b64 s[28:29], s[28:29], exec
	s_and_b64 s[34:35], vcc, exec
	s_or_b64 s[28:29], s[28:29], s[34:35]
	s_cbranch_execnz .LBB83_144
.LBB83_149:
	s_waitcnt vmcnt(2)
	v_cmp_le_f64_e32 vcc, s[8:9], v[9:10]
	s_andn2_b64 s[28:29], s[28:29], exec
	s_and_b64 s[30:31], vcc, exec
	s_or_b64 s[28:29], s[28:29], s[30:31]
	s_cmp_lt_i32 s48, 1
	s_mov_b64 s[34:35], 0
	s_cbranch_scc0 .LBB83_145
.LBB83_150:
                                        ; implicit-def: $sgpr30_sgpr31
	s_mov_b64 s[36:37], 0
	s_cbranch_execnz .LBB83_154
	s_branch .LBB83_155
.LBB83_151:
	s_mov_b64 s[36:37], 0
                                        ; implicit-def: $sgpr30_sgpr31
	s_cbranch_execz .LBB83_153
; %bb.152:
	s_waitcnt vmcnt(2)
	v_cmp_lt_f64_e32 vcc, s[8:9], v[11:12]
	s_andn2_b64 s[30:31], s[30:31], exec
	s_and_b64 s[38:39], vcc, exec
	s_or_b64 s[30:31], s[30:31], s[38:39]
.LBB83_153:
	s_branch .LBB83_155
.LBB83_154:
	s_cmp_lg_u32 s48, 0
	s_mov_b64 s[34:35], -1
	s_cselect_b64 s[36:37], -1, 0
.LBB83_155:
	s_andn2_b64 vcc, exec, s[36:37]
	s_cbranch_vccz .LBB83_161
; %bb.156:
	s_andn2_b64 vcc, exec, s[34:35]
	s_cbranch_vccz .LBB83_162
.LBB83_157:
	s_cmp_lt_i32 s48, 1
	s_mov_b64 s[36:37], 0
	s_cbranch_scc1 .LBB83_163
.LBB83_158:
	s_cmp_gt_i32 s48, 1
	s_cbranch_scc0 .LBB83_164
; %bb.159:
	s_cmp_eq_u32 s48, 2
	s_cbranch_scc0 .LBB83_262
; %bb.160:
	s_waitcnt vmcnt(1)
	v_cmp_ge_f64_e64 s[34:35], s[8:9], v[5:6]
	s_mov_b64 s[38:39], 0
	s_branch .LBB83_166
.LBB83_161:
	s_waitcnt vmcnt(2)
	v_cmp_gt_f64_e32 vcc, s[8:9], v[11:12]
	s_andn2_b64 s[30:31], s[30:31], exec
	s_and_b64 s[36:37], vcc, exec
	s_or_b64 s[30:31], s[30:31], s[36:37]
	s_cbranch_execnz .LBB83_157
.LBB83_162:
	s_waitcnt vmcnt(2)
	v_cmp_le_f64_e32 vcc, s[8:9], v[11:12]
	s_andn2_b64 s[30:31], s[30:31], exec
	s_and_b64 s[34:35], vcc, exec
	s_or_b64 s[30:31], s[30:31], s[34:35]
	s_cmp_lt_i32 s48, 1
	s_mov_b64 s[36:37], 0
	s_cbranch_scc0 .LBB83_158
.LBB83_163:
                                        ; implicit-def: $sgpr34_sgpr35
	s_mov_b64 s[38:39], 0
	s_cbranch_execnz .LBB83_167
	s_branch .LBB83_168
.LBB83_164:
	s_mov_b64 s[38:39], 0
                                        ; implicit-def: $sgpr34_sgpr35
	s_cbranch_execz .LBB83_166
; %bb.165:
	s_waitcnt vmcnt(1)
	v_cmp_lt_f64_e32 vcc, s[8:9], v[5:6]
	s_andn2_b64 s[34:35], s[34:35], exec
	s_and_b64 s[40:41], vcc, exec
	s_or_b64 s[34:35], s[34:35], s[40:41]
.LBB83_166:
	s_branch .LBB83_168
.LBB83_167:
	s_cmp_lg_u32 s48, 0
	s_mov_b64 s[36:37], -1
	s_cselect_b64 s[38:39], -1, 0
.LBB83_168:
	s_andn2_b64 vcc, exec, s[38:39]
	s_cbranch_vccz .LBB83_174
; %bb.169:
	s_andn2_b64 vcc, exec, s[36:37]
	s_cbranch_vccz .LBB83_175
.LBB83_170:
	s_cmp_lt_i32 s48, 1
	s_mov_b64 s[38:39], 0
	s_cbranch_scc1 .LBB83_176
.LBB83_171:
	s_cmp_gt_i32 s48, 1
	s_cbranch_scc0 .LBB83_177
; %bb.172:
	s_cmp_eq_u32 s48, 2
	s_cbranch_scc0 .LBB83_263
; %bb.173:
	s_waitcnt vmcnt(1)
	v_cmp_ge_f64_e64 s[36:37], s[8:9], v[7:8]
	s_mov_b64 s[40:41], 0
	s_branch .LBB83_179
.LBB83_174:
	s_waitcnt vmcnt(1)
	v_cmp_gt_f64_e32 vcc, s[8:9], v[5:6]
	s_andn2_b64 s[34:35], s[34:35], exec
	s_and_b64 s[38:39], vcc, exec
	s_or_b64 s[34:35], s[34:35], s[38:39]
	s_cbranch_execnz .LBB83_170
.LBB83_175:
	s_waitcnt vmcnt(1)
	v_cmp_le_f64_e32 vcc, s[8:9], v[5:6]
	s_andn2_b64 s[34:35], s[34:35], exec
	s_and_b64 s[36:37], vcc, exec
	s_or_b64 s[34:35], s[34:35], s[36:37]
	s_cmp_lt_i32 s48, 1
	s_mov_b64 s[38:39], 0
	s_cbranch_scc0 .LBB83_171
.LBB83_176:
                                        ; implicit-def: $sgpr36_sgpr37
	s_mov_b64 s[40:41], 0
	s_cbranch_execnz .LBB83_180
	s_branch .LBB83_181
.LBB83_177:
	s_mov_b64 s[40:41], 0
                                        ; implicit-def: $sgpr36_sgpr37
	s_cbranch_execz .LBB83_179
; %bb.178:
	s_waitcnt vmcnt(1)
	v_cmp_lt_f64_e32 vcc, s[8:9], v[7:8]
	s_andn2_b64 s[36:37], s[36:37], exec
	s_and_b64 s[42:43], vcc, exec
	s_or_b64 s[36:37], s[36:37], s[42:43]
.LBB83_179:
	s_branch .LBB83_181
.LBB83_180:
	s_cmp_lg_u32 s48, 0
	s_mov_b64 s[38:39], -1
	s_cselect_b64 s[40:41], -1, 0
.LBB83_181:
	s_andn2_b64 vcc, exec, s[40:41]
	s_cbranch_vccz .LBB83_187
; %bb.182:
	s_andn2_b64 vcc, exec, s[38:39]
	s_cbranch_vccz .LBB83_188
.LBB83_183:
	s_cmp_lt_i32 s48, 1
	s_mov_b64 s[40:41], 0
	s_cbranch_scc1 .LBB83_189
.LBB83_184:
	s_cmp_gt_i32 s48, 1
	s_cbranch_scc0 .LBB83_190
; %bb.185:
	s_cmp_eq_u32 s48, 2
	s_cbranch_scc0 .LBB83_264
; %bb.186:
	s_waitcnt vmcnt(0)
	v_cmp_ge_f64_e64 s[38:39], s[8:9], v[1:2]
	s_mov_b64 s[42:43], 0
	s_branch .LBB83_192
.LBB83_187:
	s_waitcnt vmcnt(1)
	v_cmp_gt_f64_e32 vcc, s[8:9], v[7:8]
	s_andn2_b64 s[36:37], s[36:37], exec
	s_and_b64 s[40:41], vcc, exec
	s_or_b64 s[36:37], s[36:37], s[40:41]
	s_cbranch_execnz .LBB83_183
.LBB83_188:
	s_waitcnt vmcnt(1)
	v_cmp_le_f64_e32 vcc, s[8:9], v[7:8]
	s_andn2_b64 s[36:37], s[36:37], exec
	s_and_b64 s[38:39], vcc, exec
	s_or_b64 s[36:37], s[36:37], s[38:39]
	s_cmp_lt_i32 s48, 1
	s_mov_b64 s[40:41], 0
	s_cbranch_scc0 .LBB83_184
.LBB83_189:
                                        ; implicit-def: $sgpr38_sgpr39
	s_mov_b64 s[42:43], 0
	s_cbranch_execnz .LBB83_193
	s_branch .LBB83_194
.LBB83_190:
	s_mov_b64 s[42:43], 0
                                        ; implicit-def: $sgpr38_sgpr39
	s_cbranch_execz .LBB83_192
; %bb.191:
	s_waitcnt vmcnt(0)
	v_cmp_lt_f64_e32 vcc, s[8:9], v[1:2]
	s_andn2_b64 s[38:39], s[38:39], exec
	s_and_b64 s[44:45], vcc, exec
	s_or_b64 s[38:39], s[38:39], s[44:45]
.LBB83_192:
	s_branch .LBB83_194
.LBB83_193:
	s_cmp_lg_u32 s48, 0
	s_mov_b64 s[40:41], -1
	s_cselect_b64 s[42:43], -1, 0
.LBB83_194:
	s_andn2_b64 vcc, exec, s[42:43]
	s_cbranch_vccz .LBB83_200
; %bb.195:
	s_andn2_b64 vcc, exec, s[40:41]
	s_cbranch_vccz .LBB83_201
.LBB83_196:
	s_cmp_lt_i32 s48, 1
	s_mov_b64 s[42:43], 0
	s_cbranch_scc1 .LBB83_202
.LBB83_197:
	s_cmp_gt_i32 s48, 1
	s_cbranch_scc0 .LBB83_203
; %bb.198:
	s_cmp_eq_u32 s48, 2
	s_cbranch_scc0 .LBB83_265
; %bb.199:
	s_waitcnt vmcnt(0)
	v_cmp_ge_f64_e64 s[40:41], s[8:9], v[3:4]
	s_mov_b64 s[44:45], 0
	s_branch .LBB83_205
.LBB83_200:
	s_waitcnt vmcnt(0)
	v_cmp_gt_f64_e32 vcc, s[8:9], v[1:2]
	s_andn2_b64 s[38:39], s[38:39], exec
	s_and_b64 s[42:43], vcc, exec
	s_or_b64 s[38:39], s[38:39], s[42:43]
	s_cbranch_execnz .LBB83_196
.LBB83_201:
	s_waitcnt vmcnt(0)
	v_cmp_le_f64_e32 vcc, s[8:9], v[1:2]
	s_andn2_b64 s[38:39], s[38:39], exec
	s_and_b64 s[40:41], vcc, exec
	s_or_b64 s[38:39], s[38:39], s[40:41]
	s_cmp_lt_i32 s48, 1
	s_mov_b64 s[42:43], 0
	s_cbranch_scc0 .LBB83_197
.LBB83_202:
                                        ; implicit-def: $sgpr40_sgpr41
	s_mov_b64 s[44:45], 0
	s_cbranch_execnz .LBB83_206
	s_branch .LBB83_207
.LBB83_203:
	s_mov_b64 s[44:45], 0
                                        ; implicit-def: $sgpr40_sgpr41
	s_cbranch_execz .LBB83_205
; %bb.204:
	s_waitcnt vmcnt(0)
	v_cmp_lt_f64_e32 vcc, s[8:9], v[3:4]
	s_andn2_b64 s[40:41], s[40:41], exec
	s_and_b64 s[46:47], vcc, exec
	s_or_b64 s[40:41], s[40:41], s[46:47]
.LBB83_205:
	s_branch .LBB83_207
.LBB83_206:
	s_cmp_lg_u32 s48, 0
	s_mov_b64 s[42:43], -1
	s_cselect_b64 s[44:45], -1, 0
.LBB83_207:
	s_andn2_b64 vcc, exec, s[44:45]
	s_cbranch_vccz .LBB83_243
; %bb.208:
	s_andn2_b64 vcc, exec, s[42:43]
	s_cbranch_vccnz .LBB83_210
.LBB83_209:
	s_waitcnt vmcnt(0)
	v_cmp_le_f64_e32 vcc, s[8:9], v[3:4]
	s_andn2_b64 s[40:41], s[40:41], exec
	s_and_b64 s[42:43], vcc, exec
	s_or_b64 s[40:41], s[40:41], s[42:43]
.LBB83_210:
	s_waitcnt vmcnt(0)
	v_mov_b32_e32 v3, 0x100
	v_cndmask_b32_e64 v2, 0, 1, s[34:35]
	v_cndmask_b32_e64 v4, 0, v3, s[36:37]
	v_or_b32_e32 v2, v4, v2
	v_cndmask_b32_e64 v4, 0, 1, s[28:29]
	v_cndmask_b32_e64 v5, 0, v3, s[30:31]
	v_or_b32_e32 v4, v5, v4
	;; [unrolled: 3-line block ×5, first 2 shown]
	v_cndmask_b32_e64 v8, 0, 1, s[6:7]
	v_cndmask_b32_e64 v9, 0, v3, s[14:15]
	;; [unrolled: 1-line block ×3, first 2 shown]
	v_or_b32_e32 v8, v9, v8
	v_cndmask_b32_e64 v9, 0, 1, s[0:1]
	v_cndmask_b32_e64 v10, 0, v3, s[4:5]
	v_cndmask_b32_e64 v3, 0, v3, s[40:41]
	s_add_u32 s0, s10, s2
	v_or_b32_e32 v9, v10, v9
	v_or_b32_e32 v1, v3, v1
	s_addc_u32 s1, s11, s3
	v_lshlrev_b32_e32 v3, 1, v0
	global_store_short v3, v9, s[0:1]
	global_store_short v3, v8, s[0:1] offset:512
	global_store_short v3, v7, s[0:1] offset:1024
	;; [unrolled: 1-line block ×7, first 2 shown]
	s_mov_b64 s[0:1], 0
.LBB83_211:
	s_and_b64 vcc, exec, s[0:1]
	s_cbranch_vccz .LBB83_519
; %bb.212:
	v_mov_b32_e32 v30, 0
	v_mov_b32_e32 v32, 0
	v_cmp_gt_i32_e64 s[0:1], s33, v0
	v_mov_b32_e32 v31, 0
	v_or_b32_e32 v1, s2, v0
	v_mov_b32_e32 v33, 0
	v_mov_b32_e32 v34, v0
	s_and_saveexec_b64 s[4:5], s[0:1]
	s_cbranch_execz .LBB83_214
; %bb.213:
	v_mov_b32_e32 v2, 0
	v_lshlrev_b64 v[2:3], 3, v[1:2]
	v_mov_b32_e32 v4, s13
	v_add_co_u32_e32 v2, vcc, s12, v2
	v_addc_co_u32_e32 v3, vcc, v4, v3, vcc
	global_load_dwordx2 v[32:33], v[2:3], off
	v_or_b32_e32 v34, 0x100, v0
.LBB83_214:
	s_or_b64 exec, exec, s[4:5]
	v_cmp_gt_i32_e32 vcc, s33, v34
	s_and_saveexec_b64 s[4:5], vcc
	s_cbranch_execz .LBB83_216
; %bb.215:
	v_add_u32_e32 v2, s2, v34
	v_mov_b32_e32 v3, 0
	v_lshlrev_b64 v[2:3], 3, v[2:3]
	v_mov_b32_e32 v4, s13
	v_add_co_u32_e32 v2, vcc, s12, v2
	v_addc_co_u32_e32 v3, vcc, v4, v3, vcc
	global_load_dwordx2 v[30:31], v[2:3], off
	v_add_u32_e32 v34, 0x100, v34
.LBB83_216:
	s_or_b64 exec, exec, s[4:5]
	v_mov_b32_e32 v26, 0
	v_mov_b32_e32 v28, 0
	v_mov_b32_e32 v27, 0
	v_mov_b32_e32 v29, 0
	v_cmp_gt_i32_e32 vcc, s33, v34
	s_and_saveexec_b64 s[4:5], vcc
	s_cbranch_execz .LBB83_218
; %bb.217:
	v_add_u32_e32 v2, s2, v34
	v_mov_b32_e32 v3, 0
	v_lshlrev_b64 v[2:3], 3, v[2:3]
	v_mov_b32_e32 v4, s13
	v_add_co_u32_e32 v2, vcc, s12, v2
	v_addc_co_u32_e32 v3, vcc, v4, v3, vcc
	global_load_dwordx2 v[28:29], v[2:3], off
	v_add_u32_e32 v34, 0x100, v34
.LBB83_218:
	s_or_b64 exec, exec, s[4:5]
	v_cmp_gt_i32_e32 vcc, s33, v34
	s_and_saveexec_b64 s[4:5], vcc
	s_cbranch_execz .LBB83_220
; %bb.219:
	v_add_u32_e32 v2, s2, v34
	v_mov_b32_e32 v3, 0
	v_lshlrev_b64 v[2:3], 3, v[2:3]
	v_mov_b32_e32 v4, s13
	v_add_co_u32_e32 v2, vcc, s12, v2
	v_addc_co_u32_e32 v3, vcc, v4, v3, vcc
	global_load_dwordx2 v[26:27], v[2:3], off
	v_add_u32_e32 v34, 0x100, v34
.LBB83_220:
	s_or_b64 exec, exec, s[4:5]
	v_mov_b32_e32 v22, 0
	v_mov_b32_e32 v24, 0
	v_mov_b32_e32 v23, 0
	v_mov_b32_e32 v25, 0
	v_cmp_gt_i32_e32 vcc, s33, v34
	s_and_saveexec_b64 s[4:5], vcc
	s_cbranch_execz .LBB83_222
; %bb.221:
	v_add_u32_e32 v2, s2, v34
	v_mov_b32_e32 v3, 0
	v_lshlrev_b64 v[2:3], 3, v[2:3]
	v_mov_b32_e32 v4, s13
	v_add_co_u32_e32 v2, vcc, s12, v2
	v_addc_co_u32_e32 v3, vcc, v4, v3, vcc
	global_load_dwordx2 v[24:25], v[2:3], off
	v_add_u32_e32 v34, 0x100, v34
.LBB83_222:
	s_or_b64 exec, exec, s[4:5]
	v_cmp_gt_i32_e32 vcc, s33, v34
	s_and_saveexec_b64 s[4:5], vcc
	s_cbranch_execz .LBB83_224
; %bb.223:
	v_add_u32_e32 v2, s2, v34
	v_mov_b32_e32 v3, 0
	v_lshlrev_b64 v[2:3], 3, v[2:3]
	v_mov_b32_e32 v4, s13
	v_add_co_u32_e32 v2, vcc, s12, v2
	v_addc_co_u32_e32 v3, vcc, v4, v3, vcc
	global_load_dwordx2 v[22:23], v[2:3], off
	v_add_u32_e32 v34, 0x100, v34
.LBB83_224:
	s_or_b64 exec, exec, s[4:5]
	v_mov_b32_e32 v18, 0
	v_mov_b32_e32 v20, 0
	v_mov_b32_e32 v19, 0
	v_mov_b32_e32 v21, 0
	v_cmp_gt_i32_e32 vcc, s33, v34
	s_and_saveexec_b64 s[4:5], vcc
	s_cbranch_execz .LBB83_226
; %bb.225:
	v_add_u32_e32 v2, s2, v34
	v_mov_b32_e32 v3, 0
	v_lshlrev_b64 v[2:3], 3, v[2:3]
	v_mov_b32_e32 v4, s13
	v_add_co_u32_e32 v2, vcc, s12, v2
	v_addc_co_u32_e32 v3, vcc, v4, v3, vcc
	global_load_dwordx2 v[20:21], v[2:3], off
	v_add_u32_e32 v34, 0x100, v34
.LBB83_226:
	s_or_b64 exec, exec, s[4:5]
	v_cmp_gt_i32_e32 vcc, s33, v34
	s_and_saveexec_b64 s[4:5], vcc
	s_cbranch_execz .LBB83_228
; %bb.227:
	v_add_u32_e32 v2, s2, v34
	v_mov_b32_e32 v3, 0
	v_lshlrev_b64 v[2:3], 3, v[2:3]
	v_mov_b32_e32 v4, s13
	v_add_co_u32_e32 v2, vcc, s12, v2
	v_addc_co_u32_e32 v3, vcc, v4, v3, vcc
	global_load_dwordx2 v[18:19], v[2:3], off
	v_add_u32_e32 v34, 0x100, v34
.LBB83_228:
	s_or_b64 exec, exec, s[4:5]
	v_mov_b32_e32 v14, 0
	v_mov_b32_e32 v16, 0
	v_mov_b32_e32 v15, 0
	v_mov_b32_e32 v17, 0
	v_cmp_gt_i32_e32 vcc, s33, v34
	s_and_saveexec_b64 s[4:5], vcc
	s_cbranch_execz .LBB83_230
; %bb.229:
	v_add_u32_e32 v2, s2, v34
	v_mov_b32_e32 v3, 0
	v_lshlrev_b64 v[2:3], 3, v[2:3]
	v_mov_b32_e32 v4, s13
	v_add_co_u32_e32 v2, vcc, s12, v2
	v_addc_co_u32_e32 v3, vcc, v4, v3, vcc
	global_load_dwordx2 v[16:17], v[2:3], off
	v_add_u32_e32 v34, 0x100, v34
.LBB83_230:
	s_or_b64 exec, exec, s[4:5]
	v_cmp_gt_i32_e32 vcc, s33, v34
	s_and_saveexec_b64 s[4:5], vcc
	s_cbranch_execz .LBB83_232
; %bb.231:
	v_add_u32_e32 v2, s2, v34
	v_mov_b32_e32 v3, 0
	v_lshlrev_b64 v[2:3], 3, v[2:3]
	v_mov_b32_e32 v4, s13
	v_add_co_u32_e32 v2, vcc, s12, v2
	v_addc_co_u32_e32 v3, vcc, v4, v3, vcc
	global_load_dwordx2 v[14:15], v[2:3], off
	v_add_u32_e32 v34, 0x100, v34
.LBB83_232:
	s_or_b64 exec, exec, s[4:5]
	v_mov_b32_e32 v10, 0
	v_mov_b32_e32 v12, 0
	v_mov_b32_e32 v11, 0
	v_mov_b32_e32 v13, 0
	v_cmp_gt_i32_e32 vcc, s33, v34
	s_and_saveexec_b64 s[4:5], vcc
	s_cbranch_execz .LBB83_234
; %bb.233:
	v_add_u32_e32 v2, s2, v34
	v_mov_b32_e32 v3, 0
	v_lshlrev_b64 v[2:3], 3, v[2:3]
	v_mov_b32_e32 v4, s13
	v_add_co_u32_e32 v2, vcc, s12, v2
	v_addc_co_u32_e32 v3, vcc, v4, v3, vcc
	global_load_dwordx2 v[12:13], v[2:3], off
	v_add_u32_e32 v34, 0x100, v34
.LBB83_234:
	s_or_b64 exec, exec, s[4:5]
	v_cmp_gt_i32_e32 vcc, s33, v34
	s_and_saveexec_b64 s[4:5], vcc
	s_cbranch_execz .LBB83_236
; %bb.235:
	v_add_u32_e32 v2, s2, v34
	v_mov_b32_e32 v3, 0
	v_lshlrev_b64 v[2:3], 3, v[2:3]
	v_mov_b32_e32 v4, s13
	v_add_co_u32_e32 v2, vcc, s12, v2
	v_addc_co_u32_e32 v3, vcc, v4, v3, vcc
	global_load_dwordx2 v[10:11], v[2:3], off
	v_add_u32_e32 v34, 0x100, v34
.LBB83_236:
	s_or_b64 exec, exec, s[4:5]
	v_mov_b32_e32 v6, 0
	v_mov_b32_e32 v8, 0
	v_mov_b32_e32 v7, 0
	v_mov_b32_e32 v9, 0
	v_cmp_gt_i32_e32 vcc, s33, v34
	s_and_saveexec_b64 s[4:5], vcc
	s_cbranch_execz .LBB83_238
; %bb.237:
	v_add_u32_e32 v2, s2, v34
	v_mov_b32_e32 v3, 0
	v_lshlrev_b64 v[2:3], 3, v[2:3]
	v_mov_b32_e32 v4, s13
	v_add_co_u32_e32 v2, vcc, s12, v2
	v_addc_co_u32_e32 v3, vcc, v4, v3, vcc
	global_load_dwordx2 v[8:9], v[2:3], off
	v_add_u32_e32 v34, 0x100, v34
.LBB83_238:
	s_or_b64 exec, exec, s[4:5]
	v_cmp_gt_i32_e32 vcc, s33, v34
	s_and_saveexec_b64 s[4:5], vcc
	s_cbranch_execz .LBB83_240
; %bb.239:
	v_add_u32_e32 v2, s2, v34
	v_mov_b32_e32 v3, 0
	v_lshlrev_b64 v[2:3], 3, v[2:3]
	v_mov_b32_e32 v4, s13
	v_add_co_u32_e32 v2, vcc, s12, v2
	v_addc_co_u32_e32 v3, vcc, v4, v3, vcc
	global_load_dwordx2 v[6:7], v[2:3], off
	v_add_u32_e32 v34, 0x100, v34
.LBB83_240:
	s_or_b64 exec, exec, s[4:5]
	v_mov_b32_e32 v2, 0
	v_mov_b32_e32 v4, 0
	;; [unrolled: 1-line block ×4, first 2 shown]
	v_cmp_gt_i32_e32 vcc, s33, v34
	s_and_saveexec_b64 s[4:5], vcc
	s_cbranch_execnz .LBB83_244
; %bb.241:
	s_or_b64 exec, exec, s[4:5]
	v_cmp_gt_i32_e32 vcc, s33, v34
	s_and_saveexec_b64 s[4:5], vcc
	s_cbranch_execnz .LBB83_245
.LBB83_242:
	s_or_b64 exec, exec, s[4:5]
                                        ; implicit-def: $vgpr34
	s_and_saveexec_b64 s[4:5], s[0:1]
	s_cbranch_execnz .LBB83_246
	s_branch .LBB83_276
.LBB83_243:
	s_waitcnt vmcnt(0)
	v_cmp_gt_f64_e32 vcc, s[8:9], v[3:4]
	s_andn2_b64 s[40:41], s[40:41], exec
	s_and_b64 s[44:45], vcc, exec
	s_or_b64 s[40:41], s[40:41], s[44:45]
	s_cbranch_execz .LBB83_209
	s_branch .LBB83_210
.LBB83_244:
	v_add_u32_e32 v4, s2, v34
	v_mov_b32_e32 v5, 0
	v_lshlrev_b64 v[4:5], 3, v[4:5]
	v_mov_b32_e32 v35, s13
	v_add_co_u32_e32 v4, vcc, s12, v4
	v_addc_co_u32_e32 v5, vcc, v35, v5, vcc
	global_load_dwordx2 v[4:5], v[4:5], off
	v_add_u32_e32 v34, 0x100, v34
	s_or_b64 exec, exec, s[4:5]
	v_cmp_gt_i32_e32 vcc, s33, v34
	s_and_saveexec_b64 s[4:5], vcc
	s_cbranch_execz .LBB83_242
.LBB83_245:
	v_add_u32_e32 v2, s2, v34
	v_mov_b32_e32 v3, 0
	v_lshlrev_b64 v[2:3], 3, v[2:3]
	v_mov_b32_e32 v34, s13
	v_add_co_u32_e32 v2, vcc, s12, v2
	v_addc_co_u32_e32 v3, vcc, v34, v3, vcc
	global_load_dwordx2 v[2:3], v[2:3], off
	s_or_b64 exec, exec, s[4:5]
                                        ; implicit-def: $vgpr34
	s_and_saveexec_b64 s[4:5], s[0:1]
	s_cbranch_execz .LBB83_276
.LBB83_246:
	s_cmp_lt_i32 s48, 1
	s_mov_b64 s[6:7], 0
	s_cbranch_scc1 .LBB83_250
; %bb.247:
	s_cmp_gt_i32 s48, 1
	s_cbranch_scc0 .LBB83_266
; %bb.248:
	s_cmp_eq_u32 s48, 2
	s_cbranch_scc0 .LBB83_267
; %bb.249:
	s_waitcnt vmcnt(0)
	v_cmp_ge_f64_e64 s[12:13], s[8:9], v[32:33]
	s_mov_b64 s[14:15], 0
	s_branch .LBB83_268
.LBB83_250:
                                        ; implicit-def: $sgpr12_sgpr13
	s_mov_b64 s[14:15], 0
	s_cbranch_execnz .LBB83_271
	s_branch .LBB83_272
.LBB83_251:
	s_mov_b64 s[14:15], -1
                                        ; implicit-def: $sgpr4_sgpr5
	s_branch .LBB83_23
.LBB83_252:
	s_mov_b64 s[16:17], -1
                                        ; implicit-def: $sgpr6_sgpr7
	s_branch .LBB83_36
.LBB83_253:
	s_mov_b64 s[18:19], -1
                                        ; implicit-def: $sgpr14_sgpr15
	s_branch .LBB83_49
.LBB83_254:
	s_mov_b64 s[20:21], -1
                                        ; implicit-def: $sgpr16_sgpr17
	s_branch .LBB83_62
.LBB83_255:
	s_mov_b64 s[22:23], -1
                                        ; implicit-def: $sgpr18_sgpr19
	s_branch .LBB83_75
.LBB83_256:
	s_mov_b64 s[24:25], -1
                                        ; implicit-def: $sgpr20_sgpr21
	s_branch .LBB83_88
.LBB83_257:
	s_mov_b64 s[26:27], -1
                                        ; implicit-def: $sgpr22_sgpr23
	s_branch .LBB83_101
.LBB83_258:
	s_mov_b64 s[28:29], -1
                                        ; implicit-def: $sgpr24_sgpr25
	s_branch .LBB83_114
.LBB83_259:
	s_mov_b64 s[30:31], -1
                                        ; implicit-def: $sgpr26_sgpr27
	s_branch .LBB83_127
.LBB83_260:
	s_mov_b64 s[34:35], -1
                                        ; implicit-def: $sgpr28_sgpr29
	s_branch .LBB83_140
.LBB83_261:
	s_mov_b64 s[36:37], -1
                                        ; implicit-def: $sgpr30_sgpr31
	s_branch .LBB83_153
.LBB83_262:
	s_mov_b64 s[38:39], -1
                                        ; implicit-def: $sgpr34_sgpr35
	s_branch .LBB83_166
.LBB83_263:
	s_mov_b64 s[40:41], -1
                                        ; implicit-def: $sgpr36_sgpr37
	s_branch .LBB83_179
.LBB83_264:
	s_mov_b64 s[42:43], -1
                                        ; implicit-def: $sgpr38_sgpr39
	s_branch .LBB83_192
.LBB83_265:
	s_mov_b64 s[44:45], -1
                                        ; implicit-def: $sgpr40_sgpr41
	s_branch .LBB83_205
.LBB83_266:
	s_mov_b64 s[14:15], 0
                                        ; implicit-def: $sgpr12_sgpr13
	s_cbranch_execnz .LBB83_269
	s_branch .LBB83_270
.LBB83_267:
	s_mov_b64 s[14:15], -1
                                        ; implicit-def: $sgpr12_sgpr13
.LBB83_268:
	s_branch .LBB83_270
.LBB83_269:
	s_waitcnt vmcnt(0)
	v_cmp_lt_f64_e32 vcc, s[8:9], v[32:33]
	s_andn2_b64 s[12:13], s[12:13], exec
	s_and_b64 s[16:17], vcc, exec
	s_or_b64 s[12:13], s[12:13], s[16:17]
.LBB83_270:
	s_branch .LBB83_272
.LBB83_271:
	s_cmp_lg_u32 s48, 0
	s_mov_b64 s[6:7], -1
	s_cselect_b64 s[14:15], -1, 0
.LBB83_272:
	s_andn2_b64 vcc, exec, s[14:15]
	s_cbranch_vccz .LBB83_281
; %bb.273:
	s_andn2_b64 vcc, exec, s[6:7]
	s_cbranch_vccnz .LBB83_275
.LBB83_274:
	s_waitcnt vmcnt(0)
	v_cmp_le_f64_e32 vcc, s[8:9], v[32:33]
	s_andn2_b64 s[6:7], s[12:13], exec
	s_and_b64 s[12:13], vcc, exec
	s_or_b64 s[12:13], s[6:7], s[12:13]
.LBB83_275:
	v_cndmask_b32_e64 v34, 0, 1, s[12:13]
.LBB83_276:
	s_or_b64 exec, exec, s[4:5]
	s_waitcnt vmcnt(0)
	v_or_b32_e32 v32, 0x100, v0
	v_cmp_gt_i32_e32 vcc, s33, v32
                                        ; implicit-def: $vgpr33
	s_and_saveexec_b64 s[4:5], vcc
	s_cbranch_execz .LBB83_291
; %bb.277:
	s_cmp_lt_i32 s48, 1
	s_mov_b64 s[6:7], 0
	s_cbranch_scc1 .LBB83_282
; %bb.278:
	s_cmp_gt_i32 s48, 1
	s_cbranch_scc0 .LBB83_283
; %bb.279:
	s_cmp_eq_u32 s48, 2
	s_cbranch_scc0 .LBB83_535
; %bb.280:
	v_cmp_ge_f64_e64 s[12:13], s[8:9], v[30:31]
	s_mov_b64 s[14:15], 0
	s_branch .LBB83_285
.LBB83_281:
	s_waitcnt vmcnt(0)
	v_cmp_gt_f64_e32 vcc, s[8:9], v[32:33]
	s_andn2_b64 s[12:13], s[12:13], exec
	s_and_b64 s[14:15], vcc, exec
	s_or_b64 s[12:13], s[12:13], s[14:15]
	s_cbranch_execz .LBB83_274
	s_branch .LBB83_275
.LBB83_282:
                                        ; implicit-def: $sgpr12_sgpr13
	s_mov_b64 s[14:15], 0
	s_cbranch_execnz .LBB83_286
	s_branch .LBB83_287
.LBB83_283:
	s_mov_b64 s[14:15], 0
                                        ; implicit-def: $sgpr12_sgpr13
	s_cbranch_execz .LBB83_285
; %bb.284:
	v_cmp_lt_f64_e32 vcc, s[8:9], v[30:31]
	s_andn2_b64 s[12:13], s[12:13], exec
	s_and_b64 s[16:17], vcc, exec
	s_or_b64 s[12:13], s[12:13], s[16:17]
.LBB83_285:
	s_branch .LBB83_287
.LBB83_286:
	s_cmp_lg_u32 s48, 0
	s_mov_b64 s[6:7], -1
	s_cselect_b64 s[14:15], -1, 0
.LBB83_287:
	s_andn2_b64 vcc, exec, s[14:15]
	s_cbranch_vccz .LBB83_296
; %bb.288:
	s_andn2_b64 vcc, exec, s[6:7]
	s_cbranch_vccnz .LBB83_290
.LBB83_289:
	v_cmp_le_f64_e32 vcc, s[8:9], v[30:31]
	s_andn2_b64 s[6:7], s[12:13], exec
	s_and_b64 s[12:13], vcc, exec
	s_or_b64 s[12:13], s[6:7], s[12:13]
.LBB83_290:
	v_cndmask_b32_e64 v33, 0, 1, s[12:13]
.LBB83_291:
	s_or_b64 exec, exec, s[4:5]
	v_or_b32_e32 v30, 0x200, v0
	v_cmp_gt_i32_e32 vcc, s33, v30
                                        ; implicit-def: $vgpr30
	s_and_saveexec_b64 s[4:5], vcc
	s_cbranch_execz .LBB83_306
; %bb.292:
	s_cmp_lt_i32 s48, 1
	s_mov_b64 s[6:7], 0
	s_cbranch_scc1 .LBB83_297
; %bb.293:
	s_cmp_gt_i32 s48, 1
	s_cbranch_scc0 .LBB83_298
; %bb.294:
	s_cmp_eq_u32 s48, 2
	s_cbranch_scc0 .LBB83_536
; %bb.295:
	v_cmp_ge_f64_e64 s[12:13], s[8:9], v[28:29]
	s_mov_b64 s[14:15], 0
	s_branch .LBB83_300
.LBB83_296:
	v_cmp_gt_f64_e32 vcc, s[8:9], v[30:31]
	s_andn2_b64 s[12:13], s[12:13], exec
	s_and_b64 s[14:15], vcc, exec
	s_or_b64 s[12:13], s[12:13], s[14:15]
	s_cbranch_execz .LBB83_289
	s_branch .LBB83_290
.LBB83_297:
                                        ; implicit-def: $sgpr12_sgpr13
	s_mov_b64 s[14:15], 0
	s_cbranch_execnz .LBB83_301
	s_branch .LBB83_302
.LBB83_298:
	s_mov_b64 s[14:15], 0
                                        ; implicit-def: $sgpr12_sgpr13
	s_cbranch_execz .LBB83_300
; %bb.299:
	v_cmp_lt_f64_e32 vcc, s[8:9], v[28:29]
	s_andn2_b64 s[12:13], s[12:13], exec
	s_and_b64 s[16:17], vcc, exec
	s_or_b64 s[12:13], s[12:13], s[16:17]
.LBB83_300:
	s_branch .LBB83_302
.LBB83_301:
	s_cmp_lg_u32 s48, 0
	s_mov_b64 s[6:7], -1
	s_cselect_b64 s[14:15], -1, 0
.LBB83_302:
	s_andn2_b64 vcc, exec, s[14:15]
	s_cbranch_vccz .LBB83_311
; %bb.303:
	s_andn2_b64 vcc, exec, s[6:7]
	s_cbranch_vccnz .LBB83_305
.LBB83_304:
	v_cmp_le_f64_e32 vcc, s[8:9], v[28:29]
	s_andn2_b64 s[6:7], s[12:13], exec
	s_and_b64 s[12:13], vcc, exec
	s_or_b64 s[12:13], s[6:7], s[12:13]
.LBB83_305:
	v_cndmask_b32_e64 v30, 0, 1, s[12:13]
.LBB83_306:
	s_or_b64 exec, exec, s[4:5]
	v_or_b32_e32 v28, 0x300, v0
	v_cmp_gt_i32_e32 vcc, s33, v28
                                        ; implicit-def: $vgpr28
	s_and_saveexec_b64 s[4:5], vcc
	s_cbranch_execz .LBB83_321
; %bb.307:
	s_cmp_lt_i32 s48, 1
	s_mov_b64 s[6:7], 0
	s_cbranch_scc1 .LBB83_312
; %bb.308:
	s_cmp_gt_i32 s48, 1
	s_cbranch_scc0 .LBB83_313
; %bb.309:
	s_cmp_eq_u32 s48, 2
	s_cbranch_scc0 .LBB83_537
; %bb.310:
	v_cmp_ge_f64_e64 s[12:13], s[8:9], v[26:27]
	s_mov_b64 s[14:15], 0
	s_branch .LBB83_315
.LBB83_311:
	v_cmp_gt_f64_e32 vcc, s[8:9], v[28:29]
	s_andn2_b64 s[12:13], s[12:13], exec
	s_and_b64 s[14:15], vcc, exec
	s_or_b64 s[12:13], s[12:13], s[14:15]
	s_cbranch_execz .LBB83_304
	s_branch .LBB83_305
.LBB83_312:
                                        ; implicit-def: $sgpr12_sgpr13
	s_mov_b64 s[14:15], 0
	s_cbranch_execnz .LBB83_316
	s_branch .LBB83_317
.LBB83_313:
	s_mov_b64 s[14:15], 0
                                        ; implicit-def: $sgpr12_sgpr13
	s_cbranch_execz .LBB83_315
; %bb.314:
	v_cmp_lt_f64_e32 vcc, s[8:9], v[26:27]
	s_andn2_b64 s[12:13], s[12:13], exec
	s_and_b64 s[16:17], vcc, exec
	s_or_b64 s[12:13], s[12:13], s[16:17]
.LBB83_315:
	s_branch .LBB83_317
.LBB83_316:
	s_cmp_lg_u32 s48, 0
	s_mov_b64 s[6:7], -1
	s_cselect_b64 s[14:15], -1, 0
.LBB83_317:
	s_andn2_b64 vcc, exec, s[14:15]
	s_cbranch_vccz .LBB83_326
; %bb.318:
	s_andn2_b64 vcc, exec, s[6:7]
	s_cbranch_vccnz .LBB83_320
.LBB83_319:
	v_cmp_le_f64_e32 vcc, s[8:9], v[26:27]
	s_andn2_b64 s[6:7], s[12:13], exec
	s_and_b64 s[12:13], vcc, exec
	s_or_b64 s[12:13], s[6:7], s[12:13]
.LBB83_320:
	v_cndmask_b32_e64 v28, 0, 1, s[12:13]
.LBB83_321:
	s_or_b64 exec, exec, s[4:5]
	v_or_b32_e32 v26, 0x400, v0
	v_cmp_gt_i32_e32 vcc, s33, v26
                                        ; implicit-def: $vgpr26
	s_and_saveexec_b64 s[4:5], vcc
	s_cbranch_execz .LBB83_336
; %bb.322:
	s_cmp_lt_i32 s48, 1
	s_mov_b64 s[6:7], 0
	s_cbranch_scc1 .LBB83_327
; %bb.323:
	s_cmp_gt_i32 s48, 1
	s_cbranch_scc0 .LBB83_328
; %bb.324:
	s_cmp_eq_u32 s48, 2
	s_cbranch_scc0 .LBB83_538
; %bb.325:
	v_cmp_ge_f64_e64 s[12:13], s[8:9], v[24:25]
	s_mov_b64 s[14:15], 0
	s_branch .LBB83_330
.LBB83_326:
	v_cmp_gt_f64_e32 vcc, s[8:9], v[26:27]
	s_andn2_b64 s[12:13], s[12:13], exec
	s_and_b64 s[14:15], vcc, exec
	s_or_b64 s[12:13], s[12:13], s[14:15]
	s_cbranch_execz .LBB83_319
	s_branch .LBB83_320
.LBB83_327:
                                        ; implicit-def: $sgpr12_sgpr13
	s_mov_b64 s[14:15], 0
	s_cbranch_execnz .LBB83_331
	s_branch .LBB83_332
.LBB83_328:
	s_mov_b64 s[14:15], 0
                                        ; implicit-def: $sgpr12_sgpr13
	s_cbranch_execz .LBB83_330
; %bb.329:
	v_cmp_lt_f64_e32 vcc, s[8:9], v[24:25]
	s_andn2_b64 s[12:13], s[12:13], exec
	s_and_b64 s[16:17], vcc, exec
	s_or_b64 s[12:13], s[12:13], s[16:17]
.LBB83_330:
	s_branch .LBB83_332
.LBB83_331:
	s_cmp_lg_u32 s48, 0
	s_mov_b64 s[6:7], -1
	s_cselect_b64 s[14:15], -1, 0
.LBB83_332:
	s_andn2_b64 vcc, exec, s[14:15]
	s_cbranch_vccz .LBB83_341
; %bb.333:
	s_andn2_b64 vcc, exec, s[6:7]
	s_cbranch_vccnz .LBB83_335
.LBB83_334:
	v_cmp_le_f64_e32 vcc, s[8:9], v[24:25]
	s_andn2_b64 s[6:7], s[12:13], exec
	s_and_b64 s[12:13], vcc, exec
	s_or_b64 s[12:13], s[6:7], s[12:13]
.LBB83_335:
	v_cndmask_b32_e64 v26, 0, 1, s[12:13]
.LBB83_336:
	s_or_b64 exec, exec, s[4:5]
	v_or_b32_e32 v24, 0x500, v0
	v_cmp_gt_i32_e32 vcc, s33, v24
                                        ; implicit-def: $vgpr24
	s_and_saveexec_b64 s[4:5], vcc
	s_cbranch_execz .LBB83_351
; %bb.337:
	s_cmp_lt_i32 s48, 1
	s_mov_b64 s[6:7], 0
	s_cbranch_scc1 .LBB83_342
; %bb.338:
	s_cmp_gt_i32 s48, 1
	s_cbranch_scc0 .LBB83_343
; %bb.339:
	s_cmp_eq_u32 s48, 2
	s_cbranch_scc0 .LBB83_539
; %bb.340:
	v_cmp_ge_f64_e64 s[12:13], s[8:9], v[22:23]
	s_mov_b64 s[14:15], 0
	s_branch .LBB83_345
.LBB83_341:
	v_cmp_gt_f64_e32 vcc, s[8:9], v[24:25]
	s_andn2_b64 s[12:13], s[12:13], exec
	s_and_b64 s[14:15], vcc, exec
	s_or_b64 s[12:13], s[12:13], s[14:15]
	s_cbranch_execz .LBB83_334
	s_branch .LBB83_335
.LBB83_342:
                                        ; implicit-def: $sgpr12_sgpr13
	s_mov_b64 s[14:15], 0
	s_cbranch_execnz .LBB83_346
	s_branch .LBB83_347
.LBB83_343:
	s_mov_b64 s[14:15], 0
                                        ; implicit-def: $sgpr12_sgpr13
	s_cbranch_execz .LBB83_345
; %bb.344:
	v_cmp_lt_f64_e32 vcc, s[8:9], v[22:23]
	s_andn2_b64 s[12:13], s[12:13], exec
	s_and_b64 s[16:17], vcc, exec
	s_or_b64 s[12:13], s[12:13], s[16:17]
.LBB83_345:
	s_branch .LBB83_347
.LBB83_346:
	s_cmp_lg_u32 s48, 0
	s_mov_b64 s[6:7], -1
	s_cselect_b64 s[14:15], -1, 0
.LBB83_347:
	s_andn2_b64 vcc, exec, s[14:15]
	s_cbranch_vccz .LBB83_356
; %bb.348:
	s_andn2_b64 vcc, exec, s[6:7]
	s_cbranch_vccnz .LBB83_350
.LBB83_349:
	v_cmp_le_f64_e32 vcc, s[8:9], v[22:23]
	s_andn2_b64 s[6:7], s[12:13], exec
	s_and_b64 s[12:13], vcc, exec
	s_or_b64 s[12:13], s[6:7], s[12:13]
.LBB83_350:
	v_cndmask_b32_e64 v24, 0, 1, s[12:13]
.LBB83_351:
	s_or_b64 exec, exec, s[4:5]
	v_or_b32_e32 v22, 0x600, v0
	v_cmp_gt_i32_e32 vcc, s33, v22
                                        ; implicit-def: $vgpr22
	s_and_saveexec_b64 s[4:5], vcc
	s_cbranch_execz .LBB83_366
; %bb.352:
	s_cmp_lt_i32 s48, 1
	s_mov_b64 s[6:7], 0
	s_cbranch_scc1 .LBB83_357
; %bb.353:
	s_cmp_gt_i32 s48, 1
	s_cbranch_scc0 .LBB83_358
; %bb.354:
	s_cmp_eq_u32 s48, 2
	s_cbranch_scc0 .LBB83_540
; %bb.355:
	v_cmp_ge_f64_e64 s[12:13], s[8:9], v[20:21]
	s_mov_b64 s[14:15], 0
	s_branch .LBB83_360
.LBB83_356:
	v_cmp_gt_f64_e32 vcc, s[8:9], v[22:23]
	s_andn2_b64 s[12:13], s[12:13], exec
	s_and_b64 s[14:15], vcc, exec
	s_or_b64 s[12:13], s[12:13], s[14:15]
	s_cbranch_execz .LBB83_349
	s_branch .LBB83_350
.LBB83_357:
                                        ; implicit-def: $sgpr12_sgpr13
	s_mov_b64 s[14:15], 0
	s_cbranch_execnz .LBB83_361
	s_branch .LBB83_362
.LBB83_358:
	s_mov_b64 s[14:15], 0
                                        ; implicit-def: $sgpr12_sgpr13
	s_cbranch_execz .LBB83_360
; %bb.359:
	v_cmp_lt_f64_e32 vcc, s[8:9], v[20:21]
	s_andn2_b64 s[12:13], s[12:13], exec
	s_and_b64 s[16:17], vcc, exec
	s_or_b64 s[12:13], s[12:13], s[16:17]
.LBB83_360:
	s_branch .LBB83_362
.LBB83_361:
	s_cmp_lg_u32 s48, 0
	s_mov_b64 s[6:7], -1
	s_cselect_b64 s[14:15], -1, 0
.LBB83_362:
	s_andn2_b64 vcc, exec, s[14:15]
	s_cbranch_vccz .LBB83_371
; %bb.363:
	s_andn2_b64 vcc, exec, s[6:7]
	s_cbranch_vccnz .LBB83_365
.LBB83_364:
	v_cmp_le_f64_e32 vcc, s[8:9], v[20:21]
	s_andn2_b64 s[6:7], s[12:13], exec
	s_and_b64 s[12:13], vcc, exec
	s_or_b64 s[12:13], s[6:7], s[12:13]
.LBB83_365:
	v_cndmask_b32_e64 v22, 0, 1, s[12:13]
.LBB83_366:
	s_or_b64 exec, exec, s[4:5]
	v_or_b32_e32 v20, 0x700, v0
	v_cmp_gt_i32_e32 vcc, s33, v20
                                        ; implicit-def: $vgpr20
	s_and_saveexec_b64 s[4:5], vcc
	s_cbranch_execz .LBB83_381
; %bb.367:
	s_cmp_lt_i32 s48, 1
	s_mov_b64 s[6:7], 0
	s_cbranch_scc1 .LBB83_372
; %bb.368:
	s_cmp_gt_i32 s48, 1
	s_cbranch_scc0 .LBB83_373
; %bb.369:
	s_cmp_eq_u32 s48, 2
	s_cbranch_scc0 .LBB83_541
; %bb.370:
	v_cmp_ge_f64_e64 s[12:13], s[8:9], v[18:19]
	s_mov_b64 s[14:15], 0
	s_branch .LBB83_375
.LBB83_371:
	v_cmp_gt_f64_e32 vcc, s[8:9], v[20:21]
	s_andn2_b64 s[12:13], s[12:13], exec
	s_and_b64 s[14:15], vcc, exec
	s_or_b64 s[12:13], s[12:13], s[14:15]
	s_cbranch_execz .LBB83_364
	s_branch .LBB83_365
.LBB83_372:
                                        ; implicit-def: $sgpr12_sgpr13
	s_mov_b64 s[14:15], 0
	s_cbranch_execnz .LBB83_376
	s_branch .LBB83_377
.LBB83_373:
	s_mov_b64 s[14:15], 0
                                        ; implicit-def: $sgpr12_sgpr13
	s_cbranch_execz .LBB83_375
; %bb.374:
	v_cmp_lt_f64_e32 vcc, s[8:9], v[18:19]
	s_andn2_b64 s[12:13], s[12:13], exec
	s_and_b64 s[16:17], vcc, exec
	s_or_b64 s[12:13], s[12:13], s[16:17]
.LBB83_375:
	s_branch .LBB83_377
.LBB83_376:
	s_cmp_lg_u32 s48, 0
	s_mov_b64 s[6:7], -1
	s_cselect_b64 s[14:15], -1, 0
.LBB83_377:
	s_andn2_b64 vcc, exec, s[14:15]
	s_cbranch_vccz .LBB83_386
; %bb.378:
	s_andn2_b64 vcc, exec, s[6:7]
	s_cbranch_vccnz .LBB83_380
.LBB83_379:
	v_cmp_le_f64_e32 vcc, s[8:9], v[18:19]
	s_andn2_b64 s[6:7], s[12:13], exec
	s_and_b64 s[12:13], vcc, exec
	s_or_b64 s[12:13], s[6:7], s[12:13]
.LBB83_380:
	v_cndmask_b32_e64 v20, 0, 1, s[12:13]
.LBB83_381:
	s_or_b64 exec, exec, s[4:5]
	v_or_b32_e32 v18, 0x800, v0
	v_cmp_gt_i32_e32 vcc, s33, v18
                                        ; implicit-def: $vgpr18
	s_and_saveexec_b64 s[4:5], vcc
	s_cbranch_execz .LBB83_396
; %bb.382:
	s_cmp_lt_i32 s48, 1
	s_mov_b64 s[6:7], 0
	s_cbranch_scc1 .LBB83_387
; %bb.383:
	s_cmp_gt_i32 s48, 1
	s_cbranch_scc0 .LBB83_388
; %bb.384:
	s_cmp_eq_u32 s48, 2
	s_cbranch_scc0 .LBB83_542
; %bb.385:
	v_cmp_ge_f64_e64 s[12:13], s[8:9], v[16:17]
	s_mov_b64 s[14:15], 0
	s_branch .LBB83_390
.LBB83_386:
	v_cmp_gt_f64_e32 vcc, s[8:9], v[18:19]
	s_andn2_b64 s[12:13], s[12:13], exec
	s_and_b64 s[14:15], vcc, exec
	s_or_b64 s[12:13], s[12:13], s[14:15]
	s_cbranch_execz .LBB83_379
	s_branch .LBB83_380
.LBB83_387:
                                        ; implicit-def: $sgpr12_sgpr13
	s_mov_b64 s[14:15], 0
	s_cbranch_execnz .LBB83_391
	s_branch .LBB83_392
.LBB83_388:
	s_mov_b64 s[14:15], 0
                                        ; implicit-def: $sgpr12_sgpr13
	s_cbranch_execz .LBB83_390
; %bb.389:
	v_cmp_lt_f64_e32 vcc, s[8:9], v[16:17]
	s_andn2_b64 s[12:13], s[12:13], exec
	s_and_b64 s[16:17], vcc, exec
	s_or_b64 s[12:13], s[12:13], s[16:17]
.LBB83_390:
	s_branch .LBB83_392
.LBB83_391:
	s_cmp_lg_u32 s48, 0
	s_mov_b64 s[6:7], -1
	s_cselect_b64 s[14:15], -1, 0
.LBB83_392:
	s_andn2_b64 vcc, exec, s[14:15]
	s_cbranch_vccz .LBB83_401
; %bb.393:
	s_andn2_b64 vcc, exec, s[6:7]
	s_cbranch_vccnz .LBB83_395
.LBB83_394:
	v_cmp_le_f64_e32 vcc, s[8:9], v[16:17]
	s_andn2_b64 s[6:7], s[12:13], exec
	s_and_b64 s[12:13], vcc, exec
	s_or_b64 s[12:13], s[6:7], s[12:13]
.LBB83_395:
	v_cndmask_b32_e64 v18, 0, 1, s[12:13]
.LBB83_396:
	s_or_b64 exec, exec, s[4:5]
	v_or_b32_e32 v16, 0x900, v0
	v_cmp_gt_i32_e32 vcc, s33, v16
                                        ; implicit-def: $vgpr16
	s_and_saveexec_b64 s[4:5], vcc
	s_cbranch_execz .LBB83_411
; %bb.397:
	s_cmp_lt_i32 s48, 1
	s_mov_b64 s[6:7], 0
	s_cbranch_scc1 .LBB83_402
; %bb.398:
	s_cmp_gt_i32 s48, 1
	s_cbranch_scc0 .LBB83_403
; %bb.399:
	s_cmp_eq_u32 s48, 2
	s_cbranch_scc0 .LBB83_543
; %bb.400:
	v_cmp_ge_f64_e64 s[12:13], s[8:9], v[14:15]
	s_mov_b64 s[14:15], 0
	s_branch .LBB83_405
.LBB83_401:
	v_cmp_gt_f64_e32 vcc, s[8:9], v[16:17]
	s_andn2_b64 s[12:13], s[12:13], exec
	s_and_b64 s[14:15], vcc, exec
	s_or_b64 s[12:13], s[12:13], s[14:15]
	s_cbranch_execz .LBB83_394
	s_branch .LBB83_395
.LBB83_402:
                                        ; implicit-def: $sgpr12_sgpr13
	s_mov_b64 s[14:15], 0
	s_cbranch_execnz .LBB83_406
	s_branch .LBB83_407
.LBB83_403:
	s_mov_b64 s[14:15], 0
                                        ; implicit-def: $sgpr12_sgpr13
	s_cbranch_execz .LBB83_405
; %bb.404:
	v_cmp_lt_f64_e32 vcc, s[8:9], v[14:15]
	s_andn2_b64 s[12:13], s[12:13], exec
	s_and_b64 s[16:17], vcc, exec
	s_or_b64 s[12:13], s[12:13], s[16:17]
.LBB83_405:
	s_branch .LBB83_407
.LBB83_406:
	s_cmp_lg_u32 s48, 0
	s_mov_b64 s[6:7], -1
	s_cselect_b64 s[14:15], -1, 0
.LBB83_407:
	s_andn2_b64 vcc, exec, s[14:15]
	s_cbranch_vccz .LBB83_416
; %bb.408:
	s_andn2_b64 vcc, exec, s[6:7]
	s_cbranch_vccnz .LBB83_410
.LBB83_409:
	v_cmp_le_f64_e32 vcc, s[8:9], v[14:15]
	s_andn2_b64 s[6:7], s[12:13], exec
	s_and_b64 s[12:13], vcc, exec
	s_or_b64 s[12:13], s[6:7], s[12:13]
.LBB83_410:
	v_cndmask_b32_e64 v16, 0, 1, s[12:13]
.LBB83_411:
	s_or_b64 exec, exec, s[4:5]
	v_or_b32_e32 v14, 0xa00, v0
	v_cmp_gt_i32_e32 vcc, s33, v14
                                        ; implicit-def: $vgpr14
	s_and_saveexec_b64 s[4:5], vcc
	s_cbranch_execz .LBB83_426
; %bb.412:
	s_cmp_lt_i32 s48, 1
	s_mov_b64 s[6:7], 0
	s_cbranch_scc1 .LBB83_417
; %bb.413:
	s_cmp_gt_i32 s48, 1
	s_cbranch_scc0 .LBB83_418
; %bb.414:
	s_cmp_eq_u32 s48, 2
	s_cbranch_scc0 .LBB83_544
; %bb.415:
	v_cmp_ge_f64_e64 s[12:13], s[8:9], v[12:13]
	s_mov_b64 s[14:15], 0
	s_branch .LBB83_420
.LBB83_416:
	v_cmp_gt_f64_e32 vcc, s[8:9], v[14:15]
	s_andn2_b64 s[12:13], s[12:13], exec
	s_and_b64 s[14:15], vcc, exec
	s_or_b64 s[12:13], s[12:13], s[14:15]
	s_cbranch_execz .LBB83_409
	s_branch .LBB83_410
.LBB83_417:
                                        ; implicit-def: $sgpr12_sgpr13
	s_mov_b64 s[14:15], 0
	s_cbranch_execnz .LBB83_421
	s_branch .LBB83_422
.LBB83_418:
	s_mov_b64 s[14:15], 0
                                        ; implicit-def: $sgpr12_sgpr13
	s_cbranch_execz .LBB83_420
; %bb.419:
	v_cmp_lt_f64_e32 vcc, s[8:9], v[12:13]
	s_andn2_b64 s[12:13], s[12:13], exec
	s_and_b64 s[16:17], vcc, exec
	s_or_b64 s[12:13], s[12:13], s[16:17]
.LBB83_420:
	s_branch .LBB83_422
.LBB83_421:
	s_cmp_lg_u32 s48, 0
	s_mov_b64 s[6:7], -1
	s_cselect_b64 s[14:15], -1, 0
.LBB83_422:
	s_andn2_b64 vcc, exec, s[14:15]
	s_cbranch_vccz .LBB83_431
; %bb.423:
	s_andn2_b64 vcc, exec, s[6:7]
	s_cbranch_vccnz .LBB83_425
.LBB83_424:
	v_cmp_le_f64_e32 vcc, s[8:9], v[12:13]
	s_andn2_b64 s[6:7], s[12:13], exec
	s_and_b64 s[12:13], vcc, exec
	s_or_b64 s[12:13], s[6:7], s[12:13]
.LBB83_425:
	v_cndmask_b32_e64 v14, 0, 1, s[12:13]
.LBB83_426:
	s_or_b64 exec, exec, s[4:5]
	v_or_b32_e32 v12, 0xb00, v0
	v_cmp_gt_i32_e32 vcc, s33, v12
                                        ; implicit-def: $vgpr12
	s_and_saveexec_b64 s[4:5], vcc
	s_cbranch_execz .LBB83_441
; %bb.427:
	s_cmp_lt_i32 s48, 1
	s_mov_b64 s[6:7], 0
	s_cbranch_scc1 .LBB83_432
; %bb.428:
	s_cmp_gt_i32 s48, 1
	s_cbranch_scc0 .LBB83_433
; %bb.429:
	s_cmp_eq_u32 s48, 2
	s_cbranch_scc0 .LBB83_545
; %bb.430:
	v_cmp_ge_f64_e64 s[12:13], s[8:9], v[10:11]
	s_mov_b64 s[14:15], 0
	s_branch .LBB83_435
.LBB83_431:
	v_cmp_gt_f64_e32 vcc, s[8:9], v[12:13]
	s_andn2_b64 s[12:13], s[12:13], exec
	s_and_b64 s[14:15], vcc, exec
	s_or_b64 s[12:13], s[12:13], s[14:15]
	s_cbranch_execz .LBB83_424
	s_branch .LBB83_425
.LBB83_432:
                                        ; implicit-def: $sgpr12_sgpr13
	s_mov_b64 s[14:15], 0
	s_cbranch_execnz .LBB83_436
	s_branch .LBB83_437
.LBB83_433:
	s_mov_b64 s[14:15], 0
                                        ; implicit-def: $sgpr12_sgpr13
	s_cbranch_execz .LBB83_435
; %bb.434:
	v_cmp_lt_f64_e32 vcc, s[8:9], v[10:11]
	s_andn2_b64 s[12:13], s[12:13], exec
	s_and_b64 s[16:17], vcc, exec
	s_or_b64 s[12:13], s[12:13], s[16:17]
.LBB83_435:
	s_branch .LBB83_437
.LBB83_436:
	s_cmp_lg_u32 s48, 0
	s_mov_b64 s[6:7], -1
	s_cselect_b64 s[14:15], -1, 0
.LBB83_437:
	s_andn2_b64 vcc, exec, s[14:15]
	s_cbranch_vccz .LBB83_446
; %bb.438:
	s_andn2_b64 vcc, exec, s[6:7]
	s_cbranch_vccnz .LBB83_440
.LBB83_439:
	v_cmp_le_f64_e32 vcc, s[8:9], v[10:11]
	s_andn2_b64 s[6:7], s[12:13], exec
	s_and_b64 s[12:13], vcc, exec
	s_or_b64 s[12:13], s[6:7], s[12:13]
.LBB83_440:
	v_cndmask_b32_e64 v12, 0, 1, s[12:13]
.LBB83_441:
	s_or_b64 exec, exec, s[4:5]
	v_or_b32_e32 v10, 0xc00, v0
	v_cmp_gt_i32_e32 vcc, s33, v10
                                        ; implicit-def: $vgpr10
	s_and_saveexec_b64 s[4:5], vcc
	s_cbranch_execz .LBB83_456
; %bb.442:
	s_cmp_lt_i32 s48, 1
	s_mov_b64 s[6:7], 0
	s_cbranch_scc1 .LBB83_447
; %bb.443:
	s_cmp_gt_i32 s48, 1
	s_cbranch_scc0 .LBB83_448
; %bb.444:
	s_cmp_eq_u32 s48, 2
	s_cbranch_scc0 .LBB83_546
; %bb.445:
	v_cmp_ge_f64_e64 s[12:13], s[8:9], v[8:9]
	s_mov_b64 s[14:15], 0
	s_branch .LBB83_450
.LBB83_446:
	v_cmp_gt_f64_e32 vcc, s[8:9], v[10:11]
	s_andn2_b64 s[12:13], s[12:13], exec
	s_and_b64 s[14:15], vcc, exec
	s_or_b64 s[12:13], s[12:13], s[14:15]
	s_cbranch_execz .LBB83_439
	s_branch .LBB83_440
.LBB83_447:
                                        ; implicit-def: $sgpr12_sgpr13
	s_mov_b64 s[14:15], 0
	s_cbranch_execnz .LBB83_451
	s_branch .LBB83_452
.LBB83_448:
	s_mov_b64 s[14:15], 0
                                        ; implicit-def: $sgpr12_sgpr13
	s_cbranch_execz .LBB83_450
; %bb.449:
	v_cmp_lt_f64_e32 vcc, s[8:9], v[8:9]
	s_andn2_b64 s[12:13], s[12:13], exec
	s_and_b64 s[16:17], vcc, exec
	s_or_b64 s[12:13], s[12:13], s[16:17]
.LBB83_450:
	s_branch .LBB83_452
.LBB83_451:
	s_cmp_lg_u32 s48, 0
	s_mov_b64 s[6:7], -1
	s_cselect_b64 s[14:15], -1, 0
.LBB83_452:
	s_andn2_b64 vcc, exec, s[14:15]
	s_cbranch_vccz .LBB83_461
; %bb.453:
	s_andn2_b64 vcc, exec, s[6:7]
	s_cbranch_vccnz .LBB83_455
.LBB83_454:
	v_cmp_le_f64_e32 vcc, s[8:9], v[8:9]
	s_andn2_b64 s[6:7], s[12:13], exec
	s_and_b64 s[12:13], vcc, exec
	s_or_b64 s[12:13], s[6:7], s[12:13]
.LBB83_455:
	v_cndmask_b32_e64 v10, 0, 1, s[12:13]
.LBB83_456:
	s_or_b64 exec, exec, s[4:5]
	v_or_b32_e32 v8, 0xd00, v0
	v_cmp_gt_i32_e32 vcc, s33, v8
                                        ; implicit-def: $vgpr8
	s_and_saveexec_b64 s[4:5], vcc
	s_cbranch_execz .LBB83_471
; %bb.457:
	s_cmp_lt_i32 s48, 1
	s_mov_b64 s[6:7], 0
	s_cbranch_scc1 .LBB83_462
; %bb.458:
	s_cmp_gt_i32 s48, 1
	s_cbranch_scc0 .LBB83_463
; %bb.459:
	s_cmp_eq_u32 s48, 2
	s_cbranch_scc0 .LBB83_547
; %bb.460:
	v_cmp_ge_f64_e64 s[12:13], s[8:9], v[6:7]
	s_mov_b64 s[14:15], 0
	s_branch .LBB83_465
.LBB83_461:
	v_cmp_gt_f64_e32 vcc, s[8:9], v[8:9]
	s_andn2_b64 s[12:13], s[12:13], exec
	s_and_b64 s[14:15], vcc, exec
	s_or_b64 s[12:13], s[12:13], s[14:15]
	s_cbranch_execz .LBB83_454
	s_branch .LBB83_455
.LBB83_462:
                                        ; implicit-def: $sgpr12_sgpr13
	s_mov_b64 s[14:15], 0
	s_cbranch_execnz .LBB83_466
	s_branch .LBB83_467
.LBB83_463:
	s_mov_b64 s[14:15], 0
                                        ; implicit-def: $sgpr12_sgpr13
	s_cbranch_execz .LBB83_465
; %bb.464:
	v_cmp_lt_f64_e32 vcc, s[8:9], v[6:7]
	s_andn2_b64 s[12:13], s[12:13], exec
	s_and_b64 s[16:17], vcc, exec
	s_or_b64 s[12:13], s[12:13], s[16:17]
.LBB83_465:
	s_branch .LBB83_467
.LBB83_466:
	s_cmp_lg_u32 s48, 0
	s_mov_b64 s[6:7], -1
	s_cselect_b64 s[14:15], -1, 0
.LBB83_467:
	s_andn2_b64 vcc, exec, s[14:15]
	s_cbranch_vccz .LBB83_476
; %bb.468:
	s_andn2_b64 vcc, exec, s[6:7]
	s_cbranch_vccnz .LBB83_470
.LBB83_469:
	v_cmp_le_f64_e32 vcc, s[8:9], v[6:7]
	s_andn2_b64 s[6:7], s[12:13], exec
	s_and_b64 s[12:13], vcc, exec
	s_or_b64 s[12:13], s[6:7], s[12:13]
.LBB83_470:
	v_cndmask_b32_e64 v8, 0, 1, s[12:13]
.LBB83_471:
	s_or_b64 exec, exec, s[4:5]
	v_or_b32_e32 v6, 0xe00, v0
	v_cmp_gt_i32_e32 vcc, s33, v6
                                        ; implicit-def: $vgpr6
	s_and_saveexec_b64 s[4:5], vcc
	s_cbranch_execz .LBB83_486
; %bb.472:
	s_cmp_lt_i32 s48, 1
	s_mov_b64 s[6:7], 0
	s_cbranch_scc1 .LBB83_477
; %bb.473:
	s_cmp_gt_i32 s48, 1
	s_cbranch_scc0 .LBB83_478
; %bb.474:
	s_cmp_eq_u32 s48, 2
	s_cbranch_scc0 .LBB83_548
; %bb.475:
	v_cmp_ge_f64_e64 s[12:13], s[8:9], v[4:5]
	s_mov_b64 s[14:15], 0
	s_branch .LBB83_480
.LBB83_476:
	v_cmp_gt_f64_e32 vcc, s[8:9], v[6:7]
	s_andn2_b64 s[12:13], s[12:13], exec
	s_and_b64 s[14:15], vcc, exec
	s_or_b64 s[12:13], s[12:13], s[14:15]
	s_cbranch_execz .LBB83_469
	s_branch .LBB83_470
.LBB83_477:
                                        ; implicit-def: $sgpr12_sgpr13
	s_mov_b64 s[14:15], 0
	s_cbranch_execnz .LBB83_481
	s_branch .LBB83_482
.LBB83_478:
	s_mov_b64 s[14:15], 0
                                        ; implicit-def: $sgpr12_sgpr13
	s_cbranch_execz .LBB83_480
; %bb.479:
	v_cmp_lt_f64_e32 vcc, s[8:9], v[4:5]
	s_andn2_b64 s[12:13], s[12:13], exec
	s_and_b64 s[16:17], vcc, exec
	s_or_b64 s[12:13], s[12:13], s[16:17]
.LBB83_480:
	s_branch .LBB83_482
.LBB83_481:
	s_cmp_lg_u32 s48, 0
	s_mov_b64 s[6:7], -1
	s_cselect_b64 s[14:15], -1, 0
.LBB83_482:
	s_andn2_b64 vcc, exec, s[14:15]
	s_cbranch_vccz .LBB83_491
; %bb.483:
	s_andn2_b64 vcc, exec, s[6:7]
	s_cbranch_vccnz .LBB83_485
.LBB83_484:
	v_cmp_le_f64_e32 vcc, s[8:9], v[4:5]
	s_andn2_b64 s[6:7], s[12:13], exec
	s_and_b64 s[12:13], vcc, exec
	s_or_b64 s[12:13], s[6:7], s[12:13]
.LBB83_485:
	v_cndmask_b32_e64 v6, 0, 1, s[12:13]
.LBB83_486:
	s_or_b64 exec, exec, s[4:5]
	v_or_b32_e32 v4, 0xf00, v0
	v_cmp_gt_i32_e32 vcc, s33, v4
                                        ; implicit-def: $vgpr4
	s_and_saveexec_b64 s[4:5], vcc
	s_cbranch_execz .LBB83_501
; %bb.487:
	s_cmp_lt_i32 s48, 1
	s_mov_b64 s[6:7], 0
	s_cbranch_scc1 .LBB83_492
; %bb.488:
	s_cmp_gt_i32 s48, 1
	s_cbranch_scc0 .LBB83_493
; %bb.489:
	s_cmp_eq_u32 s48, 2
	s_cbranch_scc0 .LBB83_549
; %bb.490:
	v_cmp_ge_f64_e64 s[12:13], s[8:9], v[2:3]
	s_mov_b64 s[14:15], 0
	s_branch .LBB83_495
.LBB83_491:
	v_cmp_gt_f64_e32 vcc, s[8:9], v[4:5]
	s_andn2_b64 s[12:13], s[12:13], exec
	s_and_b64 s[14:15], vcc, exec
	s_or_b64 s[12:13], s[12:13], s[14:15]
	s_cbranch_execz .LBB83_484
	s_branch .LBB83_485
.LBB83_492:
                                        ; implicit-def: $sgpr12_sgpr13
	s_mov_b64 s[14:15], 0
	s_cbranch_execnz .LBB83_496
	s_branch .LBB83_497
.LBB83_493:
	s_mov_b64 s[14:15], 0
                                        ; implicit-def: $sgpr12_sgpr13
	s_cbranch_execz .LBB83_495
; %bb.494:
	v_cmp_lt_f64_e32 vcc, s[8:9], v[2:3]
	s_andn2_b64 s[12:13], s[12:13], exec
	s_and_b64 s[16:17], vcc, exec
	s_or_b64 s[12:13], s[12:13], s[16:17]
.LBB83_495:
	s_branch .LBB83_497
.LBB83_496:
	s_cmp_lg_u32 s48, 0
	s_mov_b64 s[6:7], -1
	s_cselect_b64 s[14:15], -1, 0
.LBB83_497:
	s_andn2_b64 vcc, exec, s[14:15]
	s_cbranch_vccz .LBB83_534
; %bb.498:
	s_andn2_b64 vcc, exec, s[6:7]
	s_cbranch_vccnz .LBB83_500
.LBB83_499:
	v_cmp_le_f64_e32 vcc, s[8:9], v[2:3]
	s_andn2_b64 s[6:7], s[12:13], exec
	s_and_b64 s[8:9], vcc, exec
	s_or_b64 s[12:13], s[6:7], s[8:9]
.LBB83_500:
	v_cndmask_b32_e64 v4, 0, 1, s[12:13]
.LBB83_501:
	s_or_b64 exec, exec, s[4:5]
	s_and_saveexec_b64 s[4:5], s[0:1]
	s_xor_b64 s[0:1], exec, s[4:5]
	s_cbranch_execz .LBB83_503
; %bb.502:
	v_mov_b32_e32 v0, v32
	global_store_byte v1, v34, s[10:11]
.LBB83_503:
	s_or_b64 exec, exec, s[0:1]
	v_cmp_gt_i32_e32 vcc, s33, v0
	s_and_saveexec_b64 s[0:1], vcc
	s_cbranch_execnz .LBB83_520
; %bb.504:
	s_or_b64 exec, exec, s[0:1]
	v_cmp_gt_i32_e32 vcc, s33, v0
	s_and_saveexec_b64 s[0:1], vcc
	s_cbranch_execnz .LBB83_521
.LBB83_505:
	s_or_b64 exec, exec, s[0:1]
	v_cmp_gt_i32_e32 vcc, s33, v0
	s_and_saveexec_b64 s[0:1], vcc
	s_cbranch_execnz .LBB83_522
.LBB83_506:
	s_or_b64 exec, exec, s[0:1]
	v_cmp_gt_i32_e32 vcc, s33, v0
	s_and_saveexec_b64 s[0:1], vcc
	s_cbranch_execnz .LBB83_523
.LBB83_507:
	s_or_b64 exec, exec, s[0:1]
	v_cmp_gt_i32_e32 vcc, s33, v0
	s_and_saveexec_b64 s[0:1], vcc
	s_cbranch_execnz .LBB83_524
.LBB83_508:
	s_or_b64 exec, exec, s[0:1]
	v_cmp_gt_i32_e32 vcc, s33, v0
	s_and_saveexec_b64 s[0:1], vcc
	s_cbranch_execnz .LBB83_525
.LBB83_509:
	s_or_b64 exec, exec, s[0:1]
	v_cmp_gt_i32_e32 vcc, s33, v0
	s_and_saveexec_b64 s[0:1], vcc
	s_cbranch_execnz .LBB83_526
.LBB83_510:
	s_or_b64 exec, exec, s[0:1]
	v_cmp_gt_i32_e32 vcc, s33, v0
	s_and_saveexec_b64 s[0:1], vcc
	s_cbranch_execnz .LBB83_527
.LBB83_511:
	s_or_b64 exec, exec, s[0:1]
	v_cmp_gt_i32_e32 vcc, s33, v0
	s_and_saveexec_b64 s[0:1], vcc
	s_cbranch_execnz .LBB83_528
.LBB83_512:
	s_or_b64 exec, exec, s[0:1]
	v_cmp_gt_i32_e32 vcc, s33, v0
	s_and_saveexec_b64 s[0:1], vcc
	s_cbranch_execnz .LBB83_529
.LBB83_513:
	s_or_b64 exec, exec, s[0:1]
	v_cmp_gt_i32_e32 vcc, s33, v0
	s_and_saveexec_b64 s[0:1], vcc
	s_cbranch_execnz .LBB83_530
.LBB83_514:
	s_or_b64 exec, exec, s[0:1]
	v_cmp_gt_i32_e32 vcc, s33, v0
	s_and_saveexec_b64 s[0:1], vcc
	s_cbranch_execnz .LBB83_531
.LBB83_515:
	s_or_b64 exec, exec, s[0:1]
	v_cmp_gt_i32_e32 vcc, s33, v0
	s_and_saveexec_b64 s[0:1], vcc
	s_cbranch_execnz .LBB83_532
.LBB83_516:
	s_or_b64 exec, exec, s[0:1]
	v_cmp_gt_i32_e32 vcc, s33, v0
	s_and_saveexec_b64 s[0:1], vcc
	s_cbranch_execnz .LBB83_533
.LBB83_517:
	s_or_b64 exec, exec, s[0:1]
	v_cmp_gt_i32_e32 vcc, s33, v0
	s_and_saveexec_b64 s[0:1], vcc
	s_cbranch_execz .LBB83_519
.LBB83_518:
	v_add_u32_e32 v0, s2, v0
	global_store_byte v0, v4, s[10:11]
.LBB83_519:
	s_endpgm
.LBB83_520:
	v_add_u32_e32 v1, s2, v0
	v_add_u32_e32 v0, 0x100, v0
	global_store_byte v1, v33, s[10:11]
	s_or_b64 exec, exec, s[0:1]
	v_cmp_gt_i32_e32 vcc, s33, v0
	s_and_saveexec_b64 s[0:1], vcc
	s_cbranch_execz .LBB83_505
.LBB83_521:
	v_add_u32_e32 v1, s2, v0
	v_add_u32_e32 v0, 0x100, v0
	global_store_byte v1, v30, s[10:11]
	s_or_b64 exec, exec, s[0:1]
	v_cmp_gt_i32_e32 vcc, s33, v0
	s_and_saveexec_b64 s[0:1], vcc
	s_cbranch_execz .LBB83_506
.LBB83_522:
	v_add_u32_e32 v1, s2, v0
	v_add_u32_e32 v0, 0x100, v0
	global_store_byte v1, v28, s[10:11]
	s_or_b64 exec, exec, s[0:1]
	v_cmp_gt_i32_e32 vcc, s33, v0
	s_and_saveexec_b64 s[0:1], vcc
	s_cbranch_execz .LBB83_507
.LBB83_523:
	v_add_u32_e32 v1, s2, v0
	v_add_u32_e32 v0, 0x100, v0
	global_store_byte v1, v26, s[10:11]
	s_or_b64 exec, exec, s[0:1]
	v_cmp_gt_i32_e32 vcc, s33, v0
	s_and_saveexec_b64 s[0:1], vcc
	s_cbranch_execz .LBB83_508
.LBB83_524:
	v_add_u32_e32 v1, s2, v0
	v_add_u32_e32 v0, 0x100, v0
	global_store_byte v1, v24, s[10:11]
	s_or_b64 exec, exec, s[0:1]
	v_cmp_gt_i32_e32 vcc, s33, v0
	s_and_saveexec_b64 s[0:1], vcc
	s_cbranch_execz .LBB83_509
.LBB83_525:
	v_add_u32_e32 v1, s2, v0
	v_add_u32_e32 v0, 0x100, v0
	global_store_byte v1, v22, s[10:11]
	s_or_b64 exec, exec, s[0:1]
	v_cmp_gt_i32_e32 vcc, s33, v0
	s_and_saveexec_b64 s[0:1], vcc
	s_cbranch_execz .LBB83_510
.LBB83_526:
	v_add_u32_e32 v1, s2, v0
	v_add_u32_e32 v0, 0x100, v0
	global_store_byte v1, v20, s[10:11]
	s_or_b64 exec, exec, s[0:1]
	v_cmp_gt_i32_e32 vcc, s33, v0
	s_and_saveexec_b64 s[0:1], vcc
	s_cbranch_execz .LBB83_511
.LBB83_527:
	v_add_u32_e32 v1, s2, v0
	v_add_u32_e32 v0, 0x100, v0
	global_store_byte v1, v18, s[10:11]
	s_or_b64 exec, exec, s[0:1]
	v_cmp_gt_i32_e32 vcc, s33, v0
	s_and_saveexec_b64 s[0:1], vcc
	s_cbranch_execz .LBB83_512
.LBB83_528:
	v_add_u32_e32 v1, s2, v0
	v_add_u32_e32 v0, 0x100, v0
	global_store_byte v1, v16, s[10:11]
	s_or_b64 exec, exec, s[0:1]
	v_cmp_gt_i32_e32 vcc, s33, v0
	s_and_saveexec_b64 s[0:1], vcc
	s_cbranch_execz .LBB83_513
.LBB83_529:
	v_add_u32_e32 v1, s2, v0
	v_add_u32_e32 v0, 0x100, v0
	global_store_byte v1, v14, s[10:11]
	s_or_b64 exec, exec, s[0:1]
	v_cmp_gt_i32_e32 vcc, s33, v0
	s_and_saveexec_b64 s[0:1], vcc
	s_cbranch_execz .LBB83_514
.LBB83_530:
	v_add_u32_e32 v1, s2, v0
	v_add_u32_e32 v0, 0x100, v0
	global_store_byte v1, v12, s[10:11]
	s_or_b64 exec, exec, s[0:1]
	v_cmp_gt_i32_e32 vcc, s33, v0
	s_and_saveexec_b64 s[0:1], vcc
	s_cbranch_execz .LBB83_515
.LBB83_531:
	v_add_u32_e32 v1, s2, v0
	v_add_u32_e32 v0, 0x100, v0
	global_store_byte v1, v10, s[10:11]
	s_or_b64 exec, exec, s[0:1]
	v_cmp_gt_i32_e32 vcc, s33, v0
	s_and_saveexec_b64 s[0:1], vcc
	s_cbranch_execz .LBB83_516
.LBB83_532:
	v_add_u32_e32 v1, s2, v0
	v_add_u32_e32 v0, 0x100, v0
	global_store_byte v1, v8, s[10:11]
	s_or_b64 exec, exec, s[0:1]
	v_cmp_gt_i32_e32 vcc, s33, v0
	s_and_saveexec_b64 s[0:1], vcc
	s_cbranch_execz .LBB83_517
.LBB83_533:
	v_add_u32_e32 v1, s2, v0
	v_add_u32_e32 v0, 0x100, v0
	global_store_byte v1, v6, s[10:11]
	s_or_b64 exec, exec, s[0:1]
	v_cmp_gt_i32_e32 vcc, s33, v0
	s_and_saveexec_b64 s[0:1], vcc
	s_cbranch_execnz .LBB83_518
	s_branch .LBB83_519
.LBB83_534:
	v_cmp_gt_f64_e32 vcc, s[8:9], v[2:3]
	s_andn2_b64 s[12:13], s[12:13], exec
	s_and_b64 s[14:15], vcc, exec
	s_or_b64 s[12:13], s[12:13], s[14:15]
	s_cbranch_execz .LBB83_499
	s_branch .LBB83_500
.LBB83_535:
	s_mov_b64 s[14:15], -1
                                        ; implicit-def: $sgpr12_sgpr13
	s_branch .LBB83_285
.LBB83_536:
	s_mov_b64 s[14:15], -1
                                        ; implicit-def: $sgpr12_sgpr13
	s_branch .LBB83_300
.LBB83_537:
	s_mov_b64 s[14:15], -1
                                        ; implicit-def: $sgpr12_sgpr13
	s_branch .LBB83_315
.LBB83_538:
	s_mov_b64 s[14:15], -1
                                        ; implicit-def: $sgpr12_sgpr13
	s_branch .LBB83_330
.LBB83_539:
	s_mov_b64 s[14:15], -1
                                        ; implicit-def: $sgpr12_sgpr13
	s_branch .LBB83_345
.LBB83_540:
	s_mov_b64 s[14:15], -1
                                        ; implicit-def: $sgpr12_sgpr13
	s_branch .LBB83_360
.LBB83_541:
	s_mov_b64 s[14:15], -1
                                        ; implicit-def: $sgpr12_sgpr13
	s_branch .LBB83_375
.LBB83_542:
	s_mov_b64 s[14:15], -1
                                        ; implicit-def: $sgpr12_sgpr13
	s_branch .LBB83_390
.LBB83_543:
	s_mov_b64 s[14:15], -1
                                        ; implicit-def: $sgpr12_sgpr13
	s_branch .LBB83_405
.LBB83_544:
	s_mov_b64 s[14:15], -1
                                        ; implicit-def: $sgpr12_sgpr13
	s_branch .LBB83_420
.LBB83_545:
	s_mov_b64 s[14:15], -1
                                        ; implicit-def: $sgpr12_sgpr13
	s_branch .LBB83_435
.LBB83_546:
	s_mov_b64 s[14:15], -1
                                        ; implicit-def: $sgpr12_sgpr13
	s_branch .LBB83_450
.LBB83_547:
	s_mov_b64 s[14:15], -1
                                        ; implicit-def: $sgpr12_sgpr13
	s_branch .LBB83_465
.LBB83_548:
	s_mov_b64 s[14:15], -1
                                        ; implicit-def: $sgpr12_sgpr13
	s_branch .LBB83_480
.LBB83_549:
	s_mov_b64 s[14:15], -1
                                        ; implicit-def: $sgpr12_sgpr13
	s_branch .LBB83_495
	.section	.rodata,"a",@progbits
	.p2align	6, 0x0
	.amdhsa_kernel _ZN2at6native29vectorized_elementwise_kernelILi2EZNS0_21compare_scalar_kernelIdEEvRNS_18TensorIteratorBaseENS0_12_GLOBAL__N_16OpTypeET_EUldE_St5arrayIPcLm2EEEEviT0_T1_
		.amdhsa_group_segment_fixed_size 0
		.amdhsa_private_segment_fixed_size 0
		.amdhsa_kernarg_size 40
		.amdhsa_user_sgpr_count 6
		.amdhsa_user_sgpr_private_segment_buffer 1
		.amdhsa_user_sgpr_dispatch_ptr 0
		.amdhsa_user_sgpr_queue_ptr 0
		.amdhsa_user_sgpr_kernarg_segment_ptr 1
		.amdhsa_user_sgpr_dispatch_id 0
		.amdhsa_user_sgpr_flat_scratch_init 0
		.amdhsa_user_sgpr_private_segment_size 0
		.amdhsa_uses_dynamic_stack 0
		.amdhsa_system_sgpr_private_segment_wavefront_offset 0
		.amdhsa_system_sgpr_workgroup_id_x 1
		.amdhsa_system_sgpr_workgroup_id_y 0
		.amdhsa_system_sgpr_workgroup_id_z 0
		.amdhsa_system_sgpr_workgroup_info 0
		.amdhsa_system_vgpr_workitem_id 0
		.amdhsa_next_free_vgpr 37
		.amdhsa_next_free_sgpr 49
		.amdhsa_reserve_vcc 1
		.amdhsa_reserve_flat_scratch 0
		.amdhsa_float_round_mode_32 0
		.amdhsa_float_round_mode_16_64 0
		.amdhsa_float_denorm_mode_32 3
		.amdhsa_float_denorm_mode_16_64 3
		.amdhsa_dx10_clamp 1
		.amdhsa_ieee_mode 1
		.amdhsa_fp16_overflow 0
		.amdhsa_exception_fp_ieee_invalid_op 0
		.amdhsa_exception_fp_denorm_src 0
		.amdhsa_exception_fp_ieee_div_zero 0
		.amdhsa_exception_fp_ieee_overflow 0
		.amdhsa_exception_fp_ieee_underflow 0
		.amdhsa_exception_fp_ieee_inexact 0
		.amdhsa_exception_int_div_zero 0
	.end_amdhsa_kernel
	.section	.text._ZN2at6native29vectorized_elementwise_kernelILi2EZNS0_21compare_scalar_kernelIdEEvRNS_18TensorIteratorBaseENS0_12_GLOBAL__N_16OpTypeET_EUldE_St5arrayIPcLm2EEEEviT0_T1_,"axG",@progbits,_ZN2at6native29vectorized_elementwise_kernelILi2EZNS0_21compare_scalar_kernelIdEEvRNS_18TensorIteratorBaseENS0_12_GLOBAL__N_16OpTypeET_EUldE_St5arrayIPcLm2EEEEviT0_T1_,comdat
.Lfunc_end83:
	.size	_ZN2at6native29vectorized_elementwise_kernelILi2EZNS0_21compare_scalar_kernelIdEEvRNS_18TensorIteratorBaseENS0_12_GLOBAL__N_16OpTypeET_EUldE_St5arrayIPcLm2EEEEviT0_T1_, .Lfunc_end83-_ZN2at6native29vectorized_elementwise_kernelILi2EZNS0_21compare_scalar_kernelIdEEvRNS_18TensorIteratorBaseENS0_12_GLOBAL__N_16OpTypeET_EUldE_St5arrayIPcLm2EEEEviT0_T1_
                                        ; -- End function
	.set _ZN2at6native29vectorized_elementwise_kernelILi2EZNS0_21compare_scalar_kernelIdEEvRNS_18TensorIteratorBaseENS0_12_GLOBAL__N_16OpTypeET_EUldE_St5arrayIPcLm2EEEEviT0_T1_.num_vgpr, 37
	.set _ZN2at6native29vectorized_elementwise_kernelILi2EZNS0_21compare_scalar_kernelIdEEvRNS_18TensorIteratorBaseENS0_12_GLOBAL__N_16OpTypeET_EUldE_St5arrayIPcLm2EEEEviT0_T1_.num_agpr, 0
	.set _ZN2at6native29vectorized_elementwise_kernelILi2EZNS0_21compare_scalar_kernelIdEEvRNS_18TensorIteratorBaseENS0_12_GLOBAL__N_16OpTypeET_EUldE_St5arrayIPcLm2EEEEviT0_T1_.numbered_sgpr, 49
	.set _ZN2at6native29vectorized_elementwise_kernelILi2EZNS0_21compare_scalar_kernelIdEEvRNS_18TensorIteratorBaseENS0_12_GLOBAL__N_16OpTypeET_EUldE_St5arrayIPcLm2EEEEviT0_T1_.num_named_barrier, 0
	.set _ZN2at6native29vectorized_elementwise_kernelILi2EZNS0_21compare_scalar_kernelIdEEvRNS_18TensorIteratorBaseENS0_12_GLOBAL__N_16OpTypeET_EUldE_St5arrayIPcLm2EEEEviT0_T1_.private_seg_size, 0
	.set _ZN2at6native29vectorized_elementwise_kernelILi2EZNS0_21compare_scalar_kernelIdEEvRNS_18TensorIteratorBaseENS0_12_GLOBAL__N_16OpTypeET_EUldE_St5arrayIPcLm2EEEEviT0_T1_.uses_vcc, 1
	.set _ZN2at6native29vectorized_elementwise_kernelILi2EZNS0_21compare_scalar_kernelIdEEvRNS_18TensorIteratorBaseENS0_12_GLOBAL__N_16OpTypeET_EUldE_St5arrayIPcLm2EEEEviT0_T1_.uses_flat_scratch, 0
	.set _ZN2at6native29vectorized_elementwise_kernelILi2EZNS0_21compare_scalar_kernelIdEEvRNS_18TensorIteratorBaseENS0_12_GLOBAL__N_16OpTypeET_EUldE_St5arrayIPcLm2EEEEviT0_T1_.has_dyn_sized_stack, 0
	.set _ZN2at6native29vectorized_elementwise_kernelILi2EZNS0_21compare_scalar_kernelIdEEvRNS_18TensorIteratorBaseENS0_12_GLOBAL__N_16OpTypeET_EUldE_St5arrayIPcLm2EEEEviT0_T1_.has_recursion, 0
	.set _ZN2at6native29vectorized_elementwise_kernelILi2EZNS0_21compare_scalar_kernelIdEEvRNS_18TensorIteratorBaseENS0_12_GLOBAL__N_16OpTypeET_EUldE_St5arrayIPcLm2EEEEviT0_T1_.has_indirect_call, 0
	.section	.AMDGPU.csdata,"",@progbits
; Kernel info:
; codeLenInByte = 8428
; TotalNumSgprs: 53
; NumVgprs: 37
; ScratchSize: 0
; MemoryBound: 0
; FloatMode: 240
; IeeeMode: 1
; LDSByteSize: 0 bytes/workgroup (compile time only)
; SGPRBlocks: 6
; VGPRBlocks: 9
; NumSGPRsForWavesPerEU: 53
; NumVGPRsForWavesPerEU: 37
; Occupancy: 6
; WaveLimiterHint : 1
; COMPUTE_PGM_RSRC2:SCRATCH_EN: 0
; COMPUTE_PGM_RSRC2:USER_SGPR: 6
; COMPUTE_PGM_RSRC2:TRAP_HANDLER: 0
; COMPUTE_PGM_RSRC2:TGID_X_EN: 1
; COMPUTE_PGM_RSRC2:TGID_Y_EN: 0
; COMPUTE_PGM_RSRC2:TGID_Z_EN: 0
; COMPUTE_PGM_RSRC2:TIDIG_COMP_CNT: 0
	.section	.text._ZN2at6native27unrolled_elementwise_kernelIZNS0_21compare_scalar_kernelIdEEvRNS_18TensorIteratorBaseENS0_12_GLOBAL__N_16OpTypeET_EUldE_St5arrayIPcLm2EELi4E23TrivialOffsetCalculatorILi1EjESD_NS0_6memory15LoadWithoutCastENSE_16StoreWithoutCastEEEviS7_T0_T2_T3_T4_T5_,"axG",@progbits,_ZN2at6native27unrolled_elementwise_kernelIZNS0_21compare_scalar_kernelIdEEvRNS_18TensorIteratorBaseENS0_12_GLOBAL__N_16OpTypeET_EUldE_St5arrayIPcLm2EELi4E23TrivialOffsetCalculatorILi1EjESD_NS0_6memory15LoadWithoutCastENSE_16StoreWithoutCastEEEviS7_T0_T2_T3_T4_T5_,comdat
	.globl	_ZN2at6native27unrolled_elementwise_kernelIZNS0_21compare_scalar_kernelIdEEvRNS_18TensorIteratorBaseENS0_12_GLOBAL__N_16OpTypeET_EUldE_St5arrayIPcLm2EELi4E23TrivialOffsetCalculatorILi1EjESD_NS0_6memory15LoadWithoutCastENSE_16StoreWithoutCastEEEviS7_T0_T2_T3_T4_T5_ ; -- Begin function _ZN2at6native27unrolled_elementwise_kernelIZNS0_21compare_scalar_kernelIdEEvRNS_18TensorIteratorBaseENS0_12_GLOBAL__N_16OpTypeET_EUldE_St5arrayIPcLm2EELi4E23TrivialOffsetCalculatorILi1EjESD_NS0_6memory15LoadWithoutCastENSE_16StoreWithoutCastEEEviS7_T0_T2_T3_T4_T5_
	.p2align	8
	.type	_ZN2at6native27unrolled_elementwise_kernelIZNS0_21compare_scalar_kernelIdEEvRNS_18TensorIteratorBaseENS0_12_GLOBAL__N_16OpTypeET_EUldE_St5arrayIPcLm2EELi4E23TrivialOffsetCalculatorILi1EjESD_NS0_6memory15LoadWithoutCastENSE_16StoreWithoutCastEEEviS7_T0_T2_T3_T4_T5_,@function
_ZN2at6native27unrolled_elementwise_kernelIZNS0_21compare_scalar_kernelIdEEvRNS_18TensorIteratorBaseENS0_12_GLOBAL__N_16OpTypeET_EUldE_St5arrayIPcLm2EELi4E23TrivialOffsetCalculatorILi1EjESD_NS0_6memory15LoadWithoutCastENSE_16StoreWithoutCastEEEviS7_T0_T2_T3_T4_T5_: ; @_ZN2at6native27unrolled_elementwise_kernelIZNS0_21compare_scalar_kernelIdEEvRNS_18TensorIteratorBaseENS0_12_GLOBAL__N_16OpTypeET_EUldE_St5arrayIPcLm2EELi4E23TrivialOffsetCalculatorILi1EjESD_NS0_6memory15LoadWithoutCastENSE_16StoreWithoutCastEEEviS7_T0_T2_T3_T4_T5_
; %bb.0:
	s_load_dword s0, s[4:5], 0x0
	s_load_dwordx2 s[2:3], s[4:5], 0x20
	s_lshl_b32 s16, s6, 10
	v_mov_b32_e32 v6, 0
	v_mov_b32_e32 v8, 0
	s_waitcnt lgkmcnt(0)
	s_sub_i32 s17, s0, s16
	v_cmp_gt_i32_e64 s[0:1], s17, v0
	v_mov_b32_e32 v7, 0
	v_or_b32_e32 v1, s16, v0
	v_mov_b32_e32 v9, 0
	v_mov_b32_e32 v10, v0
	s_and_saveexec_b64 s[6:7], s[0:1]
	s_cbranch_execz .LBB84_2
; %bb.1:
	v_mov_b32_e32 v2, 0
	v_lshlrev_b64 v[2:3], 3, v[1:2]
	v_mov_b32_e32 v4, s3
	v_add_co_u32_e32 v2, vcc, s2, v2
	v_addc_co_u32_e32 v3, vcc, v4, v3, vcc
	global_load_dwordx2 v[8:9], v[2:3], off
	v_or_b32_e32 v10, 0x100, v0
.LBB84_2:
	s_or_b64 exec, exec, s[6:7]
	s_load_dwordx4 s[8:11], s[4:5], 0x10
	v_cmp_gt_i32_e32 vcc, s17, v10
	s_and_saveexec_b64 s[6:7], vcc
	s_cbranch_execz .LBB84_4
; %bb.3:
	v_add_u32_e32 v2, s16, v10
	v_mov_b32_e32 v3, 0
	v_lshlrev_b64 v[2:3], 3, v[2:3]
	v_mov_b32_e32 v4, s3
	v_add_co_u32_e32 v2, vcc, s2, v2
	v_addc_co_u32_e32 v3, vcc, v4, v3, vcc
	global_load_dwordx2 v[6:7], v[2:3], off
	v_add_u32_e32 v10, 0x100, v10
.LBB84_4:
	s_or_b64 exec, exec, s[6:7]
	v_mov_b32_e32 v2, 0
	v_mov_b32_e32 v4, 0
	;; [unrolled: 1-line block ×4, first 2 shown]
	v_cmp_gt_i32_e32 vcc, s17, v10
	s_and_saveexec_b64 s[6:7], vcc
	s_cbranch_execz .LBB84_6
; %bb.5:
	v_add_u32_e32 v4, s16, v10
	v_mov_b32_e32 v5, 0
	v_lshlrev_b64 v[4:5], 3, v[4:5]
	v_mov_b32_e32 v11, s3
	v_add_co_u32_e32 v4, vcc, s2, v4
	v_addc_co_u32_e32 v5, vcc, v11, v5, vcc
	global_load_dwordx2 v[4:5], v[4:5], off
	v_add_u32_e32 v10, 0x100, v10
.LBB84_6:
	s_or_b64 exec, exec, s[6:7]
	v_cmp_gt_i32_e32 vcc, s17, v10
	s_and_saveexec_b64 s[6:7], vcc
	s_cbranch_execz .LBB84_8
; %bb.7:
	v_add_u32_e32 v2, s16, v10
	v_mov_b32_e32 v3, 0
	v_lshlrev_b64 v[2:3], 3, v[2:3]
	v_mov_b32_e32 v10, s3
	v_add_co_u32_e32 v2, vcc, s2, v2
	v_addc_co_u32_e32 v3, vcc, v10, v3, vcc
	global_load_dwordx2 v[2:3], v[2:3], off
.LBB84_8:
	s_or_b64 exec, exec, s[6:7]
	s_load_dword s18, s[4:5], 0x8
	v_mov_b32_e32 v10, 0
	s_and_saveexec_b64 s[2:3], s[0:1]
	s_cbranch_execz .LBB84_24
; %bb.9:
	s_waitcnt lgkmcnt(0)
	s_cmp_lt_i32 s18, 1
	s_mov_b64 s[4:5], 0
	s_cbranch_scc1 .LBB84_13
; %bb.10:
	s_cmp_gt_i32 s18, 1
	s_cbranch_scc0 .LBB84_14
; %bb.11:
	s_cmp_eq_u32 s18, 2
	s_cbranch_scc0 .LBB84_15
; %bb.12:
	s_waitcnt vmcnt(0)
	v_cmp_ge_f64_e64 s[6:7], s[8:9], v[8:9]
	s_mov_b64 s[12:13], 0
	s_branch .LBB84_16
.LBB84_13:
                                        ; implicit-def: $sgpr6_sgpr7
	s_mov_b64 s[12:13], 0
	s_cbranch_execnz .LBB84_19
	s_branch .LBB84_20
.LBB84_14:
	s_mov_b64 s[12:13], 0
                                        ; implicit-def: $sgpr6_sgpr7
	s_cbranch_execnz .LBB84_17
	s_branch .LBB84_18
.LBB84_15:
	s_mov_b64 s[12:13], -1
                                        ; implicit-def: $sgpr6_sgpr7
.LBB84_16:
	s_branch .LBB84_18
.LBB84_17:
	s_waitcnt vmcnt(0)
	v_cmp_lt_f64_e32 vcc, s[8:9], v[8:9]
	s_andn2_b64 s[6:7], s[6:7], exec
	s_and_b64 s[14:15], vcc, exec
	s_or_b64 s[6:7], s[6:7], s[14:15]
.LBB84_18:
	s_branch .LBB84_20
.LBB84_19:
	s_cmp_lg_u32 s18, 0
	s_mov_b64 s[4:5], -1
	s_cselect_b64 s[12:13], -1, 0
.LBB84_20:
	s_andn2_b64 vcc, exec, s[12:13]
	s_cbranch_vccz .LBB84_29
; %bb.21:
	s_andn2_b64 vcc, exec, s[4:5]
	s_cbranch_vccnz .LBB84_23
.LBB84_22:
	s_waitcnt vmcnt(0)
	v_cmp_le_f64_e32 vcc, s[8:9], v[8:9]
	s_andn2_b64 s[4:5], s[6:7], exec
	s_and_b64 s[6:7], vcc, exec
	s_or_b64 s[6:7], s[4:5], s[6:7]
.LBB84_23:
	v_cndmask_b32_e64 v10, 0, 1, s[6:7]
.LBB84_24:
	s_or_b64 exec, exec, s[2:3]
	s_waitcnt vmcnt(0)
	v_or_b32_e32 v8, 0x100, v0
	v_cmp_gt_i32_e32 vcc, s17, v8
	s_and_saveexec_b64 s[2:3], vcc
	s_cbranch_execz .LBB84_39
; %bb.25:
	s_waitcnt lgkmcnt(0)
	s_cmp_lt_i32 s18, 1
	s_mov_b64 s[4:5], 0
	s_cbranch_scc1 .LBB84_30
; %bb.26:
	s_cmp_gt_i32 s18, 1
	s_cbranch_scc0 .LBB84_31
; %bb.27:
	s_cmp_eq_u32 s18, 2
	s_cbranch_scc0 .LBB84_79
; %bb.28:
	v_cmp_ge_f64_e64 s[6:7], s[8:9], v[6:7]
	s_mov_b64 s[12:13], 0
	s_branch .LBB84_33
.LBB84_29:
	s_waitcnt vmcnt(0)
	v_cmp_gt_f64_e32 vcc, s[8:9], v[8:9]
	s_andn2_b64 s[6:7], s[6:7], exec
	s_and_b64 s[12:13], vcc, exec
	s_or_b64 s[6:7], s[6:7], s[12:13]
	s_cbranch_execz .LBB84_22
	s_branch .LBB84_23
.LBB84_30:
                                        ; implicit-def: $sgpr6_sgpr7
	s_mov_b64 s[12:13], 0
	s_cbranch_execnz .LBB84_34
	s_branch .LBB84_35
.LBB84_31:
	s_mov_b64 s[12:13], 0
                                        ; implicit-def: $sgpr6_sgpr7
	s_cbranch_execz .LBB84_33
; %bb.32:
	v_cmp_lt_f64_e32 vcc, s[8:9], v[6:7]
	s_andn2_b64 s[6:7], s[6:7], exec
	s_and_b64 s[14:15], vcc, exec
	s_or_b64 s[6:7], s[6:7], s[14:15]
.LBB84_33:
	s_branch .LBB84_35
.LBB84_34:
	s_cmp_lg_u32 s18, 0
	s_mov_b64 s[4:5], -1
	s_cselect_b64 s[12:13], -1, 0
.LBB84_35:
	s_andn2_b64 vcc, exec, s[12:13]
	s_cbranch_vccz .LBB84_44
; %bb.36:
	s_andn2_b64 vcc, exec, s[4:5]
	s_cbranch_vccnz .LBB84_38
.LBB84_37:
	v_cmp_le_f64_e32 vcc, s[8:9], v[6:7]
	s_andn2_b64 s[4:5], s[6:7], exec
	s_and_b64 s[6:7], vcc, exec
	s_or_b64 s[6:7], s[4:5], s[6:7]
.LBB84_38:
	v_cndmask_b32_e64 v6, 0, 1, s[6:7]
	v_lshlrev_b16_e32 v6, 8, v6
	v_or_b32_e32 v6, v10, v6
	v_and_b32_e32 v10, 0xffff, v6
.LBB84_39:
	s_or_b64 exec, exec, s[2:3]
	v_or_b32_e32 v6, 0x200, v0
	v_cmp_gt_i32_e32 vcc, s17, v6
	s_and_saveexec_b64 s[2:3], vcc
	s_cbranch_execz .LBB84_54
; %bb.40:
	s_waitcnt lgkmcnt(0)
	s_cmp_lt_i32 s18, 1
	s_mov_b64 s[4:5], 0
	s_cbranch_scc1 .LBB84_45
; %bb.41:
	s_cmp_gt_i32 s18, 1
	s_cbranch_scc0 .LBB84_46
; %bb.42:
	s_cmp_eq_u32 s18, 2
	s_cbranch_scc0 .LBB84_80
; %bb.43:
	v_cmp_ge_f64_e64 s[6:7], s[8:9], v[4:5]
	s_mov_b64 s[12:13], 0
	s_branch .LBB84_48
.LBB84_44:
	v_cmp_gt_f64_e32 vcc, s[8:9], v[6:7]
	s_andn2_b64 s[6:7], s[6:7], exec
	s_and_b64 s[12:13], vcc, exec
	s_or_b64 s[6:7], s[6:7], s[12:13]
	s_cbranch_execz .LBB84_37
	s_branch .LBB84_38
.LBB84_45:
                                        ; implicit-def: $sgpr6_sgpr7
	s_mov_b64 s[12:13], 0
	s_cbranch_execnz .LBB84_49
	s_branch .LBB84_50
.LBB84_46:
	s_mov_b64 s[12:13], 0
                                        ; implicit-def: $sgpr6_sgpr7
	s_cbranch_execz .LBB84_48
; %bb.47:
	v_cmp_lt_f64_e32 vcc, s[8:9], v[4:5]
	s_andn2_b64 s[6:7], s[6:7], exec
	s_and_b64 s[14:15], vcc, exec
	s_or_b64 s[6:7], s[6:7], s[14:15]
.LBB84_48:
	s_branch .LBB84_50
.LBB84_49:
	s_cmp_lg_u32 s18, 0
	s_mov_b64 s[4:5], -1
	s_cselect_b64 s[12:13], -1, 0
.LBB84_50:
	s_andn2_b64 vcc, exec, s[12:13]
	s_cbranch_vccz .LBB84_59
; %bb.51:
	s_andn2_b64 vcc, exec, s[4:5]
	s_cbranch_vccnz .LBB84_53
.LBB84_52:
	v_cmp_le_f64_e32 vcc, s[8:9], v[4:5]
	s_andn2_b64 s[4:5], s[6:7], exec
	s_and_b64 s[6:7], vcc, exec
	s_or_b64 s[6:7], s[4:5], s[6:7]
.LBB84_53:
	v_cndmask_b32_e64 v4, 0, 1, s[6:7]
	v_lshl_or_b32 v10, v4, 16, v10
.LBB84_54:
	s_or_b64 exec, exec, s[2:3]
	v_or_b32_e32 v4, 0x300, v0
	v_cmp_gt_i32_e32 vcc, s17, v4
	s_and_saveexec_b64 s[2:3], vcc
	s_cbranch_execz .LBB84_69
; %bb.55:
	s_waitcnt lgkmcnt(0)
	s_cmp_lt_i32 s18, 1
	s_mov_b64 s[4:5], 0
	s_cbranch_scc1 .LBB84_60
; %bb.56:
	s_cmp_gt_i32 s18, 1
	s_cbranch_scc0 .LBB84_61
; %bb.57:
	s_cmp_eq_u32 s18, 2
	s_cbranch_scc0 .LBB84_81
; %bb.58:
	v_cmp_ge_f64_e64 s[6:7], s[8:9], v[2:3]
	s_mov_b64 s[12:13], 0
	s_branch .LBB84_63
.LBB84_59:
	v_cmp_gt_f64_e32 vcc, s[8:9], v[4:5]
	s_andn2_b64 s[6:7], s[6:7], exec
	s_and_b64 s[12:13], vcc, exec
	s_or_b64 s[6:7], s[6:7], s[12:13]
	s_cbranch_execz .LBB84_52
	s_branch .LBB84_53
.LBB84_60:
                                        ; implicit-def: $sgpr6_sgpr7
	s_mov_b64 s[12:13], 0
	s_cbranch_execnz .LBB84_64
	s_branch .LBB84_65
.LBB84_61:
	s_mov_b64 s[12:13], 0
                                        ; implicit-def: $sgpr6_sgpr7
	s_cbranch_execz .LBB84_63
; %bb.62:
	v_cmp_lt_f64_e32 vcc, s[8:9], v[2:3]
	s_andn2_b64 s[6:7], s[6:7], exec
	s_and_b64 s[14:15], vcc, exec
	s_or_b64 s[6:7], s[6:7], s[14:15]
.LBB84_63:
	s_branch .LBB84_65
.LBB84_64:
	s_cmp_lg_u32 s18, 0
	s_mov_b64 s[4:5], -1
	s_cselect_b64 s[12:13], -1, 0
.LBB84_65:
	s_andn2_b64 vcc, exec, s[12:13]
	s_cbranch_vccz .LBB84_78
; %bb.66:
	s_andn2_b64 vcc, exec, s[4:5]
	s_cbranch_vccnz .LBB84_68
.LBB84_67:
	v_cmp_le_f64_e32 vcc, s[8:9], v[2:3]
	s_andn2_b64 s[4:5], s[6:7], exec
	s_and_b64 s[6:7], vcc, exec
	s_or_b64 s[6:7], s[4:5], s[6:7]
.LBB84_68:
	v_cndmask_b32_e64 v2, 0, 1, s[6:7]
	v_lshlrev_b16_e32 v2, 8, v2
	v_or_b32_sdwa v2, v10, v2 dst_sel:WORD_1 dst_unused:UNUSED_PAD src0_sel:WORD_1 src1_sel:DWORD
	s_mov_b32 s4, 0xffff
	v_and_or_b32 v10, v10, s4, v2
.LBB84_69:
	s_or_b64 exec, exec, s[2:3]
	s_and_saveexec_b64 s[2:3], s[0:1]
	s_xor_b64 s[0:1], exec, s[2:3]
	s_cbranch_execz .LBB84_71
; %bb.70:
	v_mov_b32_e32 v0, v8
	s_waitcnt lgkmcnt(0)
	global_store_byte v1, v10, s[10:11]
.LBB84_71:
	s_or_b64 exec, exec, s[0:1]
	v_cmp_gt_i32_e32 vcc, s17, v0
	s_and_saveexec_b64 s[0:1], vcc
	s_cbranch_execnz .LBB84_75
; %bb.72:
	s_or_b64 exec, exec, s[0:1]
	v_cmp_gt_i32_e32 vcc, s17, v0
	s_and_saveexec_b64 s[0:1], vcc
	s_cbranch_execnz .LBB84_76
.LBB84_73:
	s_or_b64 exec, exec, s[0:1]
	v_cmp_gt_i32_e32 vcc, s17, v0
	s_and_saveexec_b64 s[0:1], vcc
	s_cbranch_execnz .LBB84_77
.LBB84_74:
	s_endpgm
.LBB84_75:
	v_add_u32_e32 v1, 0x100, v0
	v_add_u32_e32 v0, s16, v0
	v_lshrrev_b32_e32 v2, 8, v10
	s_waitcnt lgkmcnt(0)
	global_store_byte v0, v2, s[10:11]
	v_mov_b32_e32 v0, v1
	s_or_b64 exec, exec, s[0:1]
	v_cmp_gt_i32_e32 vcc, s17, v0
	s_and_saveexec_b64 s[0:1], vcc
	s_cbranch_execz .LBB84_73
.LBB84_76:
	v_add_u32_e32 v1, 0x100, v0
	v_add_u32_e32 v0, s16, v0
	s_waitcnt lgkmcnt(0)
	global_store_byte_d16_hi v0, v10, s[10:11]
	v_mov_b32_e32 v0, v1
	s_or_b64 exec, exec, s[0:1]
	v_cmp_gt_i32_e32 vcc, s17, v0
	s_and_saveexec_b64 s[0:1], vcc
	s_cbranch_execz .LBB84_74
.LBB84_77:
	v_add_u32_e32 v0, s16, v0
	v_lshrrev_b32_e32 v1, 24, v10
	s_waitcnt lgkmcnt(0)
	global_store_byte v0, v1, s[10:11]
	s_endpgm
.LBB84_78:
	v_cmp_gt_f64_e32 vcc, s[8:9], v[2:3]
	s_andn2_b64 s[6:7], s[6:7], exec
	s_and_b64 s[12:13], vcc, exec
	s_or_b64 s[6:7], s[6:7], s[12:13]
	s_cbranch_execz .LBB84_67
	s_branch .LBB84_68
.LBB84_79:
	s_mov_b64 s[12:13], -1
                                        ; implicit-def: $sgpr6_sgpr7
	s_branch .LBB84_33
.LBB84_80:
	s_mov_b64 s[12:13], -1
                                        ; implicit-def: $sgpr6_sgpr7
	s_branch .LBB84_48
.LBB84_81:
	s_mov_b64 s[12:13], -1
                                        ; implicit-def: $sgpr6_sgpr7
	s_branch .LBB84_63
	.section	.rodata,"a",@progbits
	.p2align	6, 0x0
	.amdhsa_kernel _ZN2at6native27unrolled_elementwise_kernelIZNS0_21compare_scalar_kernelIdEEvRNS_18TensorIteratorBaseENS0_12_GLOBAL__N_16OpTypeET_EUldE_St5arrayIPcLm2EELi4E23TrivialOffsetCalculatorILi1EjESD_NS0_6memory15LoadWithoutCastENSE_16StoreWithoutCastEEEviS7_T0_T2_T3_T4_T5_
		.amdhsa_group_segment_fixed_size 0
		.amdhsa_private_segment_fixed_size 0
		.amdhsa_kernarg_size 44
		.amdhsa_user_sgpr_count 6
		.amdhsa_user_sgpr_private_segment_buffer 1
		.amdhsa_user_sgpr_dispatch_ptr 0
		.amdhsa_user_sgpr_queue_ptr 0
		.amdhsa_user_sgpr_kernarg_segment_ptr 1
		.amdhsa_user_sgpr_dispatch_id 0
		.amdhsa_user_sgpr_flat_scratch_init 0
		.amdhsa_user_sgpr_private_segment_size 0
		.amdhsa_uses_dynamic_stack 0
		.amdhsa_system_sgpr_private_segment_wavefront_offset 0
		.amdhsa_system_sgpr_workgroup_id_x 1
		.amdhsa_system_sgpr_workgroup_id_y 0
		.amdhsa_system_sgpr_workgroup_id_z 0
		.amdhsa_system_sgpr_workgroup_info 0
		.amdhsa_system_vgpr_workitem_id 0
		.amdhsa_next_free_vgpr 12
		.amdhsa_next_free_sgpr 19
		.amdhsa_reserve_vcc 1
		.amdhsa_reserve_flat_scratch 0
		.amdhsa_float_round_mode_32 0
		.amdhsa_float_round_mode_16_64 0
		.amdhsa_float_denorm_mode_32 3
		.amdhsa_float_denorm_mode_16_64 3
		.amdhsa_dx10_clamp 1
		.amdhsa_ieee_mode 1
		.amdhsa_fp16_overflow 0
		.amdhsa_exception_fp_ieee_invalid_op 0
		.amdhsa_exception_fp_denorm_src 0
		.amdhsa_exception_fp_ieee_div_zero 0
		.amdhsa_exception_fp_ieee_overflow 0
		.amdhsa_exception_fp_ieee_underflow 0
		.amdhsa_exception_fp_ieee_inexact 0
		.amdhsa_exception_int_div_zero 0
	.end_amdhsa_kernel
	.section	.text._ZN2at6native27unrolled_elementwise_kernelIZNS0_21compare_scalar_kernelIdEEvRNS_18TensorIteratorBaseENS0_12_GLOBAL__N_16OpTypeET_EUldE_St5arrayIPcLm2EELi4E23TrivialOffsetCalculatorILi1EjESD_NS0_6memory15LoadWithoutCastENSE_16StoreWithoutCastEEEviS7_T0_T2_T3_T4_T5_,"axG",@progbits,_ZN2at6native27unrolled_elementwise_kernelIZNS0_21compare_scalar_kernelIdEEvRNS_18TensorIteratorBaseENS0_12_GLOBAL__N_16OpTypeET_EUldE_St5arrayIPcLm2EELi4E23TrivialOffsetCalculatorILi1EjESD_NS0_6memory15LoadWithoutCastENSE_16StoreWithoutCastEEEviS7_T0_T2_T3_T4_T5_,comdat
.Lfunc_end84:
	.size	_ZN2at6native27unrolled_elementwise_kernelIZNS0_21compare_scalar_kernelIdEEvRNS_18TensorIteratorBaseENS0_12_GLOBAL__N_16OpTypeET_EUldE_St5arrayIPcLm2EELi4E23TrivialOffsetCalculatorILi1EjESD_NS0_6memory15LoadWithoutCastENSE_16StoreWithoutCastEEEviS7_T0_T2_T3_T4_T5_, .Lfunc_end84-_ZN2at6native27unrolled_elementwise_kernelIZNS0_21compare_scalar_kernelIdEEvRNS_18TensorIteratorBaseENS0_12_GLOBAL__N_16OpTypeET_EUldE_St5arrayIPcLm2EELi4E23TrivialOffsetCalculatorILi1EjESD_NS0_6memory15LoadWithoutCastENSE_16StoreWithoutCastEEEviS7_T0_T2_T3_T4_T5_
                                        ; -- End function
	.set _ZN2at6native27unrolled_elementwise_kernelIZNS0_21compare_scalar_kernelIdEEvRNS_18TensorIteratorBaseENS0_12_GLOBAL__N_16OpTypeET_EUldE_St5arrayIPcLm2EELi4E23TrivialOffsetCalculatorILi1EjESD_NS0_6memory15LoadWithoutCastENSE_16StoreWithoutCastEEEviS7_T0_T2_T3_T4_T5_.num_vgpr, 12
	.set _ZN2at6native27unrolled_elementwise_kernelIZNS0_21compare_scalar_kernelIdEEvRNS_18TensorIteratorBaseENS0_12_GLOBAL__N_16OpTypeET_EUldE_St5arrayIPcLm2EELi4E23TrivialOffsetCalculatorILi1EjESD_NS0_6memory15LoadWithoutCastENSE_16StoreWithoutCastEEEviS7_T0_T2_T3_T4_T5_.num_agpr, 0
	.set _ZN2at6native27unrolled_elementwise_kernelIZNS0_21compare_scalar_kernelIdEEvRNS_18TensorIteratorBaseENS0_12_GLOBAL__N_16OpTypeET_EUldE_St5arrayIPcLm2EELi4E23TrivialOffsetCalculatorILi1EjESD_NS0_6memory15LoadWithoutCastENSE_16StoreWithoutCastEEEviS7_T0_T2_T3_T4_T5_.numbered_sgpr, 19
	.set _ZN2at6native27unrolled_elementwise_kernelIZNS0_21compare_scalar_kernelIdEEvRNS_18TensorIteratorBaseENS0_12_GLOBAL__N_16OpTypeET_EUldE_St5arrayIPcLm2EELi4E23TrivialOffsetCalculatorILi1EjESD_NS0_6memory15LoadWithoutCastENSE_16StoreWithoutCastEEEviS7_T0_T2_T3_T4_T5_.num_named_barrier, 0
	.set _ZN2at6native27unrolled_elementwise_kernelIZNS0_21compare_scalar_kernelIdEEvRNS_18TensorIteratorBaseENS0_12_GLOBAL__N_16OpTypeET_EUldE_St5arrayIPcLm2EELi4E23TrivialOffsetCalculatorILi1EjESD_NS0_6memory15LoadWithoutCastENSE_16StoreWithoutCastEEEviS7_T0_T2_T3_T4_T5_.private_seg_size, 0
	.set _ZN2at6native27unrolled_elementwise_kernelIZNS0_21compare_scalar_kernelIdEEvRNS_18TensorIteratorBaseENS0_12_GLOBAL__N_16OpTypeET_EUldE_St5arrayIPcLm2EELi4E23TrivialOffsetCalculatorILi1EjESD_NS0_6memory15LoadWithoutCastENSE_16StoreWithoutCastEEEviS7_T0_T2_T3_T4_T5_.uses_vcc, 1
	.set _ZN2at6native27unrolled_elementwise_kernelIZNS0_21compare_scalar_kernelIdEEvRNS_18TensorIteratorBaseENS0_12_GLOBAL__N_16OpTypeET_EUldE_St5arrayIPcLm2EELi4E23TrivialOffsetCalculatorILi1EjESD_NS0_6memory15LoadWithoutCastENSE_16StoreWithoutCastEEEviS7_T0_T2_T3_T4_T5_.uses_flat_scratch, 0
	.set _ZN2at6native27unrolled_elementwise_kernelIZNS0_21compare_scalar_kernelIdEEvRNS_18TensorIteratorBaseENS0_12_GLOBAL__N_16OpTypeET_EUldE_St5arrayIPcLm2EELi4E23TrivialOffsetCalculatorILi1EjESD_NS0_6memory15LoadWithoutCastENSE_16StoreWithoutCastEEEviS7_T0_T2_T3_T4_T5_.has_dyn_sized_stack, 0
	.set _ZN2at6native27unrolled_elementwise_kernelIZNS0_21compare_scalar_kernelIdEEvRNS_18TensorIteratorBaseENS0_12_GLOBAL__N_16OpTypeET_EUldE_St5arrayIPcLm2EELi4E23TrivialOffsetCalculatorILi1EjESD_NS0_6memory15LoadWithoutCastENSE_16StoreWithoutCastEEEviS7_T0_T2_T3_T4_T5_.has_recursion, 0
	.set _ZN2at6native27unrolled_elementwise_kernelIZNS0_21compare_scalar_kernelIdEEvRNS_18TensorIteratorBaseENS0_12_GLOBAL__N_16OpTypeET_EUldE_St5arrayIPcLm2EELi4E23TrivialOffsetCalculatorILi1EjESD_NS0_6memory15LoadWithoutCastENSE_16StoreWithoutCastEEEviS7_T0_T2_T3_T4_T5_.has_indirect_call, 0
	.section	.AMDGPU.csdata,"",@progbits
; Kernel info:
; codeLenInByte = 1364
; TotalNumSgprs: 23
; NumVgprs: 12
; ScratchSize: 0
; MemoryBound: 0
; FloatMode: 240
; IeeeMode: 1
; LDSByteSize: 0 bytes/workgroup (compile time only)
; SGPRBlocks: 2
; VGPRBlocks: 2
; NumSGPRsForWavesPerEU: 23
; NumVGPRsForWavesPerEU: 12
; Occupancy: 10
; WaveLimiterHint : 0
; COMPUTE_PGM_RSRC2:SCRATCH_EN: 0
; COMPUTE_PGM_RSRC2:USER_SGPR: 6
; COMPUTE_PGM_RSRC2:TRAP_HANDLER: 0
; COMPUTE_PGM_RSRC2:TGID_X_EN: 1
; COMPUTE_PGM_RSRC2:TGID_Y_EN: 0
; COMPUTE_PGM_RSRC2:TGID_Z_EN: 0
; COMPUTE_PGM_RSRC2:TIDIG_COMP_CNT: 0
	.section	.text._ZN2at6native32elementwise_kernel_manual_unrollILi128ELi8EZNS0_22gpu_kernel_impl_nocastIZNS0_21compare_scalar_kernelIdEEvRNS_18TensorIteratorBaseENS0_12_GLOBAL__N_16OpTypeET_EUldE_EEvS5_RKS8_EUlibE_EEviT1_,"axG",@progbits,_ZN2at6native32elementwise_kernel_manual_unrollILi128ELi8EZNS0_22gpu_kernel_impl_nocastIZNS0_21compare_scalar_kernelIdEEvRNS_18TensorIteratorBaseENS0_12_GLOBAL__N_16OpTypeET_EUldE_EEvS5_RKS8_EUlibE_EEviT1_,comdat
	.globl	_ZN2at6native32elementwise_kernel_manual_unrollILi128ELi8EZNS0_22gpu_kernel_impl_nocastIZNS0_21compare_scalar_kernelIdEEvRNS_18TensorIteratorBaseENS0_12_GLOBAL__N_16OpTypeET_EUldE_EEvS5_RKS8_EUlibE_EEviT1_ ; -- Begin function _ZN2at6native32elementwise_kernel_manual_unrollILi128ELi8EZNS0_22gpu_kernel_impl_nocastIZNS0_21compare_scalar_kernelIdEEvRNS_18TensorIteratorBaseENS0_12_GLOBAL__N_16OpTypeET_EUldE_EEvS5_RKS8_EUlibE_EEviT1_
	.p2align	8
	.type	_ZN2at6native32elementwise_kernel_manual_unrollILi128ELi8EZNS0_22gpu_kernel_impl_nocastIZNS0_21compare_scalar_kernelIdEEvRNS_18TensorIteratorBaseENS0_12_GLOBAL__N_16OpTypeET_EUldE_EEvS5_RKS8_EUlibE_EEviT1_,@function
_ZN2at6native32elementwise_kernel_manual_unrollILi128ELi8EZNS0_22gpu_kernel_impl_nocastIZNS0_21compare_scalar_kernelIdEEvRNS_18TensorIteratorBaseENS0_12_GLOBAL__N_16OpTypeET_EUldE_EEvS5_RKS8_EUlibE_EEviT1_: ; @_ZN2at6native32elementwise_kernel_manual_unrollILi128ELi8EZNS0_22gpu_kernel_impl_nocastIZNS0_21compare_scalar_kernelIdEEvRNS_18TensorIteratorBaseENS0_12_GLOBAL__N_16OpTypeET_EUldE_EEvS5_RKS8_EUlibE_EEviT1_
; %bb.0:
	s_load_dword s58, s[4:5], 0x0
	s_load_dword s33, s[4:5], 0x8
	s_add_u32 s34, s4, 8
	s_addc_u32 s35, s5, 0
	v_lshl_or_b32 v15, s6, 10, v0
	v_or_b32_e32 v22, 0x380, v15
	s_waitcnt lgkmcnt(0)
	s_add_i32 s56, s33, -1
	s_cmp_gt_u32 s56, 1
	v_cmp_le_i32_e32 vcc, s58, v22
	s_cselect_b64 s[36:37], -1, 0
	s_and_saveexec_b64 s[0:1], vcc
	s_xor_b64 s[38:39], exec, s[0:1]
	s_cbranch_execz .LBB85_235
; %bb.1:
	s_load_dwordx4 s[24:27], s[34:35], 0x4
	s_load_dwordx2 s[42:43], s[34:35], 0x14
	s_load_dwordx4 s[20:23], s[34:35], 0xc4
	s_load_dwordx4 s[16:19], s[34:35], 0x148
	s_load_dword s57, s[34:35], 0x158
	s_load_dwordx2 s[40:41], s[34:35], 0x160
	s_cmp_lg_u32 s33, 0
	s_cselect_b64 s[48:49], -1, 0
	s_add_u32 s46, s34, 0xc4
	s_addc_u32 s47, s35, 0
	s_min_u32 s59, s56, 15
	s_cmp_gt_u32 s33, 1
	s_cselect_b64 s[44:45], -1, 0
	v_cmp_gt_i32_e32 vcc, s58, v15
	s_and_saveexec_b64 s[50:51], vcc
	s_cbranch_execnz .LBB85_9
; %bb.2:
	s_or_b64 exec, exec, s[50:51]
	v_cmp_gt_i32_e32 vcc, s58, v15
	s_and_saveexec_b64 s[50:51], vcc
	s_cbranch_execnz .LBB85_38
.LBB85_3:
	s_or_b64 exec, exec, s[50:51]
	v_cmp_gt_i32_e32 vcc, s58, v15
	s_and_saveexec_b64 s[50:51], vcc
	s_cbranch_execnz .LBB85_66
.LBB85_4:
	s_or_b64 exec, exec, s[50:51]
	v_cmp_gt_i32_e32 vcc, s58, v15
	s_and_saveexec_b64 s[50:51], vcc
	s_cbranch_execnz .LBB85_94
.LBB85_5:
	s_or_b64 exec, exec, s[50:51]
	v_cmp_gt_i32_e32 vcc, s58, v15
	s_and_saveexec_b64 s[50:51], vcc
	s_cbranch_execnz .LBB85_122
.LBB85_6:
	s_or_b64 exec, exec, s[50:51]
	v_cmp_gt_i32_e32 vcc, s58, v15
	s_and_saveexec_b64 s[50:51], vcc
	s_cbranch_execnz .LBB85_150
.LBB85_7:
	s_or_b64 exec, exec, s[50:51]
	v_cmp_gt_i32_e32 vcc, s58, v15
	s_and_saveexec_b64 s[50:51], vcc
	s_cbranch_execnz .LBB85_178
.LBB85_8:
	s_or_b64 exec, exec, s[50:51]
	v_cmp_gt_i32_e32 vcc, s58, v15
	s_and_saveexec_b64 s[50:51], vcc
	s_cbranch_execnz .LBB85_206
	s_branch .LBB85_234
.LBB85_9:
	s_andn2_b64 vcc, exec, s[36:37]
	s_cbranch_vccnz .LBB85_14
; %bb.10:
	s_andn2_b64 vcc, exec, s[48:49]
	s_cbranch_vccnz .LBB85_15
; %bb.11:
	s_add_i32 s61, s59, 1
	s_cmp_eq_u32 s56, 2
	s_cbranch_scc1 .LBB85_16
; %bb.12:
	s_and_b32 s60, s61, 28
	v_mov_b32_e32 v2, 0
	s_mov_b32 s62, 0
	s_mov_b64 s[52:53], s[34:35]
	s_mov_b64 s[54:55], s[46:47]
	v_mov_b32_e32 v0, 0
	v_mov_b32_e32 v1, v15
.LBB85_13:                              ; =>This Inner Loop Header: Depth=1
	s_load_dwordx8 s[8:15], s[52:53], 0x4
	s_load_dwordx4 s[28:31], s[52:53], 0x24
	s_load_dwordx8 s[0:7], s[54:55], 0x0
	s_add_u32 s52, s52, 48
	s_addc_u32 s53, s53, 0
	s_waitcnt lgkmcnt(0)
	v_mul_hi_u32 v3, s9, v1
	s_add_i32 s62, s62, 4
	s_add_u32 s54, s54, 32
	s_addc_u32 s55, s55, 0
	v_add_u32_e32 v3, v1, v3
	v_lshrrev_b32_e32 v3, s10, v3
	v_mul_lo_u32 v4, v3, s8
	v_mul_hi_u32 v5, s12, v3
	s_cmp_lg_u32 s60, s62
	v_sub_u32_e32 v1, v1, v4
	v_add_u32_e32 v4, v3, v5
	v_mul_lo_u32 v5, v1, s0
	v_mul_lo_u32 v6, v1, s1
	v_lshrrev_b32_e32 v1, s13, v4
	v_mul_lo_u32 v4, v1, s11
	v_mul_hi_u32 v7, s15, v1
	v_sub_u32_e32 v3, v3, v4
	v_add_u32_e32 v4, v1, v7
	v_lshrrev_b32_e32 v4, s28, v4
	v_mul_hi_u32 v8, s30, v4
	v_mul_lo_u32 v9, v4, s14
	v_mul_lo_u32 v7, v3, s2
	;; [unrolled: 1-line block ×3, first 2 shown]
	v_sub_u32_e32 v9, v1, v9
	v_add_u32_e32 v1, v4, v8
	v_lshrrev_b32_e32 v1, s31, v1
	v_mul_lo_u32 v8, v1, s29
	v_mul_lo_u32 v10, v9, s4
	;; [unrolled: 1-line block ×3, first 2 shown]
	v_add3_u32 v0, v5, v0, v7
	v_sub_u32_e32 v4, v4, v8
	v_mul_lo_u32 v8, v4, s6
	v_mul_lo_u32 v4, v4, s7
	v_add3_u32 v2, v6, v2, v3
	v_add3_u32 v0, v10, v0, v8
	;; [unrolled: 1-line block ×3, first 2 shown]
	s_cbranch_scc1 .LBB85_13
	s_branch .LBB85_17
.LBB85_14:
                                        ; implicit-def: $vgpr0
                                        ; implicit-def: $vgpr2
	s_branch .LBB85_21
.LBB85_15:
	v_mov_b32_e32 v0, 0
	v_mov_b32_e32 v2, 0
	s_branch .LBB85_20
.LBB85_16:
	s_mov_b32 s60, 0
	v_mov_b32_e32 v0, 0
	v_mov_b32_e32 v2, 0
	v_mov_b32_e32 v1, v15
.LBB85_17:
	s_and_b32 s4, s61, 3
	s_cmp_eq_u32 s4, 0
	s_cbranch_scc1 .LBB85_20
; %bb.18:
	s_lshl_b32 s0, s60, 3
	s_add_u32 s0, s34, s0
	s_addc_u32 s1, s35, 0
	s_add_u32 s0, s0, 0xc4
	s_addc_u32 s1, s1, 0
	s_mul_i32 s2, s60, 12
	s_add_u32 s2, s34, s2
	s_addc_u32 s3, s35, 0
.LBB85_19:                              ; =>This Inner Loop Header: Depth=1
	s_load_dwordx2 s[6:7], s[2:3], 0x4
	s_load_dword s5, s[2:3], 0xc
	s_load_dwordx2 s[8:9], s[0:1], 0x0
	s_add_u32 s2, s2, 12
	s_addc_u32 s3, s3, 0
	s_waitcnt lgkmcnt(0)
	v_mul_hi_u32 v3, s7, v1
	s_add_u32 s0, s0, 8
	s_addc_u32 s1, s1, 0
	s_add_i32 s4, s4, -1
	v_add_u32_e32 v3, v1, v3
	v_lshrrev_b32_e32 v4, s5, v3
	v_mul_lo_u32 v3, v4, s6
	s_cmp_lg_u32 s4, 0
	v_sub_u32_e32 v3, v1, v3
	v_mad_u64_u32 v[0:1], s[6:7], v3, s8, v[0:1]
	v_mad_u64_u32 v[2:3], s[6:7], v3, s9, v[2:3]
	v_mov_b32_e32 v1, v4
	s_cbranch_scc1 .LBB85_19
.LBB85_20:
	s_cbranch_execnz .LBB85_23
.LBB85_21:
	s_waitcnt lgkmcnt(0)
	v_mul_hi_u32 v0, s25, v15
	s_andn2_b64 vcc, exec, s[44:45]
	v_add_u32_e32 v0, v15, v0
	v_lshrrev_b32_e32 v1, s26, v0
	v_mul_lo_u32 v0, v1, s24
	v_sub_u32_e32 v2, v15, v0
	v_mul_lo_u32 v0, v2, s20
	v_mul_lo_u32 v2, v2, s21
	s_cbranch_vccnz .LBB85_23
; %bb.22:
	v_mul_hi_u32 v3, s42, v1
	v_add_u32_e32 v3, v1, v3
	v_lshrrev_b32_e32 v3, s43, v3
	v_mul_lo_u32 v3, v3, s27
	v_sub_u32_e32 v3, v1, v3
	v_mad_u64_u32 v[0:1], s[0:1], v3, s22, v[0:1]
	v_mad_u64_u32 v[2:3], s[0:1], v3, s23, v[2:3]
.LBB85_23:
	s_waitcnt lgkmcnt(0)
	global_load_dwordx2 v[1:2], v2, s[18:19]
	s_cmp_lt_i32 s57, 1
	s_mov_b64 s[0:1], 0
	s_cbranch_scc1 .LBB85_27
; %bb.24:
	s_cmp_gt_i32 s57, 1
	s_cbranch_scc0 .LBB85_28
; %bb.25:
	s_cmp_eq_u32 s57, 2
	s_cbranch_scc0 .LBB85_29
; %bb.26:
	s_waitcnt vmcnt(0)
	v_cmp_ge_f64_e64 s[2:3], s[40:41], v[1:2]
	s_mov_b64 s[4:5], 0
	s_branch .LBB85_30
.LBB85_27:
                                        ; implicit-def: $sgpr2_sgpr3
	s_mov_b64 s[4:5], 0
	s_cbranch_execnz .LBB85_33
	s_branch .LBB85_34
.LBB85_28:
	s_mov_b64 s[4:5], 0
                                        ; implicit-def: $sgpr2_sgpr3
	s_cbranch_execnz .LBB85_31
	s_branch .LBB85_32
.LBB85_29:
	s_mov_b64 s[4:5], -1
                                        ; implicit-def: $sgpr2_sgpr3
.LBB85_30:
	s_branch .LBB85_32
.LBB85_31:
	s_waitcnt vmcnt(0)
	v_cmp_lt_f64_e32 vcc, s[40:41], v[1:2]
	s_andn2_b64 s[2:3], s[2:3], exec
	s_and_b64 s[6:7], vcc, exec
	s_or_b64 s[2:3], s[2:3], s[6:7]
.LBB85_32:
	s_branch .LBB85_34
.LBB85_33:
	s_cmp_lg_u32 s57, 0
	s_mov_b64 s[0:1], -1
	s_cselect_b64 s[4:5], -1, 0
.LBB85_34:
	s_andn2_b64 vcc, exec, s[4:5]
	s_cbranch_vccz .LBB85_43
; %bb.35:
	s_andn2_b64 vcc, exec, s[0:1]
	s_cbranch_vccnz .LBB85_37
.LBB85_36:
	s_waitcnt vmcnt(0)
	v_cmp_le_f64_e32 vcc, s[40:41], v[1:2]
	s_andn2_b64 s[0:1], s[2:3], exec
	s_and_b64 s[2:3], vcc, exec
	s_or_b64 s[2:3], s[0:1], s[2:3]
.LBB85_37:
	s_waitcnt vmcnt(0)
	v_cndmask_b32_e64 v1, 0, 1, s[2:3]
	v_add_u32_e32 v15, 0x80, v15
	global_store_byte v0, v1, s[16:17]
	s_or_b64 exec, exec, s[50:51]
	v_cmp_gt_i32_e32 vcc, s58, v15
	s_and_saveexec_b64 s[50:51], vcc
	s_cbranch_execz .LBB85_3
.LBB85_38:
	s_andn2_b64 vcc, exec, s[36:37]
	s_cbranch_vccnz .LBB85_44
; %bb.39:
	s_andn2_b64 vcc, exec, s[48:49]
	s_cbranch_vccnz .LBB85_45
; %bb.40:
	s_add_i32 s61, s59, 1
	s_cmp_eq_u32 s56, 2
	s_cbranch_scc1 .LBB85_46
; %bb.41:
	s_and_b32 s60, s61, 28
	v_mov_b32_e32 v2, 0
	s_mov_b32 s62, 0
	s_mov_b64 s[52:53], s[34:35]
	s_mov_b64 s[54:55], s[46:47]
	v_mov_b32_e32 v0, 0
	v_mov_b32_e32 v1, v15
.LBB85_42:                              ; =>This Inner Loop Header: Depth=1
	s_load_dwordx8 s[8:15], s[52:53], 0x4
	s_load_dwordx4 s[28:31], s[52:53], 0x24
	s_load_dwordx8 s[0:7], s[54:55], 0x0
	s_add_u32 s52, s52, 48
	s_addc_u32 s53, s53, 0
	s_waitcnt lgkmcnt(0)
	v_mul_hi_u32 v3, s9, v1
	s_add_i32 s62, s62, 4
	s_add_u32 s54, s54, 32
	s_addc_u32 s55, s55, 0
	v_add_u32_e32 v3, v1, v3
	v_lshrrev_b32_e32 v3, s10, v3
	v_mul_lo_u32 v4, v3, s8
	v_mul_hi_u32 v5, s12, v3
	s_cmp_eq_u32 s60, s62
	v_sub_u32_e32 v1, v1, v4
	v_add_u32_e32 v4, v3, v5
	v_mul_lo_u32 v5, v1, s0
	v_mul_lo_u32 v6, v1, s1
	v_lshrrev_b32_e32 v1, s13, v4
	v_mul_lo_u32 v4, v1, s11
	v_mul_hi_u32 v7, s15, v1
	v_sub_u32_e32 v3, v3, v4
	v_add_u32_e32 v4, v1, v7
	v_lshrrev_b32_e32 v4, s28, v4
	v_mul_hi_u32 v8, s30, v4
	v_mul_lo_u32 v9, v4, s14
	v_mul_lo_u32 v7, v3, s2
	;; [unrolled: 1-line block ×3, first 2 shown]
	v_sub_u32_e32 v9, v1, v9
	v_add_u32_e32 v1, v4, v8
	v_lshrrev_b32_e32 v1, s31, v1
	v_mul_lo_u32 v8, v1, s29
	v_mul_lo_u32 v10, v9, s4
	v_mul_lo_u32 v9, v9, s5
	v_add3_u32 v0, v5, v0, v7
	v_sub_u32_e32 v4, v4, v8
	v_mul_lo_u32 v8, v4, s6
	v_mul_lo_u32 v4, v4, s7
	v_add3_u32 v2, v6, v2, v3
	v_add3_u32 v0, v10, v0, v8
	;; [unrolled: 1-line block ×3, first 2 shown]
	s_cbranch_scc0 .LBB85_42
	s_branch .LBB85_47
.LBB85_43:
	s_waitcnt vmcnt(0)
	v_cmp_gt_f64_e32 vcc, s[40:41], v[1:2]
	s_andn2_b64 s[2:3], s[2:3], exec
	s_and_b64 s[4:5], vcc, exec
	s_or_b64 s[2:3], s[2:3], s[4:5]
	s_cbranch_execz .LBB85_36
	s_branch .LBB85_37
.LBB85_44:
                                        ; implicit-def: $vgpr0
                                        ; implicit-def: $vgpr2
	s_branch .LBB85_51
.LBB85_45:
	v_mov_b32_e32 v0, 0
	v_mov_b32_e32 v2, 0
	s_branch .LBB85_50
.LBB85_46:
	s_mov_b32 s60, 0
	v_mov_b32_e32 v0, 0
	v_mov_b32_e32 v2, 0
	;; [unrolled: 1-line block ×3, first 2 shown]
.LBB85_47:
	s_and_b32 s4, s61, 3
	s_cmp_eq_u32 s4, 0
	s_cbranch_scc1 .LBB85_50
; %bb.48:
	s_lshl_b32 s0, s60, 3
	s_add_u32 s0, s34, s0
	s_addc_u32 s1, s35, 0
	s_add_u32 s0, s0, 0xc4
	s_addc_u32 s1, s1, 0
	s_mul_i32 s2, s60, 12
	s_add_u32 s2, s34, s2
	s_addc_u32 s3, s35, 0
.LBB85_49:                              ; =>This Inner Loop Header: Depth=1
	s_load_dwordx2 s[6:7], s[2:3], 0x4
	s_load_dword s5, s[2:3], 0xc
	s_load_dwordx2 s[8:9], s[0:1], 0x0
	s_add_u32 s2, s2, 12
	s_addc_u32 s3, s3, 0
	s_waitcnt lgkmcnt(0)
	v_mul_hi_u32 v3, s7, v1
	s_add_u32 s0, s0, 8
	s_addc_u32 s1, s1, 0
	s_add_i32 s4, s4, -1
	v_add_u32_e32 v3, v1, v3
	v_lshrrev_b32_e32 v4, s5, v3
	v_mul_lo_u32 v3, v4, s6
	s_cmp_lg_u32 s4, 0
	v_sub_u32_e32 v3, v1, v3
	v_mad_u64_u32 v[0:1], s[6:7], v3, s8, v[0:1]
	v_mad_u64_u32 v[2:3], s[6:7], v3, s9, v[2:3]
	v_mov_b32_e32 v1, v4
	s_cbranch_scc1 .LBB85_49
.LBB85_50:
	s_cbranch_execnz .LBB85_53
.LBB85_51:
	s_waitcnt lgkmcnt(0)
	v_mul_hi_u32 v0, s25, v15
	s_andn2_b64 vcc, exec, s[44:45]
	v_add_u32_e32 v0, v15, v0
	v_lshrrev_b32_e32 v1, s26, v0
	v_mul_lo_u32 v0, v1, s24
	v_sub_u32_e32 v2, v15, v0
	v_mul_lo_u32 v0, v2, s20
	v_mul_lo_u32 v2, v2, s21
	s_cbranch_vccnz .LBB85_53
; %bb.52:
	v_mul_hi_u32 v3, s42, v1
	v_add_u32_e32 v3, v1, v3
	v_lshrrev_b32_e32 v3, s43, v3
	v_mul_lo_u32 v3, v3, s27
	v_sub_u32_e32 v3, v1, v3
	v_mad_u64_u32 v[0:1], s[0:1], v3, s22, v[0:1]
	v_mad_u64_u32 v[2:3], s[0:1], v3, s23, v[2:3]
.LBB85_53:
	s_waitcnt lgkmcnt(0)
	global_load_dwordx2 v[1:2], v2, s[18:19]
	s_cmp_lt_i32 s57, 1
	s_mov_b64 s[0:1], 0
	s_cbranch_scc1 .LBB85_57
; %bb.54:
	s_cmp_gt_i32 s57, 1
	s_cbranch_scc0 .LBB85_58
; %bb.55:
	s_cmp_eq_u32 s57, 2
	s_cbranch_scc0 .LBB85_471
; %bb.56:
	s_waitcnt vmcnt(0)
	v_cmp_ge_f64_e64 s[2:3], s[40:41], v[1:2]
	s_mov_b64 s[4:5], 0
	s_branch .LBB85_60
.LBB85_57:
                                        ; implicit-def: $sgpr2_sgpr3
	s_mov_b64 s[4:5], 0
	s_cbranch_execnz .LBB85_61
	s_branch .LBB85_62
.LBB85_58:
	s_mov_b64 s[4:5], 0
                                        ; implicit-def: $sgpr2_sgpr3
	s_cbranch_execz .LBB85_60
; %bb.59:
	s_waitcnt vmcnt(0)
	v_cmp_lt_f64_e32 vcc, s[40:41], v[1:2]
	s_andn2_b64 s[2:3], s[2:3], exec
	s_and_b64 s[6:7], vcc, exec
	s_or_b64 s[2:3], s[2:3], s[6:7]
.LBB85_60:
	s_branch .LBB85_62
.LBB85_61:
	s_cmp_lg_u32 s57, 0
	s_mov_b64 s[0:1], -1
	s_cselect_b64 s[4:5], -1, 0
.LBB85_62:
	s_andn2_b64 vcc, exec, s[4:5]
	s_cbranch_vccz .LBB85_71
; %bb.63:
	s_andn2_b64 vcc, exec, s[0:1]
	s_cbranch_vccnz .LBB85_65
.LBB85_64:
	s_waitcnt vmcnt(0)
	v_cmp_le_f64_e32 vcc, s[40:41], v[1:2]
	s_andn2_b64 s[0:1], s[2:3], exec
	s_and_b64 s[2:3], vcc, exec
	s_or_b64 s[2:3], s[0:1], s[2:3]
.LBB85_65:
	s_waitcnt vmcnt(0)
	v_cndmask_b32_e64 v1, 0, 1, s[2:3]
	v_add_u32_e32 v15, 0x80, v15
	global_store_byte v0, v1, s[16:17]
	s_or_b64 exec, exec, s[50:51]
	v_cmp_gt_i32_e32 vcc, s58, v15
	s_and_saveexec_b64 s[50:51], vcc
	s_cbranch_execz .LBB85_4
.LBB85_66:
	s_andn2_b64 vcc, exec, s[36:37]
	s_cbranch_vccnz .LBB85_72
; %bb.67:
	s_andn2_b64 vcc, exec, s[48:49]
	s_cbranch_vccnz .LBB85_73
; %bb.68:
	s_add_i32 s61, s59, 1
	s_cmp_eq_u32 s56, 2
	s_cbranch_scc1 .LBB85_74
; %bb.69:
	s_and_b32 s60, s61, 28
	v_mov_b32_e32 v2, 0
	s_mov_b32 s62, 0
	s_mov_b64 s[52:53], s[34:35]
	s_mov_b64 s[54:55], s[46:47]
	v_mov_b32_e32 v0, 0
	v_mov_b32_e32 v1, v15
.LBB85_70:                              ; =>This Inner Loop Header: Depth=1
	s_load_dwordx8 s[8:15], s[52:53], 0x4
	s_load_dwordx4 s[28:31], s[52:53], 0x24
	s_load_dwordx8 s[0:7], s[54:55], 0x0
	s_add_u32 s52, s52, 48
	s_addc_u32 s53, s53, 0
	s_waitcnt lgkmcnt(0)
	v_mul_hi_u32 v3, s9, v1
	s_add_i32 s62, s62, 4
	s_add_u32 s54, s54, 32
	s_addc_u32 s55, s55, 0
	v_add_u32_e32 v3, v1, v3
	v_lshrrev_b32_e32 v3, s10, v3
	v_mul_lo_u32 v4, v3, s8
	v_mul_hi_u32 v5, s12, v3
	s_cmp_eq_u32 s60, s62
	v_sub_u32_e32 v1, v1, v4
	v_add_u32_e32 v4, v3, v5
	v_mul_lo_u32 v5, v1, s0
	v_mul_lo_u32 v6, v1, s1
	v_lshrrev_b32_e32 v1, s13, v4
	v_mul_lo_u32 v4, v1, s11
	v_mul_hi_u32 v7, s15, v1
	v_sub_u32_e32 v3, v3, v4
	v_add_u32_e32 v4, v1, v7
	v_lshrrev_b32_e32 v4, s28, v4
	v_mul_hi_u32 v8, s30, v4
	v_mul_lo_u32 v9, v4, s14
	v_mul_lo_u32 v7, v3, s2
	;; [unrolled: 1-line block ×3, first 2 shown]
	v_sub_u32_e32 v9, v1, v9
	v_add_u32_e32 v1, v4, v8
	v_lshrrev_b32_e32 v1, s31, v1
	v_mul_lo_u32 v8, v1, s29
	v_mul_lo_u32 v10, v9, s4
	v_mul_lo_u32 v9, v9, s5
	v_add3_u32 v0, v5, v0, v7
	v_sub_u32_e32 v4, v4, v8
	v_mul_lo_u32 v8, v4, s6
	v_mul_lo_u32 v4, v4, s7
	v_add3_u32 v2, v6, v2, v3
	v_add3_u32 v0, v10, v0, v8
	;; [unrolled: 1-line block ×3, first 2 shown]
	s_cbranch_scc0 .LBB85_70
	s_branch .LBB85_75
.LBB85_71:
	s_waitcnt vmcnt(0)
	v_cmp_gt_f64_e32 vcc, s[40:41], v[1:2]
	s_andn2_b64 s[2:3], s[2:3], exec
	s_and_b64 s[4:5], vcc, exec
	s_or_b64 s[2:3], s[2:3], s[4:5]
	s_cbranch_execz .LBB85_64
	s_branch .LBB85_65
.LBB85_72:
                                        ; implicit-def: $vgpr0
                                        ; implicit-def: $vgpr2
	s_branch .LBB85_79
.LBB85_73:
	v_mov_b32_e32 v0, 0
	v_mov_b32_e32 v2, 0
	s_branch .LBB85_78
.LBB85_74:
	s_mov_b32 s60, 0
	v_mov_b32_e32 v0, 0
	v_mov_b32_e32 v2, 0
	;; [unrolled: 1-line block ×3, first 2 shown]
.LBB85_75:
	s_and_b32 s4, s61, 3
	s_cmp_eq_u32 s4, 0
	s_cbranch_scc1 .LBB85_78
; %bb.76:
	s_lshl_b32 s0, s60, 3
	s_add_u32 s0, s34, s0
	s_addc_u32 s1, s35, 0
	s_add_u32 s0, s0, 0xc4
	s_addc_u32 s1, s1, 0
	s_mul_i32 s2, s60, 12
	s_add_u32 s2, s34, s2
	s_addc_u32 s3, s35, 0
.LBB85_77:                              ; =>This Inner Loop Header: Depth=1
	s_load_dwordx2 s[6:7], s[2:3], 0x4
	s_load_dword s5, s[2:3], 0xc
	s_load_dwordx2 s[8:9], s[0:1], 0x0
	s_add_u32 s2, s2, 12
	s_addc_u32 s3, s3, 0
	s_waitcnt lgkmcnt(0)
	v_mul_hi_u32 v3, s7, v1
	s_add_u32 s0, s0, 8
	s_addc_u32 s1, s1, 0
	s_add_i32 s4, s4, -1
	v_add_u32_e32 v3, v1, v3
	v_lshrrev_b32_e32 v4, s5, v3
	v_mul_lo_u32 v3, v4, s6
	s_cmp_lg_u32 s4, 0
	v_sub_u32_e32 v3, v1, v3
	v_mad_u64_u32 v[0:1], s[6:7], v3, s8, v[0:1]
	v_mad_u64_u32 v[2:3], s[6:7], v3, s9, v[2:3]
	v_mov_b32_e32 v1, v4
	s_cbranch_scc1 .LBB85_77
.LBB85_78:
	s_cbranch_execnz .LBB85_81
.LBB85_79:
	s_waitcnt lgkmcnt(0)
	v_mul_hi_u32 v0, s25, v15
	s_andn2_b64 vcc, exec, s[44:45]
	v_add_u32_e32 v0, v15, v0
	v_lshrrev_b32_e32 v1, s26, v0
	v_mul_lo_u32 v0, v1, s24
	v_sub_u32_e32 v2, v15, v0
	v_mul_lo_u32 v0, v2, s20
	v_mul_lo_u32 v2, v2, s21
	s_cbranch_vccnz .LBB85_81
; %bb.80:
	v_mul_hi_u32 v3, s42, v1
	v_add_u32_e32 v3, v1, v3
	v_lshrrev_b32_e32 v3, s43, v3
	v_mul_lo_u32 v3, v3, s27
	v_sub_u32_e32 v3, v1, v3
	v_mad_u64_u32 v[0:1], s[0:1], v3, s22, v[0:1]
	v_mad_u64_u32 v[2:3], s[0:1], v3, s23, v[2:3]
.LBB85_81:
	s_waitcnt lgkmcnt(0)
	global_load_dwordx2 v[1:2], v2, s[18:19]
	s_cmp_lt_i32 s57, 1
	s_mov_b64 s[0:1], 0
	s_cbranch_scc1 .LBB85_85
; %bb.82:
	s_cmp_gt_i32 s57, 1
	s_cbranch_scc0 .LBB85_86
; %bb.83:
	s_cmp_eq_u32 s57, 2
	s_cbranch_scc0 .LBB85_472
; %bb.84:
	s_waitcnt vmcnt(0)
	v_cmp_ge_f64_e64 s[2:3], s[40:41], v[1:2]
	s_mov_b64 s[4:5], 0
	s_branch .LBB85_88
.LBB85_85:
                                        ; implicit-def: $sgpr2_sgpr3
	s_mov_b64 s[4:5], 0
	s_cbranch_execnz .LBB85_89
	s_branch .LBB85_90
.LBB85_86:
	s_mov_b64 s[4:5], 0
                                        ; implicit-def: $sgpr2_sgpr3
	s_cbranch_execz .LBB85_88
; %bb.87:
	s_waitcnt vmcnt(0)
	v_cmp_lt_f64_e32 vcc, s[40:41], v[1:2]
	s_andn2_b64 s[2:3], s[2:3], exec
	s_and_b64 s[6:7], vcc, exec
	s_or_b64 s[2:3], s[2:3], s[6:7]
.LBB85_88:
	s_branch .LBB85_90
.LBB85_89:
	s_cmp_lg_u32 s57, 0
	s_mov_b64 s[0:1], -1
	s_cselect_b64 s[4:5], -1, 0
.LBB85_90:
	s_andn2_b64 vcc, exec, s[4:5]
	s_cbranch_vccz .LBB85_99
; %bb.91:
	s_andn2_b64 vcc, exec, s[0:1]
	s_cbranch_vccnz .LBB85_93
.LBB85_92:
	s_waitcnt vmcnt(0)
	v_cmp_le_f64_e32 vcc, s[40:41], v[1:2]
	s_andn2_b64 s[0:1], s[2:3], exec
	s_and_b64 s[2:3], vcc, exec
	s_or_b64 s[2:3], s[0:1], s[2:3]
.LBB85_93:
	s_waitcnt vmcnt(0)
	v_cndmask_b32_e64 v1, 0, 1, s[2:3]
	v_add_u32_e32 v15, 0x80, v15
	global_store_byte v0, v1, s[16:17]
	s_or_b64 exec, exec, s[50:51]
	v_cmp_gt_i32_e32 vcc, s58, v15
	s_and_saveexec_b64 s[50:51], vcc
	s_cbranch_execz .LBB85_5
.LBB85_94:
	s_andn2_b64 vcc, exec, s[36:37]
	s_cbranch_vccnz .LBB85_100
; %bb.95:
	s_andn2_b64 vcc, exec, s[48:49]
	s_cbranch_vccnz .LBB85_101
; %bb.96:
	s_add_i32 s61, s59, 1
	s_cmp_eq_u32 s56, 2
	s_cbranch_scc1 .LBB85_102
; %bb.97:
	s_and_b32 s60, s61, 28
	v_mov_b32_e32 v2, 0
	s_mov_b32 s62, 0
	s_mov_b64 s[52:53], s[34:35]
	s_mov_b64 s[54:55], s[46:47]
	v_mov_b32_e32 v0, 0
	v_mov_b32_e32 v1, v15
.LBB85_98:                              ; =>This Inner Loop Header: Depth=1
	s_load_dwordx8 s[8:15], s[52:53], 0x4
	s_load_dwordx4 s[28:31], s[52:53], 0x24
	s_load_dwordx8 s[0:7], s[54:55], 0x0
	s_add_u32 s52, s52, 48
	s_addc_u32 s53, s53, 0
	s_waitcnt lgkmcnt(0)
	v_mul_hi_u32 v3, s9, v1
	s_add_i32 s62, s62, 4
	s_add_u32 s54, s54, 32
	s_addc_u32 s55, s55, 0
	v_add_u32_e32 v3, v1, v3
	v_lshrrev_b32_e32 v3, s10, v3
	v_mul_lo_u32 v4, v3, s8
	v_mul_hi_u32 v5, s12, v3
	s_cmp_eq_u32 s60, s62
	v_sub_u32_e32 v1, v1, v4
	v_add_u32_e32 v4, v3, v5
	v_mul_lo_u32 v5, v1, s0
	v_mul_lo_u32 v6, v1, s1
	v_lshrrev_b32_e32 v1, s13, v4
	v_mul_lo_u32 v4, v1, s11
	v_mul_hi_u32 v7, s15, v1
	v_sub_u32_e32 v3, v3, v4
	v_add_u32_e32 v4, v1, v7
	v_lshrrev_b32_e32 v4, s28, v4
	v_mul_hi_u32 v8, s30, v4
	v_mul_lo_u32 v9, v4, s14
	v_mul_lo_u32 v7, v3, s2
	;; [unrolled: 1-line block ×3, first 2 shown]
	v_sub_u32_e32 v9, v1, v9
	v_add_u32_e32 v1, v4, v8
	v_lshrrev_b32_e32 v1, s31, v1
	v_mul_lo_u32 v8, v1, s29
	v_mul_lo_u32 v10, v9, s4
	;; [unrolled: 1-line block ×3, first 2 shown]
	v_add3_u32 v0, v5, v0, v7
	v_sub_u32_e32 v4, v4, v8
	v_mul_lo_u32 v8, v4, s6
	v_mul_lo_u32 v4, v4, s7
	v_add3_u32 v2, v6, v2, v3
	v_add3_u32 v0, v10, v0, v8
	;; [unrolled: 1-line block ×3, first 2 shown]
	s_cbranch_scc0 .LBB85_98
	s_branch .LBB85_103
.LBB85_99:
	s_waitcnt vmcnt(0)
	v_cmp_gt_f64_e32 vcc, s[40:41], v[1:2]
	s_andn2_b64 s[2:3], s[2:3], exec
	s_and_b64 s[4:5], vcc, exec
	s_or_b64 s[2:3], s[2:3], s[4:5]
	s_cbranch_execz .LBB85_92
	s_branch .LBB85_93
.LBB85_100:
                                        ; implicit-def: $vgpr0
                                        ; implicit-def: $vgpr2
	s_branch .LBB85_107
.LBB85_101:
	v_mov_b32_e32 v0, 0
	v_mov_b32_e32 v2, 0
	s_branch .LBB85_106
.LBB85_102:
	s_mov_b32 s60, 0
	v_mov_b32_e32 v0, 0
	v_mov_b32_e32 v2, 0
	;; [unrolled: 1-line block ×3, first 2 shown]
.LBB85_103:
	s_and_b32 s4, s61, 3
	s_cmp_eq_u32 s4, 0
	s_cbranch_scc1 .LBB85_106
; %bb.104:
	s_lshl_b32 s0, s60, 3
	s_add_u32 s0, s34, s0
	s_addc_u32 s1, s35, 0
	s_add_u32 s0, s0, 0xc4
	s_addc_u32 s1, s1, 0
	s_mul_i32 s2, s60, 12
	s_add_u32 s2, s34, s2
	s_addc_u32 s3, s35, 0
.LBB85_105:                             ; =>This Inner Loop Header: Depth=1
	s_load_dwordx2 s[6:7], s[2:3], 0x4
	s_load_dword s5, s[2:3], 0xc
	s_load_dwordx2 s[8:9], s[0:1], 0x0
	s_add_u32 s2, s2, 12
	s_addc_u32 s3, s3, 0
	s_waitcnt lgkmcnt(0)
	v_mul_hi_u32 v3, s7, v1
	s_add_u32 s0, s0, 8
	s_addc_u32 s1, s1, 0
	s_add_i32 s4, s4, -1
	v_add_u32_e32 v3, v1, v3
	v_lshrrev_b32_e32 v4, s5, v3
	v_mul_lo_u32 v3, v4, s6
	s_cmp_lg_u32 s4, 0
	v_sub_u32_e32 v3, v1, v3
	v_mad_u64_u32 v[0:1], s[6:7], v3, s8, v[0:1]
	v_mad_u64_u32 v[2:3], s[6:7], v3, s9, v[2:3]
	v_mov_b32_e32 v1, v4
	s_cbranch_scc1 .LBB85_105
.LBB85_106:
	s_cbranch_execnz .LBB85_109
.LBB85_107:
	s_waitcnt lgkmcnt(0)
	v_mul_hi_u32 v0, s25, v15
	s_andn2_b64 vcc, exec, s[44:45]
	v_add_u32_e32 v0, v15, v0
	v_lshrrev_b32_e32 v1, s26, v0
	v_mul_lo_u32 v0, v1, s24
	v_sub_u32_e32 v2, v15, v0
	v_mul_lo_u32 v0, v2, s20
	v_mul_lo_u32 v2, v2, s21
	s_cbranch_vccnz .LBB85_109
; %bb.108:
	v_mul_hi_u32 v3, s42, v1
	v_add_u32_e32 v3, v1, v3
	v_lshrrev_b32_e32 v3, s43, v3
	v_mul_lo_u32 v3, v3, s27
	v_sub_u32_e32 v3, v1, v3
	v_mad_u64_u32 v[0:1], s[0:1], v3, s22, v[0:1]
	v_mad_u64_u32 v[2:3], s[0:1], v3, s23, v[2:3]
.LBB85_109:
	s_waitcnt lgkmcnt(0)
	global_load_dwordx2 v[1:2], v2, s[18:19]
	s_cmp_lt_i32 s57, 1
	s_mov_b64 s[0:1], 0
	s_cbranch_scc1 .LBB85_113
; %bb.110:
	s_cmp_gt_i32 s57, 1
	s_cbranch_scc0 .LBB85_114
; %bb.111:
	s_cmp_eq_u32 s57, 2
	s_cbranch_scc0 .LBB85_473
; %bb.112:
	s_waitcnt vmcnt(0)
	v_cmp_ge_f64_e64 s[2:3], s[40:41], v[1:2]
	s_mov_b64 s[4:5], 0
	s_branch .LBB85_116
.LBB85_113:
                                        ; implicit-def: $sgpr2_sgpr3
	s_mov_b64 s[4:5], 0
	s_cbranch_execnz .LBB85_117
	s_branch .LBB85_118
.LBB85_114:
	s_mov_b64 s[4:5], 0
                                        ; implicit-def: $sgpr2_sgpr3
	s_cbranch_execz .LBB85_116
; %bb.115:
	s_waitcnt vmcnt(0)
	v_cmp_lt_f64_e32 vcc, s[40:41], v[1:2]
	s_andn2_b64 s[2:3], s[2:3], exec
	s_and_b64 s[6:7], vcc, exec
	s_or_b64 s[2:3], s[2:3], s[6:7]
.LBB85_116:
	s_branch .LBB85_118
.LBB85_117:
	s_cmp_lg_u32 s57, 0
	s_mov_b64 s[0:1], -1
	s_cselect_b64 s[4:5], -1, 0
.LBB85_118:
	s_andn2_b64 vcc, exec, s[4:5]
	s_cbranch_vccz .LBB85_127
; %bb.119:
	s_andn2_b64 vcc, exec, s[0:1]
	s_cbranch_vccnz .LBB85_121
.LBB85_120:
	s_waitcnt vmcnt(0)
	v_cmp_le_f64_e32 vcc, s[40:41], v[1:2]
	s_andn2_b64 s[0:1], s[2:3], exec
	s_and_b64 s[2:3], vcc, exec
	s_or_b64 s[2:3], s[0:1], s[2:3]
.LBB85_121:
	s_waitcnt vmcnt(0)
	v_cndmask_b32_e64 v1, 0, 1, s[2:3]
	v_add_u32_e32 v15, 0x80, v15
	global_store_byte v0, v1, s[16:17]
	s_or_b64 exec, exec, s[50:51]
	v_cmp_gt_i32_e32 vcc, s58, v15
	s_and_saveexec_b64 s[50:51], vcc
	s_cbranch_execz .LBB85_6
.LBB85_122:
	s_andn2_b64 vcc, exec, s[36:37]
	s_cbranch_vccnz .LBB85_128
; %bb.123:
	s_andn2_b64 vcc, exec, s[48:49]
	s_cbranch_vccnz .LBB85_129
; %bb.124:
	s_add_i32 s61, s59, 1
	s_cmp_eq_u32 s56, 2
	s_cbranch_scc1 .LBB85_130
; %bb.125:
	s_and_b32 s60, s61, 28
	v_mov_b32_e32 v2, 0
	s_mov_b32 s62, 0
	s_mov_b64 s[52:53], s[34:35]
	s_mov_b64 s[54:55], s[46:47]
	v_mov_b32_e32 v0, 0
	v_mov_b32_e32 v1, v15
.LBB85_126:                             ; =>This Inner Loop Header: Depth=1
	s_load_dwordx8 s[8:15], s[52:53], 0x4
	s_load_dwordx4 s[28:31], s[52:53], 0x24
	s_load_dwordx8 s[0:7], s[54:55], 0x0
	s_add_u32 s52, s52, 48
	s_addc_u32 s53, s53, 0
	s_waitcnt lgkmcnt(0)
	v_mul_hi_u32 v3, s9, v1
	s_add_i32 s62, s62, 4
	s_add_u32 s54, s54, 32
	s_addc_u32 s55, s55, 0
	v_add_u32_e32 v3, v1, v3
	v_lshrrev_b32_e32 v3, s10, v3
	v_mul_lo_u32 v4, v3, s8
	v_mul_hi_u32 v5, s12, v3
	s_cmp_eq_u32 s60, s62
	v_sub_u32_e32 v1, v1, v4
	v_add_u32_e32 v4, v3, v5
	v_mul_lo_u32 v5, v1, s0
	v_mul_lo_u32 v6, v1, s1
	v_lshrrev_b32_e32 v1, s13, v4
	v_mul_lo_u32 v4, v1, s11
	v_mul_hi_u32 v7, s15, v1
	v_sub_u32_e32 v3, v3, v4
	v_add_u32_e32 v4, v1, v7
	v_lshrrev_b32_e32 v4, s28, v4
	v_mul_hi_u32 v8, s30, v4
	v_mul_lo_u32 v9, v4, s14
	v_mul_lo_u32 v7, v3, s2
	v_mul_lo_u32 v3, v3, s3
	v_sub_u32_e32 v9, v1, v9
	v_add_u32_e32 v1, v4, v8
	v_lshrrev_b32_e32 v1, s31, v1
	v_mul_lo_u32 v8, v1, s29
	v_mul_lo_u32 v10, v9, s4
	;; [unrolled: 1-line block ×3, first 2 shown]
	v_add3_u32 v0, v5, v0, v7
	v_sub_u32_e32 v4, v4, v8
	v_mul_lo_u32 v8, v4, s6
	v_mul_lo_u32 v4, v4, s7
	v_add3_u32 v2, v6, v2, v3
	v_add3_u32 v0, v10, v0, v8
	;; [unrolled: 1-line block ×3, first 2 shown]
	s_cbranch_scc0 .LBB85_126
	s_branch .LBB85_131
.LBB85_127:
	s_waitcnt vmcnt(0)
	v_cmp_gt_f64_e32 vcc, s[40:41], v[1:2]
	s_andn2_b64 s[2:3], s[2:3], exec
	s_and_b64 s[4:5], vcc, exec
	s_or_b64 s[2:3], s[2:3], s[4:5]
	s_cbranch_execz .LBB85_120
	s_branch .LBB85_121
.LBB85_128:
                                        ; implicit-def: $vgpr0
                                        ; implicit-def: $vgpr2
	s_branch .LBB85_135
.LBB85_129:
	v_mov_b32_e32 v0, 0
	v_mov_b32_e32 v2, 0
	s_branch .LBB85_134
.LBB85_130:
	s_mov_b32 s60, 0
	v_mov_b32_e32 v0, 0
	v_mov_b32_e32 v2, 0
	;; [unrolled: 1-line block ×3, first 2 shown]
.LBB85_131:
	s_and_b32 s4, s61, 3
	s_cmp_eq_u32 s4, 0
	s_cbranch_scc1 .LBB85_134
; %bb.132:
	s_lshl_b32 s0, s60, 3
	s_add_u32 s0, s34, s0
	s_addc_u32 s1, s35, 0
	s_add_u32 s0, s0, 0xc4
	s_addc_u32 s1, s1, 0
	s_mul_i32 s2, s60, 12
	s_add_u32 s2, s34, s2
	s_addc_u32 s3, s35, 0
.LBB85_133:                             ; =>This Inner Loop Header: Depth=1
	s_load_dwordx2 s[6:7], s[2:3], 0x4
	s_load_dword s5, s[2:3], 0xc
	s_load_dwordx2 s[8:9], s[0:1], 0x0
	s_add_u32 s2, s2, 12
	s_addc_u32 s3, s3, 0
	s_waitcnt lgkmcnt(0)
	v_mul_hi_u32 v3, s7, v1
	s_add_u32 s0, s0, 8
	s_addc_u32 s1, s1, 0
	s_add_i32 s4, s4, -1
	v_add_u32_e32 v3, v1, v3
	v_lshrrev_b32_e32 v4, s5, v3
	v_mul_lo_u32 v3, v4, s6
	s_cmp_lg_u32 s4, 0
	v_sub_u32_e32 v3, v1, v3
	v_mad_u64_u32 v[0:1], s[6:7], v3, s8, v[0:1]
	v_mad_u64_u32 v[2:3], s[6:7], v3, s9, v[2:3]
	v_mov_b32_e32 v1, v4
	s_cbranch_scc1 .LBB85_133
.LBB85_134:
	s_cbranch_execnz .LBB85_137
.LBB85_135:
	s_waitcnt lgkmcnt(0)
	v_mul_hi_u32 v0, s25, v15
	s_andn2_b64 vcc, exec, s[44:45]
	v_add_u32_e32 v0, v15, v0
	v_lshrrev_b32_e32 v1, s26, v0
	v_mul_lo_u32 v0, v1, s24
	v_sub_u32_e32 v2, v15, v0
	v_mul_lo_u32 v0, v2, s20
	v_mul_lo_u32 v2, v2, s21
	s_cbranch_vccnz .LBB85_137
; %bb.136:
	v_mul_hi_u32 v3, s42, v1
	v_add_u32_e32 v3, v1, v3
	v_lshrrev_b32_e32 v3, s43, v3
	v_mul_lo_u32 v3, v3, s27
	v_sub_u32_e32 v3, v1, v3
	v_mad_u64_u32 v[0:1], s[0:1], v3, s22, v[0:1]
	v_mad_u64_u32 v[2:3], s[0:1], v3, s23, v[2:3]
.LBB85_137:
	s_waitcnt lgkmcnt(0)
	global_load_dwordx2 v[1:2], v2, s[18:19]
	s_cmp_lt_i32 s57, 1
	s_mov_b64 s[0:1], 0
	s_cbranch_scc1 .LBB85_141
; %bb.138:
	s_cmp_gt_i32 s57, 1
	s_cbranch_scc0 .LBB85_142
; %bb.139:
	s_cmp_eq_u32 s57, 2
	s_cbranch_scc0 .LBB85_474
; %bb.140:
	s_waitcnt vmcnt(0)
	v_cmp_ge_f64_e64 s[2:3], s[40:41], v[1:2]
	s_mov_b64 s[4:5], 0
	s_branch .LBB85_144
.LBB85_141:
                                        ; implicit-def: $sgpr2_sgpr3
	s_mov_b64 s[4:5], 0
	s_cbranch_execnz .LBB85_145
	s_branch .LBB85_146
.LBB85_142:
	s_mov_b64 s[4:5], 0
                                        ; implicit-def: $sgpr2_sgpr3
	s_cbranch_execz .LBB85_144
; %bb.143:
	s_waitcnt vmcnt(0)
	v_cmp_lt_f64_e32 vcc, s[40:41], v[1:2]
	s_andn2_b64 s[2:3], s[2:3], exec
	s_and_b64 s[6:7], vcc, exec
	s_or_b64 s[2:3], s[2:3], s[6:7]
.LBB85_144:
	s_branch .LBB85_146
.LBB85_145:
	s_cmp_lg_u32 s57, 0
	s_mov_b64 s[0:1], -1
	s_cselect_b64 s[4:5], -1, 0
.LBB85_146:
	s_andn2_b64 vcc, exec, s[4:5]
	s_cbranch_vccz .LBB85_155
; %bb.147:
	s_andn2_b64 vcc, exec, s[0:1]
	s_cbranch_vccnz .LBB85_149
.LBB85_148:
	s_waitcnt vmcnt(0)
	v_cmp_le_f64_e32 vcc, s[40:41], v[1:2]
	s_andn2_b64 s[0:1], s[2:3], exec
	s_and_b64 s[2:3], vcc, exec
	s_or_b64 s[2:3], s[0:1], s[2:3]
.LBB85_149:
	s_waitcnt vmcnt(0)
	v_cndmask_b32_e64 v1, 0, 1, s[2:3]
	v_add_u32_e32 v15, 0x80, v15
	global_store_byte v0, v1, s[16:17]
	s_or_b64 exec, exec, s[50:51]
	v_cmp_gt_i32_e32 vcc, s58, v15
	s_and_saveexec_b64 s[50:51], vcc
	s_cbranch_execz .LBB85_7
.LBB85_150:
	s_andn2_b64 vcc, exec, s[36:37]
	s_cbranch_vccnz .LBB85_156
; %bb.151:
	s_andn2_b64 vcc, exec, s[48:49]
	s_cbranch_vccnz .LBB85_157
; %bb.152:
	s_add_i32 s61, s59, 1
	s_cmp_eq_u32 s56, 2
	s_cbranch_scc1 .LBB85_158
; %bb.153:
	s_and_b32 s60, s61, 28
	v_mov_b32_e32 v2, 0
	s_mov_b32 s62, 0
	s_mov_b64 s[52:53], s[34:35]
	s_mov_b64 s[54:55], s[46:47]
	v_mov_b32_e32 v0, 0
	v_mov_b32_e32 v1, v15
.LBB85_154:                             ; =>This Inner Loop Header: Depth=1
	s_load_dwordx8 s[8:15], s[52:53], 0x4
	s_load_dwordx4 s[28:31], s[52:53], 0x24
	s_load_dwordx8 s[0:7], s[54:55], 0x0
	s_add_u32 s52, s52, 48
	s_addc_u32 s53, s53, 0
	s_waitcnt lgkmcnt(0)
	v_mul_hi_u32 v3, s9, v1
	s_add_i32 s62, s62, 4
	s_add_u32 s54, s54, 32
	s_addc_u32 s55, s55, 0
	v_add_u32_e32 v3, v1, v3
	v_lshrrev_b32_e32 v3, s10, v3
	v_mul_lo_u32 v4, v3, s8
	v_mul_hi_u32 v5, s12, v3
	s_cmp_eq_u32 s60, s62
	v_sub_u32_e32 v1, v1, v4
	v_add_u32_e32 v4, v3, v5
	v_mul_lo_u32 v5, v1, s0
	v_mul_lo_u32 v6, v1, s1
	v_lshrrev_b32_e32 v1, s13, v4
	v_mul_lo_u32 v4, v1, s11
	v_mul_hi_u32 v7, s15, v1
	v_sub_u32_e32 v3, v3, v4
	v_add_u32_e32 v4, v1, v7
	v_lshrrev_b32_e32 v4, s28, v4
	v_mul_hi_u32 v8, s30, v4
	v_mul_lo_u32 v9, v4, s14
	v_mul_lo_u32 v7, v3, s2
	;; [unrolled: 1-line block ×3, first 2 shown]
	v_sub_u32_e32 v9, v1, v9
	v_add_u32_e32 v1, v4, v8
	v_lshrrev_b32_e32 v1, s31, v1
	v_mul_lo_u32 v8, v1, s29
	v_mul_lo_u32 v10, v9, s4
	;; [unrolled: 1-line block ×3, first 2 shown]
	v_add3_u32 v0, v5, v0, v7
	v_sub_u32_e32 v4, v4, v8
	v_mul_lo_u32 v8, v4, s6
	v_mul_lo_u32 v4, v4, s7
	v_add3_u32 v2, v6, v2, v3
	v_add3_u32 v0, v10, v0, v8
	;; [unrolled: 1-line block ×3, first 2 shown]
	s_cbranch_scc0 .LBB85_154
	s_branch .LBB85_159
.LBB85_155:
	s_waitcnt vmcnt(0)
	v_cmp_gt_f64_e32 vcc, s[40:41], v[1:2]
	s_andn2_b64 s[2:3], s[2:3], exec
	s_and_b64 s[4:5], vcc, exec
	s_or_b64 s[2:3], s[2:3], s[4:5]
	s_cbranch_execz .LBB85_148
	s_branch .LBB85_149
.LBB85_156:
                                        ; implicit-def: $vgpr0
                                        ; implicit-def: $vgpr2
	s_branch .LBB85_163
.LBB85_157:
	v_mov_b32_e32 v0, 0
	v_mov_b32_e32 v2, 0
	s_branch .LBB85_162
.LBB85_158:
	s_mov_b32 s60, 0
	v_mov_b32_e32 v0, 0
	v_mov_b32_e32 v2, 0
	;; [unrolled: 1-line block ×3, first 2 shown]
.LBB85_159:
	s_and_b32 s4, s61, 3
	s_cmp_eq_u32 s4, 0
	s_cbranch_scc1 .LBB85_162
; %bb.160:
	s_lshl_b32 s0, s60, 3
	s_add_u32 s0, s34, s0
	s_addc_u32 s1, s35, 0
	s_add_u32 s0, s0, 0xc4
	s_addc_u32 s1, s1, 0
	s_mul_i32 s2, s60, 12
	s_add_u32 s2, s34, s2
	s_addc_u32 s3, s35, 0
.LBB85_161:                             ; =>This Inner Loop Header: Depth=1
	s_load_dwordx2 s[6:7], s[2:3], 0x4
	s_load_dword s5, s[2:3], 0xc
	s_load_dwordx2 s[8:9], s[0:1], 0x0
	s_add_u32 s2, s2, 12
	s_addc_u32 s3, s3, 0
	s_waitcnt lgkmcnt(0)
	v_mul_hi_u32 v3, s7, v1
	s_add_u32 s0, s0, 8
	s_addc_u32 s1, s1, 0
	s_add_i32 s4, s4, -1
	v_add_u32_e32 v3, v1, v3
	v_lshrrev_b32_e32 v4, s5, v3
	v_mul_lo_u32 v3, v4, s6
	s_cmp_lg_u32 s4, 0
	v_sub_u32_e32 v3, v1, v3
	v_mad_u64_u32 v[0:1], s[6:7], v3, s8, v[0:1]
	v_mad_u64_u32 v[2:3], s[6:7], v3, s9, v[2:3]
	v_mov_b32_e32 v1, v4
	s_cbranch_scc1 .LBB85_161
.LBB85_162:
	s_cbranch_execnz .LBB85_165
.LBB85_163:
	s_waitcnt lgkmcnt(0)
	v_mul_hi_u32 v0, s25, v15
	s_andn2_b64 vcc, exec, s[44:45]
	v_add_u32_e32 v0, v15, v0
	v_lshrrev_b32_e32 v1, s26, v0
	v_mul_lo_u32 v0, v1, s24
	v_sub_u32_e32 v2, v15, v0
	v_mul_lo_u32 v0, v2, s20
	v_mul_lo_u32 v2, v2, s21
	s_cbranch_vccnz .LBB85_165
; %bb.164:
	v_mul_hi_u32 v3, s42, v1
	v_add_u32_e32 v3, v1, v3
	v_lshrrev_b32_e32 v3, s43, v3
	v_mul_lo_u32 v3, v3, s27
	v_sub_u32_e32 v3, v1, v3
	v_mad_u64_u32 v[0:1], s[0:1], v3, s22, v[0:1]
	v_mad_u64_u32 v[2:3], s[0:1], v3, s23, v[2:3]
.LBB85_165:
	s_waitcnt lgkmcnt(0)
	global_load_dwordx2 v[1:2], v2, s[18:19]
	s_cmp_lt_i32 s57, 1
	s_mov_b64 s[0:1], 0
	s_cbranch_scc1 .LBB85_169
; %bb.166:
	s_cmp_gt_i32 s57, 1
	s_cbranch_scc0 .LBB85_170
; %bb.167:
	s_cmp_eq_u32 s57, 2
	s_cbranch_scc0 .LBB85_475
; %bb.168:
	s_waitcnt vmcnt(0)
	v_cmp_ge_f64_e64 s[2:3], s[40:41], v[1:2]
	s_mov_b64 s[4:5], 0
	s_branch .LBB85_172
.LBB85_169:
                                        ; implicit-def: $sgpr2_sgpr3
	s_mov_b64 s[4:5], 0
	s_cbranch_execnz .LBB85_173
	s_branch .LBB85_174
.LBB85_170:
	s_mov_b64 s[4:5], 0
                                        ; implicit-def: $sgpr2_sgpr3
	s_cbranch_execz .LBB85_172
; %bb.171:
	s_waitcnt vmcnt(0)
	v_cmp_lt_f64_e32 vcc, s[40:41], v[1:2]
	s_andn2_b64 s[2:3], s[2:3], exec
	s_and_b64 s[6:7], vcc, exec
	s_or_b64 s[2:3], s[2:3], s[6:7]
.LBB85_172:
	s_branch .LBB85_174
.LBB85_173:
	s_cmp_lg_u32 s57, 0
	s_mov_b64 s[0:1], -1
	s_cselect_b64 s[4:5], -1, 0
.LBB85_174:
	s_andn2_b64 vcc, exec, s[4:5]
	s_cbranch_vccz .LBB85_183
; %bb.175:
	s_andn2_b64 vcc, exec, s[0:1]
	s_cbranch_vccnz .LBB85_177
.LBB85_176:
	s_waitcnt vmcnt(0)
	v_cmp_le_f64_e32 vcc, s[40:41], v[1:2]
	s_andn2_b64 s[0:1], s[2:3], exec
	s_and_b64 s[2:3], vcc, exec
	s_or_b64 s[2:3], s[0:1], s[2:3]
.LBB85_177:
	s_waitcnt vmcnt(0)
	v_cndmask_b32_e64 v1, 0, 1, s[2:3]
	v_add_u32_e32 v15, 0x80, v15
	global_store_byte v0, v1, s[16:17]
	s_or_b64 exec, exec, s[50:51]
	v_cmp_gt_i32_e32 vcc, s58, v15
	s_and_saveexec_b64 s[50:51], vcc
	s_cbranch_execz .LBB85_8
.LBB85_178:
	s_andn2_b64 vcc, exec, s[36:37]
	s_cbranch_vccnz .LBB85_184
; %bb.179:
	s_andn2_b64 vcc, exec, s[48:49]
	s_cbranch_vccnz .LBB85_185
; %bb.180:
	s_add_i32 s61, s59, 1
	s_cmp_eq_u32 s56, 2
	s_cbranch_scc1 .LBB85_186
; %bb.181:
	s_and_b32 s60, s61, 28
	v_mov_b32_e32 v2, 0
	s_mov_b32 s62, 0
	s_mov_b64 s[52:53], s[34:35]
	s_mov_b64 s[54:55], s[46:47]
	v_mov_b32_e32 v0, 0
	v_mov_b32_e32 v1, v15
.LBB85_182:                             ; =>This Inner Loop Header: Depth=1
	s_load_dwordx8 s[8:15], s[52:53], 0x4
	s_load_dwordx4 s[28:31], s[52:53], 0x24
	s_load_dwordx8 s[0:7], s[54:55], 0x0
	s_add_u32 s52, s52, 48
	s_addc_u32 s53, s53, 0
	s_waitcnt lgkmcnt(0)
	v_mul_hi_u32 v3, s9, v1
	s_add_i32 s62, s62, 4
	s_add_u32 s54, s54, 32
	s_addc_u32 s55, s55, 0
	v_add_u32_e32 v3, v1, v3
	v_lshrrev_b32_e32 v3, s10, v3
	v_mul_lo_u32 v4, v3, s8
	v_mul_hi_u32 v5, s12, v3
	s_cmp_eq_u32 s60, s62
	v_sub_u32_e32 v1, v1, v4
	v_add_u32_e32 v4, v3, v5
	v_mul_lo_u32 v5, v1, s0
	v_mul_lo_u32 v6, v1, s1
	v_lshrrev_b32_e32 v1, s13, v4
	v_mul_lo_u32 v4, v1, s11
	v_mul_hi_u32 v7, s15, v1
	v_sub_u32_e32 v3, v3, v4
	v_add_u32_e32 v4, v1, v7
	v_lshrrev_b32_e32 v4, s28, v4
	v_mul_hi_u32 v8, s30, v4
	v_mul_lo_u32 v9, v4, s14
	v_mul_lo_u32 v7, v3, s2
	v_mul_lo_u32 v3, v3, s3
	v_sub_u32_e32 v9, v1, v9
	v_add_u32_e32 v1, v4, v8
	v_lshrrev_b32_e32 v1, s31, v1
	v_mul_lo_u32 v8, v1, s29
	v_mul_lo_u32 v10, v9, s4
	;; [unrolled: 1-line block ×3, first 2 shown]
	v_add3_u32 v0, v5, v0, v7
	v_sub_u32_e32 v4, v4, v8
	v_mul_lo_u32 v8, v4, s6
	v_mul_lo_u32 v4, v4, s7
	v_add3_u32 v2, v6, v2, v3
	v_add3_u32 v0, v10, v0, v8
	v_add3_u32 v2, v9, v2, v4
	s_cbranch_scc0 .LBB85_182
	s_branch .LBB85_187
.LBB85_183:
	s_waitcnt vmcnt(0)
	v_cmp_gt_f64_e32 vcc, s[40:41], v[1:2]
	s_andn2_b64 s[2:3], s[2:3], exec
	s_and_b64 s[4:5], vcc, exec
	s_or_b64 s[2:3], s[2:3], s[4:5]
	s_cbranch_execz .LBB85_176
	s_branch .LBB85_177
.LBB85_184:
                                        ; implicit-def: $vgpr0
                                        ; implicit-def: $vgpr2
	s_branch .LBB85_191
.LBB85_185:
	v_mov_b32_e32 v0, 0
	v_mov_b32_e32 v2, 0
	s_branch .LBB85_190
.LBB85_186:
	s_mov_b32 s60, 0
	v_mov_b32_e32 v0, 0
	v_mov_b32_e32 v2, 0
	;; [unrolled: 1-line block ×3, first 2 shown]
.LBB85_187:
	s_and_b32 s4, s61, 3
	s_cmp_eq_u32 s4, 0
	s_cbranch_scc1 .LBB85_190
; %bb.188:
	s_lshl_b32 s0, s60, 3
	s_add_u32 s0, s34, s0
	s_addc_u32 s1, s35, 0
	s_add_u32 s0, s0, 0xc4
	s_addc_u32 s1, s1, 0
	s_mul_i32 s2, s60, 12
	s_add_u32 s2, s34, s2
	s_addc_u32 s3, s35, 0
.LBB85_189:                             ; =>This Inner Loop Header: Depth=1
	s_load_dwordx2 s[6:7], s[2:3], 0x4
	s_load_dword s5, s[2:3], 0xc
	s_load_dwordx2 s[8:9], s[0:1], 0x0
	s_add_u32 s2, s2, 12
	s_addc_u32 s3, s3, 0
	s_waitcnt lgkmcnt(0)
	v_mul_hi_u32 v3, s7, v1
	s_add_u32 s0, s0, 8
	s_addc_u32 s1, s1, 0
	s_add_i32 s4, s4, -1
	v_add_u32_e32 v3, v1, v3
	v_lshrrev_b32_e32 v4, s5, v3
	v_mul_lo_u32 v3, v4, s6
	s_cmp_lg_u32 s4, 0
	v_sub_u32_e32 v3, v1, v3
	v_mad_u64_u32 v[0:1], s[6:7], v3, s8, v[0:1]
	v_mad_u64_u32 v[2:3], s[6:7], v3, s9, v[2:3]
	v_mov_b32_e32 v1, v4
	s_cbranch_scc1 .LBB85_189
.LBB85_190:
	s_cbranch_execnz .LBB85_193
.LBB85_191:
	s_waitcnt lgkmcnt(0)
	v_mul_hi_u32 v0, s25, v15
	s_andn2_b64 vcc, exec, s[44:45]
	v_add_u32_e32 v0, v15, v0
	v_lshrrev_b32_e32 v1, s26, v0
	v_mul_lo_u32 v0, v1, s24
	v_sub_u32_e32 v2, v15, v0
	v_mul_lo_u32 v0, v2, s20
	v_mul_lo_u32 v2, v2, s21
	s_cbranch_vccnz .LBB85_193
; %bb.192:
	v_mul_hi_u32 v3, s42, v1
	v_add_u32_e32 v3, v1, v3
	v_lshrrev_b32_e32 v3, s43, v3
	v_mul_lo_u32 v3, v3, s27
	v_sub_u32_e32 v3, v1, v3
	v_mad_u64_u32 v[0:1], s[0:1], v3, s22, v[0:1]
	v_mad_u64_u32 v[2:3], s[0:1], v3, s23, v[2:3]
.LBB85_193:
	s_waitcnt lgkmcnt(0)
	global_load_dwordx2 v[1:2], v2, s[18:19]
	s_cmp_lt_i32 s57, 1
	s_mov_b64 s[0:1], 0
	s_cbranch_scc1 .LBB85_197
; %bb.194:
	s_cmp_gt_i32 s57, 1
	s_cbranch_scc0 .LBB85_198
; %bb.195:
	s_cmp_eq_u32 s57, 2
	s_cbranch_scc0 .LBB85_476
; %bb.196:
	s_waitcnt vmcnt(0)
	v_cmp_ge_f64_e64 s[2:3], s[40:41], v[1:2]
	s_mov_b64 s[4:5], 0
	s_branch .LBB85_200
.LBB85_197:
                                        ; implicit-def: $sgpr2_sgpr3
	s_mov_b64 s[4:5], 0
	s_cbranch_execnz .LBB85_201
	s_branch .LBB85_202
.LBB85_198:
	s_mov_b64 s[4:5], 0
                                        ; implicit-def: $sgpr2_sgpr3
	s_cbranch_execz .LBB85_200
; %bb.199:
	s_waitcnt vmcnt(0)
	v_cmp_lt_f64_e32 vcc, s[40:41], v[1:2]
	s_andn2_b64 s[2:3], s[2:3], exec
	s_and_b64 s[6:7], vcc, exec
	s_or_b64 s[2:3], s[2:3], s[6:7]
.LBB85_200:
	s_branch .LBB85_202
.LBB85_201:
	s_cmp_lg_u32 s57, 0
	s_mov_b64 s[0:1], -1
	s_cselect_b64 s[4:5], -1, 0
.LBB85_202:
	s_andn2_b64 vcc, exec, s[4:5]
	s_cbranch_vccz .LBB85_211
; %bb.203:
	s_andn2_b64 vcc, exec, s[0:1]
	s_cbranch_vccnz .LBB85_205
.LBB85_204:
	s_waitcnt vmcnt(0)
	v_cmp_le_f64_e32 vcc, s[40:41], v[1:2]
	s_andn2_b64 s[0:1], s[2:3], exec
	s_and_b64 s[2:3], vcc, exec
	s_or_b64 s[2:3], s[0:1], s[2:3]
.LBB85_205:
	s_waitcnt vmcnt(0)
	v_cndmask_b32_e64 v1, 0, 1, s[2:3]
	v_add_u32_e32 v15, 0x80, v15
	global_store_byte v0, v1, s[16:17]
	s_or_b64 exec, exec, s[50:51]
	v_cmp_gt_i32_e32 vcc, s58, v15
	s_and_saveexec_b64 s[50:51], vcc
	s_cbranch_execz .LBB85_234
.LBB85_206:
	s_andn2_b64 vcc, exec, s[36:37]
	s_cbranch_vccnz .LBB85_212
; %bb.207:
	s_andn2_b64 vcc, exec, s[48:49]
	s_cbranch_vccnz .LBB85_213
; %bb.208:
	s_add_i32 s59, s59, 1
	s_cmp_eq_u32 s56, 2
	s_cbranch_scc1 .LBB85_214
; %bb.209:
	s_and_b32 s52, s59, 28
	v_mov_b32_e32 v2, 0
	s_mov_b32 s53, 0
	s_mov_b64 s[48:49], s[34:35]
	v_mov_b32_e32 v0, 0
	v_mov_b32_e32 v1, v15
.LBB85_210:                             ; =>This Inner Loop Header: Depth=1
	s_load_dwordx8 s[8:15], s[48:49], 0x4
	s_load_dwordx4 s[28:31], s[48:49], 0x24
	s_load_dwordx8 s[0:7], s[46:47], 0x0
	s_add_u32 s48, s48, 48
	s_addc_u32 s49, s49, 0
	s_waitcnt lgkmcnt(0)
	v_mul_hi_u32 v3, s9, v1
	s_add_i32 s53, s53, 4
	s_add_u32 s46, s46, 32
	s_addc_u32 s47, s47, 0
	v_add_u32_e32 v3, v1, v3
	v_lshrrev_b32_e32 v3, s10, v3
	v_mul_lo_u32 v4, v3, s8
	v_mul_hi_u32 v5, s12, v3
	s_cmp_eq_u32 s52, s53
	v_sub_u32_e32 v1, v1, v4
	v_add_u32_e32 v4, v3, v5
	v_mul_lo_u32 v5, v1, s0
	v_mul_lo_u32 v6, v1, s1
	v_lshrrev_b32_e32 v1, s13, v4
	v_mul_lo_u32 v4, v1, s11
	v_mul_hi_u32 v7, s15, v1
	v_sub_u32_e32 v3, v3, v4
	v_add_u32_e32 v4, v1, v7
	v_lshrrev_b32_e32 v4, s28, v4
	v_mul_hi_u32 v8, s30, v4
	v_mul_lo_u32 v9, v4, s14
	v_mul_lo_u32 v7, v3, s2
	;; [unrolled: 1-line block ×3, first 2 shown]
	v_sub_u32_e32 v9, v1, v9
	v_add_u32_e32 v1, v4, v8
	v_lshrrev_b32_e32 v1, s31, v1
	v_mul_lo_u32 v8, v1, s29
	v_mul_lo_u32 v10, v9, s4
	;; [unrolled: 1-line block ×3, first 2 shown]
	v_add3_u32 v0, v5, v0, v7
	v_sub_u32_e32 v4, v4, v8
	v_mul_lo_u32 v8, v4, s6
	v_mul_lo_u32 v4, v4, s7
	v_add3_u32 v2, v6, v2, v3
	v_add3_u32 v0, v10, v0, v8
	;; [unrolled: 1-line block ×3, first 2 shown]
	s_cbranch_scc0 .LBB85_210
	s_branch .LBB85_215
.LBB85_211:
	s_waitcnt vmcnt(0)
	v_cmp_gt_f64_e32 vcc, s[40:41], v[1:2]
	s_andn2_b64 s[2:3], s[2:3], exec
	s_and_b64 s[4:5], vcc, exec
	s_or_b64 s[2:3], s[2:3], s[4:5]
	s_cbranch_execz .LBB85_204
	s_branch .LBB85_205
.LBB85_212:
                                        ; implicit-def: $vgpr0
                                        ; implicit-def: $vgpr2
	s_branch .LBB85_219
.LBB85_213:
	v_mov_b32_e32 v0, 0
	v_mov_b32_e32 v2, 0
	s_branch .LBB85_218
.LBB85_214:
	s_mov_b32 s52, 0
	v_mov_b32_e32 v0, 0
	v_mov_b32_e32 v2, 0
	;; [unrolled: 1-line block ×3, first 2 shown]
.LBB85_215:
	s_and_b32 s4, s59, 3
	s_cmp_eq_u32 s4, 0
	s_cbranch_scc1 .LBB85_218
; %bb.216:
	s_lshl_b32 s0, s52, 3
	s_add_u32 s0, s34, s0
	s_addc_u32 s1, s35, 0
	s_add_u32 s0, s0, 0xc4
	s_addc_u32 s1, s1, 0
	s_mul_i32 s2, s52, 12
	s_add_u32 s2, s34, s2
	s_addc_u32 s3, s35, 0
.LBB85_217:                             ; =>This Inner Loop Header: Depth=1
	s_load_dwordx2 s[6:7], s[2:3], 0x4
	s_load_dword s5, s[2:3], 0xc
	s_load_dwordx2 s[8:9], s[0:1], 0x0
	s_add_u32 s2, s2, 12
	s_addc_u32 s3, s3, 0
	s_waitcnt lgkmcnt(0)
	v_mul_hi_u32 v3, s7, v1
	s_add_u32 s0, s0, 8
	s_addc_u32 s1, s1, 0
	s_add_i32 s4, s4, -1
	v_add_u32_e32 v3, v1, v3
	v_lshrrev_b32_e32 v4, s5, v3
	v_mul_lo_u32 v3, v4, s6
	s_cmp_lg_u32 s4, 0
	v_sub_u32_e32 v3, v1, v3
	v_mad_u64_u32 v[0:1], s[6:7], v3, s8, v[0:1]
	v_mad_u64_u32 v[2:3], s[6:7], v3, s9, v[2:3]
	v_mov_b32_e32 v1, v4
	s_cbranch_scc1 .LBB85_217
.LBB85_218:
	s_cbranch_execnz .LBB85_221
.LBB85_219:
	s_waitcnt lgkmcnt(0)
	v_mul_hi_u32 v0, s25, v15
	s_andn2_b64 vcc, exec, s[44:45]
	v_add_u32_e32 v0, v15, v0
	v_lshrrev_b32_e32 v1, s26, v0
	v_mul_lo_u32 v0, v1, s24
	v_sub_u32_e32 v2, v15, v0
	v_mul_lo_u32 v0, v2, s20
	v_mul_lo_u32 v2, v2, s21
	s_cbranch_vccnz .LBB85_221
; %bb.220:
	v_mul_hi_u32 v3, s42, v1
	v_add_u32_e32 v3, v1, v3
	v_lshrrev_b32_e32 v3, s43, v3
	v_mul_lo_u32 v3, v3, s27
	v_sub_u32_e32 v3, v1, v3
	v_mad_u64_u32 v[0:1], s[0:1], v3, s22, v[0:1]
	v_mad_u64_u32 v[2:3], s[0:1], v3, s23, v[2:3]
.LBB85_221:
	s_waitcnt lgkmcnt(0)
	global_load_dwordx2 v[1:2], v2, s[18:19]
	s_cmp_lt_i32 s57, 1
	s_mov_b64 s[0:1], 0
	s_cbranch_scc1 .LBB85_225
; %bb.222:
	s_cmp_gt_i32 s57, 1
	s_cbranch_scc0 .LBB85_226
; %bb.223:
	s_cmp_eq_u32 s57, 2
	s_cbranch_scc0 .LBB85_477
; %bb.224:
	s_waitcnt vmcnt(0)
	v_cmp_ge_f64_e64 s[2:3], s[40:41], v[1:2]
	s_mov_b64 s[4:5], 0
	s_branch .LBB85_228
.LBB85_225:
                                        ; implicit-def: $sgpr2_sgpr3
	s_mov_b64 s[4:5], 0
	s_cbranch_execnz .LBB85_229
	s_branch .LBB85_230
.LBB85_226:
	s_mov_b64 s[4:5], 0
                                        ; implicit-def: $sgpr2_sgpr3
	s_cbranch_execz .LBB85_228
; %bb.227:
	s_waitcnt vmcnt(0)
	v_cmp_lt_f64_e32 vcc, s[40:41], v[1:2]
	s_andn2_b64 s[2:3], s[2:3], exec
	s_and_b64 s[6:7], vcc, exec
	s_or_b64 s[2:3], s[2:3], s[6:7]
.LBB85_228:
	s_branch .LBB85_230
.LBB85_229:
	s_cmp_lg_u32 s57, 0
	s_mov_b64 s[0:1], -1
	s_cselect_b64 s[4:5], -1, 0
.LBB85_230:
	s_andn2_b64 vcc, exec, s[4:5]
	s_cbranch_vccz .LBB85_244
; %bb.231:
	s_andn2_b64 vcc, exec, s[0:1]
	s_cbranch_vccnz .LBB85_233
.LBB85_232:
	s_waitcnt vmcnt(0)
	v_cmp_le_f64_e32 vcc, s[40:41], v[1:2]
	s_andn2_b64 s[0:1], s[2:3], exec
	s_and_b64 s[2:3], vcc, exec
	s_or_b64 s[2:3], s[0:1], s[2:3]
.LBB85_233:
	s_waitcnt vmcnt(0)
	v_cndmask_b32_e64 v1, 0, 1, s[2:3]
	global_store_byte v0, v1, s[16:17]
.LBB85_234:
	s_or_b64 exec, exec, s[50:51]
                                        ; implicit-def: $vgpr22
                                        ; implicit-def: $vgpr15
.LBB85_235:
	s_andn2_saveexec_b64 s[0:1], s[38:39]
	s_cbranch_execz .LBB85_242
; %bb.236:
	v_cndmask_b32_e64 v0, 0, 1, s[36:37]
	v_cmp_ne_u32_e64 s[0:1], 1, v0
	s_andn2_b64 vcc, exec, s[36:37]
	s_cbranch_vccnz .LBB85_243
; %bb.237:
	s_cmp_lg_u32 s33, 0
	s_waitcnt lgkmcnt(0)
	s_mov_b32 s26, 0
	s_cbranch_scc0 .LBB85_245
; %bb.238:
	s_min_u32 s27, s56, 15
	s_add_i32 s27, s27, 1
	s_cmp_eq_u32 s56, 2
	s_cbranch_scc1 .LBB85_246
; %bb.239:
	s_and_b32 s26, s27, 28
	s_add_u32 s2, s34, 0xc4
	s_addc_u32 s3, s35, 0
	v_mov_b32_e32 v5, 0
	s_mov_b32 s28, 0
	s_mov_b64 s[24:25], s[34:35]
	v_mov_b32_e32 v0, 0
	v_mov_b32_e32 v1, v15
.LBB85_240:                             ; =>This Inner Loop Header: Depth=1
	s_load_dwordx8 s[12:19], s[24:25], 0x4
	s_load_dwordx4 s[20:23], s[24:25], 0x24
	s_load_dwordx8 s[4:11], s[2:3], 0x0
	s_add_u32 s24, s24, 48
	s_addc_u32 s25, s25, 0
	s_waitcnt lgkmcnt(0)
	v_mul_hi_u32 v2, s13, v1
	s_add_i32 s28, s28, 4
	s_add_u32 s2, s2, 32
	s_addc_u32 s3, s3, 0
	v_add_u32_e32 v2, v1, v2
	v_lshrrev_b32_e32 v2, s14, v2
	v_mul_lo_u32 v3, v2, s12
	v_mul_hi_u32 v4, s16, v2
	s_cmp_lg_u32 s26, s28
	v_sub_u32_e32 v1, v1, v3
	v_add_u32_e32 v3, v2, v4
	v_mul_lo_u32 v4, v1, s4
	v_mul_lo_u32 v6, v1, s5
	v_lshrrev_b32_e32 v1, s17, v3
	v_mul_lo_u32 v3, v1, s15
	v_mul_hi_u32 v7, s19, v1
	v_sub_u32_e32 v2, v2, v3
	v_add_u32_e32 v3, v1, v7
	v_lshrrev_b32_e32 v3, s20, v3
	v_mul_hi_u32 v8, s22, v3
	v_mul_lo_u32 v9, v3, s18
	v_mul_lo_u32 v7, v2, s6
	;; [unrolled: 1-line block ×3, first 2 shown]
	v_sub_u32_e32 v9, v1, v9
	v_add_u32_e32 v1, v3, v8
	v_lshrrev_b32_e32 v1, s23, v1
	v_mul_lo_u32 v8, v1, s21
	v_mul_lo_u32 v10, v9, s8
	;; [unrolled: 1-line block ×3, first 2 shown]
	v_add3_u32 v0, v4, v0, v7
	v_sub_u32_e32 v3, v3, v8
	v_mul_lo_u32 v8, v3, s10
	v_mul_lo_u32 v3, v3, s11
	v_add3_u32 v2, v6, v5, v2
	v_add3_u32 v0, v10, v0, v8
	;; [unrolled: 1-line block ×3, first 2 shown]
	s_cbranch_scc1 .LBB85_240
; %bb.241:
	s_and_b32 s6, s27, 3
	s_cmp_eq_u32 s6, 0
	s_cbranch_scc0 .LBB85_247
	s_branch .LBB85_249
.LBB85_242:
	s_endpgm
.LBB85_243:
                                        ; implicit-def: $vgpr0
                                        ; implicit-def: $vgpr5
	s_branch .LBB85_250
.LBB85_244:
	s_waitcnt vmcnt(0)
	v_cmp_gt_f64_e32 vcc, s[40:41], v[1:2]
	s_andn2_b64 s[2:3], s[2:3], exec
	s_and_b64 s[4:5], vcc, exec
	s_or_b64 s[2:3], s[2:3], s[4:5]
	s_cbranch_execz .LBB85_232
	s_branch .LBB85_233
.LBB85_245:
	v_mov_b32_e32 v0, 0
	v_mov_b32_e32 v5, 0
	s_branch .LBB85_249
.LBB85_246:
	v_mov_b32_e32 v0, 0
	v_mov_b32_e32 v5, 0
	;; [unrolled: 1-line block ×3, first 2 shown]
	s_and_b32 s6, s27, 3
	s_cmp_eq_u32 s6, 0
	s_cbranch_scc1 .LBB85_249
.LBB85_247:
	s_lshl_b32 s2, s26, 3
	s_add_u32 s2, s34, s2
	s_addc_u32 s3, s35, 0
	s_add_u32 s2, s2, 0xc4
	s_addc_u32 s3, s3, 0
	s_mul_i32 s4, s26, 12
	s_add_u32 s4, s34, s4
	s_addc_u32 s5, s35, 0
.LBB85_248:                             ; =>This Inner Loop Header: Depth=1
	s_load_dwordx2 s[8:9], s[4:5], 0x4
	s_load_dword s7, s[4:5], 0xc
	s_load_dwordx2 s[10:11], s[2:3], 0x0
	s_add_u32 s4, s4, 12
	s_addc_u32 s5, s5, 0
	s_waitcnt lgkmcnt(0)
	v_mul_hi_u32 v2, s9, v1
	s_add_u32 s2, s2, 8
	s_addc_u32 s3, s3, 0
	s_add_i32 s6, s6, -1
	v_add_u32_e32 v2, v1, v2
	v_lshrrev_b32_e32 v2, s7, v2
	v_mul_lo_u32 v3, v2, s8
	s_cmp_lg_u32 s6, 0
	v_sub_u32_e32 v3, v1, v3
	v_mad_u64_u32 v[0:1], s[8:9], v3, s10, v[0:1]
	v_mad_u64_u32 v[5:6], s[8:9], v3, s11, v[5:6]
	v_mov_b32_e32 v1, v2
	s_cbranch_scc1 .LBB85_248
.LBB85_249:
	s_cbranch_execnz .LBB85_252
.LBB85_250:
	s_load_dwordx4 s[4:7], s[34:35], 0x4
	s_load_dwordx2 s[2:3], s[34:35], 0xc4
	s_cmp_lt_u32 s33, 2
	s_waitcnt lgkmcnt(0)
	v_mul_hi_u32 v0, s5, v15
	v_add_u32_e32 v0, v15, v0
	v_lshrrev_b32_e32 v1, s6, v0
	v_mul_lo_u32 v0, v1, s4
	v_sub_u32_e32 v2, v15, v0
	v_mul_lo_u32 v0, v2, s2
	v_mul_lo_u32 v5, v2, s3
	s_cbranch_scc1 .LBB85_252
; %bb.251:
	s_load_dwordx4 s[4:7], s[34:35], 0x10
	s_load_dwordx2 s[2:3], s[34:35], 0xcc
	s_waitcnt lgkmcnt(0)
	v_mul_hi_u32 v2, s5, v1
	v_add_u32_e32 v2, v1, v2
	v_lshrrev_b32_e32 v2, s6, v2
	v_mul_lo_u32 v2, v2, s4
	v_sub_u32_e32 v2, v1, v2
	v_mad_u64_u32 v[0:1], s[4:5], v2, s2, v[0:1]
	v_mad_u64_u32 v[5:6], s[2:3], v2, s3, v[5:6]
.LBB85_252:
	s_and_b64 vcc, exec, s[0:1]
	v_add_u32_e32 v3, 0x80, v15
	s_cbranch_vccnz .LBB85_258
; %bb.253:
	s_cmp_lg_u32 s33, 0
	s_waitcnt lgkmcnt(0)
	s_mov_b32 s26, 0
	s_cbranch_scc0 .LBB85_259
; %bb.254:
	s_min_u32 s27, s56, 15
	s_add_i32 s27, s27, 1
	s_cmp_eq_u32 s56, 2
	s_cbranch_scc1 .LBB85_260
; %bb.255:
	s_and_b32 s26, s27, 28
	s_add_u32 s2, s34, 0xc4
	s_addc_u32 s3, s35, 0
	v_mov_b32_e32 v6, 0
	s_mov_b32 s28, 0
	s_mov_b64 s[24:25], s[34:35]
	v_mov_b32_e32 v1, 0
	v_mov_b32_e32 v2, v3
.LBB85_256:                             ; =>This Inner Loop Header: Depth=1
	s_load_dwordx8 s[12:19], s[24:25], 0x4
	s_load_dwordx4 s[20:23], s[24:25], 0x24
	s_load_dwordx8 s[4:11], s[2:3], 0x0
	s_add_u32 s24, s24, 48
	s_addc_u32 s25, s25, 0
	s_waitcnt lgkmcnt(0)
	v_mul_hi_u32 v4, s13, v2
	s_add_i32 s28, s28, 4
	s_add_u32 s2, s2, 32
	s_addc_u32 s3, s3, 0
	v_add_u32_e32 v4, v2, v4
	v_lshrrev_b32_e32 v4, s14, v4
	v_mul_lo_u32 v7, v4, s12
	v_mul_hi_u32 v8, s16, v4
	s_cmp_lg_u32 s26, s28
	v_sub_u32_e32 v2, v2, v7
	v_add_u32_e32 v7, v4, v8
	v_mul_lo_u32 v8, v2, s4
	v_mul_lo_u32 v9, v2, s5
	v_lshrrev_b32_e32 v2, s17, v7
	v_mul_lo_u32 v7, v2, s15
	v_mul_hi_u32 v10, s19, v2
	v_sub_u32_e32 v4, v4, v7
	v_add_u32_e32 v7, v2, v10
	v_lshrrev_b32_e32 v7, s20, v7
	v_mul_hi_u32 v11, s22, v7
	v_mul_lo_u32 v12, v7, s18
	v_mul_lo_u32 v10, v4, s6
	;; [unrolled: 1-line block ×3, first 2 shown]
	v_sub_u32_e32 v12, v2, v12
	v_add_u32_e32 v2, v7, v11
	v_lshrrev_b32_e32 v2, s23, v2
	v_mul_lo_u32 v11, v2, s21
	v_mul_lo_u32 v13, v12, s8
	;; [unrolled: 1-line block ×3, first 2 shown]
	v_add3_u32 v1, v8, v1, v10
	v_sub_u32_e32 v7, v7, v11
	v_mul_lo_u32 v11, v7, s10
	v_mul_lo_u32 v7, v7, s11
	v_add3_u32 v4, v9, v6, v4
	v_add3_u32 v1, v13, v1, v11
	;; [unrolled: 1-line block ×3, first 2 shown]
	s_cbranch_scc1 .LBB85_256
; %bb.257:
	s_and_b32 s6, s27, 3
	s_cmp_eq_u32 s6, 0
	s_cbranch_scc0 .LBB85_261
	s_branch .LBB85_263
.LBB85_258:
                                        ; implicit-def: $vgpr1
                                        ; implicit-def: $vgpr6
	s_branch .LBB85_264
.LBB85_259:
	v_mov_b32_e32 v1, 0
	v_mov_b32_e32 v6, 0
	s_branch .LBB85_263
.LBB85_260:
	v_mov_b32_e32 v1, 0
	v_mov_b32_e32 v6, 0
	;; [unrolled: 1-line block ×3, first 2 shown]
	s_and_b32 s6, s27, 3
	s_cmp_eq_u32 s6, 0
	s_cbranch_scc1 .LBB85_263
.LBB85_261:
	s_lshl_b32 s2, s26, 3
	s_add_u32 s2, s34, s2
	s_addc_u32 s3, s35, 0
	s_add_u32 s2, s2, 0xc4
	s_addc_u32 s3, s3, 0
	s_mul_i32 s4, s26, 12
	s_add_u32 s4, s34, s4
	s_addc_u32 s5, s35, 0
.LBB85_262:                             ; =>This Inner Loop Header: Depth=1
	s_load_dwordx2 s[8:9], s[4:5], 0x4
	s_load_dword s7, s[4:5], 0xc
	s_load_dwordx2 s[10:11], s[2:3], 0x0
	s_add_u32 s4, s4, 12
	s_addc_u32 s5, s5, 0
	s_waitcnt lgkmcnt(0)
	v_mul_hi_u32 v4, s9, v2
	s_add_u32 s2, s2, 8
	s_addc_u32 s3, s3, 0
	s_add_i32 s6, s6, -1
	v_add_u32_e32 v4, v2, v4
	v_lshrrev_b32_e32 v4, s7, v4
	v_mul_lo_u32 v7, v4, s8
	s_cmp_lg_u32 s6, 0
	v_sub_u32_e32 v7, v2, v7
	v_mad_u64_u32 v[1:2], s[8:9], v7, s10, v[1:2]
	v_mad_u64_u32 v[6:7], s[8:9], v7, s11, v[6:7]
	v_mov_b32_e32 v2, v4
	s_cbranch_scc1 .LBB85_262
.LBB85_263:
	s_cbranch_execnz .LBB85_266
.LBB85_264:
	s_load_dwordx4 s[4:7], s[34:35], 0x4
	s_load_dwordx2 s[2:3], s[34:35], 0xc4
	s_cmp_lt_u32 s33, 2
	s_waitcnt lgkmcnt(0)
	v_mul_hi_u32 v1, s5, v3
	v_add_u32_e32 v1, v3, v1
	v_lshrrev_b32_e32 v2, s6, v1
	v_mul_lo_u32 v1, v2, s4
	v_sub_u32_e32 v3, v3, v1
	v_mul_lo_u32 v1, v3, s2
	v_mul_lo_u32 v6, v3, s3
	s_cbranch_scc1 .LBB85_266
; %bb.265:
	s_load_dwordx4 s[4:7], s[34:35], 0x10
	s_load_dwordx2 s[2:3], s[34:35], 0xcc
	s_waitcnt lgkmcnt(0)
	v_mul_hi_u32 v3, s5, v2
	v_add_u32_e32 v3, v2, v3
	v_lshrrev_b32_e32 v3, s6, v3
	v_mul_lo_u32 v3, v3, s4
	v_sub_u32_e32 v3, v2, v3
	v_mad_u64_u32 v[1:2], s[4:5], v3, s2, v[1:2]
	v_mad_u64_u32 v[6:7], s[2:3], v3, s3, v[6:7]
.LBB85_266:
	s_and_b64 vcc, exec, s[0:1]
	v_add_u32_e32 v4, 0x100, v15
	s_cbranch_vccnz .LBB85_272
; %bb.267:
	s_cmp_lg_u32 s33, 0
	s_waitcnt lgkmcnt(0)
	s_mov_b32 s26, 0
	s_cbranch_scc0 .LBB85_273
; %bb.268:
	s_min_u32 s27, s56, 15
	s_add_i32 s27, s27, 1
	s_cmp_eq_u32 s56, 2
	s_cbranch_scc1 .LBB85_274
; %bb.269:
	s_and_b32 s26, s27, 28
	s_add_u32 s2, s34, 0xc4
	s_addc_u32 s3, s35, 0
	v_mov_b32_e32 v9, 0
	s_mov_b32 s28, 0
	s_mov_b64 s[24:25], s[34:35]
	v_mov_b32_e32 v2, 0
	v_mov_b32_e32 v3, v4
.LBB85_270:                             ; =>This Inner Loop Header: Depth=1
	s_load_dwordx8 s[12:19], s[24:25], 0x4
	s_load_dwordx4 s[20:23], s[24:25], 0x24
	s_load_dwordx8 s[4:11], s[2:3], 0x0
	s_add_u32 s24, s24, 48
	s_addc_u32 s25, s25, 0
	s_waitcnt lgkmcnt(0)
	v_mul_hi_u32 v7, s13, v3
	s_add_i32 s28, s28, 4
	s_add_u32 s2, s2, 32
	s_addc_u32 s3, s3, 0
	v_add_u32_e32 v7, v3, v7
	v_lshrrev_b32_e32 v7, s14, v7
	v_mul_lo_u32 v8, v7, s12
	v_mul_hi_u32 v10, s16, v7
	s_cmp_lg_u32 s26, s28
	v_sub_u32_e32 v3, v3, v8
	v_add_u32_e32 v8, v7, v10
	v_mul_lo_u32 v10, v3, s4
	v_mul_lo_u32 v11, v3, s5
	v_lshrrev_b32_e32 v3, s17, v8
	v_mul_lo_u32 v8, v3, s15
	v_mul_hi_u32 v12, s19, v3
	v_sub_u32_e32 v7, v7, v8
	v_add_u32_e32 v8, v3, v12
	v_lshrrev_b32_e32 v8, s20, v8
	v_mul_hi_u32 v13, s22, v8
	v_mul_lo_u32 v14, v8, s18
	v_mul_lo_u32 v12, v7, s6
	v_mul_lo_u32 v7, v7, s7
	v_sub_u32_e32 v14, v3, v14
	v_add_u32_e32 v3, v8, v13
	v_lshrrev_b32_e32 v3, s23, v3
	v_mul_lo_u32 v13, v3, s21
	v_mul_lo_u32 v16, v14, s8
	;; [unrolled: 1-line block ×3, first 2 shown]
	v_add3_u32 v2, v10, v2, v12
	v_sub_u32_e32 v8, v8, v13
	v_mul_lo_u32 v13, v8, s10
	v_mul_lo_u32 v8, v8, s11
	v_add3_u32 v7, v11, v9, v7
	v_add3_u32 v2, v16, v2, v13
	;; [unrolled: 1-line block ×3, first 2 shown]
	s_cbranch_scc1 .LBB85_270
; %bb.271:
	s_and_b32 s6, s27, 3
	s_cmp_eq_u32 s6, 0
	s_cbranch_scc0 .LBB85_275
	s_branch .LBB85_277
.LBB85_272:
                                        ; implicit-def: $vgpr2
                                        ; implicit-def: $vgpr9
	s_branch .LBB85_278
.LBB85_273:
	v_mov_b32_e32 v2, 0
	v_mov_b32_e32 v9, 0
	s_branch .LBB85_277
.LBB85_274:
	v_mov_b32_e32 v2, 0
	v_mov_b32_e32 v9, 0
	;; [unrolled: 1-line block ×3, first 2 shown]
	s_and_b32 s6, s27, 3
	s_cmp_eq_u32 s6, 0
	s_cbranch_scc1 .LBB85_277
.LBB85_275:
	s_lshl_b32 s2, s26, 3
	s_add_u32 s2, s34, s2
	s_addc_u32 s3, s35, 0
	s_add_u32 s2, s2, 0xc4
	s_addc_u32 s3, s3, 0
	s_mul_i32 s4, s26, 12
	s_add_u32 s4, s34, s4
	s_addc_u32 s5, s35, 0
.LBB85_276:                             ; =>This Inner Loop Header: Depth=1
	s_load_dwordx2 s[8:9], s[4:5], 0x4
	s_load_dword s7, s[4:5], 0xc
	s_load_dwordx2 s[10:11], s[2:3], 0x0
	s_add_u32 s4, s4, 12
	s_addc_u32 s5, s5, 0
	s_waitcnt lgkmcnt(0)
	v_mul_hi_u32 v7, s9, v3
	s_add_u32 s2, s2, 8
	s_addc_u32 s3, s3, 0
	s_add_i32 s6, s6, -1
	v_add_u32_e32 v7, v3, v7
	v_lshrrev_b32_e32 v7, s7, v7
	v_mul_lo_u32 v8, v7, s8
	s_cmp_lg_u32 s6, 0
	v_sub_u32_e32 v8, v3, v8
	v_mad_u64_u32 v[2:3], s[8:9], v8, s10, v[2:3]
	v_mad_u64_u32 v[9:10], s[8:9], v8, s11, v[9:10]
	v_mov_b32_e32 v3, v7
	s_cbranch_scc1 .LBB85_276
.LBB85_277:
	s_cbranch_execnz .LBB85_280
.LBB85_278:
	s_load_dwordx4 s[4:7], s[34:35], 0x4
	s_load_dwordx2 s[2:3], s[34:35], 0xc4
	s_cmp_lt_u32 s33, 2
	s_waitcnt lgkmcnt(0)
	v_mul_hi_u32 v2, s5, v4
	v_add_u32_e32 v2, v4, v2
	v_lshrrev_b32_e32 v3, s6, v2
	v_mul_lo_u32 v2, v3, s4
	v_sub_u32_e32 v4, v4, v2
	v_mul_lo_u32 v2, v4, s2
	v_mul_lo_u32 v9, v4, s3
	s_cbranch_scc1 .LBB85_280
; %bb.279:
	s_load_dwordx4 s[4:7], s[34:35], 0x10
	s_load_dwordx2 s[2:3], s[34:35], 0xcc
	s_waitcnt lgkmcnt(0)
	v_mul_hi_u32 v4, s5, v3
	v_add_u32_e32 v4, v3, v4
	v_lshrrev_b32_e32 v4, s6, v4
	v_mul_lo_u32 v4, v4, s4
	v_sub_u32_e32 v4, v3, v4
	v_mad_u64_u32 v[2:3], s[4:5], v4, s2, v[2:3]
	v_mad_u64_u32 v[9:10], s[2:3], v4, s3, v[9:10]
.LBB85_280:
	s_and_b64 vcc, exec, s[0:1]
	v_add_u32_e32 v7, 0x180, v15
	s_cbranch_vccnz .LBB85_286
; %bb.281:
	s_cmp_lg_u32 s33, 0
	s_waitcnt lgkmcnt(0)
	s_mov_b32 s26, 0
	s_cbranch_scc0 .LBB85_287
; %bb.282:
	s_min_u32 s27, s56, 15
	s_add_i32 s27, s27, 1
	s_cmp_eq_u32 s56, 2
	s_cbranch_scc1 .LBB85_288
; %bb.283:
	s_and_b32 s26, s27, 28
	s_add_u32 s2, s34, 0xc4
	s_addc_u32 s3, s35, 0
	v_mov_b32_e32 v12, 0
	s_mov_b32 s28, 0
	s_mov_b64 s[24:25], s[34:35]
	v_mov_b32_e32 v3, 0
	v_mov_b32_e32 v4, v7
.LBB85_284:                             ; =>This Inner Loop Header: Depth=1
	s_load_dwordx8 s[12:19], s[24:25], 0x4
	s_load_dwordx4 s[20:23], s[24:25], 0x24
	s_load_dwordx8 s[4:11], s[2:3], 0x0
	s_add_u32 s24, s24, 48
	s_addc_u32 s25, s25, 0
	s_waitcnt lgkmcnt(0)
	v_mul_hi_u32 v8, s13, v4
	s_add_i32 s28, s28, 4
	s_add_u32 s2, s2, 32
	s_addc_u32 s3, s3, 0
	v_add_u32_e32 v8, v4, v8
	v_lshrrev_b32_e32 v8, s14, v8
	v_mul_lo_u32 v10, v8, s12
	v_mul_hi_u32 v11, s16, v8
	s_cmp_lg_u32 s26, s28
	v_sub_u32_e32 v4, v4, v10
	v_add_u32_e32 v10, v8, v11
	v_mul_lo_u32 v11, v4, s4
	v_mul_lo_u32 v13, v4, s5
	v_lshrrev_b32_e32 v4, s17, v10
	v_mul_lo_u32 v10, v4, s15
	v_mul_hi_u32 v14, s19, v4
	v_sub_u32_e32 v8, v8, v10
	v_add_u32_e32 v10, v4, v14
	v_lshrrev_b32_e32 v10, s20, v10
	v_mul_hi_u32 v16, s22, v10
	v_mul_lo_u32 v17, v10, s18
	v_mul_lo_u32 v14, v8, s6
	;; [unrolled: 1-line block ×3, first 2 shown]
	v_sub_u32_e32 v17, v4, v17
	v_add_u32_e32 v4, v10, v16
	v_lshrrev_b32_e32 v4, s23, v4
	v_mul_lo_u32 v16, v4, s21
	v_mul_lo_u32 v18, v17, s8
	;; [unrolled: 1-line block ×3, first 2 shown]
	v_add3_u32 v3, v11, v3, v14
	v_sub_u32_e32 v10, v10, v16
	v_mul_lo_u32 v16, v10, s10
	v_mul_lo_u32 v10, v10, s11
	v_add3_u32 v8, v13, v12, v8
	v_add3_u32 v3, v18, v3, v16
	;; [unrolled: 1-line block ×3, first 2 shown]
	s_cbranch_scc1 .LBB85_284
; %bb.285:
	s_and_b32 s6, s27, 3
	s_cmp_eq_u32 s6, 0
	s_cbranch_scc0 .LBB85_289
	s_branch .LBB85_291
.LBB85_286:
                                        ; implicit-def: $vgpr3
                                        ; implicit-def: $vgpr12
	s_branch .LBB85_292
.LBB85_287:
	v_mov_b32_e32 v3, 0
	v_mov_b32_e32 v12, 0
	s_branch .LBB85_291
.LBB85_288:
	v_mov_b32_e32 v3, 0
	v_mov_b32_e32 v12, 0
	;; [unrolled: 1-line block ×3, first 2 shown]
	s_and_b32 s6, s27, 3
	s_cmp_eq_u32 s6, 0
	s_cbranch_scc1 .LBB85_291
.LBB85_289:
	s_lshl_b32 s2, s26, 3
	s_add_u32 s2, s34, s2
	s_addc_u32 s3, s35, 0
	s_add_u32 s2, s2, 0xc4
	s_addc_u32 s3, s3, 0
	s_mul_i32 s4, s26, 12
	s_add_u32 s4, s34, s4
	s_addc_u32 s5, s35, 0
.LBB85_290:                             ; =>This Inner Loop Header: Depth=1
	s_load_dwordx2 s[8:9], s[4:5], 0x4
	s_load_dword s7, s[4:5], 0xc
	s_load_dwordx2 s[10:11], s[2:3], 0x0
	s_add_u32 s4, s4, 12
	s_addc_u32 s5, s5, 0
	s_waitcnt lgkmcnt(0)
	v_mul_hi_u32 v8, s9, v4
	s_add_u32 s2, s2, 8
	s_addc_u32 s3, s3, 0
	s_add_i32 s6, s6, -1
	v_add_u32_e32 v8, v4, v8
	v_lshrrev_b32_e32 v8, s7, v8
	v_mul_lo_u32 v10, v8, s8
	s_cmp_lg_u32 s6, 0
	v_sub_u32_e32 v10, v4, v10
	v_mad_u64_u32 v[3:4], s[8:9], v10, s10, v[3:4]
	v_mad_u64_u32 v[12:13], s[8:9], v10, s11, v[12:13]
	v_mov_b32_e32 v4, v8
	s_cbranch_scc1 .LBB85_290
.LBB85_291:
	s_cbranch_execnz .LBB85_294
.LBB85_292:
	s_load_dwordx4 s[4:7], s[34:35], 0x4
	s_load_dwordx2 s[2:3], s[34:35], 0xc4
	s_cmp_lt_u32 s33, 2
	s_waitcnt lgkmcnt(0)
	v_mul_hi_u32 v3, s5, v7
	v_add_u32_e32 v3, v7, v3
	v_lshrrev_b32_e32 v4, s6, v3
	v_mul_lo_u32 v3, v4, s4
	v_sub_u32_e32 v7, v7, v3
	v_mul_lo_u32 v3, v7, s2
	v_mul_lo_u32 v12, v7, s3
	s_cbranch_scc1 .LBB85_294
; %bb.293:
	s_load_dwordx4 s[4:7], s[34:35], 0x10
	s_load_dwordx2 s[2:3], s[34:35], 0xcc
	s_waitcnt lgkmcnt(0)
	v_mul_hi_u32 v7, s5, v4
	v_add_u32_e32 v7, v4, v7
	v_lshrrev_b32_e32 v7, s6, v7
	v_mul_lo_u32 v7, v7, s4
	v_sub_u32_e32 v7, v4, v7
	v_mad_u64_u32 v[3:4], s[4:5], v7, s2, v[3:4]
	v_mad_u64_u32 v[12:13], s[2:3], v7, s3, v[12:13]
.LBB85_294:
	s_and_b64 vcc, exec, s[0:1]
	v_add_u32_e32 v4, 0x200, v15
	s_cbranch_vccnz .LBB85_300
; %bb.295:
	s_cmp_lg_u32 s33, 0
	s_waitcnt lgkmcnt(0)
	s_mov_b32 s26, 0
	s_cbranch_scc0 .LBB85_301
; %bb.296:
	s_min_u32 s27, s56, 15
	s_add_i32 s27, s27, 1
	s_cmp_eq_u32 s56, 2
	s_cbranch_scc1 .LBB85_302
; %bb.297:
	s_and_b32 s26, s27, 28
	s_add_u32 s2, s34, 0xc4
	s_addc_u32 s3, s35, 0
	v_mov_b32_e32 v13, 0
	s_mov_b32 s28, 0
	s_mov_b64 s[24:25], s[34:35]
	v_mov_b32_e32 v7, 0
	v_mov_b32_e32 v8, v4
.LBB85_298:                             ; =>This Inner Loop Header: Depth=1
	s_load_dwordx8 s[12:19], s[24:25], 0x4
	s_load_dwordx4 s[20:23], s[24:25], 0x24
	s_load_dwordx8 s[4:11], s[2:3], 0x0
	s_add_u32 s24, s24, 48
	s_addc_u32 s25, s25, 0
	s_waitcnt lgkmcnt(0)
	v_mul_hi_u32 v10, s13, v8
	s_add_i32 s28, s28, 4
	s_add_u32 s2, s2, 32
	s_addc_u32 s3, s3, 0
	v_add_u32_e32 v10, v8, v10
	v_lshrrev_b32_e32 v10, s14, v10
	v_mul_lo_u32 v11, v10, s12
	v_mul_hi_u32 v14, s16, v10
	s_cmp_lg_u32 s26, s28
	v_sub_u32_e32 v8, v8, v11
	v_add_u32_e32 v11, v10, v14
	v_mul_lo_u32 v14, v8, s4
	v_mul_lo_u32 v16, v8, s5
	v_lshrrev_b32_e32 v8, s17, v11
	v_mul_lo_u32 v11, v8, s15
	v_mul_hi_u32 v17, s19, v8
	v_sub_u32_e32 v10, v10, v11
	v_add_u32_e32 v11, v8, v17
	v_lshrrev_b32_e32 v11, s20, v11
	v_mul_hi_u32 v18, s22, v11
	v_mul_lo_u32 v19, v11, s18
	v_mul_lo_u32 v17, v10, s6
	;; [unrolled: 1-line block ×3, first 2 shown]
	v_sub_u32_e32 v19, v8, v19
	v_add_u32_e32 v8, v11, v18
	v_lshrrev_b32_e32 v8, s23, v8
	v_mul_lo_u32 v18, v8, s21
	v_mul_lo_u32 v20, v19, s8
	;; [unrolled: 1-line block ×3, first 2 shown]
	v_add3_u32 v7, v14, v7, v17
	v_sub_u32_e32 v11, v11, v18
	v_mul_lo_u32 v18, v11, s10
	v_mul_lo_u32 v11, v11, s11
	v_add3_u32 v10, v16, v13, v10
	v_add3_u32 v7, v20, v7, v18
	;; [unrolled: 1-line block ×3, first 2 shown]
	s_cbranch_scc1 .LBB85_298
; %bb.299:
	s_and_b32 s6, s27, 3
	s_cmp_eq_u32 s6, 0
	s_cbranch_scc0 .LBB85_303
	s_branch .LBB85_305
.LBB85_300:
                                        ; implicit-def: $vgpr7
                                        ; implicit-def: $vgpr13
	s_branch .LBB85_306
.LBB85_301:
	v_mov_b32_e32 v7, 0
	v_mov_b32_e32 v13, 0
	s_branch .LBB85_305
.LBB85_302:
	v_mov_b32_e32 v7, 0
	v_mov_b32_e32 v13, 0
	;; [unrolled: 1-line block ×3, first 2 shown]
	s_and_b32 s6, s27, 3
	s_cmp_eq_u32 s6, 0
	s_cbranch_scc1 .LBB85_305
.LBB85_303:
	s_lshl_b32 s2, s26, 3
	s_add_u32 s2, s34, s2
	s_addc_u32 s3, s35, 0
	s_add_u32 s2, s2, 0xc4
	s_addc_u32 s3, s3, 0
	s_mul_i32 s4, s26, 12
	s_add_u32 s4, s34, s4
	s_addc_u32 s5, s35, 0
.LBB85_304:                             ; =>This Inner Loop Header: Depth=1
	s_load_dwordx2 s[8:9], s[4:5], 0x4
	s_load_dword s7, s[4:5], 0xc
	s_load_dwordx2 s[10:11], s[2:3], 0x0
	s_add_u32 s4, s4, 12
	s_addc_u32 s5, s5, 0
	s_waitcnt lgkmcnt(0)
	v_mul_hi_u32 v10, s9, v8
	s_add_u32 s2, s2, 8
	s_addc_u32 s3, s3, 0
	s_add_i32 s6, s6, -1
	v_add_u32_e32 v10, v8, v10
	v_lshrrev_b32_e32 v10, s7, v10
	v_mul_lo_u32 v11, v10, s8
	s_cmp_lg_u32 s6, 0
	v_sub_u32_e32 v11, v8, v11
	v_mad_u64_u32 v[7:8], s[8:9], v11, s10, v[7:8]
	v_mad_u64_u32 v[13:14], s[8:9], v11, s11, v[13:14]
	v_mov_b32_e32 v8, v10
	s_cbranch_scc1 .LBB85_304
.LBB85_305:
	s_cbranch_execnz .LBB85_308
.LBB85_306:
	s_load_dwordx4 s[4:7], s[34:35], 0x4
	s_load_dwordx2 s[2:3], s[34:35], 0xc4
	s_cmp_lt_u32 s33, 2
	s_waitcnt lgkmcnt(0)
	v_mul_hi_u32 v7, s5, v4
	v_add_u32_e32 v7, v4, v7
	v_lshrrev_b32_e32 v8, s6, v7
	v_mul_lo_u32 v7, v8, s4
	v_sub_u32_e32 v4, v4, v7
	v_mul_lo_u32 v7, v4, s2
	v_mul_lo_u32 v13, v4, s3
	s_cbranch_scc1 .LBB85_308
; %bb.307:
	s_load_dwordx4 s[4:7], s[34:35], 0x10
	s_load_dwordx2 s[2:3], s[34:35], 0xcc
	s_waitcnt lgkmcnt(0)
	v_mul_hi_u32 v4, s5, v8
	v_add_u32_e32 v4, v8, v4
	v_lshrrev_b32_e32 v4, s6, v4
	v_mul_lo_u32 v4, v4, s4
	v_sub_u32_e32 v4, v8, v4
	v_mad_u64_u32 v[7:8], s[4:5], v4, s2, v[7:8]
	v_mad_u64_u32 v[13:14], s[2:3], v4, s3, v[13:14]
.LBB85_308:
	s_and_b64 vcc, exec, s[0:1]
	v_add_u32_e32 v4, 0x280, v15
	s_cbranch_vccnz .LBB85_314
; %bb.309:
	s_cmp_lg_u32 s33, 0
	s_waitcnt lgkmcnt(0)
	s_mov_b32 s26, 0
	s_cbranch_scc0 .LBB85_315
; %bb.310:
	s_min_u32 s27, s56, 15
	s_add_i32 s27, s27, 1
	s_cmp_eq_u32 s56, 2
	s_cbranch_scc1 .LBB85_316
; %bb.311:
	s_and_b32 s26, s27, 28
	s_add_u32 s2, s34, 0xc4
	s_addc_u32 s3, s35, 0
	v_mov_b32_e32 v16, 0
	s_mov_b32 s28, 0
	s_mov_b64 s[24:25], s[34:35]
	v_mov_b32_e32 v10, 0
	v_mov_b32_e32 v8, v4
.LBB85_312:                             ; =>This Inner Loop Header: Depth=1
	s_load_dwordx8 s[12:19], s[24:25], 0x4
	s_load_dwordx4 s[20:23], s[24:25], 0x24
	s_load_dwordx8 s[4:11], s[2:3], 0x0
	s_add_u32 s24, s24, 48
	s_addc_u32 s25, s25, 0
	s_waitcnt lgkmcnt(0)
	v_mul_hi_u32 v11, s13, v8
	s_add_i32 s28, s28, 4
	s_add_u32 s2, s2, 32
	s_addc_u32 s3, s3, 0
	v_add_u32_e32 v11, v8, v11
	v_lshrrev_b32_e32 v11, s14, v11
	v_mul_lo_u32 v14, v11, s12
	v_mul_hi_u32 v17, s16, v11
	s_cmp_lg_u32 s26, s28
	v_sub_u32_e32 v8, v8, v14
	v_add_u32_e32 v14, v11, v17
	v_mul_lo_u32 v17, v8, s4
	v_mul_lo_u32 v18, v8, s5
	v_lshrrev_b32_e32 v8, s17, v14
	v_mul_lo_u32 v14, v8, s15
	v_mul_hi_u32 v19, s19, v8
	v_sub_u32_e32 v11, v11, v14
	v_add_u32_e32 v14, v8, v19
	v_lshrrev_b32_e32 v14, s20, v14
	v_mul_hi_u32 v20, s22, v14
	v_mul_lo_u32 v21, v14, s18
	v_mul_lo_u32 v19, v11, s6
	;; [unrolled: 1-line block ×3, first 2 shown]
	v_sub_u32_e32 v21, v8, v21
	v_add_u32_e32 v8, v14, v20
	v_lshrrev_b32_e32 v8, s23, v8
	v_mul_lo_u32 v20, v8, s21
	v_mul_lo_u32 v23, v21, s8
	;; [unrolled: 1-line block ×3, first 2 shown]
	v_add3_u32 v10, v17, v10, v19
	v_sub_u32_e32 v14, v14, v20
	v_mul_lo_u32 v20, v14, s10
	v_mul_lo_u32 v14, v14, s11
	v_add3_u32 v11, v18, v16, v11
	v_add3_u32 v10, v23, v10, v20
	;; [unrolled: 1-line block ×3, first 2 shown]
	s_cbranch_scc1 .LBB85_312
; %bb.313:
	s_and_b32 s6, s27, 3
	s_cmp_eq_u32 s6, 0
	s_cbranch_scc0 .LBB85_317
	s_branch .LBB85_319
.LBB85_314:
                                        ; implicit-def: $vgpr10
                                        ; implicit-def: $vgpr16
	s_branch .LBB85_320
.LBB85_315:
	v_mov_b32_e32 v10, 0
	v_mov_b32_e32 v16, 0
	s_branch .LBB85_319
.LBB85_316:
	v_mov_b32_e32 v10, 0
	v_mov_b32_e32 v16, 0
	;; [unrolled: 1-line block ×3, first 2 shown]
	s_and_b32 s6, s27, 3
	s_cmp_eq_u32 s6, 0
	s_cbranch_scc1 .LBB85_319
.LBB85_317:
	s_lshl_b32 s2, s26, 3
	s_add_u32 s2, s34, s2
	s_addc_u32 s3, s35, 0
	s_add_u32 s2, s2, 0xc4
	s_addc_u32 s3, s3, 0
	s_mul_i32 s4, s26, 12
	s_add_u32 s4, s34, s4
	s_addc_u32 s5, s35, 0
.LBB85_318:                             ; =>This Inner Loop Header: Depth=1
	s_load_dwordx2 s[8:9], s[4:5], 0x4
	s_load_dword s7, s[4:5], 0xc
	s_load_dwordx2 s[10:11], s[2:3], 0x0
	s_add_u32 s4, s4, 12
	s_addc_u32 s5, s5, 0
	s_waitcnt lgkmcnt(0)
	v_mul_hi_u32 v11, s9, v8
	s_add_u32 s2, s2, 8
	s_addc_u32 s3, s3, 0
	s_add_i32 s6, s6, -1
	v_add_u32_e32 v11, v8, v11
	v_lshrrev_b32_e32 v14, s7, v11
	v_mul_lo_u32 v11, v14, s8
	s_cmp_lg_u32 s6, 0
	v_sub_u32_e32 v8, v8, v11
	v_mad_u64_u32 v[10:11], s[8:9], v8, s10, v[10:11]
	v_mad_u64_u32 v[16:17], s[8:9], v8, s11, v[16:17]
	v_mov_b32_e32 v8, v14
	s_cbranch_scc1 .LBB85_318
.LBB85_319:
	s_cbranch_execnz .LBB85_322
.LBB85_320:
	s_load_dwordx4 s[4:7], s[34:35], 0x4
	s_load_dwordx2 s[2:3], s[34:35], 0xc4
	s_cmp_lt_u32 s33, 2
	s_waitcnt lgkmcnt(0)
	v_mul_hi_u32 v8, s5, v4
	v_add_u32_e32 v8, v4, v8
	v_lshrrev_b32_e32 v8, s6, v8
	v_mul_lo_u32 v10, v8, s4
	v_sub_u32_e32 v4, v4, v10
	v_mul_lo_u32 v10, v4, s2
	v_mul_lo_u32 v16, v4, s3
	s_cbranch_scc1 .LBB85_322
; %bb.321:
	s_load_dwordx4 s[4:7], s[34:35], 0x10
	s_load_dwordx2 s[2:3], s[34:35], 0xcc
	s_waitcnt lgkmcnt(0)
	v_mul_hi_u32 v4, s5, v8
	v_add_u32_e32 v4, v8, v4
	v_lshrrev_b32_e32 v4, s6, v4
	v_mul_lo_u32 v4, v4, s4
	v_sub_u32_e32 v4, v8, v4
	v_mad_u64_u32 v[10:11], s[4:5], v4, s2, v[10:11]
	v_mad_u64_u32 v[16:17], s[2:3], v4, s3, v[16:17]
.LBB85_322:
	s_and_b64 vcc, exec, s[0:1]
	v_add_u32_e32 v4, 0x300, v15
	s_cbranch_vccnz .LBB85_328
; %bb.323:
	s_cmp_lg_u32 s33, 0
	s_waitcnt lgkmcnt(0)
	s_mov_b32 s26, 0
	s_cbranch_scc0 .LBB85_329
; %bb.324:
	s_min_u32 s27, s56, 15
	s_add_i32 s27, s27, 1
	s_cmp_eq_u32 s56, 2
	s_cbranch_scc1 .LBB85_330
; %bb.325:
	s_and_b32 s26, s27, 28
	s_add_u32 s2, s34, 0xc4
	s_addc_u32 s3, s35, 0
	v_mov_b32_e32 v17, 0
	s_mov_b32 s28, 0
	s_mov_b64 s[24:25], s[34:35]
	v_mov_b32_e32 v14, 0
	v_mov_b32_e32 v8, v4
.LBB85_326:                             ; =>This Inner Loop Header: Depth=1
	s_load_dwordx8 s[12:19], s[24:25], 0x4
	s_load_dwordx4 s[20:23], s[24:25], 0x24
	s_load_dwordx8 s[4:11], s[2:3], 0x0
	s_add_u32 s24, s24, 48
	s_addc_u32 s25, s25, 0
	s_waitcnt lgkmcnt(0)
	v_mul_hi_u32 v11, s13, v8
	s_add_i32 s28, s28, 4
	s_add_u32 s2, s2, 32
	s_addc_u32 s3, s3, 0
	v_add_u32_e32 v11, v8, v11
	v_lshrrev_b32_e32 v11, s14, v11
	v_mul_lo_u32 v15, v11, s12
	v_mul_hi_u32 v18, s16, v11
	s_cmp_lg_u32 s26, s28
	v_sub_u32_e32 v8, v8, v15
	v_add_u32_e32 v15, v11, v18
	v_mul_lo_u32 v18, v8, s4
	v_mul_lo_u32 v19, v8, s5
	v_lshrrev_b32_e32 v8, s17, v15
	v_mul_lo_u32 v15, v8, s15
	v_mul_hi_u32 v20, s19, v8
	v_sub_u32_e32 v11, v11, v15
	v_add_u32_e32 v15, v8, v20
	v_lshrrev_b32_e32 v15, s20, v15
	v_mul_hi_u32 v21, s22, v15
	v_mul_lo_u32 v23, v15, s18
	v_mul_lo_u32 v20, v11, s6
	;; [unrolled: 1-line block ×3, first 2 shown]
	v_sub_u32_e32 v23, v8, v23
	v_add_u32_e32 v8, v15, v21
	v_lshrrev_b32_e32 v8, s23, v8
	v_mul_lo_u32 v21, v8, s21
	v_mul_lo_u32 v24, v23, s8
	;; [unrolled: 1-line block ×3, first 2 shown]
	v_add3_u32 v14, v18, v14, v20
	v_sub_u32_e32 v15, v15, v21
	v_mul_lo_u32 v21, v15, s10
	v_mul_lo_u32 v15, v15, s11
	v_add3_u32 v11, v19, v17, v11
	v_add3_u32 v14, v24, v14, v21
	;; [unrolled: 1-line block ×3, first 2 shown]
	s_cbranch_scc1 .LBB85_326
; %bb.327:
	s_and_b32 s6, s27, 3
	s_cmp_eq_u32 s6, 0
	s_cbranch_scc0 .LBB85_331
	s_branch .LBB85_333
.LBB85_328:
                                        ; implicit-def: $vgpr14
                                        ; implicit-def: $vgpr17
	s_branch .LBB85_334
.LBB85_329:
	v_mov_b32_e32 v14, 0
	v_mov_b32_e32 v17, 0
	s_branch .LBB85_333
.LBB85_330:
	v_mov_b32_e32 v14, 0
	v_mov_b32_e32 v17, 0
	;; [unrolled: 1-line block ×3, first 2 shown]
	s_and_b32 s6, s27, 3
	s_cmp_eq_u32 s6, 0
	s_cbranch_scc1 .LBB85_333
.LBB85_331:
	s_lshl_b32 s2, s26, 3
	s_add_u32 s2, s34, s2
	s_addc_u32 s3, s35, 0
	s_add_u32 s2, s2, 0xc4
	s_addc_u32 s3, s3, 0
	s_mul_i32 s4, s26, 12
	s_add_u32 s4, s34, s4
	s_addc_u32 s5, s35, 0
.LBB85_332:                             ; =>This Inner Loop Header: Depth=1
	s_load_dwordx2 s[8:9], s[4:5], 0x4
	s_load_dword s7, s[4:5], 0xc
	s_load_dwordx2 s[10:11], s[2:3], 0x0
	s_add_u32 s4, s4, 12
	s_addc_u32 s5, s5, 0
	s_waitcnt lgkmcnt(0)
	v_mul_hi_u32 v11, s9, v8
	s_add_u32 s2, s2, 8
	s_addc_u32 s3, s3, 0
	s_add_i32 s6, s6, -1
	v_add_u32_e32 v11, v8, v11
	v_lshrrev_b32_e32 v11, s7, v11
	v_mul_lo_u32 v15, v11, s8
	s_cmp_lg_u32 s6, 0
	v_sub_u32_e32 v8, v8, v15
	v_mad_u64_u32 v[14:15], s[8:9], v8, s10, v[14:15]
	v_mad_u64_u32 v[17:18], s[8:9], v8, s11, v[17:18]
	v_mov_b32_e32 v8, v11
	s_cbranch_scc1 .LBB85_332
.LBB85_333:
	s_cbranch_execnz .LBB85_336
.LBB85_334:
	s_load_dwordx4 s[4:7], s[34:35], 0x4
	s_load_dwordx2 s[2:3], s[34:35], 0xc4
	s_cmp_lt_u32 s33, 2
	s_waitcnt lgkmcnt(0)
	v_mul_hi_u32 v8, s5, v4
	v_add_u32_e32 v8, v4, v8
	v_lshrrev_b32_e32 v8, s6, v8
	v_mul_lo_u32 v11, v8, s4
	v_sub_u32_e32 v4, v4, v11
	v_mul_lo_u32 v14, v4, s2
	v_mul_lo_u32 v17, v4, s3
	s_cbranch_scc1 .LBB85_336
; %bb.335:
	s_load_dwordx4 s[4:7], s[34:35], 0x10
	s_load_dwordx2 s[2:3], s[34:35], 0xcc
	s_waitcnt lgkmcnt(0)
	v_mul_hi_u32 v4, s5, v8
	v_add_u32_e32 v4, v8, v4
	v_lshrrev_b32_e32 v4, s6, v4
	v_mul_lo_u32 v4, v4, s4
	v_sub_u32_e32 v4, v8, v4
	v_mad_u64_u32 v[14:15], s[4:5], v4, s2, v[14:15]
	v_mad_u64_u32 v[17:18], s[2:3], v4, s3, v[17:18]
.LBB85_336:
	s_and_b64 vcc, exec, s[0:1]
	s_cbranch_vccnz .LBB85_342
; %bb.337:
	s_cmp_lg_u32 s33, 0
	s_waitcnt lgkmcnt(0)
	s_mov_b32 s24, 0
	s_cbranch_scc0 .LBB85_343
; %bb.338:
	s_min_u32 s25, s56, 15
	s_add_i32 s25, s25, 1
	s_cmp_eq_u32 s56, 2
	s_cbranch_scc1 .LBB85_344
; %bb.339:
	s_and_b32 s24, s25, 28
	s_add_u32 s20, s34, 0xc4
	s_addc_u32 s21, s35, 0
	v_mov_b32_e32 v20, 0
	s_mov_b32 s26, 0
	s_mov_b64 s[22:23], s[34:35]
	v_mov_b32_e32 v18, 0
	v_mov_b32_e32 v4, v22
.LBB85_340:                             ; =>This Inner Loop Header: Depth=1
	s_load_dwordx8 s[8:15], s[22:23], 0x4
	s_load_dwordx4 s[16:19], s[22:23], 0x24
	s_load_dwordx8 s[0:7], s[20:21], 0x0
	s_add_u32 s22, s22, 48
	s_addc_u32 s23, s23, 0
	s_waitcnt lgkmcnt(0)
	v_mul_hi_u32 v8, s9, v4
	s_add_i32 s26, s26, 4
	s_add_u32 s20, s20, 32
	s_addc_u32 s21, s21, 0
	v_add_u32_e32 v8, v4, v8
	v_lshrrev_b32_e32 v8, s10, v8
	v_mul_lo_u32 v11, v8, s8
	v_mul_hi_u32 v15, s12, v8
	s_cmp_lg_u32 s24, s26
	v_sub_u32_e32 v4, v4, v11
	v_add_u32_e32 v11, v8, v15
	v_mul_lo_u32 v15, v4, s0
	v_mul_lo_u32 v19, v4, s1
	v_lshrrev_b32_e32 v4, s13, v11
	v_mul_lo_u32 v11, v4, s11
	v_mul_hi_u32 v21, s15, v4
	v_sub_u32_e32 v8, v8, v11
	v_add_u32_e32 v11, v4, v21
	v_lshrrev_b32_e32 v11, s16, v11
	v_mul_hi_u32 v23, s18, v11
	v_mul_lo_u32 v24, v11, s14
	v_mul_lo_u32 v21, v8, s2
	;; [unrolled: 1-line block ×3, first 2 shown]
	v_sub_u32_e32 v24, v4, v24
	v_add_u32_e32 v4, v11, v23
	v_lshrrev_b32_e32 v4, s19, v4
	v_mul_lo_u32 v23, v4, s17
	v_mul_lo_u32 v25, v24, s4
	;; [unrolled: 1-line block ×3, first 2 shown]
	v_add3_u32 v15, v15, v18, v21
	v_sub_u32_e32 v11, v11, v23
	v_mul_lo_u32 v23, v11, s6
	v_mul_lo_u32 v11, v11, s7
	v_add3_u32 v8, v19, v20, v8
	v_add3_u32 v18, v25, v15, v23
	;; [unrolled: 1-line block ×3, first 2 shown]
	s_cbranch_scc1 .LBB85_340
; %bb.341:
	s_and_b32 s4, s25, 3
	s_cmp_eq_u32 s4, 0
	s_cbranch_scc0 .LBB85_345
	s_branch .LBB85_347
.LBB85_342:
                                        ; implicit-def: $vgpr18
                                        ; implicit-def: $vgpr20
	s_branch .LBB85_348
.LBB85_343:
	v_mov_b32_e32 v18, 0
	v_mov_b32_e32 v20, 0
	s_branch .LBB85_347
.LBB85_344:
	v_mov_b32_e32 v18, 0
	v_mov_b32_e32 v20, 0
	;; [unrolled: 1-line block ×3, first 2 shown]
	s_and_b32 s4, s25, 3
	s_cmp_eq_u32 s4, 0
	s_cbranch_scc1 .LBB85_347
.LBB85_345:
	s_lshl_b32 s0, s24, 3
	s_add_u32 s0, s34, s0
	s_addc_u32 s1, s35, 0
	s_add_u32 s0, s0, 0xc4
	s_addc_u32 s1, s1, 0
	s_mul_i32 s2, s24, 12
	s_add_u32 s2, s34, s2
	s_addc_u32 s3, s35, 0
.LBB85_346:                             ; =>This Inner Loop Header: Depth=1
	s_load_dwordx2 s[6:7], s[2:3], 0x4
	s_load_dword s5, s[2:3], 0xc
	s_load_dwordx2 s[8:9], s[0:1], 0x0
	s_add_u32 s2, s2, 12
	s_addc_u32 s3, s3, 0
	s_waitcnt lgkmcnt(0)
	v_mul_hi_u32 v8, s7, v4
	s_add_u32 s0, s0, 8
	s_addc_u32 s1, s1, 0
	s_add_i32 s4, s4, -1
	v_add_u32_e32 v8, v4, v8
	v_lshrrev_b32_e32 v8, s5, v8
	v_mul_lo_u32 v11, v8, s6
	s_cmp_lg_u32 s4, 0
	v_sub_u32_e32 v4, v4, v11
	v_mad_u64_u32 v[18:19], s[6:7], v4, s8, v[18:19]
	v_mad_u64_u32 v[20:21], s[6:7], v4, s9, v[20:21]
	v_mov_b32_e32 v4, v8
	s_cbranch_scc1 .LBB85_346
.LBB85_347:
	s_cbranch_execnz .LBB85_350
.LBB85_348:
	s_load_dwordx4 s[0:3], s[34:35], 0x4
	s_load_dwordx2 s[4:5], s[34:35], 0xc4
	s_cmp_lt_u32 s33, 2
	s_waitcnt lgkmcnt(0)
	v_mul_hi_u32 v4, s1, v22
	v_add_u32_e32 v4, v22, v4
	v_lshrrev_b32_e32 v4, s2, v4
	v_mul_lo_u32 v8, v4, s0
	v_sub_u32_e32 v8, v22, v8
	v_mul_lo_u32 v18, v8, s4
	v_mul_lo_u32 v20, v8, s5
	s_cbranch_scc1 .LBB85_350
; %bb.349:
	s_load_dwordx4 s[0:3], s[34:35], 0x10
	s_load_dwordx2 s[4:5], s[34:35], 0xcc
	s_waitcnt lgkmcnt(0)
	v_mul_hi_u32 v8, s1, v4
	v_add_u32_e32 v8, v4, v8
	v_lshrrev_b32_e32 v8, s2, v8
	v_mul_lo_u32 v8, v8, s0
	v_sub_u32_e32 v4, v4, v8
	v_mad_u64_u32 v[18:19], s[0:1], v4, s4, v[18:19]
	v_mad_u64_u32 v[20:21], s[0:1], v4, s5, v[20:21]
.LBB85_350:
	s_load_dwordx4 s[0:3], s[34:35], 0x148
	s_waitcnt lgkmcnt(0)
	s_load_dword s26, s[34:35], 0x158
	s_load_dwordx2 s[4:5], s[34:35], 0x160
	s_mov_b64 s[8:9], 0
	global_load_dwordx2 v[4:5], v5, s[2:3]
	s_waitcnt lgkmcnt(0)
	s_cmp_lt_i32 s26, 1
	s_cbranch_scc1 .LBB85_354
; %bb.351:
	s_cmp_gt_i32 s26, 1
	s_cbranch_scc0 .LBB85_355
; %bb.352:
	s_cmp_eq_u32 s26, 2
	s_cbranch_scc0 .LBB85_356
; %bb.353:
	s_waitcnt vmcnt(0)
	v_cmp_ge_f64_e64 s[6:7], s[4:5], v[4:5]
	s_mov_b64 s[10:11], 0
	s_branch .LBB85_357
.LBB85_354:
                                        ; implicit-def: $sgpr6_sgpr7
	s_mov_b64 s[10:11], 0
	s_cbranch_execnz .LBB85_360
	s_branch .LBB85_361
.LBB85_355:
	s_mov_b64 s[10:11], 0
                                        ; implicit-def: $sgpr6_sgpr7
	s_cbranch_execnz .LBB85_358
	s_branch .LBB85_359
.LBB85_356:
	s_mov_b64 s[10:11], -1
                                        ; implicit-def: $sgpr6_sgpr7
.LBB85_357:
	s_branch .LBB85_359
.LBB85_358:
	s_waitcnt vmcnt(0)
	v_cmp_lt_f64_e32 vcc, s[4:5], v[4:5]
	s_andn2_b64 s[6:7], s[6:7], exec
	s_and_b64 s[12:13], vcc, exec
	s_or_b64 s[6:7], s[6:7], s[12:13]
.LBB85_359:
	s_branch .LBB85_361
.LBB85_360:
	s_cmp_lg_u32 s26, 0
	s_mov_b64 s[8:9], -1
	s_cselect_b64 s[10:11], -1, 0
.LBB85_361:
	s_andn2_b64 vcc, exec, s[10:11]
	s_cbranch_vccz .LBB85_367
; %bb.362:
	s_andn2_b64 vcc, exec, s[8:9]
	s_cbranch_vccz .LBB85_368
.LBB85_363:
	global_load_dwordx2 v[4:5], v6, s[2:3]
	s_cmp_lt_i32 s26, 1
	s_mov_b64 s[10:11], 0
	s_cbranch_scc1 .LBB85_369
.LBB85_364:
	s_cmp_gt_i32 s26, 1
	s_cbranch_scc0 .LBB85_370
; %bb.365:
	s_cmp_eq_u32 s26, 2
	s_cbranch_scc0 .LBB85_371
; %bb.366:
	s_waitcnt vmcnt(0)
	v_cmp_ge_f64_e64 s[8:9], s[4:5], v[4:5]
	s_mov_b64 s[12:13], 0
	s_branch .LBB85_372
.LBB85_367:
	s_waitcnt vmcnt(0)
	v_cmp_gt_f64_e32 vcc, s[4:5], v[4:5]
	s_andn2_b64 s[6:7], s[6:7], exec
	s_and_b64 s[10:11], vcc, exec
	s_or_b64 s[6:7], s[6:7], s[10:11]
	s_cbranch_execnz .LBB85_363
.LBB85_368:
	s_waitcnt vmcnt(0)
	v_cmp_le_f64_e32 vcc, s[4:5], v[4:5]
	s_andn2_b64 s[6:7], s[6:7], exec
	s_and_b64 s[8:9], vcc, exec
	s_or_b64 s[6:7], s[6:7], s[8:9]
	global_load_dwordx2 v[4:5], v6, s[2:3]
	s_cmp_lt_i32 s26, 1
	s_mov_b64 s[10:11], 0
	s_cbranch_scc0 .LBB85_364
.LBB85_369:
                                        ; implicit-def: $sgpr8_sgpr9
	s_mov_b64 s[12:13], 0
	s_cbranch_execnz .LBB85_375
	s_branch .LBB85_376
.LBB85_370:
	s_mov_b64 s[12:13], 0
                                        ; implicit-def: $sgpr8_sgpr9
	s_cbranch_execnz .LBB85_373
	s_branch .LBB85_374
.LBB85_371:
	s_mov_b64 s[12:13], -1
                                        ; implicit-def: $sgpr8_sgpr9
.LBB85_372:
	s_branch .LBB85_374
.LBB85_373:
	s_waitcnt vmcnt(0)
	v_cmp_lt_f64_e32 vcc, s[4:5], v[4:5]
	s_andn2_b64 s[8:9], s[8:9], exec
	s_and_b64 s[14:15], vcc, exec
	s_or_b64 s[8:9], s[8:9], s[14:15]
.LBB85_374:
	s_branch .LBB85_376
.LBB85_375:
	s_cmp_lg_u32 s26, 0
	s_mov_b64 s[10:11], -1
	s_cselect_b64 s[12:13], -1, 0
.LBB85_376:
	s_andn2_b64 vcc, exec, s[12:13]
	s_cbranch_vccz .LBB85_382
; %bb.377:
	s_andn2_b64 vcc, exec, s[10:11]
	s_cbranch_vccz .LBB85_383
.LBB85_378:
	global_load_dwordx2 v[4:5], v9, s[2:3]
	s_cmp_lt_i32 s26, 1
	s_mov_b64 s[12:13], 0
	s_cbranch_scc1 .LBB85_384
.LBB85_379:
	s_cmp_gt_i32 s26, 1
	s_cbranch_scc0 .LBB85_385
; %bb.380:
	s_cmp_eq_u32 s26, 2
	s_cbranch_scc0 .LBB85_386
; %bb.381:
	s_waitcnt vmcnt(0)
	v_cmp_ge_f64_e64 s[10:11], s[4:5], v[4:5]
	s_mov_b64 s[14:15], 0
	s_branch .LBB85_387
.LBB85_382:
	s_waitcnt vmcnt(0)
	v_cmp_gt_f64_e32 vcc, s[4:5], v[4:5]
	s_andn2_b64 s[8:9], s[8:9], exec
	s_and_b64 s[12:13], vcc, exec
	s_or_b64 s[8:9], s[8:9], s[12:13]
	s_cbranch_execnz .LBB85_378
.LBB85_383:
	s_waitcnt vmcnt(0)
	v_cmp_le_f64_e32 vcc, s[4:5], v[4:5]
	s_andn2_b64 s[8:9], s[8:9], exec
	s_and_b64 s[10:11], vcc, exec
	s_or_b64 s[8:9], s[8:9], s[10:11]
	global_load_dwordx2 v[4:5], v9, s[2:3]
	s_cmp_lt_i32 s26, 1
	s_mov_b64 s[12:13], 0
	s_cbranch_scc0 .LBB85_379
.LBB85_384:
                                        ; implicit-def: $sgpr10_sgpr11
	s_mov_b64 s[14:15], 0
	s_cbranch_execnz .LBB85_390
	s_branch .LBB85_391
.LBB85_385:
	s_mov_b64 s[14:15], 0
                                        ; implicit-def: $sgpr10_sgpr11
	s_cbranch_execnz .LBB85_388
	s_branch .LBB85_389
.LBB85_386:
	s_mov_b64 s[14:15], -1
                                        ; implicit-def: $sgpr10_sgpr11
.LBB85_387:
	s_branch .LBB85_389
.LBB85_388:
	s_waitcnt vmcnt(0)
	v_cmp_lt_f64_e32 vcc, s[4:5], v[4:5]
	s_andn2_b64 s[10:11], s[10:11], exec
	s_and_b64 s[16:17], vcc, exec
	s_or_b64 s[10:11], s[10:11], s[16:17]
.LBB85_389:
	s_branch .LBB85_391
.LBB85_390:
	s_cmp_lg_u32 s26, 0
	s_mov_b64 s[12:13], -1
	s_cselect_b64 s[14:15], -1, 0
.LBB85_391:
	s_andn2_b64 vcc, exec, s[14:15]
	s_cbranch_vccz .LBB85_397
; %bb.392:
	s_andn2_b64 vcc, exec, s[12:13]
	s_cbranch_vccz .LBB85_398
.LBB85_393:
	global_load_dwordx2 v[4:5], v12, s[2:3]
	s_cmp_lt_i32 s26, 1
	s_mov_b64 s[14:15], 0
	s_cbranch_scc1 .LBB85_399
.LBB85_394:
	s_cmp_gt_i32 s26, 1
	s_cbranch_scc0 .LBB85_400
; %bb.395:
	s_cmp_eq_u32 s26, 2
	s_cbranch_scc0 .LBB85_401
; %bb.396:
	s_waitcnt vmcnt(0)
	v_cmp_ge_f64_e64 s[12:13], s[4:5], v[4:5]
	s_mov_b64 s[16:17], 0
	s_branch .LBB85_402
.LBB85_397:
	s_waitcnt vmcnt(0)
	v_cmp_gt_f64_e32 vcc, s[4:5], v[4:5]
	s_andn2_b64 s[10:11], s[10:11], exec
	s_and_b64 s[14:15], vcc, exec
	s_or_b64 s[10:11], s[10:11], s[14:15]
	s_cbranch_execnz .LBB85_393
.LBB85_398:
	s_waitcnt vmcnt(0)
	v_cmp_le_f64_e32 vcc, s[4:5], v[4:5]
	s_andn2_b64 s[10:11], s[10:11], exec
	s_and_b64 s[12:13], vcc, exec
	s_or_b64 s[10:11], s[10:11], s[12:13]
	global_load_dwordx2 v[4:5], v12, s[2:3]
	s_cmp_lt_i32 s26, 1
	s_mov_b64 s[14:15], 0
	s_cbranch_scc0 .LBB85_394
.LBB85_399:
                                        ; implicit-def: $sgpr12_sgpr13
	s_mov_b64 s[16:17], 0
	s_cbranch_execnz .LBB85_405
	s_branch .LBB85_406
.LBB85_400:
	s_mov_b64 s[16:17], 0
                                        ; implicit-def: $sgpr12_sgpr13
	s_cbranch_execnz .LBB85_403
	s_branch .LBB85_404
.LBB85_401:
	s_mov_b64 s[16:17], -1
                                        ; implicit-def: $sgpr12_sgpr13
.LBB85_402:
	s_branch .LBB85_404
.LBB85_403:
	s_waitcnt vmcnt(0)
	v_cmp_lt_f64_e32 vcc, s[4:5], v[4:5]
	s_andn2_b64 s[12:13], s[12:13], exec
	s_and_b64 s[18:19], vcc, exec
	s_or_b64 s[12:13], s[12:13], s[18:19]
.LBB85_404:
	s_branch .LBB85_406
.LBB85_405:
	s_cmp_lg_u32 s26, 0
	s_mov_b64 s[14:15], -1
	s_cselect_b64 s[16:17], -1, 0
.LBB85_406:
	s_andn2_b64 vcc, exec, s[16:17]
	s_cbranch_vccz .LBB85_412
; %bb.407:
	s_andn2_b64 vcc, exec, s[14:15]
	s_cbranch_vccz .LBB85_413
.LBB85_408:
	global_load_dwordx2 v[4:5], v13, s[2:3]
	s_cmp_lt_i32 s26, 1
	s_mov_b64 s[16:17], 0
	s_cbranch_scc1 .LBB85_414
.LBB85_409:
	s_cmp_gt_i32 s26, 1
	s_cbranch_scc0 .LBB85_415
; %bb.410:
	s_cmp_eq_u32 s26, 2
	s_cbranch_scc0 .LBB85_416
; %bb.411:
	s_waitcnt vmcnt(0)
	v_cmp_ge_f64_e64 s[14:15], s[4:5], v[4:5]
	s_mov_b64 s[18:19], 0
	s_branch .LBB85_417
.LBB85_412:
	s_waitcnt vmcnt(0)
	v_cmp_gt_f64_e32 vcc, s[4:5], v[4:5]
	s_andn2_b64 s[12:13], s[12:13], exec
	s_and_b64 s[16:17], vcc, exec
	s_or_b64 s[12:13], s[12:13], s[16:17]
	s_cbranch_execnz .LBB85_408
.LBB85_413:
	s_waitcnt vmcnt(0)
	v_cmp_le_f64_e32 vcc, s[4:5], v[4:5]
	s_andn2_b64 s[12:13], s[12:13], exec
	s_and_b64 s[14:15], vcc, exec
	s_or_b64 s[12:13], s[12:13], s[14:15]
	global_load_dwordx2 v[4:5], v13, s[2:3]
	s_cmp_lt_i32 s26, 1
	s_mov_b64 s[16:17], 0
	s_cbranch_scc0 .LBB85_409
.LBB85_414:
                                        ; implicit-def: $sgpr14_sgpr15
	s_mov_b64 s[18:19], 0
	s_cbranch_execnz .LBB85_420
	s_branch .LBB85_421
.LBB85_415:
	s_mov_b64 s[18:19], 0
                                        ; implicit-def: $sgpr14_sgpr15
	s_cbranch_execnz .LBB85_418
	s_branch .LBB85_419
.LBB85_416:
	s_mov_b64 s[18:19], -1
                                        ; implicit-def: $sgpr14_sgpr15
.LBB85_417:
	s_branch .LBB85_419
.LBB85_418:
	s_waitcnt vmcnt(0)
	v_cmp_lt_f64_e32 vcc, s[4:5], v[4:5]
	s_andn2_b64 s[14:15], s[14:15], exec
	s_and_b64 s[20:21], vcc, exec
	s_or_b64 s[14:15], s[14:15], s[20:21]
.LBB85_419:
	s_branch .LBB85_421
.LBB85_420:
	s_cmp_lg_u32 s26, 0
	s_mov_b64 s[16:17], -1
	s_cselect_b64 s[18:19], -1, 0
.LBB85_421:
	s_andn2_b64 vcc, exec, s[18:19]
	s_cbranch_vccz .LBB85_427
; %bb.422:
	s_andn2_b64 vcc, exec, s[16:17]
	s_cbranch_vccz .LBB85_428
.LBB85_423:
	global_load_dwordx2 v[4:5], v16, s[2:3]
	s_cmp_lt_i32 s26, 1
	s_mov_b64 s[18:19], 0
	s_cbranch_scc1 .LBB85_429
.LBB85_424:
	s_cmp_gt_i32 s26, 1
	s_cbranch_scc0 .LBB85_430
; %bb.425:
	s_cmp_eq_u32 s26, 2
	s_cbranch_scc0 .LBB85_431
; %bb.426:
	s_waitcnt vmcnt(0)
	v_cmp_ge_f64_e64 s[16:17], s[4:5], v[4:5]
	s_mov_b64 s[20:21], 0
	s_branch .LBB85_432
.LBB85_427:
	s_waitcnt vmcnt(0)
	v_cmp_gt_f64_e32 vcc, s[4:5], v[4:5]
	s_andn2_b64 s[14:15], s[14:15], exec
	s_and_b64 s[18:19], vcc, exec
	s_or_b64 s[14:15], s[14:15], s[18:19]
	s_cbranch_execnz .LBB85_423
.LBB85_428:
	s_waitcnt vmcnt(0)
	v_cmp_le_f64_e32 vcc, s[4:5], v[4:5]
	s_andn2_b64 s[14:15], s[14:15], exec
	s_and_b64 s[16:17], vcc, exec
	s_or_b64 s[14:15], s[14:15], s[16:17]
	global_load_dwordx2 v[4:5], v16, s[2:3]
	s_cmp_lt_i32 s26, 1
	s_mov_b64 s[18:19], 0
	s_cbranch_scc0 .LBB85_424
.LBB85_429:
                                        ; implicit-def: $sgpr16_sgpr17
	s_mov_b64 s[20:21], 0
	s_cbranch_execnz .LBB85_435
	s_branch .LBB85_436
.LBB85_430:
	s_mov_b64 s[20:21], 0
                                        ; implicit-def: $sgpr16_sgpr17
	s_cbranch_execnz .LBB85_433
	s_branch .LBB85_434
.LBB85_431:
	s_mov_b64 s[20:21], -1
                                        ; implicit-def: $sgpr16_sgpr17
.LBB85_432:
	s_branch .LBB85_434
.LBB85_433:
	s_waitcnt vmcnt(0)
	v_cmp_lt_f64_e32 vcc, s[4:5], v[4:5]
	s_andn2_b64 s[16:17], s[16:17], exec
	s_and_b64 s[22:23], vcc, exec
	s_or_b64 s[16:17], s[16:17], s[22:23]
.LBB85_434:
	s_branch .LBB85_436
.LBB85_435:
	s_cmp_lg_u32 s26, 0
	s_mov_b64 s[18:19], -1
	s_cselect_b64 s[20:21], -1, 0
.LBB85_436:
	s_andn2_b64 vcc, exec, s[20:21]
	s_cbranch_vccz .LBB85_442
; %bb.437:
	s_andn2_b64 vcc, exec, s[18:19]
	s_cbranch_vccz .LBB85_443
.LBB85_438:
	global_load_dwordx2 v[4:5], v17, s[2:3]
	s_cmp_lt_i32 s26, 1
	s_mov_b64 s[20:21], 0
	s_cbranch_scc1 .LBB85_444
.LBB85_439:
	s_cmp_gt_i32 s26, 1
	s_cbranch_scc0 .LBB85_445
; %bb.440:
	s_cmp_eq_u32 s26, 2
	s_cbranch_scc0 .LBB85_446
; %bb.441:
	s_waitcnt vmcnt(0)
	v_cmp_ge_f64_e64 s[18:19], s[4:5], v[4:5]
	s_mov_b64 s[22:23], 0
	s_branch .LBB85_447
.LBB85_442:
	s_waitcnt vmcnt(0)
	v_cmp_gt_f64_e32 vcc, s[4:5], v[4:5]
	s_andn2_b64 s[16:17], s[16:17], exec
	s_and_b64 s[20:21], vcc, exec
	s_or_b64 s[16:17], s[16:17], s[20:21]
	s_cbranch_execnz .LBB85_438
.LBB85_443:
	s_waitcnt vmcnt(0)
	v_cmp_le_f64_e32 vcc, s[4:5], v[4:5]
	s_andn2_b64 s[16:17], s[16:17], exec
	s_and_b64 s[18:19], vcc, exec
	s_or_b64 s[16:17], s[16:17], s[18:19]
	global_load_dwordx2 v[4:5], v17, s[2:3]
	s_cmp_lt_i32 s26, 1
	s_mov_b64 s[20:21], 0
	s_cbranch_scc0 .LBB85_439
.LBB85_444:
                                        ; implicit-def: $sgpr18_sgpr19
	s_mov_b64 s[22:23], 0
	s_cbranch_execnz .LBB85_450
	s_branch .LBB85_451
.LBB85_445:
	s_mov_b64 s[22:23], 0
                                        ; implicit-def: $sgpr18_sgpr19
	s_cbranch_execnz .LBB85_448
	s_branch .LBB85_449
.LBB85_446:
	s_mov_b64 s[22:23], -1
                                        ; implicit-def: $sgpr18_sgpr19
.LBB85_447:
	s_branch .LBB85_449
.LBB85_448:
	s_waitcnt vmcnt(0)
	v_cmp_lt_f64_e32 vcc, s[4:5], v[4:5]
	s_andn2_b64 s[18:19], s[18:19], exec
	s_and_b64 s[24:25], vcc, exec
	s_or_b64 s[18:19], s[18:19], s[24:25]
.LBB85_449:
	s_branch .LBB85_451
.LBB85_450:
	s_cmp_lg_u32 s26, 0
	s_mov_b64 s[20:21], -1
	s_cselect_b64 s[22:23], -1, 0
.LBB85_451:
	s_andn2_b64 vcc, exec, s[22:23]
	s_cbranch_vccz .LBB85_457
; %bb.452:
	s_andn2_b64 vcc, exec, s[20:21]
	s_cbranch_vccz .LBB85_458
.LBB85_453:
	global_load_dwordx2 v[4:5], v20, s[2:3]
	s_cmp_lt_i32 s26, 1
	s_mov_b64 s[20:21], 0
	s_cbranch_scc1 .LBB85_459
.LBB85_454:
	s_cmp_gt_i32 s26, 1
	s_cbranch_scc0 .LBB85_460
; %bb.455:
	s_cmp_eq_u32 s26, 2
	s_cbranch_scc0 .LBB85_461
; %bb.456:
	s_waitcnt vmcnt(0)
	v_cmp_ge_f64_e64 s[2:3], s[4:5], v[4:5]
	s_mov_b64 s[22:23], 0
	s_branch .LBB85_462
.LBB85_457:
	s_waitcnt vmcnt(0)
	v_cmp_gt_f64_e32 vcc, s[4:5], v[4:5]
	s_andn2_b64 s[18:19], s[18:19], exec
	s_and_b64 s[22:23], vcc, exec
	s_or_b64 s[18:19], s[18:19], s[22:23]
	s_cbranch_execnz .LBB85_453
.LBB85_458:
	s_waitcnt vmcnt(0)
	v_cmp_le_f64_e32 vcc, s[4:5], v[4:5]
	s_andn2_b64 s[18:19], s[18:19], exec
	s_and_b64 s[20:21], vcc, exec
	s_or_b64 s[18:19], s[18:19], s[20:21]
	global_load_dwordx2 v[4:5], v20, s[2:3]
	s_cmp_lt_i32 s26, 1
	s_mov_b64 s[20:21], 0
	s_cbranch_scc0 .LBB85_454
.LBB85_459:
                                        ; implicit-def: $sgpr2_sgpr3
	s_mov_b64 s[22:23], 0
	s_cbranch_execnz .LBB85_465
	s_branch .LBB85_466
.LBB85_460:
	s_mov_b64 s[22:23], 0
                                        ; implicit-def: $sgpr2_sgpr3
	s_cbranch_execnz .LBB85_463
	s_branch .LBB85_464
.LBB85_461:
	s_mov_b64 s[22:23], -1
                                        ; implicit-def: $sgpr2_sgpr3
.LBB85_462:
	s_branch .LBB85_464
.LBB85_463:
	s_waitcnt vmcnt(0)
	v_cmp_lt_f64_e32 vcc, s[4:5], v[4:5]
	s_andn2_b64 s[2:3], s[2:3], exec
	s_and_b64 s[24:25], vcc, exec
	s_or_b64 s[2:3], s[2:3], s[24:25]
.LBB85_464:
	s_branch .LBB85_466
.LBB85_465:
	s_cmp_lg_u32 s26, 0
	s_mov_b64 s[20:21], -1
	s_cselect_b64 s[22:23], -1, 0
.LBB85_466:
	s_andn2_b64 vcc, exec, s[22:23]
	s_cbranch_vccz .LBB85_470
; %bb.467:
	s_andn2_b64 vcc, exec, s[20:21]
	s_cbranch_vccnz .LBB85_469
.LBB85_468:
	s_waitcnt vmcnt(0)
	v_cmp_le_f64_e32 vcc, s[4:5], v[4:5]
	s_andn2_b64 s[2:3], s[2:3], exec
	s_and_b64 s[4:5], vcc, exec
	s_or_b64 s[2:3], s[2:3], s[4:5]
.LBB85_469:
	v_cndmask_b32_e64 v12, 0, 1, s[6:7]
	s_waitcnt vmcnt(0)
	v_cndmask_b32_e64 v4, 0, 1, s[18:19]
	v_cndmask_b32_e64 v5, 0, 1, s[16:17]
	;; [unrolled: 1-line block ×7, first 2 shown]
	global_store_byte v0, v12, s[0:1]
	global_store_byte v1, v11, s[0:1]
	;; [unrolled: 1-line block ×8, first 2 shown]
	s_endpgm
.LBB85_470:
	s_waitcnt vmcnt(0)
	v_cmp_gt_f64_e32 vcc, s[4:5], v[4:5]
	s_andn2_b64 s[2:3], s[2:3], exec
	s_and_b64 s[22:23], vcc, exec
	s_or_b64 s[2:3], s[2:3], s[22:23]
	s_cbranch_execz .LBB85_468
	s_branch .LBB85_469
.LBB85_471:
	s_mov_b64 s[4:5], -1
                                        ; implicit-def: $sgpr2_sgpr3
	s_branch .LBB85_60
.LBB85_472:
	s_mov_b64 s[4:5], -1
                                        ; implicit-def: $sgpr2_sgpr3
	s_branch .LBB85_88
.LBB85_473:
	s_mov_b64 s[4:5], -1
                                        ; implicit-def: $sgpr2_sgpr3
	s_branch .LBB85_116
.LBB85_474:
	s_mov_b64 s[4:5], -1
                                        ; implicit-def: $sgpr2_sgpr3
	s_branch .LBB85_144
.LBB85_475:
	s_mov_b64 s[4:5], -1
                                        ; implicit-def: $sgpr2_sgpr3
	s_branch .LBB85_172
.LBB85_476:
	s_mov_b64 s[4:5], -1
                                        ; implicit-def: $sgpr2_sgpr3
	s_branch .LBB85_200
.LBB85_477:
	s_mov_b64 s[4:5], -1
                                        ; implicit-def: $sgpr2_sgpr3
	s_branch .LBB85_228
	.section	.rodata,"a",@progbits
	.p2align	6, 0x0
	.amdhsa_kernel _ZN2at6native32elementwise_kernel_manual_unrollILi128ELi8EZNS0_22gpu_kernel_impl_nocastIZNS0_21compare_scalar_kernelIdEEvRNS_18TensorIteratorBaseENS0_12_GLOBAL__N_16OpTypeET_EUldE_EEvS5_RKS8_EUlibE_EEviT1_
		.amdhsa_group_segment_fixed_size 0
		.amdhsa_private_segment_fixed_size 0
		.amdhsa_kernarg_size 368
		.amdhsa_user_sgpr_count 6
		.amdhsa_user_sgpr_private_segment_buffer 1
		.amdhsa_user_sgpr_dispatch_ptr 0
		.amdhsa_user_sgpr_queue_ptr 0
		.amdhsa_user_sgpr_kernarg_segment_ptr 1
		.amdhsa_user_sgpr_dispatch_id 0
		.amdhsa_user_sgpr_flat_scratch_init 0
		.amdhsa_user_sgpr_private_segment_size 0
		.amdhsa_uses_dynamic_stack 0
		.amdhsa_system_sgpr_private_segment_wavefront_offset 0
		.amdhsa_system_sgpr_workgroup_id_x 1
		.amdhsa_system_sgpr_workgroup_id_y 0
		.amdhsa_system_sgpr_workgroup_id_z 0
		.amdhsa_system_sgpr_workgroup_info 0
		.amdhsa_system_vgpr_workitem_id 0
		.amdhsa_next_free_vgpr 26
		.amdhsa_next_free_sgpr 63
		.amdhsa_reserve_vcc 1
		.amdhsa_reserve_flat_scratch 0
		.amdhsa_float_round_mode_32 0
		.amdhsa_float_round_mode_16_64 0
		.amdhsa_float_denorm_mode_32 3
		.amdhsa_float_denorm_mode_16_64 3
		.amdhsa_dx10_clamp 1
		.amdhsa_ieee_mode 1
		.amdhsa_fp16_overflow 0
		.amdhsa_exception_fp_ieee_invalid_op 0
		.amdhsa_exception_fp_denorm_src 0
		.amdhsa_exception_fp_ieee_div_zero 0
		.amdhsa_exception_fp_ieee_overflow 0
		.amdhsa_exception_fp_ieee_underflow 0
		.amdhsa_exception_fp_ieee_inexact 0
		.amdhsa_exception_int_div_zero 0
	.end_amdhsa_kernel
	.section	.text._ZN2at6native32elementwise_kernel_manual_unrollILi128ELi8EZNS0_22gpu_kernel_impl_nocastIZNS0_21compare_scalar_kernelIdEEvRNS_18TensorIteratorBaseENS0_12_GLOBAL__N_16OpTypeET_EUldE_EEvS5_RKS8_EUlibE_EEviT1_,"axG",@progbits,_ZN2at6native32elementwise_kernel_manual_unrollILi128ELi8EZNS0_22gpu_kernel_impl_nocastIZNS0_21compare_scalar_kernelIdEEvRNS_18TensorIteratorBaseENS0_12_GLOBAL__N_16OpTypeET_EUldE_EEvS5_RKS8_EUlibE_EEviT1_,comdat
.Lfunc_end85:
	.size	_ZN2at6native32elementwise_kernel_manual_unrollILi128ELi8EZNS0_22gpu_kernel_impl_nocastIZNS0_21compare_scalar_kernelIdEEvRNS_18TensorIteratorBaseENS0_12_GLOBAL__N_16OpTypeET_EUldE_EEvS5_RKS8_EUlibE_EEviT1_, .Lfunc_end85-_ZN2at6native32elementwise_kernel_manual_unrollILi128ELi8EZNS0_22gpu_kernel_impl_nocastIZNS0_21compare_scalar_kernelIdEEvRNS_18TensorIteratorBaseENS0_12_GLOBAL__N_16OpTypeET_EUldE_EEvS5_RKS8_EUlibE_EEviT1_
                                        ; -- End function
	.set _ZN2at6native32elementwise_kernel_manual_unrollILi128ELi8EZNS0_22gpu_kernel_impl_nocastIZNS0_21compare_scalar_kernelIdEEvRNS_18TensorIteratorBaseENS0_12_GLOBAL__N_16OpTypeET_EUldE_EEvS5_RKS8_EUlibE_EEviT1_.num_vgpr, 26
	.set _ZN2at6native32elementwise_kernel_manual_unrollILi128ELi8EZNS0_22gpu_kernel_impl_nocastIZNS0_21compare_scalar_kernelIdEEvRNS_18TensorIteratorBaseENS0_12_GLOBAL__N_16OpTypeET_EUldE_EEvS5_RKS8_EUlibE_EEviT1_.num_agpr, 0
	.set _ZN2at6native32elementwise_kernel_manual_unrollILi128ELi8EZNS0_22gpu_kernel_impl_nocastIZNS0_21compare_scalar_kernelIdEEvRNS_18TensorIteratorBaseENS0_12_GLOBAL__N_16OpTypeET_EUldE_EEvS5_RKS8_EUlibE_EEviT1_.numbered_sgpr, 63
	.set _ZN2at6native32elementwise_kernel_manual_unrollILi128ELi8EZNS0_22gpu_kernel_impl_nocastIZNS0_21compare_scalar_kernelIdEEvRNS_18TensorIteratorBaseENS0_12_GLOBAL__N_16OpTypeET_EUldE_EEvS5_RKS8_EUlibE_EEviT1_.num_named_barrier, 0
	.set _ZN2at6native32elementwise_kernel_manual_unrollILi128ELi8EZNS0_22gpu_kernel_impl_nocastIZNS0_21compare_scalar_kernelIdEEvRNS_18TensorIteratorBaseENS0_12_GLOBAL__N_16OpTypeET_EUldE_EEvS5_RKS8_EUlibE_EEviT1_.private_seg_size, 0
	.set _ZN2at6native32elementwise_kernel_manual_unrollILi128ELi8EZNS0_22gpu_kernel_impl_nocastIZNS0_21compare_scalar_kernelIdEEvRNS_18TensorIteratorBaseENS0_12_GLOBAL__N_16OpTypeET_EUldE_EEvS5_RKS8_EUlibE_EEviT1_.uses_vcc, 1
	.set _ZN2at6native32elementwise_kernel_manual_unrollILi128ELi8EZNS0_22gpu_kernel_impl_nocastIZNS0_21compare_scalar_kernelIdEEvRNS_18TensorIteratorBaseENS0_12_GLOBAL__N_16OpTypeET_EUldE_EEvS5_RKS8_EUlibE_EEviT1_.uses_flat_scratch, 0
	.set _ZN2at6native32elementwise_kernel_manual_unrollILi128ELi8EZNS0_22gpu_kernel_impl_nocastIZNS0_21compare_scalar_kernelIdEEvRNS_18TensorIteratorBaseENS0_12_GLOBAL__N_16OpTypeET_EUldE_EEvS5_RKS8_EUlibE_EEviT1_.has_dyn_sized_stack, 0
	.set _ZN2at6native32elementwise_kernel_manual_unrollILi128ELi8EZNS0_22gpu_kernel_impl_nocastIZNS0_21compare_scalar_kernelIdEEvRNS_18TensorIteratorBaseENS0_12_GLOBAL__N_16OpTypeET_EUldE_EEvS5_RKS8_EUlibE_EEviT1_.has_recursion, 0
	.set _ZN2at6native32elementwise_kernel_manual_unrollILi128ELi8EZNS0_22gpu_kernel_impl_nocastIZNS0_21compare_scalar_kernelIdEEvRNS_18TensorIteratorBaseENS0_12_GLOBAL__N_16OpTypeET_EUldE_EEvS5_RKS8_EUlibE_EEviT1_.has_indirect_call, 0
	.section	.AMDGPU.csdata,"",@progbits
; Kernel info:
; codeLenInByte = 14280
; TotalNumSgprs: 67
; NumVgprs: 26
; ScratchSize: 0
; MemoryBound: 0
; FloatMode: 240
; IeeeMode: 1
; LDSByteSize: 0 bytes/workgroup (compile time only)
; SGPRBlocks: 8
; VGPRBlocks: 6
; NumSGPRsForWavesPerEU: 67
; NumVGPRsForWavesPerEU: 26
; Occupancy: 9
; WaveLimiterHint : 1
; COMPUTE_PGM_RSRC2:SCRATCH_EN: 0
; COMPUTE_PGM_RSRC2:USER_SGPR: 6
; COMPUTE_PGM_RSRC2:TRAP_HANDLER: 0
; COMPUTE_PGM_RSRC2:TGID_X_EN: 1
; COMPUTE_PGM_RSRC2:TGID_Y_EN: 0
; COMPUTE_PGM_RSRC2:TGID_Z_EN: 0
; COMPUTE_PGM_RSRC2:TIDIG_COMP_CNT: 0
	.section	.text._ZN2at6native32elementwise_kernel_manual_unrollILi128ELi4EZNS0_15gpu_kernel_implIZNS0_21compare_scalar_kernelIdEEvRNS_18TensorIteratorBaseENS0_12_GLOBAL__N_16OpTypeET_EUldE_EEvS5_RKS8_EUlibE_EEviT1_,"axG",@progbits,_ZN2at6native32elementwise_kernel_manual_unrollILi128ELi4EZNS0_15gpu_kernel_implIZNS0_21compare_scalar_kernelIdEEvRNS_18TensorIteratorBaseENS0_12_GLOBAL__N_16OpTypeET_EUldE_EEvS5_RKS8_EUlibE_EEviT1_,comdat
	.globl	_ZN2at6native32elementwise_kernel_manual_unrollILi128ELi4EZNS0_15gpu_kernel_implIZNS0_21compare_scalar_kernelIdEEvRNS_18TensorIteratorBaseENS0_12_GLOBAL__N_16OpTypeET_EUldE_EEvS5_RKS8_EUlibE_EEviT1_ ; -- Begin function _ZN2at6native32elementwise_kernel_manual_unrollILi128ELi4EZNS0_15gpu_kernel_implIZNS0_21compare_scalar_kernelIdEEvRNS_18TensorIteratorBaseENS0_12_GLOBAL__N_16OpTypeET_EUldE_EEvS5_RKS8_EUlibE_EEviT1_
	.p2align	8
	.type	_ZN2at6native32elementwise_kernel_manual_unrollILi128ELi4EZNS0_15gpu_kernel_implIZNS0_21compare_scalar_kernelIdEEvRNS_18TensorIteratorBaseENS0_12_GLOBAL__N_16OpTypeET_EUldE_EEvS5_RKS8_EUlibE_EEviT1_,@function
_ZN2at6native32elementwise_kernel_manual_unrollILi128ELi4EZNS0_15gpu_kernel_implIZNS0_21compare_scalar_kernelIdEEvRNS_18TensorIteratorBaseENS0_12_GLOBAL__N_16OpTypeET_EUldE_EEvS5_RKS8_EUlibE_EEviT1_: ; @_ZN2at6native32elementwise_kernel_manual_unrollILi128ELi4EZNS0_15gpu_kernel_implIZNS0_21compare_scalar_kernelIdEEvRNS_18TensorIteratorBaseENS0_12_GLOBAL__N_16OpTypeET_EUldE_EEvS5_RKS8_EUlibE_EEviT1_
; %bb.0:
	s_load_dword s33, s[4:5], 0x30
	s_load_dwordx2 s[2:3], s[4:5], 0x28
	s_load_dword s42, s[4:5], 0x0
	s_load_dwordx8 s[8:15], s[4:5], 0x8
	v_lshl_or_b32 v4, s6, 9, v0
	v_or_b32_e32 v0, 0x180, v4
	s_waitcnt lgkmcnt(0)
	s_bfe_u32 s15, s33, 0x80008
	v_cmp_le_i32_e32 vcc, s42, v0
	s_mov_b64 s[4:5], 0
	s_mov_b64 s[16:17], 0
	s_and_saveexec_b64 s[0:1], vcc
	s_xor_b64 s[6:7], exec, s[0:1]
	s_cbranch_execz .LBB86_1092
; %bb.1:
	v_cmp_gt_i32_e32 vcc, s42, v4
	s_mov_b64 s[22:23], -1
	s_mov_b64 s[24:25], 0
	s_mov_b64 s[18:19], 0
	s_and_saveexec_b64 s[20:21], vcc
	s_cbranch_execz .LBB86_268
; %bb.2:
	v_mul_lo_u32 v0, v4, s13
	v_mov_b32_e32 v1, s11
	s_and_b32 s26, 0xffff, s15
	s_cmp_lt_i32 s26, 11
	v_ashrrev_i32_e32 v2, 31, v0
	v_add_co_u32_e32 v0, vcc, s10, v0
	v_addc_co_u32_e32 v1, vcc, v1, v2, vcc
	s_cbranch_scc1 .LBB86_9
; %bb.3:
	s_cmp_gt_i32 s26, 25
	s_cbranch_scc0 .LBB86_15
; %bb.4:
	s_cmp_gt_i32 s26, 28
	s_cbranch_scc0 .LBB86_17
	;; [unrolled: 3-line block ×4, first 2 shown]
; %bb.7:
	s_cmp_eq_u32 s26, 46
	s_cbranch_scc0 .LBB86_44
; %bb.8:
	global_load_dword v2, v[0:1], off
	s_mov_b64 s[0:1], -1
	s_waitcnt vmcnt(0)
	v_lshlrev_b32_e32 v2, 16, v2
	v_cvt_f64_f32_e32 v[2:3], v2
	s_branch .LBB86_46
.LBB86_9:
                                        ; implicit-def: $vgpr2_vgpr3
	s_mov_b64 s[0:1], 0
	s_cbranch_execnz .LBB86_219
.LBB86_10:
	s_andn2_b64 vcc, exec, s[0:1]
	s_cbranch_vccnz .LBB86_266
.LBB86_11:
	s_cmp_lt_i32 s14, 1
	s_mov_b64 s[0:1], 0
	s_cbranch_scc1 .LBB86_16
; %bb.12:
	s_cmp_gt_i32 s14, 1
	s_cbranch_scc0 .LBB86_18
; %bb.13:
	s_cmp_eq_u32 s14, 2
	s_cbranch_scc0 .LBB86_20
; %bb.14:
	s_waitcnt vmcnt(0)
	v_cmp_ge_f64_e64 s[16:17], s[2:3], v[2:3]
	s_mov_b64 s[22:23], 0
	s_branch .LBB86_21
.LBB86_15:
	s_mov_b64 s[0:1], 0
                                        ; implicit-def: $vgpr2_vgpr3
	s_cbranch_execnz .LBB86_186
	s_branch .LBB86_218
.LBB86_16:
                                        ; implicit-def: $sgpr16_sgpr17
	s_mov_b64 s[22:23], 0
	s_cbranch_execnz .LBB86_25
	s_branch .LBB86_26
.LBB86_17:
	s_mov_b64 s[16:17], -1
	s_mov_b64 s[0:1], 0
                                        ; implicit-def: $vgpr2_vgpr3
	s_branch .LBB86_165
.LBB86_18:
	s_mov_b64 s[26:27], -1
	s_mov_b64 s[22:23], 0
                                        ; implicit-def: $sgpr16_sgpr17
	s_branch .LBB86_22
.LBB86_19:
	s_mov_b64 s[16:17], -1
	s_mov_b64 s[0:1], 0
                                        ; implicit-def: $vgpr2_vgpr3
	s_branch .LBB86_160
.LBB86_20:
	s_mov_b64 s[22:23], -1
                                        ; implicit-def: $sgpr16_sgpr17
.LBB86_21:
	s_mov_b64 s[26:27], 0
.LBB86_22:
	s_and_b64 vcc, exec, s[26:27]
	s_cbranch_vccz .LBB86_24
; %bb.23:
	s_waitcnt vmcnt(0)
	v_cmp_lt_f64_e32 vcc, s[2:3], v[2:3]
	s_andn2_b64 s[16:17], s[16:17], exec
	s_and_b64 s[26:27], vcc, exec
	s_or_b64 s[16:17], s[16:17], s[26:27]
.LBB86_24:
	s_branch .LBB86_26
.LBB86_25:
	s_cmp_lg_u32 s14, 0
	s_mov_b64 s[0:1], -1
	s_cselect_b64 s[22:23], -1, 0
.LBB86_26:
	s_andn2_b64 vcc, exec, s[22:23]
	s_cbranch_vccnz .LBB86_28
; %bb.27:
	s_waitcnt vmcnt(0)
	v_cmp_gt_f64_e32 vcc, s[2:3], v[2:3]
	s_andn2_b64 s[16:17], s[16:17], exec
	s_and_b64 s[22:23], vcc, exec
	s_or_b64 s[16:17], s[16:17], s[22:23]
	s_cbranch_execz .LBB86_29
	s_branch .LBB86_30
.LBB86_28:
	s_andn2_b64 vcc, exec, s[0:1]
	s_cbranch_vccnz .LBB86_30
.LBB86_29:
	s_waitcnt vmcnt(0)
	v_cmp_le_f64_e32 vcc, s[2:3], v[2:3]
	s_andn2_b64 s[0:1], s[16:17], exec
	s_and_b64 s[16:17], vcc, exec
	s_or_b64 s[16:17], s[0:1], s[16:17]
.LBB86_30:
	v_mul_lo_u32 v0, v4, s12
	v_mov_b32_e32 v1, s9
	s_and_b32 s30, s33, 0xff
	s_cmp_lt_i32 s30, 11
	s_waitcnt vmcnt(0)
	v_ashrrev_i32_e32 v2, 31, v0
	v_add_co_u32_e32 v0, vcc, s8, v0
	v_addc_co_u32_e32 v1, vcc, v1, v2, vcc
	s_cbranch_scc1 .LBB86_37
; %bb.31:
	s_and_b32 s31, 0xffff, s30
	s_cmp_gt_i32 s31, 25
	s_cbranch_scc0 .LBB86_40
; %bb.32:
	s_cmp_gt_i32 s31, 28
	s_cbranch_scc0 .LBB86_41
; %bb.33:
	;; [unrolled: 3-line block ×4, first 2 shown]
	s_mov_b64 s[26:27], 0
	s_mov_b64 s[0:1], -1
	s_cmp_eq_u32 s31, 46
	s_mov_b64 s[22:23], 0
	s_cbranch_scc0 .LBB86_50
; %bb.36:
	v_cndmask_b32_e64 v2, 0, 1.0, s[16:17]
	v_bfe_u32 v3, v2, 16, 1
	s_movk_i32 s0, 0x7fff
	v_add3_u32 v2, v2, v3, s0
	v_lshrrev_b32_e32 v2, 16, v2
	global_store_dword v[0:1], v2, off
	s_mov_b64 s[22:23], -1
	s_mov_b64 s[0:1], 0
	s_branch .LBB86_50
.LBB86_37:
	s_mov_b64 s[0:1], 0
	s_mov_b64 s[22:23], 0
	s_cbranch_execnz .LBB86_119
.LBB86_38:
	s_andn2_b64 vcc, exec, s[22:23]
	s_cbranch_vccnz .LBB86_157
.LBB86_39:
	v_add_u32_e32 v4, 0x80, v4
	s_mov_b64 s[22:23], -1
	s_branch .LBB86_267
.LBB86_40:
	s_mov_b64 s[26:27], -1
	s_mov_b64 s[0:1], 0
	s_mov_b64 s[22:23], 0
	s_branch .LBB86_77
.LBB86_41:
	s_mov_b64 s[26:27], -1
	s_mov_b64 s[0:1], 0
	s_mov_b64 s[22:23], 0
	s_branch .LBB86_60
.LBB86_42:
	s_mov_b64 s[16:17], -1
	s_branch .LBB86_45
.LBB86_43:
	s_mov_b64 s[26:27], -1
	s_mov_b64 s[0:1], 0
	s_mov_b64 s[22:23], 0
	s_branch .LBB86_56
.LBB86_44:
	s_mov_b64 s[18:19], -1
.LBB86_45:
	s_mov_b64 s[0:1], 0
                                        ; implicit-def: $vgpr2_vgpr3
.LBB86_46:
	s_and_b64 vcc, exec, s[16:17]
	s_cbranch_vccz .LBB86_159
; %bb.47:
	s_cmp_eq_u32 s26, 44
	s_cbranch_scc0 .LBB86_158
; %bb.48:
	global_load_ubyte v5, v[0:1], off
	s_movk_i32 s16, 0xff
	v_bfrev_b32_e32 v6, 4
	v_mov_b32_e32 v7, 0x7ff80000
	v_bfrev_b32_e32 v8, 28
	s_mov_b64 s[0:1], -1
	s_mov_b64 s[18:19], 0
	s_waitcnt vmcnt(0)
	v_lshlrev_b32_e32 v2, 23, v5
	v_cvt_f64_f32_e32 v[2:3], v2
	v_cmp_ne_u32_e32 vcc, s16, v5
	v_cndmask_b32_e32 v2, v6, v2, vcc
	v_cndmask_b32_e32 v3, v7, v3, vcc
	v_cmp_ne_u32_e32 vcc, 0, v5
	v_cndmask_b32_e32 v3, v8, v3, vcc
	v_cndmask_b32_e32 v2, 0, v2, vcc
	s_branch .LBB86_159
.LBB86_49:
	s_mov_b64 s[26:27], -1
	s_mov_b64 s[0:1], 0
	s_mov_b64 s[22:23], 0
.LBB86_50:
	s_and_b64 vcc, exec, s[26:27]
	s_cbranch_vccz .LBB86_55
; %bb.51:
	s_cmp_eq_u32 s31, 44
	s_mov_b64 s[0:1], -1
	s_cbranch_scc0 .LBB86_55
; %bb.52:
	v_cndmask_b32_e64 v3, 0, 1.0, s[16:17]
	v_lshrrev_b32_e32 v2, 23, v3
	s_movk_i32 s0, 0xff
	v_cmp_ne_u32_e32 vcc, s0, v2
	v_mov_b32_e32 v5, 0xff
	s_and_saveexec_b64 s[22:23], vcc
; %bb.53:
	s_mov_b32 s0, 0x3fffff
	v_and_b32_e32 v5, 0x400000, v3
	v_and_or_b32 v3, v3, s0, v2
	v_cmp_ne_u32_e32 vcc, 0, v5
	v_cmp_ne_u32_e64 s[0:1], 0, v3
	s_and_b64 s[0:1], vcc, s[0:1]
	v_cndmask_b32_e64 v3, 0, 1, s[0:1]
	v_add_u32_e32 v5, v2, v3
; %bb.54:
	s_or_b64 exec, exec, s[22:23]
	s_mov_b64 s[22:23], -1
	s_mov_b64 s[0:1], 0
	global_store_byte v[0:1], v5, off
.LBB86_55:
	s_mov_b64 s[26:27], 0
.LBB86_56:
	s_and_b64 vcc, exec, s[26:27]
	s_cbranch_vccz .LBB86_59
; %bb.57:
	s_cmp_eq_u32 s31, 29
	s_mov_b64 s[0:1], -1
	s_cbranch_scc0 .LBB86_59
; %bb.58:
	s_mov_b32 s0, 0
	v_cndmask_b32_e64 v2, 0, 1, s[16:17]
	v_mov_b32_e32 v3, s0
	global_store_dwordx2 v[0:1], v[2:3], off
	s_mov_b64 s[22:23], -1
	s_mov_b64 s[0:1], 0
.LBB86_59:
	s_mov_b64 s[26:27], 0
.LBB86_60:
	s_and_b64 vcc, exec, s[26:27]
	s_cbranch_vccz .LBB86_76
; %bb.61:
	s_cmp_lt_i32 s31, 27
	s_mov_b64 s[22:23], -1
	s_cbranch_scc1 .LBB86_67
; %bb.62:
	s_cmp_gt_i32 s31, 27
	s_cbranch_scc0 .LBB86_64
; %bb.63:
	v_cndmask_b32_e64 v2, 0, 1, s[16:17]
	s_mov_b64 s[22:23], 0
	global_store_dword v[0:1], v2, off
.LBB86_64:
	s_andn2_b64 vcc, exec, s[22:23]
	s_cbranch_vccnz .LBB86_66
; %bb.65:
	v_cndmask_b32_e64 v2, 0, 1, s[16:17]
	global_store_short v[0:1], v2, off
.LBB86_66:
	s_mov_b64 s[22:23], 0
.LBB86_67:
	s_andn2_b64 vcc, exec, s[22:23]
	s_cbranch_vccnz .LBB86_75
; %bb.68:
	v_cndmask_b32_e64 v3, 0, 1.0, s[16:17]
	s_mov_b32 s22, 0x43800000
	v_cmp_gt_u32_e32 vcc, s22, v3
	v_mov_b32_e32 v5, 0x80
	s_and_saveexec_b64 s[22:23], vcc
	s_cbranch_execz .LBB86_74
; %bb.69:
	s_mov_b32 s26, 0x3bffffff
	v_cmp_lt_u32_e32 vcc, s26, v3
	s_mov_b64 s[26:27], 0
                                        ; implicit-def: $vgpr2
	s_and_saveexec_b64 s[28:29], vcc
	s_xor_b64 s[28:29], exec, s[28:29]
	s_cbranch_execz .LBB86_311
; %bb.70:
	v_bfe_u32 v2, v3, 20, 1
	s_mov_b32 s34, 0x487ffff
	v_add3_u32 v2, v3, v2, s34
	s_mov_b64 s[26:27], exec
	v_lshrrev_b32_e32 v2, 20, v2
                                        ; implicit-def: $vgpr3
	s_andn2_saveexec_b64 s[28:29], s[28:29]
	s_cbranch_execnz .LBB86_312
.LBB86_71:
	s_or_b64 exec, exec, s[28:29]
	v_mov_b32_e32 v5, 0
	s_and_saveexec_b64 s[28:29], s[26:27]
.LBB86_72:
	v_mov_b32_e32 v5, v2
.LBB86_73:
	s_or_b64 exec, exec, s[28:29]
.LBB86_74:
	s_or_b64 exec, exec, s[22:23]
	global_store_byte v[0:1], v5, off
.LBB86_75:
	s_mov_b64 s[22:23], -1
.LBB86_76:
	s_mov_b64 s[26:27], 0
.LBB86_77:
	s_and_b64 vcc, exec, s[26:27]
	s_cbranch_vccz .LBB86_118
; %bb.78:
	s_cmp_gt_i32 s31, 22
	s_mov_b64 s[26:27], -1
	s_cbranch_scc0 .LBB86_110
; %bb.79:
	s_cmp_lt_i32 s31, 24
	s_mov_b64 s[22:23], -1
	s_cbranch_scc1 .LBB86_99
; %bb.80:
	s_cmp_gt_i32 s31, 24
	s_cbranch_scc0 .LBB86_88
; %bb.81:
	v_cndmask_b32_e64 v3, 0, 1.0, s[16:17]
	s_mov_b32 s22, 0x47800000
	v_cmp_gt_u32_e32 vcc, s22, v3
	v_mov_b32_e32 v5, 0x80
	s_and_saveexec_b64 s[22:23], vcc
	s_cbranch_execz .LBB86_87
; %bb.82:
	s_mov_b32 s26, 0x37ffffff
	v_cmp_lt_u32_e32 vcc, s26, v3
	s_mov_b64 s[26:27], 0
                                        ; implicit-def: $vgpr2
	s_and_saveexec_b64 s[28:29], vcc
	s_xor_b64 s[28:29], exec, s[28:29]
	s_cbranch_execz .LBB86_315
; %bb.83:
	v_bfe_u32 v2, v3, 21, 1
	s_mov_b32 s34, 0x88fffff
	v_add3_u32 v2, v3, v2, s34
	s_mov_b64 s[26:27], exec
	v_lshrrev_b32_e32 v2, 21, v2
                                        ; implicit-def: $vgpr3
	s_andn2_saveexec_b64 s[28:29], s[28:29]
	s_cbranch_execnz .LBB86_316
.LBB86_84:
	s_or_b64 exec, exec, s[28:29]
	v_mov_b32_e32 v5, 0
	s_and_saveexec_b64 s[28:29], s[26:27]
.LBB86_85:
	v_mov_b32_e32 v5, v2
.LBB86_86:
	s_or_b64 exec, exec, s[28:29]
.LBB86_87:
	s_or_b64 exec, exec, s[22:23]
	s_mov_b64 s[22:23], 0
	global_store_byte v[0:1], v5, off
.LBB86_88:
	s_and_b64 vcc, exec, s[22:23]
	s_cbranch_vccz .LBB86_98
; %bb.89:
	v_cndmask_b32_e64 v2, 0, 1.0, s[16:17]
	s_mov_b32 s22, 0x43f00000
	v_cmp_gt_u32_e32 vcc, s22, v2
                                        ; implicit-def: $vgpr3
	s_and_saveexec_b64 s[22:23], vcc
	s_xor_b64 s[22:23], exec, s[22:23]
	s_cbranch_execz .LBB86_95
; %bb.90:
	s_mov_b32 s26, 0x3c7fffff
	v_cmp_lt_u32_e32 vcc, s26, v2
                                        ; implicit-def: $vgpr3
	s_and_saveexec_b64 s[26:27], vcc
	s_xor_b64 s[26:27], exec, s[26:27]
; %bb.91:
	v_bfe_u32 v3, v2, 20, 1
	s_mov_b32 s28, 0x407ffff
	v_add3_u32 v2, v2, v3, s28
	v_lshrrev_b32_e32 v3, 20, v2
	v_and_b32_e32 v2, 0xff00000, v2
	s_mov_b32 s28, 0x7f00000
	v_mov_b32_e32 v5, 0x7e
	v_cmp_ne_u32_e32 vcc, s28, v2
	v_cndmask_b32_e32 v3, v5, v3, vcc
                                        ; implicit-def: $vgpr2
; %bb.92:
	s_andn2_saveexec_b64 s[26:27], s[26:27]
; %bb.93:
	v_add_f32_e32 v3, 0x46800000, v2
; %bb.94:
	s_or_b64 exec, exec, s[26:27]
                                        ; implicit-def: $vgpr2
.LBB86_95:
	s_andn2_saveexec_b64 s[22:23], s[22:23]
; %bb.96:
	s_mov_b32 s26, 0x7f800000
	v_mov_b32_e32 v3, 0x7e
	v_mov_b32_e32 v5, 0x7f
	v_cmp_lt_u32_e32 vcc, s26, v2
	v_cndmask_b32_e32 v3, v3, v5, vcc
; %bb.97:
	s_or_b64 exec, exec, s[22:23]
	global_store_byte v[0:1], v3, off
.LBB86_98:
	s_mov_b64 s[22:23], 0
.LBB86_99:
	s_andn2_b64 vcc, exec, s[22:23]
	s_cbranch_vccnz .LBB86_109
; %bb.100:
	v_cndmask_b32_e64 v2, 0, 1.0, s[16:17]
	s_mov_b32 s22, 0x47800000
	v_cmp_gt_u32_e32 vcc, s22, v2
                                        ; implicit-def: $vgpr3
	s_and_saveexec_b64 s[22:23], vcc
	s_xor_b64 s[22:23], exec, s[22:23]
	s_cbranch_execz .LBB86_106
; %bb.101:
	s_mov_b32 s26, 0x387fffff
	v_cmp_lt_u32_e32 vcc, s26, v2
                                        ; implicit-def: $vgpr3
	s_and_saveexec_b64 s[26:27], vcc
	s_xor_b64 s[26:27], exec, s[26:27]
; %bb.102:
	v_bfe_u32 v3, v2, 21, 1
	s_mov_b32 s28, 0x80fffff
	v_add3_u32 v2, v2, v3, s28
	v_lshrrev_b32_e32 v3, 21, v2
                                        ; implicit-def: $vgpr2
; %bb.103:
	s_andn2_saveexec_b64 s[26:27], s[26:27]
; %bb.104:
	v_add_f32_e32 v3, 0x43000000, v2
; %bb.105:
	s_or_b64 exec, exec, s[26:27]
                                        ; implicit-def: $vgpr2
.LBB86_106:
	s_andn2_saveexec_b64 s[22:23], s[22:23]
; %bb.107:
	s_mov_b32 s26, 0x7f800000
	v_mov_b32_e32 v3, 0x7c
	v_mov_b32_e32 v5, 0x7f
	v_cmp_lt_u32_e32 vcc, s26, v2
	v_cndmask_b32_e32 v3, v3, v5, vcc
; %bb.108:
	s_or_b64 exec, exec, s[22:23]
	global_store_byte v[0:1], v3, off
.LBB86_109:
	s_mov_b64 s[26:27], 0
	s_mov_b64 s[22:23], -1
.LBB86_110:
	s_andn2_b64 vcc, exec, s[26:27]
	s_cbranch_vccnz .LBB86_118
; %bb.111:
	s_cmp_gt_i32 s31, 14
	s_mov_b64 s[26:27], -1
	s_cbranch_scc0 .LBB86_115
; %bb.112:
	s_cmp_eq_u32 s31, 15
	s_mov_b64 s[0:1], -1
	s_cbranch_scc0 .LBB86_114
; %bb.113:
	v_cndmask_b32_e64 v2, 0, 1.0, s[16:17]
	v_bfe_u32 v3, v2, 16, 1
	s_movk_i32 s0, 0x7fff
	v_add3_u32 v2, v2, v3, s0
	global_store_short_d16_hi v[0:1], v2, off
	s_mov_b64 s[22:23], -1
	s_mov_b64 s[0:1], 0
.LBB86_114:
	s_mov_b64 s[26:27], 0
.LBB86_115:
	s_and_b64 vcc, exec, s[26:27]
	s_cbranch_vccz .LBB86_118
; %bb.116:
	s_cmp_eq_u32 s31, 11
	s_mov_b64 s[0:1], -1
	s_cbranch_scc0 .LBB86_118
; %bb.117:
	v_cndmask_b32_e64 v2, 0, 1, s[16:17]
	s_mov_b64 s[22:23], -1
	s_mov_b64 s[0:1], 0
	global_store_byte v[0:1], v2, off
.LBB86_118:
	s_branch .LBB86_38
.LBB86_119:
	s_and_b32 s26, 0xffff, s30
	s_cmp_lt_i32 s26, 5
	s_mov_b64 s[22:23], -1
	s_cbranch_scc1 .LBB86_140
; %bb.120:
	s_cmp_lt_i32 s26, 8
	s_cbranch_scc1 .LBB86_130
; %bb.121:
	s_cmp_lt_i32 s26, 9
	s_cbranch_scc1 .LBB86_127
; %bb.122:
	s_cmp_gt_i32 s26, 9
	s_cbranch_scc0 .LBB86_124
; %bb.123:
	v_cndmask_b32_e64 v2, 0, 1, s[16:17]
	v_cvt_f64_u32_e32 v[5:6], v2
	v_mov_b32_e32 v7, 0
	v_mov_b32_e32 v8, v7
	s_mov_b64 s[22:23], 0
	global_store_dwordx4 v[0:1], v[5:8], off
.LBB86_124:
	s_andn2_b64 vcc, exec, s[22:23]
	s_cbranch_vccnz .LBB86_126
; %bb.125:
	v_cndmask_b32_e64 v2, 0, 1.0, s[16:17]
	v_mov_b32_e32 v3, 0
	global_store_dwordx2 v[0:1], v[2:3], off
.LBB86_126:
	s_mov_b64 s[22:23], 0
.LBB86_127:
	s_andn2_b64 vcc, exec, s[22:23]
	s_cbranch_vccnz .LBB86_129
; %bb.128:
	v_cndmask_b32_e64 v2, 0, 1.0, s[16:17]
	v_cvt_f16_f32_e32 v2, v2
	global_store_dword v[0:1], v2, off
.LBB86_129:
	s_mov_b64 s[22:23], 0
.LBB86_130:
	s_andn2_b64 vcc, exec, s[22:23]
	s_cbranch_vccnz .LBB86_139
; %bb.131:
	s_cmp_lt_i32 s26, 6
	s_mov_b64 s[22:23], -1
	s_cbranch_scc1 .LBB86_137
; %bb.132:
	s_cmp_gt_i32 s26, 6
	s_cbranch_scc0 .LBB86_134
; %bb.133:
	v_cndmask_b32_e64 v2, 0, 1, s[16:17]
	v_cvt_f64_u32_e32 v[2:3], v2
	s_mov_b64 s[22:23], 0
	global_store_dwordx2 v[0:1], v[2:3], off
.LBB86_134:
	s_andn2_b64 vcc, exec, s[22:23]
	s_cbranch_vccnz .LBB86_136
; %bb.135:
	v_cndmask_b32_e64 v2, 0, 1.0, s[16:17]
	global_store_dword v[0:1], v2, off
.LBB86_136:
	s_mov_b64 s[22:23], 0
.LBB86_137:
	s_andn2_b64 vcc, exec, s[22:23]
	s_cbranch_vccnz .LBB86_139
; %bb.138:
	v_cndmask_b32_e64 v2, 0, 1.0, s[16:17]
	v_cvt_f16_f32_e32 v2, v2
	global_store_short v[0:1], v2, off
.LBB86_139:
	s_mov_b64 s[22:23], 0
.LBB86_140:
	s_andn2_b64 vcc, exec, s[22:23]
	s_cbranch_vccnz .LBB86_156
; %bb.141:
	s_cmp_lt_i32 s26, 2
	s_mov_b64 s[22:23], -1
	s_cbranch_scc1 .LBB86_151
; %bb.142:
	s_cmp_lt_i32 s26, 3
	s_cbranch_scc1 .LBB86_148
; %bb.143:
	s_cmp_gt_i32 s26, 3
	s_cbranch_scc0 .LBB86_145
; %bb.144:
	s_mov_b32 s22, 0
	v_cndmask_b32_e64 v2, 0, 1, s[16:17]
	v_mov_b32_e32 v3, s22
	global_store_dwordx2 v[0:1], v[2:3], off
	s_mov_b64 s[22:23], 0
.LBB86_145:
	s_andn2_b64 vcc, exec, s[22:23]
	s_cbranch_vccnz .LBB86_147
; %bb.146:
	v_cndmask_b32_e64 v2, 0, 1, s[16:17]
	global_store_dword v[0:1], v2, off
.LBB86_147:
	s_mov_b64 s[22:23], 0
.LBB86_148:
	s_andn2_b64 vcc, exec, s[22:23]
	s_cbranch_vccnz .LBB86_150
; %bb.149:
	v_cndmask_b32_e64 v2, 0, 1, s[16:17]
	global_store_short v[0:1], v2, off
.LBB86_150:
	s_mov_b64 s[22:23], 0
.LBB86_151:
	s_andn2_b64 vcc, exec, s[22:23]
	s_cbranch_vccnz .LBB86_156
; %bb.152:
	s_mov_b64 s[22:23], -1
	s_cmp_gt_i32 s26, 0
	v_cndmask_b32_e64 v2, 0, 1, s[16:17]
	s_cbranch_scc0 .LBB86_154
; %bb.153:
	global_store_byte v[0:1], v2, off
	s_mov_b64 s[22:23], 0
.LBB86_154:
	s_andn2_b64 vcc, exec, s[22:23]
	s_cbranch_vccnz .LBB86_156
; %bb.155:
	global_store_byte v[0:1], v2, off
.LBB86_156:
	s_branch .LBB86_39
.LBB86_157:
	s_mov_b64 s[22:23], 0
                                        ; implicit-def: $vgpr4
	s_branch .LBB86_267
.LBB86_158:
	s_mov_b64 s[18:19], -1
                                        ; implicit-def: $vgpr2_vgpr3
.LBB86_159:
	s_mov_b64 s[16:17], 0
.LBB86_160:
	s_and_b64 vcc, exec, s[16:17]
	s_cbranch_vccz .LBB86_164
; %bb.161:
	s_cmp_eq_u32 s26, 29
	s_cbranch_scc0 .LBB86_163
; %bb.162:
	global_load_dwordx2 v[2:3], v[0:1], off
	s_mov_b64 s[0:1], -1
	s_mov_b64 s[18:19], 0
	s_mov_b64 s[16:17], 0
	s_waitcnt vmcnt(0)
	v_cvt_f64_u32_e32 v[5:6], v3
	v_cvt_f64_u32_e32 v[2:3], v2
	v_ldexp_f64 v[5:6], v[5:6], 32
	v_add_f64 v[2:3], v[5:6], v[2:3]
	s_branch .LBB86_165
.LBB86_163:
	s_mov_b64 s[18:19], -1
                                        ; implicit-def: $vgpr2_vgpr3
.LBB86_164:
	s_mov_b64 s[16:17], 0
.LBB86_165:
	s_and_b64 vcc, exec, s[16:17]
	s_cbranch_vccz .LBB86_185
; %bb.166:
	s_cmp_lt_i32 s26, 27
	s_cbranch_scc1 .LBB86_169
; %bb.167:
	s_cmp_gt_i32 s26, 27
	s_cbranch_scc0 .LBB86_170
; %bb.168:
	global_load_dword v2, v[0:1], off
	s_mov_b64 s[0:1], 0
	s_waitcnt vmcnt(0)
	v_cvt_f64_u32_e32 v[2:3], v2
	s_branch .LBB86_171
.LBB86_169:
	s_mov_b64 s[0:1], -1
                                        ; implicit-def: $vgpr2_vgpr3
	s_branch .LBB86_174
.LBB86_170:
	s_mov_b64 s[0:1], -1
                                        ; implicit-def: $vgpr2_vgpr3
.LBB86_171:
	s_andn2_b64 vcc, exec, s[0:1]
	s_cbranch_vccnz .LBB86_173
; %bb.172:
	global_load_ushort v2, v[0:1], off
	s_waitcnt vmcnt(0)
	v_cvt_f64_u32_e32 v[2:3], v2
.LBB86_173:
	s_mov_b64 s[0:1], 0
.LBB86_174:
	s_andn2_b64 vcc, exec, s[0:1]
	s_cbranch_vccnz .LBB86_184
; %bb.175:
	global_load_ubyte v5, v[0:1], off
	s_movk_i32 s0, 0x7f
	s_waitcnt vmcnt(0)
	v_cmp_lt_i16_e32 vcc, s0, v5
	s_mov_b64 s[0:1], 0
	s_and_saveexec_b64 s[16:17], vcc
	s_xor_b64 s[16:17], exec, s[16:17]
	s_cbranch_execz .LBB86_179
; %bb.176:
	s_movk_i32 s0, 0x80
	v_cmp_eq_u16_e32 vcc, s0, v5
	s_mov_b64 s[0:1], -1
	s_and_saveexec_b64 s[22:23], vcc
; %bb.177:
	s_xor_b64 s[0:1], exec, -1
; %bb.178:
	s_or_b64 exec, exec, s[22:23]
	s_and_b64 s[0:1], s[0:1], exec
.LBB86_179:
	s_or_saveexec_b64 s[16:17], s[16:17]
	v_bfrev_b32_e32 v2, 4
	v_mov_b32_e32 v3, 0x7ff80000
	s_xor_b64 exec, exec, s[16:17]
; %bb.180:
	v_cmp_ne_u16_e32 vcc, 0, v5
	v_mov_b32_e32 v2, 0
	s_andn2_b64 s[0:1], s[0:1], exec
	s_and_b64 s[22:23], vcc, exec
	v_mov_b32_e32 v3, 0
	s_or_b64 s[0:1], s[0:1], s[22:23]
; %bb.181:
	s_or_b64 exec, exec, s[16:17]
	s_and_saveexec_b64 s[16:17], s[0:1]
	s_cbranch_execz .LBB86_183
; %bb.182:
	v_and_b32_e32 v3, 0xffff, v5
	v_lshlrev_b32_e32 v2, 24, v5
	v_and_b32_e32 v5, 7, v3
	v_ffbh_u32_e32 v7, v5
	v_min_u32_e32 v7, 32, v7
	v_subrev_u32_e32 v8, 28, v7
	v_bfe_u32 v6, v3, 3, 4
	v_lshlrev_b32_e32 v3, v8, v3
	v_sub_u32_e32 v7, 29, v7
	v_and_b32_e32 v3, 7, v3
	v_cmp_eq_u32_e32 vcc, 0, v6
	v_cndmask_b32_e32 v6, v6, v7, vcc
	v_cndmask_b32_e32 v3, v5, v3, vcc
	v_mov_b32_e32 v5, 0x3b800000
	v_lshlrev_b32_e32 v3, 20, v3
	v_and_b32_e32 v2, 0x80000000, v2
	v_lshl_add_u32 v5, v6, 23, v5
	v_or3_b32 v2, v2, v5, v3
	v_cvt_f64_f32_e32 v[2:3], v2
.LBB86_183:
	s_or_b64 exec, exec, s[16:17]
.LBB86_184:
	s_mov_b64 s[0:1], -1
.LBB86_185:
	s_branch .LBB86_218
.LBB86_186:
	s_cmp_gt_i32 s26, 22
	s_cbranch_scc0 .LBB86_198
; %bb.187:
	s_cmp_lt_i32 s26, 24
	s_cbranch_scc1 .LBB86_199
; %bb.188:
	s_cmp_gt_i32 s26, 24
	s_cbranch_scc0 .LBB86_200
; %bb.189:
	global_load_ubyte v5, v[0:1], off
	s_movk_i32 s0, 0x7f
	s_waitcnt vmcnt(0)
	v_cmp_lt_i16_e32 vcc, s0, v5
	s_mov_b64 s[0:1], 0
	s_and_saveexec_b64 s[16:17], vcc
	s_xor_b64 s[16:17], exec, s[16:17]
	s_cbranch_execz .LBB86_193
; %bb.190:
	s_movk_i32 s0, 0x80
	v_cmp_eq_u16_e32 vcc, s0, v5
	s_mov_b64 s[0:1], -1
	s_and_saveexec_b64 s[22:23], vcc
; %bb.191:
	s_xor_b64 s[0:1], exec, -1
; %bb.192:
	s_or_b64 exec, exec, s[22:23]
	s_and_b64 s[0:1], s[0:1], exec
.LBB86_193:
	s_or_saveexec_b64 s[16:17], s[16:17]
	v_bfrev_b32_e32 v2, 4
	v_mov_b32_e32 v3, 0x7ff80000
	s_xor_b64 exec, exec, s[16:17]
; %bb.194:
	v_cmp_ne_u16_e32 vcc, 0, v5
	v_mov_b32_e32 v2, 0
	s_andn2_b64 s[0:1], s[0:1], exec
	s_and_b64 s[22:23], vcc, exec
	v_mov_b32_e32 v3, 0
	s_or_b64 s[0:1], s[0:1], s[22:23]
; %bb.195:
	s_or_b64 exec, exec, s[16:17]
	s_and_saveexec_b64 s[16:17], s[0:1]
	s_cbranch_execz .LBB86_197
; %bb.196:
	v_and_b32_e32 v3, 0xffff, v5
	v_lshlrev_b32_e32 v2, 24, v5
	v_and_b32_e32 v5, 3, v3
	v_ffbh_u32_e32 v7, v5
	v_min_u32_e32 v7, 32, v7
	v_subrev_u32_e32 v8, 29, v7
	v_bfe_u32 v6, v3, 2, 5
	v_lshlrev_b32_e32 v3, v8, v3
	v_sub_u32_e32 v7, 30, v7
	v_and_b32_e32 v3, 3, v3
	v_cmp_eq_u32_e32 vcc, 0, v6
	v_cndmask_b32_e32 v6, v6, v7, vcc
	v_cndmask_b32_e32 v3, v5, v3, vcc
	v_mov_b32_e32 v5, 0x37800000
	v_lshlrev_b32_e32 v3, 21, v3
	v_and_b32_e32 v2, 0x80000000, v2
	v_lshl_add_u32 v5, v6, 23, v5
	v_or3_b32 v2, v2, v5, v3
	v_cvt_f64_f32_e32 v[2:3], v2
.LBB86_197:
	s_or_b64 exec, exec, s[16:17]
	s_mov_b64 s[0:1], 0
	s_branch .LBB86_201
.LBB86_198:
	s_mov_b64 s[16:17], -1
                                        ; implicit-def: $vgpr2_vgpr3
	s_branch .LBB86_207
.LBB86_199:
	s_mov_b64 s[0:1], -1
                                        ; implicit-def: $vgpr2_vgpr3
	s_branch .LBB86_204
.LBB86_200:
	s_mov_b64 s[0:1], -1
                                        ; implicit-def: $vgpr2_vgpr3
.LBB86_201:
	s_and_b64 vcc, exec, s[0:1]
	s_cbranch_vccz .LBB86_203
; %bb.202:
	global_load_ubyte v2, v[0:1], off
	s_mov_b32 s0, 0x7f800000
	s_waitcnt vmcnt(0)
	v_lshlrev_b32_e32 v2, 24, v2
	v_and_b32_e32 v3, 0x7f000000, v2
	v_ffbh_u32_e32 v5, v3
	v_min_u32_e32 v5, 32, v5
	v_sub_u32_e64 v5, v5, 4 clamp
	v_lshlrev_b32_e32 v7, v5, v3
	v_lshlrev_b32_e32 v5, 23, v5
	v_lshrrev_b32_e32 v7, 4, v7
	v_add_u32_e32 v6, 0x1000000, v3
	v_sub_u32_e32 v5, v7, v5
	v_ashrrev_i32_e32 v6, 8, v6
	v_add_u32_e32 v5, 0x3c000000, v5
	v_and_or_b32 v5, v6, s0, v5
	v_cmp_ne_u32_e32 vcc, 0, v3
	v_cndmask_b32_e32 v3, 0, v5, vcc
	s_brev_b32 s0, 1
	v_and_or_b32 v2, v2, s0, v3
	v_cvt_f64_f32_e32 v[2:3], v2
.LBB86_203:
	s_mov_b64 s[0:1], 0
.LBB86_204:
	s_andn2_b64 vcc, exec, s[0:1]
	s_cbranch_vccnz .LBB86_206
; %bb.205:
	global_load_ubyte v2, v[0:1], off
	s_movk_i32 s0, 0x7f00
	s_brev_b32 s1, 16
	s_waitcnt vmcnt(0)
	v_lshlrev_b16_e32 v3, 8, v2
	v_lshlrev_b32_e32 v2, 25, v2
	v_lshrrev_b32_e32 v5, 4, v2
	v_and_or_b32 v6, v3, s0, 0.5
	v_or_b32_e32 v5, 0x70000000, v5
	v_add_f32_e32 v6, -0.5, v6
	v_mul_f32_e32 v5, 0x7800000, v5
	v_cmp_gt_u32_e32 vcc, s1, v2
	v_bfe_i32 v3, v3, 0, 16
	v_cndmask_b32_e32 v2, v5, v6, vcc
	s_brev_b32 s0, 1
	v_and_or_b32 v2, v3, s0, v2
	v_cvt_f64_f32_e32 v[2:3], v2
.LBB86_206:
	s_mov_b64 s[16:17], 0
	s_mov_b64 s[0:1], -1
.LBB86_207:
	s_andn2_b64 vcc, exec, s[16:17]
	s_cbranch_vccnz .LBB86_218
; %bb.208:
	s_cmp_gt_i32 s26, 14
	s_cbranch_scc0 .LBB86_211
; %bb.209:
	s_cmp_eq_u32 s26, 15
	s_cbranch_scc0 .LBB86_212
; %bb.210:
	global_load_ushort v2, v[0:1], off
	s_mov_b64 s[0:1], -1
	s_mov_b64 s[18:19], 0
	s_waitcnt vmcnt(0)
	v_lshlrev_b32_e32 v2, 16, v2
	v_cvt_f64_f32_e32 v[2:3], v2
	s_branch .LBB86_213
.LBB86_211:
	s_mov_b64 s[16:17], -1
                                        ; implicit-def: $vgpr2_vgpr3
	s_branch .LBB86_214
.LBB86_212:
	s_mov_b64 s[18:19], -1
                                        ; implicit-def: $vgpr2_vgpr3
.LBB86_213:
	s_mov_b64 s[16:17], 0
.LBB86_214:
	s_and_b64 vcc, exec, s[16:17]
	s_cbranch_vccz .LBB86_218
; %bb.215:
	s_cmp_eq_u32 s26, 11
	s_cbranch_scc0 .LBB86_217
; %bb.216:
	global_load_ubyte v3, v[0:1], off
	v_mov_b32_e32 v5, 0x3ff00000
	v_mov_b32_e32 v2, 0
	s_mov_b64 s[0:1], -1
	s_mov_b64 s[18:19], 0
	s_waitcnt vmcnt(0)
	v_cmp_ne_u16_e32 vcc, 0, v3
	v_cndmask_b32_e32 v3, 0, v5, vcc
	s_branch .LBB86_218
.LBB86_217:
	s_mov_b64 s[18:19], -1
                                        ; implicit-def: $vgpr2_vgpr3
.LBB86_218:
	s_branch .LBB86_10
.LBB86_219:
	s_cmp_lt_i32 s26, 5
	s_cbranch_scc1 .LBB86_224
; %bb.220:
	s_cmp_lt_i32 s26, 8
	s_cbranch_scc1 .LBB86_225
; %bb.221:
	;; [unrolled: 3-line block ×3, first 2 shown]
	s_cmp_gt_i32 s26, 9
	s_cbranch_scc0 .LBB86_227
; %bb.223:
	global_load_dwordx2 v[2:3], v[0:1], off
	s_mov_b64 s[0:1], 0
	s_branch .LBB86_228
.LBB86_224:
                                        ; implicit-def: $vgpr2_vgpr3
	s_branch .LBB86_246
.LBB86_225:
	s_mov_b64 s[0:1], -1
                                        ; implicit-def: $vgpr2_vgpr3
	s_branch .LBB86_234
.LBB86_226:
	s_mov_b64 s[0:1], -1
                                        ; implicit-def: $vgpr2_vgpr3
	s_branch .LBB86_231
.LBB86_227:
	s_mov_b64 s[0:1], -1
                                        ; implicit-def: $vgpr2_vgpr3
.LBB86_228:
	s_andn2_b64 vcc, exec, s[0:1]
	s_cbranch_vccnz .LBB86_230
; %bb.229:
	global_load_dword v2, v[0:1], off
	s_waitcnt vmcnt(0)
	v_cvt_f64_f32_e32 v[2:3], v2
.LBB86_230:
	s_mov_b64 s[0:1], 0
.LBB86_231:
	s_andn2_b64 vcc, exec, s[0:1]
	s_cbranch_vccnz .LBB86_233
; %bb.232:
	global_load_dword v2, v[0:1], off
	s_waitcnt vmcnt(0)
	v_cvt_f32_f16_e32 v2, v2
	v_cvt_f64_f32_e32 v[2:3], v2
.LBB86_233:
	s_mov_b64 s[0:1], 0
.LBB86_234:
	s_andn2_b64 vcc, exec, s[0:1]
	s_cbranch_vccnz .LBB86_245
; %bb.235:
	s_cmp_lt_i32 s26, 6
	s_cbranch_scc1 .LBB86_238
; %bb.236:
	s_cmp_gt_i32 s26, 6
	s_cbranch_scc0 .LBB86_239
; %bb.237:
	global_load_dwordx2 v[2:3], v[0:1], off
	s_mov_b64 s[0:1], 0
	s_branch .LBB86_240
.LBB86_238:
	s_mov_b64 s[0:1], -1
                                        ; implicit-def: $vgpr2_vgpr3
	s_branch .LBB86_243
.LBB86_239:
	s_mov_b64 s[0:1], -1
                                        ; implicit-def: $vgpr2_vgpr3
.LBB86_240:
	s_andn2_b64 vcc, exec, s[0:1]
	s_cbranch_vccnz .LBB86_242
; %bb.241:
	global_load_dword v2, v[0:1], off
	s_waitcnt vmcnt(0)
	v_cvt_f64_f32_e32 v[2:3], v2
.LBB86_242:
	s_mov_b64 s[0:1], 0
.LBB86_243:
	s_andn2_b64 vcc, exec, s[0:1]
	s_cbranch_vccnz .LBB86_245
; %bb.244:
	global_load_ushort v2, v[0:1], off
	s_waitcnt vmcnt(0)
	v_cvt_f32_f16_e32 v2, v2
	v_cvt_f64_f32_e32 v[2:3], v2
.LBB86_245:
	s_cbranch_execnz .LBB86_265
.LBB86_246:
	s_cmp_lt_i32 s26, 2
	s_cbranch_scc1 .LBB86_250
; %bb.247:
	s_cmp_lt_i32 s26, 3
	s_cbranch_scc1 .LBB86_251
; %bb.248:
	s_cmp_gt_i32 s26, 3
	s_cbranch_scc0 .LBB86_252
; %bb.249:
	global_load_dwordx2 v[2:3], v[0:1], off
	s_mov_b64 s[0:1], 0
	s_waitcnt vmcnt(0)
	v_cvt_f64_i32_e32 v[5:6], v3
	v_cvt_f64_u32_e32 v[2:3], v2
	v_ldexp_f64 v[5:6], v[5:6], 32
	v_add_f64 v[2:3], v[5:6], v[2:3]
	s_branch .LBB86_253
.LBB86_250:
	s_mov_b64 s[0:1], -1
                                        ; implicit-def: $vgpr2_vgpr3
	s_branch .LBB86_259
.LBB86_251:
	s_mov_b64 s[0:1], -1
                                        ; implicit-def: $vgpr2_vgpr3
	s_branch .LBB86_256
.LBB86_252:
	s_mov_b64 s[0:1], -1
                                        ; implicit-def: $vgpr2_vgpr3
.LBB86_253:
	s_andn2_b64 vcc, exec, s[0:1]
	s_cbranch_vccnz .LBB86_255
; %bb.254:
	global_load_dword v2, v[0:1], off
	s_waitcnt vmcnt(0)
	v_cvt_f64_i32_e32 v[2:3], v2
.LBB86_255:
	s_mov_b64 s[0:1], 0
.LBB86_256:
	s_andn2_b64 vcc, exec, s[0:1]
	s_cbranch_vccnz .LBB86_258
; %bb.257:
	global_load_sshort v2, v[0:1], off
	s_waitcnt vmcnt(0)
	v_cvt_f64_i32_e32 v[2:3], v2
.LBB86_258:
	s_mov_b64 s[0:1], 0
.LBB86_259:
	s_andn2_b64 vcc, exec, s[0:1]
	s_cbranch_vccnz .LBB86_265
; %bb.260:
	s_cmp_gt_i32 s26, 0
	s_cbranch_scc0 .LBB86_262
; %bb.261:
	global_load_sbyte v2, v[0:1], off
	s_mov_b64 s[0:1], 0
	s_waitcnt vmcnt(0)
	v_cvt_f64_i32_e32 v[2:3], v2
	s_branch .LBB86_263
.LBB86_262:
	s_mov_b64 s[0:1], -1
                                        ; implicit-def: $vgpr2_vgpr3
.LBB86_263:
	s_andn2_b64 vcc, exec, s[0:1]
	s_cbranch_vccnz .LBB86_265
; %bb.264:
	global_load_ubyte v0, v[0:1], off
	s_waitcnt vmcnt(0)
	v_cvt_f64_u32_e32 v[2:3], v0
.LBB86_265:
	s_branch .LBB86_11
.LBB86_266:
	s_mov_b64 s[0:1], 0
                                        ; implicit-def: $vgpr4
	s_mov_b64 s[22:23], 0
.LBB86_267:
	s_and_b64 s[16:17], s[0:1], exec
	s_and_b64 s[18:19], s[18:19], exec
	s_orn2_b64 s[22:23], s[22:23], exec
.LBB86_268:
	s_or_b64 exec, exec, s[20:21]
	s_mov_b64 s[26:27], 0
	s_mov_b64 s[0:1], 0
                                        ; implicit-def: $vgpr0_vgpr1
                                        ; implicit-def: $vgpr2_vgpr3
	s_and_saveexec_b64 s[20:21], s[22:23]
	s_cbranch_execz .LBB86_277
; %bb.269:
	v_cmp_gt_i32_e32 vcc, s42, v4
	s_mov_b64 s[0:1], -1
	s_mov_b64 s[22:23], s[18:19]
	s_mov_b64 s[24:25], s[16:17]
	s_and_saveexec_b64 s[26:27], vcc
	s_cbranch_execz .LBB86_545
; %bb.270:
	v_mul_lo_u32 v0, v4, s13
	v_mov_b32_e32 v1, s11
	s_and_b32 s30, 0xffff, s15
	s_cmp_lt_i32 s30, 11
	s_waitcnt vmcnt(0)
	v_ashrrev_i32_e32 v2, 31, v0
	v_add_co_u32_e32 v0, vcc, s10, v0
	v_addc_co_u32_e32 v1, vcc, v1, v2, vcc
	s_cbranch_scc1 .LBB86_280
; %bb.271:
	s_cmp_gt_i32 s30, 25
	s_cbranch_scc0 .LBB86_286
; %bb.272:
	s_cmp_gt_i32 s30, 28
	s_cbranch_scc0 .LBB86_290
	;; [unrolled: 3-line block ×4, first 2 shown]
; %bb.275:
	s_cmp_eq_u32 s30, 46
	s_mov_b64 s[24:25], 0
	s_cbranch_scc0 .LBB86_317
; %bb.276:
	global_load_dword v2, v[0:1], off
	s_mov_b64 s[22:23], 0
	s_waitcnt vmcnt(0)
	v_lshlrev_b32_e32 v2, 16, v2
	v_cvt_f64_f32_e32 v[2:3], v2
	s_branch .LBB86_318
.LBB86_277:
	s_or_b64 exec, exec, s[20:21]
	s_mov_b64 s[20:21], 0
	s_and_saveexec_b64 s[22:23], s[18:19]
	s_cbranch_execnz .LBB86_908
.LBB86_278:
	s_or_b64 exec, exec, s[22:23]
	s_and_saveexec_b64 s[18:19], s[24:25]
	s_xor_b64 s[18:19], exec, s[18:19]
	s_cbranch_execz .LBB86_909
.LBB86_279:
	global_load_ubyte v3, v[0:1], off
	v_mov_b32_e32 v5, 0x3ff00000
	s_waitcnt vmcnt(1)
	v_mov_b32_e32 v2, 0
	s_or_b64 s[0:1], s[0:1], exec
	s_waitcnt vmcnt(0)
	v_cmp_ne_u16_e32 vcc, 0, v3
	v_cndmask_b32_e32 v3, 0, v5, vcc
	s_or_b64 exec, exec, s[18:19]
	s_and_saveexec_b64 s[18:19], s[26:27]
	s_cbranch_execz .LBB86_955
	s_branch .LBB86_910
.LBB86_280:
	s_mov_b64 s[0:1], 0
                                        ; implicit-def: $vgpr2_vgpr3
	s_mov_b64 s[22:23], s[18:19]
	s_cbranch_execnz .LBB86_495
.LBB86_281:
	s_andn2_b64 vcc, exec, s[0:1]
	s_cbranch_vccnz .LBB86_543
.LBB86_282:
	s_cmp_lt_i32 s14, 1
	s_mov_b64 s[0:1], 0
	s_cbranch_scc1 .LBB86_287
; %bb.283:
	s_cmp_gt_i32 s14, 1
	s_cbranch_scc0 .LBB86_291
; %bb.284:
	s_cmp_eq_u32 s14, 2
	s_cbranch_scc0 .LBB86_293
; %bb.285:
	s_waitcnt vmcnt(0)
	v_cmp_ge_f64_e64 s[24:25], s[2:3], v[2:3]
	s_mov_b64 s[28:29], 0
	s_branch .LBB86_294
.LBB86_286:
	s_mov_b64 s[24:25], -1
	s_mov_b64 s[0:1], 0
	s_mov_b64 s[22:23], s[18:19]
                                        ; implicit-def: $vgpr2_vgpr3
	s_branch .LBB86_461
.LBB86_287:
                                        ; implicit-def: $sgpr24_sgpr25
	s_mov_b64 s[28:29], 0
	s_cbranch_execnz .LBB86_298
.LBB86_288:
	s_andn2_b64 vcc, exec, s[28:29]
	s_cbranch_vccnz .LBB86_299
.LBB86_289:
	s_waitcnt vmcnt(0)
	v_cmp_gt_f64_e32 vcc, s[2:3], v[2:3]
	s_andn2_b64 s[24:25], s[24:25], exec
	s_and_b64 s[28:29], vcc, exec
	s_or_b64 s[24:25], s[24:25], s[28:29]
	s_cbranch_execz .LBB86_300
	s_branch .LBB86_301
.LBB86_290:
	s_mov_b64 s[24:25], -1
	s_mov_b64 s[0:1], 0
	s_mov_b64 s[22:23], s[18:19]
                                        ; implicit-def: $vgpr2_vgpr3
	s_branch .LBB86_440
.LBB86_291:
	s_mov_b64 s[30:31], -1
	s_mov_b64 s[28:29], 0
                                        ; implicit-def: $sgpr24_sgpr25
	s_branch .LBB86_295
.LBB86_292:
	s_mov_b64 s[24:25], -1
	s_mov_b64 s[0:1], 0
	s_mov_b64 s[22:23], s[18:19]
                                        ; implicit-def: $vgpr2_vgpr3
	s_branch .LBB86_435
.LBB86_293:
	s_mov_b64 s[28:29], -1
                                        ; implicit-def: $sgpr24_sgpr25
.LBB86_294:
	s_mov_b64 s[30:31], 0
.LBB86_295:
	s_and_b64 vcc, exec, s[30:31]
	s_cbranch_vccz .LBB86_297
; %bb.296:
	s_waitcnt vmcnt(0)
	v_cmp_lt_f64_e32 vcc, s[2:3], v[2:3]
	s_andn2_b64 s[24:25], s[24:25], exec
	s_and_b64 s[30:31], vcc, exec
	s_or_b64 s[24:25], s[24:25], s[30:31]
.LBB86_297:
	s_branch .LBB86_288
.LBB86_298:
	s_cmp_lg_u32 s14, 0
	s_mov_b64 s[0:1], -1
	s_cselect_b64 s[28:29], -1, 0
	s_andn2_b64 vcc, exec, s[28:29]
	s_cbranch_vccz .LBB86_289
.LBB86_299:
	s_andn2_b64 vcc, exec, s[0:1]
	s_cbranch_vccnz .LBB86_301
.LBB86_300:
	s_waitcnt vmcnt(0)
	v_cmp_le_f64_e32 vcc, s[2:3], v[2:3]
	s_andn2_b64 s[0:1], s[24:25], exec
	s_and_b64 s[24:25], vcc, exec
	s_or_b64 s[24:25], s[0:1], s[24:25]
.LBB86_301:
	v_mul_lo_u32 v0, v4, s12
	v_mov_b32_e32 v1, s9
	s_and_b32 s36, s33, 0xff
	s_cmp_lt_i32 s36, 11
	s_waitcnt vmcnt(0)
	v_ashrrev_i32_e32 v2, 31, v0
	v_add_co_u32_e32 v0, vcc, s8, v0
	v_addc_co_u32_e32 v1, vcc, v1, v2, vcc
	s_cbranch_scc1 .LBB86_308
; %bb.302:
	s_and_b32 s37, 0xffff, s36
	s_cmp_gt_i32 s37, 25
	s_cbranch_scc0 .LBB86_309
; %bb.303:
	s_cmp_gt_i32 s37, 28
	s_cbranch_scc0 .LBB86_310
; %bb.304:
	;; [unrolled: 3-line block ×4, first 2 shown]
	s_mov_b64 s[30:31], 0
	s_mov_b64 s[0:1], -1
	s_cmp_eq_u32 s37, 46
	s_mov_b64 s[28:29], 0
	s_cbranch_scc0 .LBB86_322
; %bb.307:
	v_cndmask_b32_e64 v2, 0, 1.0, s[24:25]
	v_bfe_u32 v3, v2, 16, 1
	s_movk_i32 s0, 0x7fff
	v_add3_u32 v2, v2, v3, s0
	v_lshrrev_b32_e32 v2, 16, v2
	global_store_dword v[0:1], v2, off
	s_mov_b64 s[28:29], -1
	s_mov_b64 s[0:1], 0
	s_branch .LBB86_322
.LBB86_308:
	s_mov_b64 s[30:31], -1
	s_mov_b64 s[28:29], 0
	s_mov_b64 s[0:1], s[16:17]
	s_branch .LBB86_391
.LBB86_309:
	s_mov_b64 s[30:31], -1
	s_mov_b64 s[28:29], 0
	s_mov_b64 s[0:1], s[16:17]
	s_branch .LBB86_349
.LBB86_310:
	s_mov_b64 s[30:31], -1
	s_mov_b64 s[28:29], 0
	s_mov_b64 s[0:1], s[16:17]
	s_branch .LBB86_332
.LBB86_311:
	s_andn2_saveexec_b64 s[28:29], s[28:29]
	s_cbranch_execz .LBB86_71
.LBB86_312:
	v_add_f32_e32 v2, 0x46000000, v3
	v_and_b32_e32 v2, 0xff, v2
	v_cmp_ne_u32_e32 vcc, 0, v2
	s_andn2_b64 s[26:27], s[26:27], exec
	s_and_b64 s[34:35], vcc, exec
	s_or_b64 s[26:27], s[26:27], s[34:35]
	s_or_b64 exec, exec, s[28:29]
	v_mov_b32_e32 v5, 0
	s_and_saveexec_b64 s[28:29], s[26:27]
	s_cbranch_execnz .LBB86_72
	s_branch .LBB86_73
.LBB86_313:
	s_mov_b64 s[24:25], -1
	s_mov_b64 s[0:1], 0
	s_mov_b64 s[22:23], s[18:19]
                                        ; implicit-def: $vgpr2_vgpr3
	s_branch .LBB86_318
.LBB86_314:
	s_mov_b64 s[30:31], -1
	s_mov_b64 s[28:29], 0
	s_mov_b64 s[0:1], s[16:17]
	s_branch .LBB86_328
.LBB86_315:
	s_andn2_saveexec_b64 s[28:29], s[28:29]
	s_cbranch_execz .LBB86_84
.LBB86_316:
	v_add_f32_e32 v2, 0x42800000, v3
	v_and_b32_e32 v2, 0xff, v2
	v_cmp_ne_u32_e32 vcc, 0, v2
	s_andn2_b64 s[26:27], s[26:27], exec
	s_and_b64 s[34:35], vcc, exec
	s_or_b64 s[26:27], s[26:27], s[34:35]
	s_or_b64 exec, exec, s[28:29]
	v_mov_b32_e32 v5, 0
	s_and_saveexec_b64 s[28:29], s[26:27]
	s_cbranch_execnz .LBB86_85
	s_branch .LBB86_86
.LBB86_317:
	s_mov_b64 s[22:23], -1
                                        ; implicit-def: $vgpr2_vgpr3
	s_mov_b64 s[0:1], 0
.LBB86_318:
	s_and_b64 vcc, exec, s[24:25]
	s_cbranch_vccz .LBB86_434
; %bb.319:
	s_cmp_eq_u32 s30, 44
	s_cbranch_scc0 .LBB86_433
; %bb.320:
	global_load_ubyte v5, v[0:1], off
	s_movk_i32 s22, 0xff
	v_bfrev_b32_e32 v6, 4
	v_mov_b32_e32 v7, 0x7ff80000
	v_bfrev_b32_e32 v8, 28
	s_mov_b64 s[0:1], -1
	s_waitcnt vmcnt(0)
	v_lshlrev_b32_e32 v2, 23, v5
	v_cvt_f64_f32_e32 v[2:3], v2
	v_cmp_ne_u32_e32 vcc, s22, v5
	s_mov_b64 s[22:23], 0
	v_cndmask_b32_e32 v2, v6, v2, vcc
	v_cndmask_b32_e32 v3, v7, v3, vcc
	v_cmp_ne_u32_e32 vcc, 0, v5
	v_cndmask_b32_e32 v3, v8, v3, vcc
	v_cndmask_b32_e32 v2, 0, v2, vcc
	s_branch .LBB86_434
.LBB86_321:
	s_mov_b64 s[30:31], -1
	s_mov_b64 s[28:29], 0
	s_mov_b64 s[0:1], s[16:17]
.LBB86_322:
	s_and_b64 vcc, exec, s[30:31]
	s_cbranch_vccz .LBB86_327
; %bb.323:
	s_cmp_eq_u32 s37, 44
	s_mov_b64 s[0:1], -1
	s_cbranch_scc0 .LBB86_327
; %bb.324:
	v_cndmask_b32_e64 v3, 0, 1.0, s[24:25]
	v_lshrrev_b32_e32 v2, 23, v3
	s_movk_i32 s0, 0xff
	v_cmp_ne_u32_e32 vcc, s0, v2
	v_mov_b32_e32 v5, 0xff
	s_and_saveexec_b64 s[28:29], vcc
; %bb.325:
	s_mov_b32 s0, 0x3fffff
	v_and_b32_e32 v5, 0x400000, v3
	v_and_or_b32 v3, v3, s0, v2
	v_cmp_ne_u32_e32 vcc, 0, v5
	v_cmp_ne_u32_e64 s[0:1], 0, v3
	s_and_b64 s[0:1], vcc, s[0:1]
	v_cndmask_b32_e64 v3, 0, 1, s[0:1]
	v_add_u32_e32 v5, v2, v3
; %bb.326:
	s_or_b64 exec, exec, s[28:29]
	s_mov_b64 s[28:29], -1
	s_mov_b64 s[0:1], 0
	global_store_byte v[0:1], v5, off
.LBB86_327:
	s_mov_b64 s[30:31], 0
.LBB86_328:
	s_and_b64 vcc, exec, s[30:31]
	s_cbranch_vccz .LBB86_331
; %bb.329:
	s_cmp_eq_u32 s37, 29
	s_mov_b64 s[0:1], -1
	s_cbranch_scc0 .LBB86_331
; %bb.330:
	s_mov_b32 s0, 0
	v_cndmask_b32_e64 v2, 0, 1, s[24:25]
	v_mov_b32_e32 v3, s0
	global_store_dwordx2 v[0:1], v[2:3], off
	s_mov_b64 s[28:29], -1
	s_mov_b64 s[0:1], 0
.LBB86_331:
	s_mov_b64 s[30:31], 0
.LBB86_332:
	s_and_b64 vcc, exec, s[30:31]
	s_cbranch_vccz .LBB86_348
; %bb.333:
	s_cmp_lt_i32 s37, 27
	s_mov_b64 s[28:29], -1
	s_cbranch_scc1 .LBB86_339
; %bb.334:
	s_cmp_gt_i32 s37, 27
	s_cbranch_scc0 .LBB86_336
; %bb.335:
	v_cndmask_b32_e64 v2, 0, 1, s[24:25]
	s_mov_b64 s[28:29], 0
	global_store_dword v[0:1], v2, off
.LBB86_336:
	s_andn2_b64 vcc, exec, s[28:29]
	s_cbranch_vccnz .LBB86_338
; %bb.337:
	v_cndmask_b32_e64 v2, 0, 1, s[24:25]
	global_store_short v[0:1], v2, off
.LBB86_338:
	s_mov_b64 s[28:29], 0
.LBB86_339:
	s_andn2_b64 vcc, exec, s[28:29]
	s_cbranch_vccnz .LBB86_347
; %bb.340:
	v_cndmask_b32_e64 v3, 0, 1.0, s[24:25]
	s_mov_b32 s28, 0x43800000
	v_cmp_gt_u32_e32 vcc, s28, v3
	v_mov_b32_e32 v5, 0x80
	s_and_saveexec_b64 s[28:29], vcc
	s_cbranch_execz .LBB86_346
; %bb.341:
	s_mov_b32 s30, 0x3bffffff
	v_cmp_lt_u32_e32 vcc, s30, v3
	s_mov_b64 s[30:31], 0
                                        ; implicit-def: $vgpr2
	s_and_saveexec_b64 s[34:35], vcc
	s_xor_b64 s[34:35], exec, s[34:35]
	s_cbranch_execz .LBB86_558
; %bb.342:
	v_bfe_u32 v2, v3, 20, 1
	s_mov_b32 s38, 0x487ffff
	v_add3_u32 v2, v3, v2, s38
	s_mov_b64 s[30:31], exec
	v_lshrrev_b32_e32 v2, 20, v2
                                        ; implicit-def: $vgpr3
	s_andn2_saveexec_b64 s[34:35], s[34:35]
	s_cbranch_execnz .LBB86_559
.LBB86_343:
	s_or_b64 exec, exec, s[34:35]
	v_mov_b32_e32 v5, 0
	s_and_saveexec_b64 s[34:35], s[30:31]
.LBB86_344:
	v_mov_b32_e32 v5, v2
.LBB86_345:
	s_or_b64 exec, exec, s[34:35]
.LBB86_346:
	s_or_b64 exec, exec, s[28:29]
	global_store_byte v[0:1], v5, off
.LBB86_347:
	s_mov_b64 s[28:29], -1
.LBB86_348:
	s_mov_b64 s[30:31], 0
.LBB86_349:
	s_and_b64 vcc, exec, s[30:31]
	s_cbranch_vccz .LBB86_390
; %bb.350:
	s_cmp_gt_i32 s37, 22
	s_mov_b64 s[30:31], -1
	s_cbranch_scc0 .LBB86_382
; %bb.351:
	s_cmp_lt_i32 s37, 24
	s_mov_b64 s[28:29], -1
	s_cbranch_scc1 .LBB86_371
; %bb.352:
	s_cmp_gt_i32 s37, 24
	s_cbranch_scc0 .LBB86_360
; %bb.353:
	v_cndmask_b32_e64 v3, 0, 1.0, s[24:25]
	s_mov_b32 s28, 0x47800000
	v_cmp_gt_u32_e32 vcc, s28, v3
	v_mov_b32_e32 v5, 0x80
	s_and_saveexec_b64 s[28:29], vcc
	s_cbranch_execz .LBB86_359
; %bb.354:
	s_mov_b32 s30, 0x37ffffff
	v_cmp_lt_u32_e32 vcc, s30, v3
	s_mov_b64 s[30:31], 0
                                        ; implicit-def: $vgpr2
	s_and_saveexec_b64 s[34:35], vcc
	s_xor_b64 s[34:35], exec, s[34:35]
	s_cbranch_execz .LBB86_561
; %bb.355:
	v_bfe_u32 v2, v3, 21, 1
	s_mov_b32 s38, 0x88fffff
	v_add3_u32 v2, v3, v2, s38
	s_mov_b64 s[30:31], exec
	v_lshrrev_b32_e32 v2, 21, v2
                                        ; implicit-def: $vgpr3
	s_andn2_saveexec_b64 s[34:35], s[34:35]
	s_cbranch_execnz .LBB86_562
.LBB86_356:
	s_or_b64 exec, exec, s[34:35]
	v_mov_b32_e32 v5, 0
	s_and_saveexec_b64 s[34:35], s[30:31]
.LBB86_357:
	v_mov_b32_e32 v5, v2
.LBB86_358:
	s_or_b64 exec, exec, s[34:35]
.LBB86_359:
	s_or_b64 exec, exec, s[28:29]
	s_mov_b64 s[28:29], 0
	global_store_byte v[0:1], v5, off
.LBB86_360:
	s_and_b64 vcc, exec, s[28:29]
	s_cbranch_vccz .LBB86_370
; %bb.361:
	v_cndmask_b32_e64 v2, 0, 1.0, s[24:25]
	s_mov_b32 s28, 0x43f00000
	v_cmp_gt_u32_e32 vcc, s28, v2
                                        ; implicit-def: $vgpr3
	s_and_saveexec_b64 s[28:29], vcc
	s_xor_b64 s[28:29], exec, s[28:29]
	s_cbranch_execz .LBB86_367
; %bb.362:
	s_mov_b32 s30, 0x3c7fffff
	v_cmp_lt_u32_e32 vcc, s30, v2
                                        ; implicit-def: $vgpr3
	s_and_saveexec_b64 s[30:31], vcc
	s_xor_b64 s[30:31], exec, s[30:31]
; %bb.363:
	v_bfe_u32 v3, v2, 20, 1
	s_mov_b32 s34, 0x407ffff
	v_add3_u32 v2, v2, v3, s34
	v_lshrrev_b32_e32 v3, 20, v2
	v_and_b32_e32 v2, 0xff00000, v2
	s_mov_b32 s34, 0x7f00000
	v_mov_b32_e32 v5, 0x7e
	v_cmp_ne_u32_e32 vcc, s34, v2
	v_cndmask_b32_e32 v3, v5, v3, vcc
                                        ; implicit-def: $vgpr2
; %bb.364:
	s_andn2_saveexec_b64 s[30:31], s[30:31]
; %bb.365:
	v_add_f32_e32 v3, 0x46800000, v2
; %bb.366:
	s_or_b64 exec, exec, s[30:31]
                                        ; implicit-def: $vgpr2
.LBB86_367:
	s_andn2_saveexec_b64 s[28:29], s[28:29]
; %bb.368:
	s_mov_b32 s30, 0x7f800000
	v_mov_b32_e32 v3, 0x7e
	v_mov_b32_e32 v5, 0x7f
	v_cmp_lt_u32_e32 vcc, s30, v2
	v_cndmask_b32_e32 v3, v3, v5, vcc
; %bb.369:
	s_or_b64 exec, exec, s[28:29]
	global_store_byte v[0:1], v3, off
.LBB86_370:
	s_mov_b64 s[28:29], 0
.LBB86_371:
	s_andn2_b64 vcc, exec, s[28:29]
	s_cbranch_vccnz .LBB86_381
; %bb.372:
	v_cndmask_b32_e64 v2, 0, 1.0, s[24:25]
	s_mov_b32 s28, 0x47800000
	v_cmp_gt_u32_e32 vcc, s28, v2
                                        ; implicit-def: $vgpr3
	s_and_saveexec_b64 s[28:29], vcc
	s_xor_b64 s[28:29], exec, s[28:29]
	s_cbranch_execz .LBB86_378
; %bb.373:
	s_mov_b32 s30, 0x387fffff
	v_cmp_lt_u32_e32 vcc, s30, v2
                                        ; implicit-def: $vgpr3
	s_and_saveexec_b64 s[30:31], vcc
	s_xor_b64 s[30:31], exec, s[30:31]
; %bb.374:
	v_bfe_u32 v3, v2, 21, 1
	s_mov_b32 s34, 0x80fffff
	v_add3_u32 v2, v2, v3, s34
	v_lshrrev_b32_e32 v3, 21, v2
                                        ; implicit-def: $vgpr2
; %bb.375:
	s_andn2_saveexec_b64 s[30:31], s[30:31]
; %bb.376:
	v_add_f32_e32 v3, 0x43000000, v2
; %bb.377:
	s_or_b64 exec, exec, s[30:31]
                                        ; implicit-def: $vgpr2
.LBB86_378:
	s_andn2_saveexec_b64 s[28:29], s[28:29]
; %bb.379:
	s_mov_b32 s30, 0x7f800000
	v_mov_b32_e32 v3, 0x7c
	v_mov_b32_e32 v5, 0x7f
	v_cmp_lt_u32_e32 vcc, s30, v2
	v_cndmask_b32_e32 v3, v3, v5, vcc
; %bb.380:
	s_or_b64 exec, exec, s[28:29]
	global_store_byte v[0:1], v3, off
.LBB86_381:
	s_mov_b64 s[30:31], 0
	s_mov_b64 s[28:29], -1
.LBB86_382:
	s_andn2_b64 vcc, exec, s[30:31]
	s_cbranch_vccnz .LBB86_390
; %bb.383:
	s_cmp_gt_i32 s37, 14
	s_mov_b64 s[30:31], -1
	s_cbranch_scc0 .LBB86_387
; %bb.384:
	s_cmp_eq_u32 s37, 15
	s_mov_b64 s[0:1], -1
	s_cbranch_scc0 .LBB86_386
; %bb.385:
	v_cndmask_b32_e64 v2, 0, 1.0, s[24:25]
	v_bfe_u32 v3, v2, 16, 1
	s_movk_i32 s0, 0x7fff
	v_add3_u32 v2, v2, v3, s0
	global_store_short_d16_hi v[0:1], v2, off
	s_mov_b64 s[28:29], -1
	s_mov_b64 s[0:1], 0
.LBB86_386:
	s_mov_b64 s[30:31], 0
.LBB86_387:
	s_and_b64 vcc, exec, s[30:31]
	s_cbranch_vccz .LBB86_390
; %bb.388:
	s_cmp_eq_u32 s37, 11
	s_mov_b64 s[0:1], -1
	s_cbranch_scc0 .LBB86_390
; %bb.389:
	v_cndmask_b32_e64 v2, 0, 1, s[24:25]
	s_mov_b64 s[28:29], -1
	s_mov_b64 s[0:1], 0
	global_store_byte v[0:1], v2, off
.LBB86_390:
	s_mov_b64 s[30:31], 0
.LBB86_391:
	s_and_b64 vcc, exec, s[30:31]
	s_cbranch_vccz .LBB86_430
; %bb.392:
	s_and_b32 s30, 0xffff, s36
	s_cmp_lt_i32 s30, 5
	s_mov_b64 s[28:29], -1
	s_cbranch_scc1 .LBB86_413
; %bb.393:
	s_cmp_lt_i32 s30, 8
	s_cbranch_scc1 .LBB86_403
; %bb.394:
	s_cmp_lt_i32 s30, 9
	s_cbranch_scc1 .LBB86_400
; %bb.395:
	s_cmp_gt_i32 s30, 9
	s_cbranch_scc0 .LBB86_397
; %bb.396:
	v_cndmask_b32_e64 v2, 0, 1, s[24:25]
	v_cvt_f64_u32_e32 v[5:6], v2
	v_mov_b32_e32 v7, 0
	v_mov_b32_e32 v8, v7
	s_mov_b64 s[28:29], 0
	global_store_dwordx4 v[0:1], v[5:8], off
.LBB86_397:
	s_andn2_b64 vcc, exec, s[28:29]
	s_cbranch_vccnz .LBB86_399
; %bb.398:
	v_cndmask_b32_e64 v2, 0, 1.0, s[24:25]
	v_mov_b32_e32 v3, 0
	global_store_dwordx2 v[0:1], v[2:3], off
.LBB86_399:
	s_mov_b64 s[28:29], 0
.LBB86_400:
	s_andn2_b64 vcc, exec, s[28:29]
	s_cbranch_vccnz .LBB86_402
; %bb.401:
	v_cndmask_b32_e64 v2, 0, 1.0, s[24:25]
	v_cvt_f16_f32_e32 v2, v2
	global_store_dword v[0:1], v2, off
.LBB86_402:
	s_mov_b64 s[28:29], 0
.LBB86_403:
	s_andn2_b64 vcc, exec, s[28:29]
	s_cbranch_vccnz .LBB86_412
; %bb.404:
	s_cmp_lt_i32 s30, 6
	s_mov_b64 s[28:29], -1
	s_cbranch_scc1 .LBB86_410
; %bb.405:
	s_cmp_gt_i32 s30, 6
	s_cbranch_scc0 .LBB86_407
; %bb.406:
	v_cndmask_b32_e64 v2, 0, 1, s[24:25]
	v_cvt_f64_u32_e32 v[2:3], v2
	s_mov_b64 s[28:29], 0
	global_store_dwordx2 v[0:1], v[2:3], off
.LBB86_407:
	s_andn2_b64 vcc, exec, s[28:29]
	s_cbranch_vccnz .LBB86_409
; %bb.408:
	v_cndmask_b32_e64 v2, 0, 1.0, s[24:25]
	global_store_dword v[0:1], v2, off
.LBB86_409:
	s_mov_b64 s[28:29], 0
.LBB86_410:
	s_andn2_b64 vcc, exec, s[28:29]
	s_cbranch_vccnz .LBB86_412
; %bb.411:
	v_cndmask_b32_e64 v2, 0, 1.0, s[24:25]
	v_cvt_f16_f32_e32 v2, v2
	global_store_short v[0:1], v2, off
.LBB86_412:
	s_mov_b64 s[28:29], 0
.LBB86_413:
	s_andn2_b64 vcc, exec, s[28:29]
	s_cbranch_vccnz .LBB86_429
; %bb.414:
	s_cmp_lt_i32 s30, 2
	s_mov_b64 s[28:29], -1
	s_cbranch_scc1 .LBB86_424
; %bb.415:
	s_cmp_lt_i32 s30, 3
	s_cbranch_scc1 .LBB86_421
; %bb.416:
	s_cmp_gt_i32 s30, 3
	s_cbranch_scc0 .LBB86_418
; %bb.417:
	s_mov_b32 s28, 0
	v_cndmask_b32_e64 v2, 0, 1, s[24:25]
	v_mov_b32_e32 v3, s28
	s_mov_b64 s[28:29], 0
	global_store_dwordx2 v[0:1], v[2:3], off
.LBB86_418:
	s_andn2_b64 vcc, exec, s[28:29]
	s_cbranch_vccnz .LBB86_420
; %bb.419:
	v_cndmask_b32_e64 v2, 0, 1, s[24:25]
	global_store_dword v[0:1], v2, off
.LBB86_420:
	s_mov_b64 s[28:29], 0
.LBB86_421:
	s_andn2_b64 vcc, exec, s[28:29]
	s_cbranch_vccnz .LBB86_423
; %bb.422:
	v_cndmask_b32_e64 v2, 0, 1, s[24:25]
	global_store_short v[0:1], v2, off
.LBB86_423:
	s_mov_b64 s[28:29], 0
.LBB86_424:
	s_andn2_b64 vcc, exec, s[28:29]
	s_cbranch_vccnz .LBB86_429
; %bb.425:
	s_mov_b64 s[28:29], -1
	s_cmp_gt_i32 s30, 0
	v_cndmask_b32_e64 v2, 0, 1, s[24:25]
	s_cbranch_scc0 .LBB86_427
; %bb.426:
	s_mov_b64 s[28:29], 0
	global_store_byte v[0:1], v2, off
.LBB86_427:
	s_andn2_b64 vcc, exec, s[28:29]
	s_cbranch_vccnz .LBB86_429
; %bb.428:
	global_store_byte v[0:1], v2, off
.LBB86_429:
	s_mov_b64 s[28:29], -1
.LBB86_430:
	s_andn2_b64 vcc, exec, s[28:29]
	s_cbranch_vccnz .LBB86_432
; %bb.431:
	v_add_u32_e32 v4, 0x80, v4
	s_mov_b64 s[28:29], -1
	s_branch .LBB86_544
.LBB86_432:
	s_mov_b64 s[28:29], 0
                                        ; implicit-def: $vgpr4
	s_branch .LBB86_544
.LBB86_433:
	s_mov_b64 s[22:23], -1
                                        ; implicit-def: $vgpr2_vgpr3
.LBB86_434:
	s_mov_b64 s[24:25], 0
.LBB86_435:
	s_and_b64 vcc, exec, s[24:25]
	s_cbranch_vccz .LBB86_439
; %bb.436:
	s_cmp_eq_u32 s30, 29
	s_cbranch_scc0 .LBB86_438
; %bb.437:
	global_load_dwordx2 v[2:3], v[0:1], off
	s_mov_b64 s[0:1], -1
	s_mov_b64 s[22:23], 0
	s_mov_b64 s[24:25], 0
	s_waitcnt vmcnt(0)
	v_cvt_f64_u32_e32 v[5:6], v3
	v_cvt_f64_u32_e32 v[2:3], v2
	v_ldexp_f64 v[5:6], v[5:6], 32
	v_add_f64 v[2:3], v[5:6], v[2:3]
	s_branch .LBB86_440
.LBB86_438:
	s_mov_b64 s[22:23], -1
                                        ; implicit-def: $vgpr2_vgpr3
.LBB86_439:
	s_mov_b64 s[24:25], 0
.LBB86_440:
	s_and_b64 vcc, exec, s[24:25]
	s_cbranch_vccz .LBB86_460
; %bb.441:
	s_cmp_lt_i32 s30, 27
	s_cbranch_scc1 .LBB86_444
; %bb.442:
	s_cmp_gt_i32 s30, 27
	s_cbranch_scc0 .LBB86_445
; %bb.443:
	global_load_dword v2, v[0:1], off
	s_mov_b64 s[0:1], 0
	s_waitcnt vmcnt(0)
	v_cvt_f64_u32_e32 v[2:3], v2
	s_branch .LBB86_446
.LBB86_444:
	s_mov_b64 s[0:1], -1
                                        ; implicit-def: $vgpr2_vgpr3
	s_branch .LBB86_449
.LBB86_445:
	s_mov_b64 s[0:1], -1
                                        ; implicit-def: $vgpr2_vgpr3
.LBB86_446:
	s_andn2_b64 vcc, exec, s[0:1]
	s_cbranch_vccnz .LBB86_448
; %bb.447:
	global_load_ushort v2, v[0:1], off
	s_waitcnt vmcnt(0)
	v_cvt_f64_u32_e32 v[2:3], v2
.LBB86_448:
	s_mov_b64 s[0:1], 0
.LBB86_449:
	s_andn2_b64 vcc, exec, s[0:1]
	s_cbranch_vccnz .LBB86_459
; %bb.450:
	global_load_ubyte v5, v[0:1], off
	s_movk_i32 s0, 0x7f
	s_waitcnt vmcnt(0)
	v_cmp_lt_i16_e32 vcc, s0, v5
	s_mov_b64 s[0:1], 0
	s_and_saveexec_b64 s[24:25], vcc
	s_xor_b64 s[24:25], exec, s[24:25]
	s_cbranch_execz .LBB86_454
; %bb.451:
	s_movk_i32 s0, 0x80
	v_cmp_eq_u16_e32 vcc, s0, v5
	s_mov_b64 s[0:1], -1
	s_and_saveexec_b64 s[28:29], vcc
; %bb.452:
	s_xor_b64 s[0:1], exec, -1
; %bb.453:
	s_or_b64 exec, exec, s[28:29]
	s_and_b64 s[0:1], s[0:1], exec
.LBB86_454:
	s_or_saveexec_b64 s[24:25], s[24:25]
	v_bfrev_b32_e32 v2, 4
	v_mov_b32_e32 v3, 0x7ff80000
	s_xor_b64 exec, exec, s[24:25]
; %bb.455:
	v_cmp_ne_u16_e32 vcc, 0, v5
	v_mov_b32_e32 v2, 0
	s_andn2_b64 s[0:1], s[0:1], exec
	s_and_b64 s[28:29], vcc, exec
	v_mov_b32_e32 v3, 0
	s_or_b64 s[0:1], s[0:1], s[28:29]
; %bb.456:
	s_or_b64 exec, exec, s[24:25]
	s_and_saveexec_b64 s[24:25], s[0:1]
	s_cbranch_execz .LBB86_458
; %bb.457:
	v_and_b32_e32 v3, 0xffff, v5
	v_lshlrev_b32_e32 v2, 24, v5
	v_and_b32_e32 v5, 7, v3
	v_ffbh_u32_e32 v7, v5
	v_min_u32_e32 v7, 32, v7
	v_subrev_u32_e32 v8, 28, v7
	v_bfe_u32 v6, v3, 3, 4
	v_lshlrev_b32_e32 v3, v8, v3
	v_sub_u32_e32 v7, 29, v7
	v_and_b32_e32 v3, 7, v3
	v_cmp_eq_u32_e32 vcc, 0, v6
	v_cndmask_b32_e32 v6, v6, v7, vcc
	v_cndmask_b32_e32 v3, v5, v3, vcc
	v_mov_b32_e32 v5, 0x3b800000
	v_lshlrev_b32_e32 v3, 20, v3
	v_and_b32_e32 v2, 0x80000000, v2
	v_lshl_add_u32 v5, v6, 23, v5
	v_or3_b32 v2, v2, v5, v3
	v_cvt_f64_f32_e32 v[2:3], v2
.LBB86_458:
	s_or_b64 exec, exec, s[24:25]
.LBB86_459:
	s_mov_b64 s[0:1], -1
.LBB86_460:
	s_mov_b64 s[24:25], 0
.LBB86_461:
	s_and_b64 vcc, exec, s[24:25]
	s_cbranch_vccz .LBB86_494
; %bb.462:
	s_cmp_gt_i32 s30, 22
	s_cbranch_scc0 .LBB86_474
; %bb.463:
	s_cmp_lt_i32 s30, 24
	s_cbranch_scc1 .LBB86_475
; %bb.464:
	s_cmp_gt_i32 s30, 24
	s_cbranch_scc0 .LBB86_476
; %bb.465:
	global_load_ubyte v5, v[0:1], off
	s_movk_i32 s0, 0x7f
	s_waitcnt vmcnt(0)
	v_cmp_lt_i16_e32 vcc, s0, v5
	s_mov_b64 s[0:1], 0
	s_and_saveexec_b64 s[24:25], vcc
	s_xor_b64 s[24:25], exec, s[24:25]
	s_cbranch_execz .LBB86_469
; %bb.466:
	s_movk_i32 s0, 0x80
	v_cmp_eq_u16_e32 vcc, s0, v5
	s_mov_b64 s[0:1], -1
	s_and_saveexec_b64 s[28:29], vcc
; %bb.467:
	s_xor_b64 s[0:1], exec, -1
; %bb.468:
	s_or_b64 exec, exec, s[28:29]
	s_and_b64 s[0:1], s[0:1], exec
.LBB86_469:
	s_or_saveexec_b64 s[24:25], s[24:25]
	v_bfrev_b32_e32 v2, 4
	v_mov_b32_e32 v3, 0x7ff80000
	s_xor_b64 exec, exec, s[24:25]
; %bb.470:
	v_cmp_ne_u16_e32 vcc, 0, v5
	v_mov_b32_e32 v2, 0
	s_andn2_b64 s[0:1], s[0:1], exec
	s_and_b64 s[28:29], vcc, exec
	v_mov_b32_e32 v3, 0
	s_or_b64 s[0:1], s[0:1], s[28:29]
; %bb.471:
	s_or_b64 exec, exec, s[24:25]
	s_and_saveexec_b64 s[24:25], s[0:1]
	s_cbranch_execz .LBB86_473
; %bb.472:
	v_and_b32_e32 v3, 0xffff, v5
	v_lshlrev_b32_e32 v2, 24, v5
	v_and_b32_e32 v5, 3, v3
	v_ffbh_u32_e32 v7, v5
	v_min_u32_e32 v7, 32, v7
	v_subrev_u32_e32 v8, 29, v7
	v_bfe_u32 v6, v3, 2, 5
	v_lshlrev_b32_e32 v3, v8, v3
	v_sub_u32_e32 v7, 30, v7
	v_and_b32_e32 v3, 3, v3
	v_cmp_eq_u32_e32 vcc, 0, v6
	v_cndmask_b32_e32 v6, v6, v7, vcc
	v_cndmask_b32_e32 v3, v5, v3, vcc
	v_mov_b32_e32 v5, 0x37800000
	v_lshlrev_b32_e32 v3, 21, v3
	v_and_b32_e32 v2, 0x80000000, v2
	v_lshl_add_u32 v5, v6, 23, v5
	v_or3_b32 v2, v2, v5, v3
	v_cvt_f64_f32_e32 v[2:3], v2
.LBB86_473:
	s_or_b64 exec, exec, s[24:25]
	s_mov_b64 s[0:1], 0
	s_branch .LBB86_477
.LBB86_474:
	s_mov_b64 s[24:25], -1
                                        ; implicit-def: $vgpr2_vgpr3
	s_branch .LBB86_483
.LBB86_475:
	s_mov_b64 s[0:1], -1
                                        ; implicit-def: $vgpr2_vgpr3
	s_branch .LBB86_480
.LBB86_476:
	s_mov_b64 s[0:1], -1
                                        ; implicit-def: $vgpr2_vgpr3
.LBB86_477:
	s_and_b64 vcc, exec, s[0:1]
	s_cbranch_vccz .LBB86_479
; %bb.478:
	global_load_ubyte v2, v[0:1], off
	s_mov_b32 s0, 0x7f800000
	s_waitcnt vmcnt(0)
	v_lshlrev_b32_e32 v2, 24, v2
	v_and_b32_e32 v3, 0x7f000000, v2
	v_ffbh_u32_e32 v5, v3
	v_min_u32_e32 v5, 32, v5
	v_sub_u32_e64 v5, v5, 4 clamp
	v_lshlrev_b32_e32 v7, v5, v3
	v_lshlrev_b32_e32 v5, 23, v5
	v_lshrrev_b32_e32 v7, 4, v7
	v_add_u32_e32 v6, 0x1000000, v3
	v_sub_u32_e32 v5, v7, v5
	v_ashrrev_i32_e32 v6, 8, v6
	v_add_u32_e32 v5, 0x3c000000, v5
	v_and_or_b32 v5, v6, s0, v5
	v_cmp_ne_u32_e32 vcc, 0, v3
	v_cndmask_b32_e32 v3, 0, v5, vcc
	s_brev_b32 s0, 1
	v_and_or_b32 v2, v2, s0, v3
	v_cvt_f64_f32_e32 v[2:3], v2
.LBB86_479:
	s_mov_b64 s[0:1], 0
.LBB86_480:
	s_andn2_b64 vcc, exec, s[0:1]
	s_cbranch_vccnz .LBB86_482
; %bb.481:
	global_load_ubyte v2, v[0:1], off
	s_movk_i32 s0, 0x7f00
	s_brev_b32 s1, 16
	s_waitcnt vmcnt(0)
	v_lshlrev_b16_e32 v3, 8, v2
	v_lshlrev_b32_e32 v2, 25, v2
	v_lshrrev_b32_e32 v5, 4, v2
	v_and_or_b32 v6, v3, s0, 0.5
	v_or_b32_e32 v5, 0x70000000, v5
	v_add_f32_e32 v6, -0.5, v6
	v_mul_f32_e32 v5, 0x7800000, v5
	v_cmp_gt_u32_e32 vcc, s1, v2
	v_bfe_i32 v3, v3, 0, 16
	v_cndmask_b32_e32 v2, v5, v6, vcc
	s_brev_b32 s0, 1
	v_and_or_b32 v2, v3, s0, v2
	v_cvt_f64_f32_e32 v[2:3], v2
.LBB86_482:
	s_mov_b64 s[24:25], 0
	s_mov_b64 s[0:1], -1
.LBB86_483:
	s_andn2_b64 vcc, exec, s[24:25]
	s_cbranch_vccnz .LBB86_494
; %bb.484:
	s_cmp_gt_i32 s30, 14
	s_cbranch_scc0 .LBB86_487
; %bb.485:
	s_cmp_eq_u32 s30, 15
	s_cbranch_scc0 .LBB86_488
; %bb.486:
	global_load_ushort v2, v[0:1], off
	s_mov_b64 s[0:1], -1
	s_mov_b64 s[22:23], 0
	s_waitcnt vmcnt(0)
	v_lshlrev_b32_e32 v2, 16, v2
	v_cvt_f64_f32_e32 v[2:3], v2
	s_branch .LBB86_489
.LBB86_487:
	s_mov_b64 s[24:25], -1
                                        ; implicit-def: $vgpr2_vgpr3
	s_branch .LBB86_490
.LBB86_488:
	s_mov_b64 s[22:23], -1
                                        ; implicit-def: $vgpr2_vgpr3
.LBB86_489:
	s_mov_b64 s[24:25], 0
.LBB86_490:
	s_and_b64 vcc, exec, s[24:25]
	s_cbranch_vccz .LBB86_494
; %bb.491:
	s_cmp_eq_u32 s30, 11
	s_cbranch_scc0 .LBB86_493
; %bb.492:
	global_load_ubyte v3, v[0:1], off
	v_mov_b32_e32 v5, 0x3ff00000
	v_mov_b32_e32 v2, 0
	s_mov_b64 s[0:1], -1
	s_mov_b64 s[22:23], 0
	s_waitcnt vmcnt(0)
	v_cmp_ne_u16_e32 vcc, 0, v3
	v_cndmask_b32_e32 v3, 0, v5, vcc
	s_branch .LBB86_494
.LBB86_493:
	s_mov_b64 s[22:23], -1
                                        ; implicit-def: $vgpr2_vgpr3
.LBB86_494:
	s_branch .LBB86_281
.LBB86_495:
	s_cmp_lt_i32 s30, 5
	s_cbranch_scc1 .LBB86_500
; %bb.496:
	s_cmp_lt_i32 s30, 8
	s_cbranch_scc1 .LBB86_501
; %bb.497:
	;; [unrolled: 3-line block ×3, first 2 shown]
	s_cmp_gt_i32 s30, 9
	s_cbranch_scc0 .LBB86_503
; %bb.499:
	global_load_dwordx2 v[2:3], v[0:1], off
	s_mov_b64 s[0:1], 0
	s_branch .LBB86_504
.LBB86_500:
	s_mov_b64 s[0:1], -1
                                        ; implicit-def: $vgpr2_vgpr3
	s_branch .LBB86_522
.LBB86_501:
	s_mov_b64 s[0:1], -1
                                        ; implicit-def: $vgpr2_vgpr3
	s_branch .LBB86_510
.LBB86_502:
	s_mov_b64 s[0:1], -1
                                        ; implicit-def: $vgpr2_vgpr3
	s_branch .LBB86_507
.LBB86_503:
	s_mov_b64 s[0:1], -1
                                        ; implicit-def: $vgpr2_vgpr3
.LBB86_504:
	s_andn2_b64 vcc, exec, s[0:1]
	s_cbranch_vccnz .LBB86_506
; %bb.505:
	global_load_dword v2, v[0:1], off
	s_waitcnt vmcnt(0)
	v_cvt_f64_f32_e32 v[2:3], v2
.LBB86_506:
	s_mov_b64 s[0:1], 0
.LBB86_507:
	s_andn2_b64 vcc, exec, s[0:1]
	s_cbranch_vccnz .LBB86_509
; %bb.508:
	global_load_dword v2, v[0:1], off
	s_waitcnt vmcnt(0)
	v_cvt_f32_f16_e32 v2, v2
	v_cvt_f64_f32_e32 v[2:3], v2
.LBB86_509:
	s_mov_b64 s[0:1], 0
.LBB86_510:
	s_andn2_b64 vcc, exec, s[0:1]
	s_cbranch_vccnz .LBB86_521
; %bb.511:
	s_cmp_lt_i32 s30, 6
	s_cbranch_scc1 .LBB86_514
; %bb.512:
	s_cmp_gt_i32 s30, 6
	s_cbranch_scc0 .LBB86_515
; %bb.513:
	global_load_dwordx2 v[2:3], v[0:1], off
	s_mov_b64 s[0:1], 0
	s_branch .LBB86_516
.LBB86_514:
	s_mov_b64 s[0:1], -1
                                        ; implicit-def: $vgpr2_vgpr3
	s_branch .LBB86_519
.LBB86_515:
	s_mov_b64 s[0:1], -1
                                        ; implicit-def: $vgpr2_vgpr3
.LBB86_516:
	s_andn2_b64 vcc, exec, s[0:1]
	s_cbranch_vccnz .LBB86_518
; %bb.517:
	global_load_dword v2, v[0:1], off
	s_waitcnt vmcnt(0)
	v_cvt_f64_f32_e32 v[2:3], v2
.LBB86_518:
	s_mov_b64 s[0:1], 0
.LBB86_519:
	s_andn2_b64 vcc, exec, s[0:1]
	s_cbranch_vccnz .LBB86_521
; %bb.520:
	global_load_ushort v2, v[0:1], off
	s_waitcnt vmcnt(0)
	v_cvt_f32_f16_e32 v2, v2
	v_cvt_f64_f32_e32 v[2:3], v2
.LBB86_521:
	s_mov_b64 s[0:1], 0
.LBB86_522:
	s_andn2_b64 vcc, exec, s[0:1]
	s_cbranch_vccnz .LBB86_542
; %bb.523:
	s_cmp_lt_i32 s30, 2
	s_cbranch_scc1 .LBB86_527
; %bb.524:
	s_cmp_lt_i32 s30, 3
	s_cbranch_scc1 .LBB86_528
; %bb.525:
	s_cmp_gt_i32 s30, 3
	s_cbranch_scc0 .LBB86_529
; %bb.526:
	global_load_dwordx2 v[2:3], v[0:1], off
	s_mov_b64 s[0:1], 0
	s_waitcnt vmcnt(0)
	v_cvt_f64_i32_e32 v[5:6], v3
	v_cvt_f64_u32_e32 v[2:3], v2
	v_ldexp_f64 v[5:6], v[5:6], 32
	v_add_f64 v[2:3], v[5:6], v[2:3]
	s_branch .LBB86_530
.LBB86_527:
	s_mov_b64 s[0:1], -1
                                        ; implicit-def: $vgpr2_vgpr3
	s_branch .LBB86_536
.LBB86_528:
	s_mov_b64 s[0:1], -1
                                        ; implicit-def: $vgpr2_vgpr3
	s_branch .LBB86_533
.LBB86_529:
	s_mov_b64 s[0:1], -1
                                        ; implicit-def: $vgpr2_vgpr3
.LBB86_530:
	s_andn2_b64 vcc, exec, s[0:1]
	s_cbranch_vccnz .LBB86_532
; %bb.531:
	global_load_dword v2, v[0:1], off
	s_waitcnt vmcnt(0)
	v_cvt_f64_i32_e32 v[2:3], v2
.LBB86_532:
	s_mov_b64 s[0:1], 0
.LBB86_533:
	s_andn2_b64 vcc, exec, s[0:1]
	s_cbranch_vccnz .LBB86_535
; %bb.534:
	global_load_sshort v2, v[0:1], off
	s_waitcnt vmcnt(0)
	v_cvt_f64_i32_e32 v[2:3], v2
.LBB86_535:
	s_mov_b64 s[0:1], 0
.LBB86_536:
	s_andn2_b64 vcc, exec, s[0:1]
	s_cbranch_vccnz .LBB86_542
; %bb.537:
	s_cmp_gt_i32 s30, 0
	s_cbranch_scc0 .LBB86_539
; %bb.538:
	global_load_sbyte v2, v[0:1], off
	s_mov_b64 s[0:1], 0
	s_waitcnt vmcnt(0)
	v_cvt_f64_i32_e32 v[2:3], v2
	s_branch .LBB86_540
.LBB86_539:
	s_mov_b64 s[0:1], -1
                                        ; implicit-def: $vgpr2_vgpr3
.LBB86_540:
	s_andn2_b64 vcc, exec, s[0:1]
	s_cbranch_vccnz .LBB86_542
; %bb.541:
	global_load_ubyte v0, v[0:1], off
	s_waitcnt vmcnt(0)
	v_cvt_f64_u32_e32 v[2:3], v0
.LBB86_542:
	s_branch .LBB86_282
.LBB86_543:
	s_mov_b64 s[28:29], 0
                                        ; implicit-def: $vgpr4
	s_mov_b64 s[0:1], s[16:17]
.LBB86_544:
	s_andn2_b64 s[24:25], s[16:17], exec
	s_and_b64 s[0:1], s[0:1], exec
	s_or_b64 s[24:25], s[24:25], s[0:1]
	s_andn2_b64 s[0:1], s[18:19], exec
	s_and_b64 s[22:23], s[22:23], exec
	s_or_b64 s[22:23], s[0:1], s[22:23]
	s_orn2_b64 s[0:1], s[28:29], exec
.LBB86_545:
	s_or_b64 exec, exec, s[26:27]
	s_mov_b64 s[28:29], 0
	s_mov_b64 s[30:31], 0
	;; [unrolled: 1-line block ×3, first 2 shown]
                                        ; implicit-def: $vgpr0_vgpr1
                                        ; implicit-def: $vgpr2_vgpr3
	s_and_saveexec_b64 s[26:27], s[0:1]
	s_cbranch_execz .LBB86_907
; %bb.546:
	v_cmp_gt_i32_e32 vcc, s42, v4
	s_mov_b64 s[38:39], -1
	s_mov_b64 s[0:1], s[22:23]
	s_mov_b64 s[34:35], s[24:25]
	s_and_saveexec_b64 s[28:29], vcc
	s_cbranch_execz .LBB86_821
; %bb.547:
	v_mul_lo_u32 v0, v4, s13
	v_mov_b32_e32 v1, s11
	s_and_b32 s38, 0xffff, s15
	s_cmp_lt_i32 s38, 11
	s_waitcnt vmcnt(0)
	v_ashrrev_i32_e32 v2, 31, v0
	v_add_co_u32_e32 v0, vcc, s10, v0
	v_addc_co_u32_e32 v1, vcc, v1, v2, vcc
	s_cbranch_scc1 .LBB86_554
; %bb.548:
	s_cmp_gt_i32 s38, 25
	s_cbranch_scc0 .LBB86_555
; %bb.549:
	s_cmp_gt_i32 s38, 28
	s_cbranch_scc0 .LBB86_556
	;; [unrolled: 3-line block ×4, first 2 shown]
; %bb.552:
	s_cmp_eq_u32 s38, 46
	s_mov_b64 s[34:35], 0
	s_cbranch_scc0 .LBB86_563
; %bb.553:
	global_load_dword v2, v[0:1], off
	s_mov_b64 s[0:1], -1
	s_waitcnt vmcnt(0)
	v_lshlrev_b32_e32 v2, 16, v2
	v_cvt_f64_f32_e32 v[2:3], v2
	s_branch .LBB86_564
.LBB86_554:
	s_mov_b64 s[34:35], -1
	s_mov_b64 s[0:1], 0
                                        ; implicit-def: $vgpr2_vgpr3
	s_mov_b64 s[30:31], s[22:23]
	s_branch .LBB86_629
.LBB86_555:
	s_mov_b64 s[34:35], -1
	s_mov_b64 s[0:1], 0
	s_mov_b64 s[30:31], s[22:23]
                                        ; implicit-def: $vgpr2_vgpr3
	s_branch .LBB86_595
.LBB86_556:
	s_mov_b64 s[34:35], -1
	s_mov_b64 s[0:1], 0
	s_mov_b64 s[30:31], s[22:23]
                                        ; implicit-def: $vgpr2_vgpr3
	s_branch .LBB86_574
.LBB86_557:
	s_mov_b64 s[34:35], -1
	s_mov_b64 s[0:1], 0
	s_mov_b64 s[30:31], s[22:23]
                                        ; implicit-def: $vgpr2_vgpr3
	s_branch .LBB86_569
.LBB86_558:
	s_andn2_saveexec_b64 s[34:35], s[34:35]
	s_cbranch_execz .LBB86_343
.LBB86_559:
	v_add_f32_e32 v2, 0x46000000, v3
	v_and_b32_e32 v2, 0xff, v2
	v_cmp_ne_u32_e32 vcc, 0, v2
	s_andn2_b64 s[30:31], s[30:31], exec
	s_and_b64 s[38:39], vcc, exec
	s_or_b64 s[30:31], s[30:31], s[38:39]
	s_or_b64 exec, exec, s[34:35]
	v_mov_b32_e32 v5, 0
	s_and_saveexec_b64 s[34:35], s[30:31]
	s_cbranch_execnz .LBB86_344
	s_branch .LBB86_345
.LBB86_560:
	s_mov_b64 s[34:35], -1
	s_mov_b64 s[0:1], 0
	s_mov_b64 s[30:31], s[22:23]
                                        ; implicit-def: $vgpr2_vgpr3
	s_branch .LBB86_564
.LBB86_561:
	s_andn2_saveexec_b64 s[34:35], s[34:35]
	s_cbranch_execz .LBB86_356
.LBB86_562:
	v_add_f32_e32 v2, 0x42800000, v3
	v_and_b32_e32 v2, 0xff, v2
	v_cmp_ne_u32_e32 vcc, 0, v2
	s_andn2_b64 s[30:31], s[30:31], exec
	s_and_b64 s[38:39], vcc, exec
	s_or_b64 s[30:31], s[30:31], s[38:39]
	s_or_b64 exec, exec, s[34:35]
	v_mov_b32_e32 v5, 0
	s_and_saveexec_b64 s[34:35], s[30:31]
	s_cbranch_execnz .LBB86_357
	s_branch .LBB86_358
.LBB86_563:
	s_mov_b64 s[30:31], -1
                                        ; implicit-def: $vgpr2_vgpr3
	s_mov_b64 s[0:1], 0
.LBB86_564:
	s_and_b64 vcc, exec, s[34:35]
	s_cbranch_vccz .LBB86_568
; %bb.565:
	s_cmp_eq_u32 s38, 44
	s_cbranch_scc0 .LBB86_567
; %bb.566:
	global_load_ubyte v5, v[0:1], off
	s_movk_i32 s30, 0xff
	v_bfrev_b32_e32 v6, 4
	v_mov_b32_e32 v7, 0x7ff80000
	v_bfrev_b32_e32 v8, 28
	s_mov_b64 s[0:1], -1
	s_waitcnt vmcnt(0)
	v_lshlrev_b32_e32 v2, 23, v5
	v_cvt_f64_f32_e32 v[2:3], v2
	v_cmp_ne_u32_e32 vcc, s30, v5
	s_mov_b64 s[30:31], 0
	v_cndmask_b32_e32 v2, v6, v2, vcc
	v_cndmask_b32_e32 v3, v7, v3, vcc
	v_cmp_ne_u32_e32 vcc, 0, v5
	v_cndmask_b32_e32 v3, v8, v3, vcc
	v_cndmask_b32_e32 v2, 0, v2, vcc
	s_branch .LBB86_568
.LBB86_567:
	s_mov_b64 s[30:31], -1
                                        ; implicit-def: $vgpr2_vgpr3
.LBB86_568:
	s_mov_b64 s[34:35], 0
.LBB86_569:
	s_and_b64 vcc, exec, s[34:35]
	s_cbranch_vccz .LBB86_573
; %bb.570:
	s_cmp_eq_u32 s38, 29
	s_cbranch_scc0 .LBB86_572
; %bb.571:
	global_load_dwordx2 v[2:3], v[0:1], off
	s_mov_b64 s[0:1], -1
	s_mov_b64 s[30:31], 0
	s_mov_b64 s[34:35], 0
	s_waitcnt vmcnt(0)
	v_cvt_f64_u32_e32 v[5:6], v3
	v_cvt_f64_u32_e32 v[2:3], v2
	v_ldexp_f64 v[5:6], v[5:6], 32
	v_add_f64 v[2:3], v[5:6], v[2:3]
	s_branch .LBB86_574
.LBB86_572:
	s_mov_b64 s[30:31], -1
                                        ; implicit-def: $vgpr2_vgpr3
.LBB86_573:
	s_mov_b64 s[34:35], 0
.LBB86_574:
	s_and_b64 vcc, exec, s[34:35]
	s_cbranch_vccz .LBB86_594
; %bb.575:
	s_cmp_lt_i32 s38, 27
	s_cbranch_scc1 .LBB86_578
; %bb.576:
	s_cmp_gt_i32 s38, 27
	s_cbranch_scc0 .LBB86_579
; %bb.577:
	global_load_dword v2, v[0:1], off
	s_mov_b64 s[0:1], 0
	s_waitcnt vmcnt(0)
	v_cvt_f64_u32_e32 v[2:3], v2
	s_branch .LBB86_580
.LBB86_578:
	s_mov_b64 s[0:1], -1
                                        ; implicit-def: $vgpr2_vgpr3
	s_branch .LBB86_583
.LBB86_579:
	s_mov_b64 s[0:1], -1
                                        ; implicit-def: $vgpr2_vgpr3
.LBB86_580:
	s_andn2_b64 vcc, exec, s[0:1]
	s_cbranch_vccnz .LBB86_582
; %bb.581:
	global_load_ushort v2, v[0:1], off
	s_waitcnt vmcnt(0)
	v_cvt_f64_u32_e32 v[2:3], v2
.LBB86_582:
	s_mov_b64 s[0:1], 0
.LBB86_583:
	s_andn2_b64 vcc, exec, s[0:1]
	s_cbranch_vccnz .LBB86_593
; %bb.584:
	global_load_ubyte v5, v[0:1], off
	s_movk_i32 s0, 0x7f
	s_waitcnt vmcnt(0)
	v_cmp_lt_i16_e32 vcc, s0, v5
	s_mov_b64 s[0:1], 0
	s_and_saveexec_b64 s[34:35], vcc
	s_xor_b64 s[34:35], exec, s[34:35]
	s_cbranch_execz .LBB86_588
; %bb.585:
	s_movk_i32 s0, 0x80
	v_cmp_eq_u16_e32 vcc, s0, v5
	s_mov_b64 s[0:1], -1
	s_and_saveexec_b64 s[36:37], vcc
; %bb.586:
	s_xor_b64 s[0:1], exec, -1
; %bb.587:
	s_or_b64 exec, exec, s[36:37]
	s_and_b64 s[0:1], s[0:1], exec
.LBB86_588:
	s_or_saveexec_b64 s[34:35], s[34:35]
	v_bfrev_b32_e32 v2, 4
	v_mov_b32_e32 v3, 0x7ff80000
	s_xor_b64 exec, exec, s[34:35]
; %bb.589:
	v_cmp_ne_u16_e32 vcc, 0, v5
	v_mov_b32_e32 v2, 0
	s_andn2_b64 s[0:1], s[0:1], exec
	s_and_b64 s[36:37], vcc, exec
	v_mov_b32_e32 v3, 0
	s_or_b64 s[0:1], s[0:1], s[36:37]
; %bb.590:
	s_or_b64 exec, exec, s[34:35]
	s_and_saveexec_b64 s[34:35], s[0:1]
	s_cbranch_execz .LBB86_592
; %bb.591:
	v_and_b32_e32 v3, 0xffff, v5
	v_lshlrev_b32_e32 v2, 24, v5
	v_and_b32_e32 v5, 7, v3
	v_ffbh_u32_e32 v7, v5
	v_min_u32_e32 v7, 32, v7
	v_subrev_u32_e32 v8, 28, v7
	v_bfe_u32 v6, v3, 3, 4
	v_lshlrev_b32_e32 v3, v8, v3
	v_sub_u32_e32 v7, 29, v7
	v_and_b32_e32 v3, 7, v3
	v_cmp_eq_u32_e32 vcc, 0, v6
	v_cndmask_b32_e32 v6, v6, v7, vcc
	v_cndmask_b32_e32 v3, v5, v3, vcc
	v_mov_b32_e32 v5, 0x3b800000
	v_lshlrev_b32_e32 v3, 20, v3
	v_and_b32_e32 v2, 0x80000000, v2
	v_lshl_add_u32 v5, v6, 23, v5
	v_or3_b32 v2, v2, v5, v3
	v_cvt_f64_f32_e32 v[2:3], v2
.LBB86_592:
	s_or_b64 exec, exec, s[34:35]
.LBB86_593:
	s_mov_b64 s[0:1], -1
.LBB86_594:
	s_mov_b64 s[34:35], 0
.LBB86_595:
	s_and_b64 vcc, exec, s[34:35]
	s_cbranch_vccz .LBB86_628
; %bb.596:
	s_cmp_gt_i32 s38, 22
	s_cbranch_scc0 .LBB86_608
; %bb.597:
	s_cmp_lt_i32 s38, 24
	s_cbranch_scc1 .LBB86_609
; %bb.598:
	s_cmp_gt_i32 s38, 24
	s_cbranch_scc0 .LBB86_610
; %bb.599:
	global_load_ubyte v5, v[0:1], off
	s_movk_i32 s0, 0x7f
	s_waitcnt vmcnt(0)
	v_cmp_lt_i16_e32 vcc, s0, v5
	s_mov_b64 s[0:1], 0
	s_and_saveexec_b64 s[34:35], vcc
	s_xor_b64 s[34:35], exec, s[34:35]
	s_cbranch_execz .LBB86_603
; %bb.600:
	s_movk_i32 s0, 0x80
	v_cmp_eq_u16_e32 vcc, s0, v5
	s_mov_b64 s[0:1], -1
	s_and_saveexec_b64 s[36:37], vcc
; %bb.601:
	s_xor_b64 s[0:1], exec, -1
; %bb.602:
	s_or_b64 exec, exec, s[36:37]
	s_and_b64 s[0:1], s[0:1], exec
.LBB86_603:
	s_or_saveexec_b64 s[34:35], s[34:35]
	v_bfrev_b32_e32 v2, 4
	v_mov_b32_e32 v3, 0x7ff80000
	s_xor_b64 exec, exec, s[34:35]
; %bb.604:
	v_cmp_ne_u16_e32 vcc, 0, v5
	v_mov_b32_e32 v2, 0
	s_andn2_b64 s[0:1], s[0:1], exec
	s_and_b64 s[36:37], vcc, exec
	v_mov_b32_e32 v3, 0
	s_or_b64 s[0:1], s[0:1], s[36:37]
; %bb.605:
	s_or_b64 exec, exec, s[34:35]
	s_and_saveexec_b64 s[34:35], s[0:1]
	s_cbranch_execz .LBB86_607
; %bb.606:
	v_and_b32_e32 v3, 0xffff, v5
	v_lshlrev_b32_e32 v2, 24, v5
	v_and_b32_e32 v5, 3, v3
	v_ffbh_u32_e32 v7, v5
	v_min_u32_e32 v7, 32, v7
	v_subrev_u32_e32 v8, 29, v7
	v_bfe_u32 v6, v3, 2, 5
	v_lshlrev_b32_e32 v3, v8, v3
	v_sub_u32_e32 v7, 30, v7
	v_and_b32_e32 v3, 3, v3
	v_cmp_eq_u32_e32 vcc, 0, v6
	v_cndmask_b32_e32 v6, v6, v7, vcc
	v_cndmask_b32_e32 v3, v5, v3, vcc
	v_mov_b32_e32 v5, 0x37800000
	v_lshlrev_b32_e32 v3, 21, v3
	v_and_b32_e32 v2, 0x80000000, v2
	v_lshl_add_u32 v5, v6, 23, v5
	v_or3_b32 v2, v2, v5, v3
	v_cvt_f64_f32_e32 v[2:3], v2
.LBB86_607:
	s_or_b64 exec, exec, s[34:35]
	s_mov_b64 s[0:1], 0
	s_branch .LBB86_611
.LBB86_608:
	s_mov_b64 s[34:35], -1
                                        ; implicit-def: $vgpr2_vgpr3
	s_branch .LBB86_617
.LBB86_609:
	s_mov_b64 s[0:1], -1
                                        ; implicit-def: $vgpr2_vgpr3
	s_branch .LBB86_614
.LBB86_610:
	s_mov_b64 s[0:1], -1
                                        ; implicit-def: $vgpr2_vgpr3
.LBB86_611:
	s_and_b64 vcc, exec, s[0:1]
	s_cbranch_vccz .LBB86_613
; %bb.612:
	global_load_ubyte v2, v[0:1], off
	s_mov_b32 s0, 0x7f800000
	s_waitcnt vmcnt(0)
	v_lshlrev_b32_e32 v2, 24, v2
	v_and_b32_e32 v3, 0x7f000000, v2
	v_ffbh_u32_e32 v5, v3
	v_min_u32_e32 v5, 32, v5
	v_sub_u32_e64 v5, v5, 4 clamp
	v_lshlrev_b32_e32 v7, v5, v3
	v_lshlrev_b32_e32 v5, 23, v5
	v_lshrrev_b32_e32 v7, 4, v7
	v_add_u32_e32 v6, 0x1000000, v3
	v_sub_u32_e32 v5, v7, v5
	v_ashrrev_i32_e32 v6, 8, v6
	v_add_u32_e32 v5, 0x3c000000, v5
	v_and_or_b32 v5, v6, s0, v5
	v_cmp_ne_u32_e32 vcc, 0, v3
	v_cndmask_b32_e32 v3, 0, v5, vcc
	s_brev_b32 s0, 1
	v_and_or_b32 v2, v2, s0, v3
	v_cvt_f64_f32_e32 v[2:3], v2
.LBB86_613:
	s_mov_b64 s[0:1], 0
.LBB86_614:
	s_andn2_b64 vcc, exec, s[0:1]
	s_cbranch_vccnz .LBB86_616
; %bb.615:
	global_load_ubyte v2, v[0:1], off
	s_movk_i32 s0, 0x7f00
	s_brev_b32 s1, 16
	s_waitcnt vmcnt(0)
	v_lshlrev_b16_e32 v3, 8, v2
	v_lshlrev_b32_e32 v2, 25, v2
	v_lshrrev_b32_e32 v5, 4, v2
	v_and_or_b32 v6, v3, s0, 0.5
	v_or_b32_e32 v5, 0x70000000, v5
	v_add_f32_e32 v6, -0.5, v6
	v_mul_f32_e32 v5, 0x7800000, v5
	v_cmp_gt_u32_e32 vcc, s1, v2
	v_bfe_i32 v3, v3, 0, 16
	v_cndmask_b32_e32 v2, v5, v6, vcc
	s_brev_b32 s0, 1
	v_and_or_b32 v2, v3, s0, v2
	v_cvt_f64_f32_e32 v[2:3], v2
.LBB86_616:
	s_mov_b64 s[34:35], 0
	s_mov_b64 s[0:1], -1
.LBB86_617:
	s_andn2_b64 vcc, exec, s[34:35]
	s_cbranch_vccnz .LBB86_628
; %bb.618:
	s_cmp_gt_i32 s38, 14
	s_cbranch_scc0 .LBB86_621
; %bb.619:
	s_cmp_eq_u32 s38, 15
	s_cbranch_scc0 .LBB86_622
; %bb.620:
	global_load_ushort v2, v[0:1], off
	s_mov_b64 s[0:1], -1
	s_mov_b64 s[30:31], 0
	s_waitcnt vmcnt(0)
	v_lshlrev_b32_e32 v2, 16, v2
	v_cvt_f64_f32_e32 v[2:3], v2
	s_branch .LBB86_623
.LBB86_621:
	s_mov_b64 s[34:35], -1
                                        ; implicit-def: $vgpr2_vgpr3
	s_branch .LBB86_624
.LBB86_622:
	s_mov_b64 s[30:31], -1
                                        ; implicit-def: $vgpr2_vgpr3
.LBB86_623:
	s_mov_b64 s[34:35], 0
.LBB86_624:
	s_and_b64 vcc, exec, s[34:35]
	s_cbranch_vccz .LBB86_628
; %bb.625:
	s_cmp_eq_u32 s38, 11
	s_cbranch_scc0 .LBB86_627
; %bb.626:
	global_load_ubyte v3, v[0:1], off
	v_mov_b32_e32 v5, 0x3ff00000
	v_mov_b32_e32 v2, 0
	s_mov_b64 s[0:1], -1
	s_mov_b64 s[30:31], 0
	s_waitcnt vmcnt(0)
	v_cmp_ne_u16_e32 vcc, 0, v3
	v_cndmask_b32_e32 v3, 0, v5, vcc
	s_branch .LBB86_628
.LBB86_627:
	s_mov_b64 s[30:31], -1
                                        ; implicit-def: $vgpr2_vgpr3
.LBB86_628:
	s_mov_b64 s[34:35], 0
.LBB86_629:
	s_and_b64 vcc, exec, s[34:35]
	s_cbranch_vccz .LBB86_678
; %bb.630:
	s_cmp_lt_i32 s38, 5
	s_cbranch_scc1 .LBB86_635
; %bb.631:
	s_cmp_lt_i32 s38, 8
	s_cbranch_scc1 .LBB86_636
	;; [unrolled: 3-line block ×3, first 2 shown]
; %bb.633:
	s_cmp_gt_i32 s38, 9
	s_cbranch_scc0 .LBB86_638
; %bb.634:
	global_load_dwordx2 v[2:3], v[0:1], off
	s_mov_b64 s[0:1], 0
	s_branch .LBB86_639
.LBB86_635:
	s_mov_b64 s[0:1], -1
                                        ; implicit-def: $vgpr2_vgpr3
	s_branch .LBB86_657
.LBB86_636:
	s_mov_b64 s[0:1], -1
                                        ; implicit-def: $vgpr2_vgpr3
	s_branch .LBB86_645
.LBB86_637:
	s_mov_b64 s[0:1], -1
                                        ; implicit-def: $vgpr2_vgpr3
	s_branch .LBB86_642
.LBB86_638:
	s_mov_b64 s[0:1], -1
                                        ; implicit-def: $vgpr2_vgpr3
.LBB86_639:
	s_andn2_b64 vcc, exec, s[0:1]
	s_cbranch_vccnz .LBB86_641
; %bb.640:
	global_load_dword v2, v[0:1], off
	s_waitcnt vmcnt(0)
	v_cvt_f64_f32_e32 v[2:3], v2
.LBB86_641:
	s_mov_b64 s[0:1], 0
.LBB86_642:
	s_andn2_b64 vcc, exec, s[0:1]
	s_cbranch_vccnz .LBB86_644
; %bb.643:
	global_load_dword v2, v[0:1], off
	s_waitcnt vmcnt(0)
	v_cvt_f32_f16_e32 v2, v2
	v_cvt_f64_f32_e32 v[2:3], v2
.LBB86_644:
	s_mov_b64 s[0:1], 0
.LBB86_645:
	s_andn2_b64 vcc, exec, s[0:1]
	s_cbranch_vccnz .LBB86_656
; %bb.646:
	s_cmp_lt_i32 s38, 6
	s_cbranch_scc1 .LBB86_649
; %bb.647:
	s_cmp_gt_i32 s38, 6
	s_cbranch_scc0 .LBB86_650
; %bb.648:
	global_load_dwordx2 v[2:3], v[0:1], off
	s_mov_b64 s[0:1], 0
	s_branch .LBB86_651
.LBB86_649:
	s_mov_b64 s[0:1], -1
                                        ; implicit-def: $vgpr2_vgpr3
	s_branch .LBB86_654
.LBB86_650:
	s_mov_b64 s[0:1], -1
                                        ; implicit-def: $vgpr2_vgpr3
.LBB86_651:
	s_andn2_b64 vcc, exec, s[0:1]
	s_cbranch_vccnz .LBB86_653
; %bb.652:
	global_load_dword v2, v[0:1], off
	s_waitcnt vmcnt(0)
	v_cvt_f64_f32_e32 v[2:3], v2
.LBB86_653:
	s_mov_b64 s[0:1], 0
.LBB86_654:
	s_andn2_b64 vcc, exec, s[0:1]
	s_cbranch_vccnz .LBB86_656
; %bb.655:
	global_load_ushort v2, v[0:1], off
	s_waitcnt vmcnt(0)
	v_cvt_f32_f16_e32 v2, v2
	v_cvt_f64_f32_e32 v[2:3], v2
.LBB86_656:
	s_mov_b64 s[0:1], 0
.LBB86_657:
	s_andn2_b64 vcc, exec, s[0:1]
	s_cbranch_vccnz .LBB86_677
; %bb.658:
	s_cmp_lt_i32 s38, 2
	s_cbranch_scc1 .LBB86_662
; %bb.659:
	s_cmp_lt_i32 s38, 3
	s_cbranch_scc1 .LBB86_663
; %bb.660:
	s_cmp_gt_i32 s38, 3
	s_cbranch_scc0 .LBB86_664
; %bb.661:
	global_load_dwordx2 v[2:3], v[0:1], off
	s_mov_b64 s[0:1], 0
	s_waitcnt vmcnt(0)
	v_cvt_f64_i32_e32 v[5:6], v3
	v_cvt_f64_u32_e32 v[2:3], v2
	v_ldexp_f64 v[5:6], v[5:6], 32
	v_add_f64 v[2:3], v[5:6], v[2:3]
	s_branch .LBB86_665
.LBB86_662:
	s_mov_b64 s[0:1], -1
                                        ; implicit-def: $vgpr2_vgpr3
	s_branch .LBB86_671
.LBB86_663:
	s_mov_b64 s[0:1], -1
                                        ; implicit-def: $vgpr2_vgpr3
	s_branch .LBB86_668
.LBB86_664:
	s_mov_b64 s[0:1], -1
                                        ; implicit-def: $vgpr2_vgpr3
.LBB86_665:
	s_andn2_b64 vcc, exec, s[0:1]
	s_cbranch_vccnz .LBB86_667
; %bb.666:
	global_load_dword v2, v[0:1], off
	s_waitcnt vmcnt(0)
	v_cvt_f64_i32_e32 v[2:3], v2
.LBB86_667:
	s_mov_b64 s[0:1], 0
.LBB86_668:
	s_andn2_b64 vcc, exec, s[0:1]
	s_cbranch_vccnz .LBB86_670
; %bb.669:
	global_load_sshort v2, v[0:1], off
	s_waitcnt vmcnt(0)
	v_cvt_f64_i32_e32 v[2:3], v2
.LBB86_670:
	s_mov_b64 s[0:1], 0
.LBB86_671:
	s_andn2_b64 vcc, exec, s[0:1]
	s_cbranch_vccnz .LBB86_677
; %bb.672:
	s_cmp_gt_i32 s38, 0
	s_cbranch_scc0 .LBB86_674
; %bb.673:
	global_load_sbyte v2, v[0:1], off
	s_mov_b64 s[0:1], 0
	s_waitcnt vmcnt(0)
	v_cvt_f64_i32_e32 v[2:3], v2
	s_branch .LBB86_675
.LBB86_674:
	s_mov_b64 s[0:1], -1
                                        ; implicit-def: $vgpr2_vgpr3
.LBB86_675:
	s_andn2_b64 vcc, exec, s[0:1]
	s_cbranch_vccnz .LBB86_677
; %bb.676:
	global_load_ubyte v0, v[0:1], off
	s_waitcnt vmcnt(0)
	v_cvt_f64_u32_e32 v[2:3], v0
.LBB86_677:
	s_mov_b64 s[0:1], -1
.LBB86_678:
	s_andn2_b64 vcc, exec, s[0:1]
	s_cbranch_vccnz .LBB86_683
; %bb.679:
	s_cmp_lt_i32 s14, 1
	s_mov_b64 s[0:1], 0
	s_cbranch_scc1 .LBB86_684
; %bb.680:
	s_cmp_gt_i32 s14, 1
	s_cbranch_scc0 .LBB86_685
; %bb.681:
	s_cmp_eq_u32 s14, 2
	s_cbranch_scc0 .LBB86_686
; %bb.682:
	s_waitcnt vmcnt(0)
	v_cmp_ge_f64_e64 s[34:35], s[2:3], v[2:3]
	s_mov_b64 s[36:37], 0
	s_branch .LBB86_687
.LBB86_683:
	s_mov_b64 s[36:37], 0
                                        ; implicit-def: $vgpr4
	s_mov_b64 s[0:1], s[24:25]
	s_branch .LBB86_820
.LBB86_684:
	s_mov_b64 s[38:39], -1
                                        ; implicit-def: $sgpr34_sgpr35
	s_mov_b64 s[36:37], 0
	s_branch .LBB86_691
.LBB86_685:
	s_mov_b64 s[38:39], -1
	s_mov_b64 s[36:37], 0
                                        ; implicit-def: $sgpr34_sgpr35
	s_branch .LBB86_688
.LBB86_686:
	s_mov_b64 s[36:37], -1
                                        ; implicit-def: $sgpr34_sgpr35
.LBB86_687:
	s_mov_b64 s[38:39], 0
.LBB86_688:
	s_and_b64 vcc, exec, s[38:39]
	s_cbranch_vccz .LBB86_690
; %bb.689:
	s_waitcnt vmcnt(0)
	v_cmp_lt_f64_e32 vcc, s[2:3], v[2:3]
	s_andn2_b64 s[34:35], s[34:35], exec
	s_and_b64 s[38:39], vcc, exec
	s_or_b64 s[34:35], s[34:35], s[38:39]
.LBB86_690:
	s_mov_b64 s[38:39], 0
.LBB86_691:
	s_and_b64 vcc, exec, s[38:39]
	s_cbranch_vccz .LBB86_702
; %bb.692:
	s_cmp_lg_u32 s14, 0
	s_mov_b64 s[0:1], -1
	s_cselect_b64 s[36:37], -1, 0
	s_andn2_b64 vcc, exec, s[36:37]
	s_cbranch_vccz .LBB86_703
.LBB86_693:
	s_andn2_b64 vcc, exec, s[0:1]
	s_cbranch_vccnz .LBB86_695
.LBB86_694:
	s_waitcnt vmcnt(0)
	v_cmp_le_f64_e32 vcc, s[2:3], v[2:3]
	s_andn2_b64 s[0:1], s[34:35], exec
	s_and_b64 s[34:35], vcc, exec
	s_or_b64 s[34:35], s[0:1], s[34:35]
.LBB86_695:
	v_mul_lo_u32 v0, v4, s12
	v_mov_b32_e32 v1, s9
	s_and_b32 s43, s33, 0xff
	s_cmp_lt_i32 s43, 11
	s_waitcnt vmcnt(0)
	v_ashrrev_i32_e32 v2, 31, v0
	v_add_co_u32_e32 v0, vcc, s8, v0
	v_addc_co_u32_e32 v1, vcc, v1, v2, vcc
	s_cbranch_scc1 .LBB86_704
; %bb.696:
	s_and_b32 s44, 0xffff, s43
	s_cmp_gt_i32 s44, 25
	s_cbranch_scc0 .LBB86_705
; %bb.697:
	s_cmp_gt_i32 s44, 28
	s_cbranch_scc0 .LBB86_706
; %bb.698:
	;; [unrolled: 3-line block ×4, first 2 shown]
	s_mov_b64 s[38:39], 0
	s_mov_b64 s[0:1], -1
	s_cmp_eq_u32 s44, 46
	s_mov_b64 s[36:37], 0
	s_cbranch_scc0 .LBB86_709
; %bb.701:
	v_cndmask_b32_e64 v2, 0, 1.0, s[34:35]
	v_bfe_u32 v3, v2, 16, 1
	s_movk_i32 s0, 0x7fff
	v_add3_u32 v2, v2, v3, s0
	v_lshrrev_b32_e32 v2, 16, v2
	global_store_dword v[0:1], v2, off
	s_mov_b64 s[36:37], -1
	s_mov_b64 s[0:1], 0
	s_branch .LBB86_709
.LBB86_702:
	s_andn2_b64 vcc, exec, s[36:37]
	s_cbranch_vccnz .LBB86_693
.LBB86_703:
	s_waitcnt vmcnt(0)
	v_cmp_gt_f64_e32 vcc, s[2:3], v[2:3]
	s_andn2_b64 s[34:35], s[34:35], exec
	s_and_b64 s[36:37], vcc, exec
	s_or_b64 s[34:35], s[34:35], s[36:37]
	s_cbranch_execz .LBB86_694
	s_branch .LBB86_695
.LBB86_704:
	s_mov_b64 s[38:39], -1
	s_mov_b64 s[36:37], 0
	s_mov_b64 s[0:1], s[24:25]
	s_branch .LBB86_778
.LBB86_705:
	s_mov_b64 s[38:39], -1
	s_mov_b64 s[36:37], 0
	s_mov_b64 s[0:1], s[24:25]
	s_branch .LBB86_736
.LBB86_706:
	s_mov_b64 s[38:39], -1
	s_mov_b64 s[36:37], 0
	s_mov_b64 s[0:1], s[24:25]
	s_branch .LBB86_719
.LBB86_707:
	s_mov_b64 s[38:39], -1
	s_mov_b64 s[36:37], 0
	s_mov_b64 s[0:1], s[24:25]
	s_branch .LBB86_715
.LBB86_708:
	s_mov_b64 s[38:39], -1
	s_mov_b64 s[36:37], 0
	s_mov_b64 s[0:1], s[24:25]
.LBB86_709:
	s_and_b64 vcc, exec, s[38:39]
	s_cbranch_vccz .LBB86_714
; %bb.710:
	s_cmp_eq_u32 s44, 44
	s_mov_b64 s[0:1], -1
	s_cbranch_scc0 .LBB86_714
; %bb.711:
	v_cndmask_b32_e64 v3, 0, 1.0, s[34:35]
	v_lshrrev_b32_e32 v2, 23, v3
	s_movk_i32 s0, 0xff
	v_cmp_ne_u32_e32 vcc, s0, v2
	v_mov_b32_e32 v5, 0xff
	s_and_saveexec_b64 s[36:37], vcc
; %bb.712:
	s_mov_b32 s0, 0x3fffff
	v_and_b32_e32 v5, 0x400000, v3
	v_and_or_b32 v3, v3, s0, v2
	v_cmp_ne_u32_e32 vcc, 0, v5
	v_cmp_ne_u32_e64 s[0:1], 0, v3
	s_and_b64 s[0:1], vcc, s[0:1]
	v_cndmask_b32_e64 v3, 0, 1, s[0:1]
	v_add_u32_e32 v5, v2, v3
; %bb.713:
	s_or_b64 exec, exec, s[36:37]
	s_mov_b64 s[36:37], -1
	s_mov_b64 s[0:1], 0
	global_store_byte v[0:1], v5, off
.LBB86_714:
	s_mov_b64 s[38:39], 0
.LBB86_715:
	s_and_b64 vcc, exec, s[38:39]
	s_cbranch_vccz .LBB86_718
; %bb.716:
	s_cmp_eq_u32 s44, 29
	s_mov_b64 s[0:1], -1
	s_cbranch_scc0 .LBB86_718
; %bb.717:
	s_mov_b32 s0, 0
	v_cndmask_b32_e64 v2, 0, 1, s[34:35]
	v_mov_b32_e32 v3, s0
	global_store_dwordx2 v[0:1], v[2:3], off
	s_mov_b64 s[36:37], -1
	s_mov_b64 s[0:1], 0
.LBB86_718:
	s_mov_b64 s[38:39], 0
.LBB86_719:
	s_and_b64 vcc, exec, s[38:39]
	s_cbranch_vccz .LBB86_735
; %bb.720:
	s_cmp_lt_i32 s44, 27
	s_mov_b64 s[36:37], -1
	s_cbranch_scc1 .LBB86_726
; %bb.721:
	s_cmp_gt_i32 s44, 27
	s_cbranch_scc0 .LBB86_723
; %bb.722:
	v_cndmask_b32_e64 v2, 0, 1, s[34:35]
	s_mov_b64 s[36:37], 0
	global_store_dword v[0:1], v2, off
.LBB86_723:
	s_andn2_b64 vcc, exec, s[36:37]
	s_cbranch_vccnz .LBB86_725
; %bb.724:
	v_cndmask_b32_e64 v2, 0, 1, s[34:35]
	global_store_short v[0:1], v2, off
.LBB86_725:
	s_mov_b64 s[36:37], 0
.LBB86_726:
	s_andn2_b64 vcc, exec, s[36:37]
	s_cbranch_vccnz .LBB86_734
; %bb.727:
	v_cndmask_b32_e64 v3, 0, 1.0, s[34:35]
	s_mov_b32 s36, 0x43800000
	v_cmp_gt_u32_e32 vcc, s36, v3
	v_mov_b32_e32 v5, 0x80
	s_and_saveexec_b64 s[36:37], vcc
	s_cbranch_execz .LBB86_733
; %bb.728:
	s_mov_b32 s38, 0x3bffffff
	v_cmp_lt_u32_e32 vcc, s38, v3
	s_mov_b64 s[38:39], 0
                                        ; implicit-def: $vgpr2
	s_and_saveexec_b64 s[40:41], vcc
	s_xor_b64 s[40:41], exec, s[40:41]
	s_cbranch_execz .LBB86_834
; %bb.729:
	v_bfe_u32 v2, v3, 20, 1
	s_mov_b32 s45, 0x487ffff
	v_add3_u32 v2, v3, v2, s45
	s_mov_b64 s[38:39], exec
	v_lshrrev_b32_e32 v2, 20, v2
                                        ; implicit-def: $vgpr3
	s_andn2_saveexec_b64 s[40:41], s[40:41]
	s_cbranch_execnz .LBB86_835
.LBB86_730:
	s_or_b64 exec, exec, s[40:41]
	v_mov_b32_e32 v5, 0
	s_and_saveexec_b64 s[40:41], s[38:39]
.LBB86_731:
	v_mov_b32_e32 v5, v2
.LBB86_732:
	s_or_b64 exec, exec, s[40:41]
.LBB86_733:
	s_or_b64 exec, exec, s[36:37]
	global_store_byte v[0:1], v5, off
.LBB86_734:
	s_mov_b64 s[36:37], -1
.LBB86_735:
	s_mov_b64 s[38:39], 0
.LBB86_736:
	s_and_b64 vcc, exec, s[38:39]
	s_cbranch_vccz .LBB86_777
; %bb.737:
	s_cmp_gt_i32 s44, 22
	s_mov_b64 s[38:39], -1
	s_cbranch_scc0 .LBB86_769
; %bb.738:
	s_cmp_lt_i32 s44, 24
	s_mov_b64 s[36:37], -1
	s_cbranch_scc1 .LBB86_758
; %bb.739:
	s_cmp_gt_i32 s44, 24
	s_cbranch_scc0 .LBB86_747
; %bb.740:
	v_cndmask_b32_e64 v3, 0, 1.0, s[34:35]
	s_mov_b32 s36, 0x47800000
	v_cmp_gt_u32_e32 vcc, s36, v3
	v_mov_b32_e32 v5, 0x80
	s_and_saveexec_b64 s[36:37], vcc
	s_cbranch_execz .LBB86_746
; %bb.741:
	s_mov_b32 s38, 0x37ffffff
	v_cmp_lt_u32_e32 vcc, s38, v3
	s_mov_b64 s[38:39], 0
                                        ; implicit-def: $vgpr2
	s_and_saveexec_b64 s[40:41], vcc
	s_xor_b64 s[40:41], exec, s[40:41]
	s_cbranch_execz .LBB86_837
; %bb.742:
	v_bfe_u32 v2, v3, 21, 1
	s_mov_b32 s45, 0x88fffff
	v_add3_u32 v2, v3, v2, s45
	s_mov_b64 s[38:39], exec
	v_lshrrev_b32_e32 v2, 21, v2
                                        ; implicit-def: $vgpr3
	s_andn2_saveexec_b64 s[40:41], s[40:41]
	s_cbranch_execnz .LBB86_838
.LBB86_743:
	s_or_b64 exec, exec, s[40:41]
	v_mov_b32_e32 v5, 0
	s_and_saveexec_b64 s[40:41], s[38:39]
.LBB86_744:
	v_mov_b32_e32 v5, v2
.LBB86_745:
	s_or_b64 exec, exec, s[40:41]
.LBB86_746:
	s_or_b64 exec, exec, s[36:37]
	s_mov_b64 s[36:37], 0
	global_store_byte v[0:1], v5, off
.LBB86_747:
	s_and_b64 vcc, exec, s[36:37]
	s_cbranch_vccz .LBB86_757
; %bb.748:
	v_cndmask_b32_e64 v2, 0, 1.0, s[34:35]
	s_mov_b32 s36, 0x43f00000
	v_cmp_gt_u32_e32 vcc, s36, v2
                                        ; implicit-def: $vgpr3
	s_and_saveexec_b64 s[36:37], vcc
	s_xor_b64 s[36:37], exec, s[36:37]
	s_cbranch_execz .LBB86_754
; %bb.749:
	s_mov_b32 s38, 0x3c7fffff
	v_cmp_lt_u32_e32 vcc, s38, v2
                                        ; implicit-def: $vgpr3
	s_and_saveexec_b64 s[38:39], vcc
	s_xor_b64 s[38:39], exec, s[38:39]
; %bb.750:
	v_bfe_u32 v3, v2, 20, 1
	s_mov_b32 s40, 0x407ffff
	v_add3_u32 v2, v2, v3, s40
	v_lshrrev_b32_e32 v3, 20, v2
	v_and_b32_e32 v2, 0xff00000, v2
	s_mov_b32 s40, 0x7f00000
	v_mov_b32_e32 v5, 0x7e
	v_cmp_ne_u32_e32 vcc, s40, v2
	v_cndmask_b32_e32 v3, v5, v3, vcc
                                        ; implicit-def: $vgpr2
; %bb.751:
	s_andn2_saveexec_b64 s[38:39], s[38:39]
; %bb.752:
	v_add_f32_e32 v3, 0x46800000, v2
; %bb.753:
	s_or_b64 exec, exec, s[38:39]
                                        ; implicit-def: $vgpr2
.LBB86_754:
	s_andn2_saveexec_b64 s[36:37], s[36:37]
; %bb.755:
	s_mov_b32 s38, 0x7f800000
	v_mov_b32_e32 v3, 0x7e
	v_mov_b32_e32 v5, 0x7f
	v_cmp_lt_u32_e32 vcc, s38, v2
	v_cndmask_b32_e32 v3, v3, v5, vcc
; %bb.756:
	s_or_b64 exec, exec, s[36:37]
	global_store_byte v[0:1], v3, off
.LBB86_757:
	s_mov_b64 s[36:37], 0
.LBB86_758:
	s_andn2_b64 vcc, exec, s[36:37]
	s_cbranch_vccnz .LBB86_768
; %bb.759:
	v_cndmask_b32_e64 v2, 0, 1.0, s[34:35]
	s_mov_b32 s36, 0x47800000
	v_cmp_gt_u32_e32 vcc, s36, v2
                                        ; implicit-def: $vgpr3
	s_and_saveexec_b64 s[36:37], vcc
	s_xor_b64 s[36:37], exec, s[36:37]
	s_cbranch_execz .LBB86_765
; %bb.760:
	s_mov_b32 s38, 0x387fffff
	v_cmp_lt_u32_e32 vcc, s38, v2
                                        ; implicit-def: $vgpr3
	s_and_saveexec_b64 s[38:39], vcc
	s_xor_b64 s[38:39], exec, s[38:39]
; %bb.761:
	v_bfe_u32 v3, v2, 21, 1
	s_mov_b32 s40, 0x80fffff
	v_add3_u32 v2, v2, v3, s40
	v_lshrrev_b32_e32 v3, 21, v2
                                        ; implicit-def: $vgpr2
; %bb.762:
	s_andn2_saveexec_b64 s[38:39], s[38:39]
; %bb.763:
	v_add_f32_e32 v3, 0x43000000, v2
; %bb.764:
	s_or_b64 exec, exec, s[38:39]
                                        ; implicit-def: $vgpr2
.LBB86_765:
	s_andn2_saveexec_b64 s[36:37], s[36:37]
; %bb.766:
	s_mov_b32 s38, 0x7f800000
	v_mov_b32_e32 v3, 0x7c
	v_mov_b32_e32 v5, 0x7f
	v_cmp_lt_u32_e32 vcc, s38, v2
	v_cndmask_b32_e32 v3, v3, v5, vcc
; %bb.767:
	s_or_b64 exec, exec, s[36:37]
	global_store_byte v[0:1], v3, off
.LBB86_768:
	s_mov_b64 s[38:39], 0
	s_mov_b64 s[36:37], -1
.LBB86_769:
	s_andn2_b64 vcc, exec, s[38:39]
	s_cbranch_vccnz .LBB86_777
; %bb.770:
	s_cmp_gt_i32 s44, 14
	s_mov_b64 s[38:39], -1
	s_cbranch_scc0 .LBB86_774
; %bb.771:
	s_cmp_eq_u32 s44, 15
	s_mov_b64 s[0:1], -1
	s_cbranch_scc0 .LBB86_773
; %bb.772:
	v_cndmask_b32_e64 v2, 0, 1.0, s[34:35]
	v_bfe_u32 v3, v2, 16, 1
	s_movk_i32 s0, 0x7fff
	v_add3_u32 v2, v2, v3, s0
	global_store_short_d16_hi v[0:1], v2, off
	s_mov_b64 s[36:37], -1
	s_mov_b64 s[0:1], 0
.LBB86_773:
	s_mov_b64 s[38:39], 0
.LBB86_774:
	s_and_b64 vcc, exec, s[38:39]
	s_cbranch_vccz .LBB86_777
; %bb.775:
	s_cmp_eq_u32 s44, 11
	s_mov_b64 s[0:1], -1
	s_cbranch_scc0 .LBB86_777
; %bb.776:
	v_cndmask_b32_e64 v2, 0, 1, s[34:35]
	s_mov_b64 s[36:37], -1
	s_mov_b64 s[0:1], 0
	global_store_byte v[0:1], v2, off
.LBB86_777:
	s_mov_b64 s[38:39], 0
.LBB86_778:
	s_and_b64 vcc, exec, s[38:39]
	s_cbranch_vccz .LBB86_817
; %bb.779:
	s_and_b32 s38, 0xffff, s43
	s_cmp_lt_i32 s38, 5
	s_mov_b64 s[36:37], -1
	s_cbranch_scc1 .LBB86_800
; %bb.780:
	s_cmp_lt_i32 s38, 8
	s_cbranch_scc1 .LBB86_790
; %bb.781:
	s_cmp_lt_i32 s38, 9
	s_cbranch_scc1 .LBB86_787
; %bb.782:
	s_cmp_gt_i32 s38, 9
	s_cbranch_scc0 .LBB86_784
; %bb.783:
	v_cndmask_b32_e64 v2, 0, 1, s[34:35]
	v_cvt_f64_u32_e32 v[5:6], v2
	v_mov_b32_e32 v7, 0
	v_mov_b32_e32 v8, v7
	s_mov_b64 s[36:37], 0
	global_store_dwordx4 v[0:1], v[5:8], off
.LBB86_784:
	s_andn2_b64 vcc, exec, s[36:37]
	s_cbranch_vccnz .LBB86_786
; %bb.785:
	v_cndmask_b32_e64 v2, 0, 1.0, s[34:35]
	v_mov_b32_e32 v3, 0
	global_store_dwordx2 v[0:1], v[2:3], off
.LBB86_786:
	s_mov_b64 s[36:37], 0
.LBB86_787:
	s_andn2_b64 vcc, exec, s[36:37]
	s_cbranch_vccnz .LBB86_789
; %bb.788:
	v_cndmask_b32_e64 v2, 0, 1.0, s[34:35]
	v_cvt_f16_f32_e32 v2, v2
	global_store_dword v[0:1], v2, off
.LBB86_789:
	s_mov_b64 s[36:37], 0
.LBB86_790:
	s_andn2_b64 vcc, exec, s[36:37]
	s_cbranch_vccnz .LBB86_799
; %bb.791:
	s_cmp_lt_i32 s38, 6
	s_mov_b64 s[36:37], -1
	s_cbranch_scc1 .LBB86_797
; %bb.792:
	s_cmp_gt_i32 s38, 6
	s_cbranch_scc0 .LBB86_794
; %bb.793:
	v_cndmask_b32_e64 v2, 0, 1, s[34:35]
	v_cvt_f64_u32_e32 v[2:3], v2
	s_mov_b64 s[36:37], 0
	global_store_dwordx2 v[0:1], v[2:3], off
.LBB86_794:
	s_andn2_b64 vcc, exec, s[36:37]
	s_cbranch_vccnz .LBB86_796
; %bb.795:
	v_cndmask_b32_e64 v2, 0, 1.0, s[34:35]
	global_store_dword v[0:1], v2, off
.LBB86_796:
	s_mov_b64 s[36:37], 0
.LBB86_797:
	s_andn2_b64 vcc, exec, s[36:37]
	s_cbranch_vccnz .LBB86_799
; %bb.798:
	v_cndmask_b32_e64 v2, 0, 1.0, s[34:35]
	v_cvt_f16_f32_e32 v2, v2
	global_store_short v[0:1], v2, off
.LBB86_799:
	s_mov_b64 s[36:37], 0
.LBB86_800:
	s_andn2_b64 vcc, exec, s[36:37]
	s_cbranch_vccnz .LBB86_816
; %bb.801:
	s_cmp_lt_i32 s38, 2
	s_mov_b64 s[36:37], -1
	s_cbranch_scc1 .LBB86_811
; %bb.802:
	s_cmp_lt_i32 s38, 3
	s_cbranch_scc1 .LBB86_808
; %bb.803:
	s_cmp_gt_i32 s38, 3
	s_cbranch_scc0 .LBB86_805
; %bb.804:
	s_mov_b32 s36, 0
	v_cndmask_b32_e64 v2, 0, 1, s[34:35]
	v_mov_b32_e32 v3, s36
	s_mov_b64 s[36:37], 0
	global_store_dwordx2 v[0:1], v[2:3], off
.LBB86_805:
	s_andn2_b64 vcc, exec, s[36:37]
	s_cbranch_vccnz .LBB86_807
; %bb.806:
	v_cndmask_b32_e64 v2, 0, 1, s[34:35]
	global_store_dword v[0:1], v2, off
.LBB86_807:
	s_mov_b64 s[36:37], 0
.LBB86_808:
	s_andn2_b64 vcc, exec, s[36:37]
	s_cbranch_vccnz .LBB86_810
; %bb.809:
	v_cndmask_b32_e64 v2, 0, 1, s[34:35]
	global_store_short v[0:1], v2, off
.LBB86_810:
	s_mov_b64 s[36:37], 0
.LBB86_811:
	s_andn2_b64 vcc, exec, s[36:37]
	s_cbranch_vccnz .LBB86_816
; %bb.812:
	s_mov_b64 s[36:37], -1
	s_cmp_gt_i32 s38, 0
	v_cndmask_b32_e64 v2, 0, 1, s[34:35]
	s_cbranch_scc0 .LBB86_814
; %bb.813:
	s_mov_b64 s[36:37], 0
	global_store_byte v[0:1], v2, off
.LBB86_814:
	s_andn2_b64 vcc, exec, s[36:37]
	s_cbranch_vccnz .LBB86_816
; %bb.815:
	global_store_byte v[0:1], v2, off
.LBB86_816:
	s_mov_b64 s[36:37], -1
.LBB86_817:
	s_andn2_b64 vcc, exec, s[36:37]
	s_cbranch_vccnz .LBB86_819
; %bb.818:
	v_add_u32_e32 v4, 0x80, v4
	s_mov_b64 s[36:37], -1
	s_branch .LBB86_820
.LBB86_819:
	s_mov_b64 s[36:37], 0
                                        ; implicit-def: $vgpr4
.LBB86_820:
	s_andn2_b64 s[34:35], s[24:25], exec
	s_and_b64 s[0:1], s[0:1], exec
	s_or_b64 s[34:35], s[34:35], s[0:1]
	s_andn2_b64 s[0:1], s[22:23], exec
	s_and_b64 s[30:31], s[30:31], exec
	s_or_b64 s[0:1], s[0:1], s[30:31]
	s_orn2_b64 s[38:39], s[36:37], exec
.LBB86_821:
	s_or_b64 exec, exec, s[28:29]
	s_mov_b64 s[36:37], 0
	s_mov_b64 s[30:31], 0
	;; [unrolled: 1-line block ×3, first 2 shown]
                                        ; implicit-def: $vgpr0_vgpr1
                                        ; implicit-def: $vgpr2_vgpr3
	s_and_saveexec_b64 s[28:29], s[38:39]
	s_cbranch_execz .LBB86_906
; %bb.822:
	v_cmp_gt_i32_e32 vcc, s42, v4
	s_mov_b64 s[38:39], 0
	s_mov_b64 s[42:43], s[0:1]
	;; [unrolled: 1-line block ×3, first 2 shown]
                                        ; implicit-def: $vgpr0_vgpr1
                                        ; implicit-def: $vgpr2_vgpr3
	s_and_saveexec_b64 s[30:31], vcc
	s_cbranch_execz .LBB86_905
; %bb.823:
	v_mul_lo_u32 v0, v4, s13
	v_mov_b32_e32 v1, s11
	s_and_b32 s46, 0xffff, s15
	s_cmp_lt_i32 s46, 11
	s_waitcnt vmcnt(0)
	v_ashrrev_i32_e32 v2, 31, v0
	v_add_co_u32_e32 v0, vcc, s10, v0
	v_addc_co_u32_e32 v1, vcc, v1, v2, vcc
	s_cbranch_scc1 .LBB86_830
; %bb.824:
	s_cmp_gt_i32 s46, 25
	s_cbranch_scc0 .LBB86_831
; %bb.825:
	s_cmp_gt_i32 s46, 28
	s_cbranch_scc0 .LBB86_832
; %bb.826:
	s_cmp_gt_i32 s46, 43
	s_cbranch_scc0 .LBB86_833
; %bb.827:
	s_cmp_gt_i32 s46, 45
	s_cbranch_scc0 .LBB86_836
; %bb.828:
	s_cmp_eq_u32 s46, 46
	s_mov_b64 s[42:43], 0
	s_cbranch_scc0 .LBB86_839
; %bb.829:
	global_load_dword v2, v[0:1], off
	s_mov_b64 s[40:41], -1
	s_waitcnt vmcnt(0)
	v_lshlrev_b32_e32 v2, 16, v2
	v_cvt_f64_f32_e32 v[2:3], v2
	s_branch .LBB86_841
.LBB86_830:
	s_mov_b64 s[42:43], -1
                                        ; implicit-def: $vgpr2_vgpr3
	s_mov_b64 s[36:37], s[0:1]
	s_branch .LBB86_904
.LBB86_831:
	s_mov_b64 s[42:43], -1
	s_mov_b64 s[36:37], s[0:1]
                                        ; implicit-def: $vgpr2_vgpr3
	s_branch .LBB86_872
.LBB86_832:
	s_mov_b64 s[42:43], -1
	s_mov_b64 s[36:37], s[0:1]
                                        ; implicit-def: $vgpr2_vgpr3
	s_branch .LBB86_851
.LBB86_833:
	s_mov_b64 s[42:43], -1
	s_mov_b64 s[36:37], s[0:1]
                                        ; implicit-def: $vgpr2_vgpr3
	s_branch .LBB86_846
.LBB86_834:
	s_andn2_saveexec_b64 s[40:41], s[40:41]
	s_cbranch_execz .LBB86_730
.LBB86_835:
	v_add_f32_e32 v2, 0x46000000, v3
	v_and_b32_e32 v2, 0xff, v2
	v_cmp_ne_u32_e32 vcc, 0, v2
	s_andn2_b64 s[38:39], s[38:39], exec
	s_and_b64 s[46:47], vcc, exec
	s_or_b64 s[38:39], s[38:39], s[46:47]
	s_or_b64 exec, exec, s[40:41]
	v_mov_b32_e32 v5, 0
	s_and_saveexec_b64 s[40:41], s[38:39]
	s_cbranch_execnz .LBB86_731
	s_branch .LBB86_732
.LBB86_836:
	s_mov_b64 s[42:43], -1
	s_mov_b64 s[36:37], s[0:1]
	s_branch .LBB86_840
.LBB86_837:
	s_andn2_saveexec_b64 s[40:41], s[40:41]
	s_cbranch_execz .LBB86_743
.LBB86_838:
	v_add_f32_e32 v2, 0x42800000, v3
	v_and_b32_e32 v2, 0xff, v2
	v_cmp_ne_u32_e32 vcc, 0, v2
	s_andn2_b64 s[38:39], s[38:39], exec
	s_and_b64 s[46:47], vcc, exec
	s_or_b64 s[38:39], s[38:39], s[46:47]
	s_or_b64 exec, exec, s[40:41]
	v_mov_b32_e32 v5, 0
	s_and_saveexec_b64 s[40:41], s[38:39]
	s_cbranch_execnz .LBB86_744
	s_branch .LBB86_745
.LBB86_839:
	s_mov_b64 s[36:37], -1
.LBB86_840:
                                        ; implicit-def: $vgpr2_vgpr3
.LBB86_841:
	s_and_b64 vcc, exec, s[42:43]
	s_cbranch_vccz .LBB86_845
; %bb.842:
	s_cmp_eq_u32 s46, 44
	s_cbranch_scc0 .LBB86_844
; %bb.843:
	global_load_ubyte v5, v[0:1], off
	s_movk_i32 s40, 0xff
	v_bfrev_b32_e32 v6, 4
	v_mov_b32_e32 v7, 0x7ff80000
	v_bfrev_b32_e32 v8, 28
	s_mov_b64 s[36:37], 0
	s_waitcnt vmcnt(0)
	v_lshlrev_b32_e32 v2, 23, v5
	v_cvt_f64_f32_e32 v[2:3], v2
	v_cmp_ne_u32_e32 vcc, s40, v5
	s_mov_b64 s[40:41], -1
	v_cndmask_b32_e32 v2, v6, v2, vcc
	v_cndmask_b32_e32 v3, v7, v3, vcc
	v_cmp_ne_u32_e32 vcc, 0, v5
	v_cndmask_b32_e32 v3, v8, v3, vcc
	v_cndmask_b32_e32 v2, 0, v2, vcc
	s_branch .LBB86_845
.LBB86_844:
	s_mov_b64 s[36:37], -1
                                        ; implicit-def: $vgpr2_vgpr3
.LBB86_845:
	s_mov_b64 s[42:43], 0
.LBB86_846:
	s_and_b64 vcc, exec, s[42:43]
	s_cbranch_vccz .LBB86_850
; %bb.847:
	s_cmp_eq_u32 s46, 29
	s_cbranch_scc0 .LBB86_849
; %bb.848:
	global_load_dwordx2 v[2:3], v[0:1], off
	s_mov_b64 s[36:37], 0
	s_mov_b64 s[40:41], -1
	s_mov_b64 s[42:43], 0
	s_waitcnt vmcnt(0)
	v_cvt_f64_u32_e32 v[5:6], v3
	v_cvt_f64_u32_e32 v[2:3], v2
	v_ldexp_f64 v[5:6], v[5:6], 32
	v_add_f64 v[2:3], v[5:6], v[2:3]
	s_branch .LBB86_851
.LBB86_849:
	s_mov_b64 s[36:37], -1
                                        ; implicit-def: $vgpr2_vgpr3
.LBB86_850:
	s_mov_b64 s[42:43], 0
.LBB86_851:
	s_and_b64 vcc, exec, s[42:43]
	s_cbranch_vccz .LBB86_871
; %bb.852:
	s_cmp_lt_i32 s46, 27
	s_cbranch_scc1 .LBB86_855
; %bb.853:
	s_cmp_gt_i32 s46, 27
	s_cbranch_scc0 .LBB86_856
; %bb.854:
	global_load_dword v2, v[0:1], off
	s_mov_b64 s[40:41], 0
	s_waitcnt vmcnt(0)
	v_cvt_f64_u32_e32 v[2:3], v2
	s_branch .LBB86_857
.LBB86_855:
	s_mov_b64 s[40:41], -1
                                        ; implicit-def: $vgpr2_vgpr3
	s_branch .LBB86_860
.LBB86_856:
	s_mov_b64 s[40:41], -1
                                        ; implicit-def: $vgpr2_vgpr3
.LBB86_857:
	s_andn2_b64 vcc, exec, s[40:41]
	s_cbranch_vccnz .LBB86_859
; %bb.858:
	global_load_ushort v2, v[0:1], off
	s_waitcnt vmcnt(0)
	v_cvt_f64_u32_e32 v[2:3], v2
.LBB86_859:
	s_mov_b64 s[40:41], 0
.LBB86_860:
	s_andn2_b64 vcc, exec, s[40:41]
	s_cbranch_vccnz .LBB86_870
; %bb.861:
	global_load_ubyte v5, v[0:1], off
	s_movk_i32 s40, 0x7f
	s_waitcnt vmcnt(0)
	v_cmp_lt_i16_e32 vcc, s40, v5
	s_mov_b64 s[40:41], 0
	s_and_saveexec_b64 s[42:43], vcc
	s_xor_b64 s[42:43], exec, s[42:43]
	s_cbranch_execz .LBB86_865
; %bb.862:
	s_movk_i32 s40, 0x80
	v_cmp_eq_u16_e32 vcc, s40, v5
	s_mov_b64 s[40:41], -1
	s_and_saveexec_b64 s[44:45], vcc
; %bb.863:
	s_xor_b64 s[40:41], exec, -1
; %bb.864:
	s_or_b64 exec, exec, s[44:45]
	s_and_b64 s[40:41], s[40:41], exec
.LBB86_865:
	s_or_saveexec_b64 s[42:43], s[42:43]
	v_bfrev_b32_e32 v2, 4
	v_mov_b32_e32 v3, 0x7ff80000
	s_xor_b64 exec, exec, s[42:43]
; %bb.866:
	v_cmp_ne_u16_e32 vcc, 0, v5
	v_mov_b32_e32 v2, 0
	s_andn2_b64 s[40:41], s[40:41], exec
	s_and_b64 s[44:45], vcc, exec
	v_mov_b32_e32 v3, 0
	s_or_b64 s[40:41], s[40:41], s[44:45]
; %bb.867:
	s_or_b64 exec, exec, s[42:43]
	s_and_saveexec_b64 s[42:43], s[40:41]
	s_cbranch_execz .LBB86_869
; %bb.868:
	v_and_b32_e32 v3, 0xffff, v5
	v_lshlrev_b32_e32 v2, 24, v5
	v_and_b32_e32 v5, 7, v3
	v_ffbh_u32_e32 v7, v5
	v_min_u32_e32 v7, 32, v7
	v_subrev_u32_e32 v8, 28, v7
	v_bfe_u32 v6, v3, 3, 4
	v_lshlrev_b32_e32 v3, v8, v3
	v_sub_u32_e32 v7, 29, v7
	v_and_b32_e32 v3, 7, v3
	v_cmp_eq_u32_e32 vcc, 0, v6
	v_cndmask_b32_e32 v6, v6, v7, vcc
	v_cndmask_b32_e32 v3, v5, v3, vcc
	v_mov_b32_e32 v5, 0x3b800000
	v_lshlrev_b32_e32 v3, 20, v3
	v_and_b32_e32 v2, 0x80000000, v2
	v_lshl_add_u32 v5, v6, 23, v5
	v_or3_b32 v2, v2, v5, v3
	v_cvt_f64_f32_e32 v[2:3], v2
.LBB86_869:
	s_or_b64 exec, exec, s[42:43]
.LBB86_870:
	s_mov_b64 s[40:41], -1
.LBB86_871:
	s_mov_b64 s[42:43], 0
.LBB86_872:
	s_and_b64 vcc, exec, s[42:43]
	s_cbranch_vccz .LBB86_903
; %bb.873:
	s_cmp_gt_i32 s46, 22
	s_cbranch_scc0 .LBB86_885
; %bb.874:
	s_cmp_lt_i32 s46, 24
	s_cbranch_scc1 .LBB86_886
; %bb.875:
	s_cmp_gt_i32 s46, 24
	s_cbranch_scc0 .LBB86_887
; %bb.876:
	global_load_ubyte v5, v[0:1], off
	s_movk_i32 s38, 0x7f
	s_waitcnt vmcnt(0)
	v_cmp_lt_i16_e32 vcc, s38, v5
	s_mov_b64 s[38:39], 0
	s_and_saveexec_b64 s[40:41], vcc
	s_xor_b64 s[40:41], exec, s[40:41]
	s_cbranch_execz .LBB86_880
; %bb.877:
	s_movk_i32 s38, 0x80
	v_cmp_eq_u16_e32 vcc, s38, v5
	s_mov_b64 s[38:39], -1
	s_and_saveexec_b64 s[42:43], vcc
; %bb.878:
	s_xor_b64 s[38:39], exec, -1
; %bb.879:
	s_or_b64 exec, exec, s[42:43]
	s_and_b64 s[38:39], s[38:39], exec
.LBB86_880:
	s_or_saveexec_b64 s[40:41], s[40:41]
	v_bfrev_b32_e32 v2, 4
	v_mov_b32_e32 v3, 0x7ff80000
	s_xor_b64 exec, exec, s[40:41]
; %bb.881:
	v_cmp_ne_u16_e32 vcc, 0, v5
	v_mov_b32_e32 v2, 0
	s_andn2_b64 s[38:39], s[38:39], exec
	s_and_b64 s[42:43], vcc, exec
	v_mov_b32_e32 v3, 0
	s_or_b64 s[38:39], s[38:39], s[42:43]
; %bb.882:
	s_or_b64 exec, exec, s[40:41]
	s_and_saveexec_b64 s[40:41], s[38:39]
	s_cbranch_execz .LBB86_884
; %bb.883:
	v_and_b32_e32 v3, 0xffff, v5
	v_lshlrev_b32_e32 v2, 24, v5
	v_and_b32_e32 v5, 3, v3
	v_ffbh_u32_e32 v7, v5
	v_min_u32_e32 v7, 32, v7
	v_subrev_u32_e32 v8, 29, v7
	v_bfe_u32 v6, v3, 2, 5
	v_lshlrev_b32_e32 v3, v8, v3
	v_sub_u32_e32 v7, 30, v7
	v_and_b32_e32 v3, 3, v3
	v_cmp_eq_u32_e32 vcc, 0, v6
	v_cndmask_b32_e32 v6, v6, v7, vcc
	v_cndmask_b32_e32 v3, v5, v3, vcc
	v_mov_b32_e32 v5, 0x37800000
	v_lshlrev_b32_e32 v3, 21, v3
	v_and_b32_e32 v2, 0x80000000, v2
	v_lshl_add_u32 v5, v6, 23, v5
	v_or3_b32 v2, v2, v5, v3
	v_cvt_f64_f32_e32 v[2:3], v2
.LBB86_884:
	s_or_b64 exec, exec, s[40:41]
	s_mov_b64 s[38:39], 0
	s_branch .LBB86_888
.LBB86_885:
	s_mov_b64 s[38:39], -1
                                        ; implicit-def: $vgpr2_vgpr3
	s_branch .LBB86_894
.LBB86_886:
	s_mov_b64 s[38:39], -1
                                        ; implicit-def: $vgpr2_vgpr3
	s_branch .LBB86_891
.LBB86_887:
	s_mov_b64 s[38:39], -1
                                        ; implicit-def: $vgpr2_vgpr3
.LBB86_888:
	s_and_b64 vcc, exec, s[38:39]
	s_cbranch_vccz .LBB86_890
; %bb.889:
	global_load_ubyte v2, v[0:1], off
	s_mov_b32 s38, 0x7f800000
	s_waitcnt vmcnt(0)
	v_lshlrev_b32_e32 v2, 24, v2
	v_and_b32_e32 v3, 0x7f000000, v2
	v_ffbh_u32_e32 v5, v3
	v_min_u32_e32 v5, 32, v5
	v_sub_u32_e64 v5, v5, 4 clamp
	v_lshlrev_b32_e32 v7, v5, v3
	v_lshlrev_b32_e32 v5, 23, v5
	v_lshrrev_b32_e32 v7, 4, v7
	v_add_u32_e32 v6, 0x1000000, v3
	v_sub_u32_e32 v5, v7, v5
	v_ashrrev_i32_e32 v6, 8, v6
	v_add_u32_e32 v5, 0x3c000000, v5
	v_and_or_b32 v5, v6, s38, v5
	v_cmp_ne_u32_e32 vcc, 0, v3
	v_cndmask_b32_e32 v3, 0, v5, vcc
	s_brev_b32 s38, 1
	v_and_or_b32 v2, v2, s38, v3
	v_cvt_f64_f32_e32 v[2:3], v2
.LBB86_890:
	s_mov_b64 s[38:39], 0
.LBB86_891:
	s_andn2_b64 vcc, exec, s[38:39]
	s_cbranch_vccnz .LBB86_893
; %bb.892:
	global_load_ubyte v2, v[0:1], off
	s_movk_i32 s38, 0x7f00
	s_brev_b32 s39, 16
	s_waitcnt vmcnt(0)
	v_lshlrev_b16_e32 v3, 8, v2
	v_lshlrev_b32_e32 v2, 25, v2
	v_lshrrev_b32_e32 v5, 4, v2
	v_and_or_b32 v6, v3, s38, 0.5
	v_or_b32_e32 v5, 0x70000000, v5
	v_add_f32_e32 v6, -0.5, v6
	v_mul_f32_e32 v5, 0x7800000, v5
	v_cmp_gt_u32_e32 vcc, s39, v2
	v_bfe_i32 v3, v3, 0, 16
	v_cndmask_b32_e32 v2, v5, v6, vcc
	s_brev_b32 s38, 1
	v_and_or_b32 v2, v3, s38, v2
	v_cvt_f64_f32_e32 v[2:3], v2
.LBB86_893:
	s_mov_b64 s[38:39], 0
	s_mov_b64 s[40:41], -1
.LBB86_894:
	s_andn2_b64 vcc, exec, s[38:39]
	s_mov_b64 s[38:39], 0
	s_cbranch_vccnz .LBB86_903
; %bb.895:
	s_cmp_gt_i32 s46, 14
	s_cbranch_scc0 .LBB86_898
; %bb.896:
	s_cmp_eq_u32 s46, 15
	s_cbranch_scc0 .LBB86_899
; %bb.897:
	global_load_ushort v2, v[0:1], off
	s_mov_b64 s[36:37], 0
	s_mov_b64 s[40:41], -1
	s_waitcnt vmcnt(0)
	v_lshlrev_b32_e32 v2, 16, v2
	v_cvt_f64_f32_e32 v[2:3], v2
	s_branch .LBB86_900
.LBB86_898:
	s_mov_b64 s[42:43], -1
                                        ; implicit-def: $vgpr2_vgpr3
	s_branch .LBB86_901
.LBB86_899:
	s_mov_b64 s[36:37], -1
                                        ; implicit-def: $vgpr2_vgpr3
.LBB86_900:
	s_mov_b64 s[42:43], 0
.LBB86_901:
	s_and_b64 vcc, exec, s[42:43]
	s_cbranch_vccz .LBB86_903
; %bb.902:
	s_cmp_lg_u32 s46, 11
	s_cselect_b64 s[42:43], -1, 0
	s_andn2_b64 s[36:37], s[36:37], exec
	s_and_b64 s[42:43], s[42:43], exec
	s_mov_b64 s[38:39], -1
	s_or_b64 s[36:37], s[36:37], s[42:43]
.LBB86_903:
	s_mov_b64 s[42:43], 0
.LBB86_904:
	s_and_b64 s[44:45], s[42:43], exec
	s_andn2_b64 s[42:43], s[0:1], exec
	s_and_b64 s[36:37], s[36:37], exec
	s_and_b64 s[40:41], s[40:41], exec
	;; [unrolled: 1-line block ×3, first 2 shown]
	s_or_b64 s[42:43], s[42:43], s[36:37]
.LBB86_905:
	s_or_b64 exec, exec, s[30:31]
	s_and_b64 s[36:37], s[38:39], exec
	s_andn2_b64 s[0:1], s[0:1], exec
	s_and_b64 s[38:39], s[42:43], exec
	s_and_b64 s[40:41], s[40:41], exec
	;; [unrolled: 1-line block ×3, first 2 shown]
	s_or_b64 s[0:1], s[0:1], s[38:39]
.LBB86_906:
	s_or_b64 exec, exec, s[28:29]
	s_andn2_b64 s[24:25], s[24:25], exec
	s_and_b64 s[28:29], s[34:35], exec
	s_andn2_b64 s[22:23], s[22:23], exec
	s_and_b64 s[0:1], s[0:1], exec
	s_or_b64 s[24:25], s[24:25], s[28:29]
	s_and_b64 s[34:35], s[40:41], exec
	s_and_b64 s[30:31], s[30:31], exec
	;; [unrolled: 1-line block ×3, first 2 shown]
	s_or_b64 s[22:23], s[22:23], s[0:1]
.LBB86_907:
	s_or_b64 exec, exec, s[26:27]
	s_andn2_b64 s[0:1], s[16:17], exec
	s_and_b64 s[16:17], s[24:25], exec
	s_andn2_b64 s[18:19], s[18:19], exec
	s_and_b64 s[22:23], s[22:23], exec
	s_or_b64 s[16:17], s[0:1], s[16:17]
	s_and_b64 s[0:1], s[34:35], exec
	s_and_b64 s[26:27], s[30:31], exec
	;; [unrolled: 1-line block ×3, first 2 shown]
	s_or_b64 s[18:19], s[18:19], s[22:23]
	s_or_b64 exec, exec, s[20:21]
	s_mov_b64 s[20:21], 0
	s_and_saveexec_b64 s[22:23], s[18:19]
	s_cbranch_execz .LBB86_278
.LBB86_908:
	s_mov_b64 s[20:21], exec
	s_andn2_b64 s[24:25], s[24:25], exec
	s_trap 2
	s_or_b64 exec, exec, s[22:23]
	s_and_saveexec_b64 s[18:19], s[24:25]
	s_xor_b64 s[18:19], exec, s[18:19]
	s_cbranch_execnz .LBB86_279
.LBB86_909:
	s_or_b64 exec, exec, s[18:19]
	s_and_saveexec_b64 s[18:19], s[26:27]
	s_cbranch_execz .LBB86_955
.LBB86_910:
	s_sext_i32_i16 s22, s15
	s_cmp_lt_i32 s22, 5
	s_cbranch_scc1 .LBB86_915
; %bb.911:
	s_cmp_lt_i32 s22, 8
	s_cbranch_scc1 .LBB86_916
; %bb.912:
	;; [unrolled: 3-line block ×3, first 2 shown]
	s_cmp_gt_i32 s22, 9
	s_cbranch_scc0 .LBB86_918
; %bb.914:
	global_load_dwordx2 v[2:3], v[0:1], off
	s_mov_b64 s[22:23], 0
	s_branch .LBB86_919
.LBB86_915:
                                        ; implicit-def: $vgpr2_vgpr3
	s_branch .LBB86_936
.LBB86_916:
                                        ; implicit-def: $vgpr2_vgpr3
	s_branch .LBB86_925
.LBB86_917:
	s_mov_b64 s[22:23], -1
                                        ; implicit-def: $vgpr2_vgpr3
	s_branch .LBB86_922
.LBB86_918:
	s_mov_b64 s[22:23], -1
                                        ; implicit-def: $vgpr2_vgpr3
.LBB86_919:
	s_andn2_b64 vcc, exec, s[22:23]
	s_cbranch_vccnz .LBB86_921
; %bb.920:
	global_load_dword v2, v[0:1], off
	s_waitcnt vmcnt(0)
	v_cvt_f64_f32_e32 v[2:3], v2
.LBB86_921:
	s_mov_b64 s[22:23], 0
.LBB86_922:
	s_andn2_b64 vcc, exec, s[22:23]
	s_cbranch_vccnz .LBB86_924
; %bb.923:
	global_load_dword v2, v[0:1], off
	s_waitcnt vmcnt(0)
	v_cvt_f32_f16_e32 v2, v2
	v_cvt_f64_f32_e32 v[2:3], v2
.LBB86_924:
	s_cbranch_execnz .LBB86_935
.LBB86_925:
	s_sext_i32_i16 s22, s15
	s_cmp_lt_i32 s22, 6
	s_cbranch_scc1 .LBB86_928
; %bb.926:
	s_cmp_gt_i32 s22, 6
	s_cbranch_scc0 .LBB86_929
; %bb.927:
	global_load_dwordx2 v[2:3], v[0:1], off
	s_mov_b64 s[22:23], 0
	s_branch .LBB86_930
.LBB86_928:
	s_mov_b64 s[22:23], -1
                                        ; implicit-def: $vgpr2_vgpr3
	s_branch .LBB86_933
.LBB86_929:
	s_mov_b64 s[22:23], -1
                                        ; implicit-def: $vgpr2_vgpr3
.LBB86_930:
	s_andn2_b64 vcc, exec, s[22:23]
	s_cbranch_vccnz .LBB86_932
; %bb.931:
	global_load_dword v2, v[0:1], off
	s_waitcnt vmcnt(0)
	v_cvt_f64_f32_e32 v[2:3], v2
.LBB86_932:
	s_mov_b64 s[22:23], 0
.LBB86_933:
	s_andn2_b64 vcc, exec, s[22:23]
	s_cbranch_vccnz .LBB86_935
; %bb.934:
	global_load_ushort v2, v[0:1], off
	s_waitcnt vmcnt(0)
	v_cvt_f32_f16_e32 v2, v2
	v_cvt_f64_f32_e32 v[2:3], v2
.LBB86_935:
	s_cbranch_execnz .LBB86_954
.LBB86_936:
	s_sext_i32_i16 s22, s15
	s_cmp_lt_i32 s22, 2
	s_cbranch_scc1 .LBB86_940
; %bb.937:
	s_cmp_lt_i32 s22, 3
	s_cbranch_scc1 .LBB86_941
; %bb.938:
	s_cmp_gt_i32 s22, 3
	s_cbranch_scc0 .LBB86_942
; %bb.939:
	global_load_dwordx2 v[2:3], v[0:1], off
	s_mov_b64 s[22:23], 0
	s_waitcnt vmcnt(0)
	v_cvt_f64_i32_e32 v[5:6], v3
	v_cvt_f64_u32_e32 v[2:3], v2
	v_ldexp_f64 v[5:6], v[5:6], 32
	v_add_f64 v[2:3], v[5:6], v[2:3]
	s_branch .LBB86_943
.LBB86_940:
                                        ; implicit-def: $vgpr2_vgpr3
	s_branch .LBB86_949
.LBB86_941:
	s_mov_b64 s[22:23], -1
                                        ; implicit-def: $vgpr2_vgpr3
	s_branch .LBB86_946
.LBB86_942:
	s_mov_b64 s[22:23], -1
                                        ; implicit-def: $vgpr2_vgpr3
.LBB86_943:
	s_andn2_b64 vcc, exec, s[22:23]
	s_cbranch_vccnz .LBB86_945
; %bb.944:
	global_load_dword v2, v[0:1], off
	s_waitcnt vmcnt(0)
	v_cvt_f64_i32_e32 v[2:3], v2
.LBB86_945:
	s_mov_b64 s[22:23], 0
.LBB86_946:
	s_andn2_b64 vcc, exec, s[22:23]
	s_cbranch_vccnz .LBB86_948
; %bb.947:
	global_load_sshort v2, v[0:1], off
	s_waitcnt vmcnt(0)
	v_cvt_f64_i32_e32 v[2:3], v2
.LBB86_948:
	s_cbranch_execnz .LBB86_954
.LBB86_949:
	s_sext_i32_i16 s22, s15
	s_cmp_gt_i32 s22, 0
	s_cbranch_scc0 .LBB86_951
; %bb.950:
	global_load_sbyte v2, v[0:1], off
	s_mov_b64 s[22:23], 0
	s_waitcnt vmcnt(0)
	v_cvt_f64_i32_e32 v[2:3], v2
	s_branch .LBB86_952
.LBB86_951:
	s_mov_b64 s[22:23], -1
                                        ; implicit-def: $vgpr2_vgpr3
.LBB86_952:
	s_andn2_b64 vcc, exec, s[22:23]
	s_cbranch_vccnz .LBB86_954
; %bb.953:
	global_load_ubyte v0, v[0:1], off
	s_waitcnt vmcnt(0)
	v_cvt_f64_u32_e32 v[2:3], v0
.LBB86_954:
	s_or_b64 s[0:1], s[0:1], exec
.LBB86_955:
	s_or_b64 exec, exec, s[18:19]
	s_mov_b64 s[26:27], 0
	s_mov_b64 s[24:25], 0
                                        ; implicit-def: $sgpr18_sgpr19
                                        ; implicit-def: $sgpr34
                                        ; implicit-def: $vgpr0_vgpr1
	s_and_saveexec_b64 s[22:23], s[0:1]
	s_cbranch_execz .LBB86_960
; %bb.956:
	s_cmp_lt_i32 s14, 1
	s_mov_b64 s[0:1], 0
	s_cbranch_scc1 .LBB86_963
; %bb.957:
	s_cmp_gt_i32 s14, 1
	s_cbranch_scc0 .LBB86_964
; %bb.958:
	s_cmp_eq_u32 s14, 2
	s_cbranch_scc0 .LBB86_965
; %bb.959:
	s_waitcnt vmcnt(0)
	v_cmp_ge_f64_e64 s[18:19], s[2:3], v[2:3]
	s_branch .LBB86_967
.LBB86_960:
	s_or_b64 exec, exec, s[22:23]
	s_and_saveexec_b64 s[0:1], s[16:17]
	s_cbranch_execnz .LBB86_1052
.LBB86_961:
	s_or_b64 exec, exec, s[0:1]
	s_and_saveexec_b64 s[0:1], s[26:27]
	s_xor_b64 s[0:1], exec, s[0:1]
	s_cbranch_execz .LBB86_1053
.LBB86_962:
	s_waitcnt vmcnt(0)
	v_cndmask_b32_e64 v2, 0, 1, s[18:19]
	global_store_byte v[0:1], v2, off
	s_or_b64 exec, exec, s[0:1]
	s_and_saveexec_b64 s[0:1], s[24:25]
	s_xor_b64 s[0:1], exec, s[0:1]
	s_cbranch_execz .LBB86_1091
	s_branch .LBB86_1054
.LBB86_963:
                                        ; implicit-def: $sgpr18_sgpr19
	s_cbranch_execnz .LBB86_970
	s_branch .LBB86_971
.LBB86_964:
	s_mov_b64 s[26:27], -1
	s_branch .LBB86_966
.LBB86_965:
	s_mov_b64 s[24:25], -1
.LBB86_966:
                                        ; implicit-def: $sgpr18_sgpr19
.LBB86_967:
	s_and_b64 vcc, exec, s[26:27]
	s_cbranch_vccz .LBB86_969
; %bb.968:
	s_waitcnt vmcnt(0)
	v_cmp_lt_f64_e32 vcc, s[2:3], v[2:3]
	s_andn2_b64 s[18:19], s[18:19], exec
	s_and_b64 s[26:27], vcc, exec
	s_or_b64 s[18:19], s[18:19], s[26:27]
.LBB86_969:
	s_branch .LBB86_971
.LBB86_970:
	s_cmp_lg_u32 s14, 0
	s_mov_b64 s[0:1], -1
	s_cselect_b64 s[24:25], -1, 0
.LBB86_971:
	s_andn2_b64 vcc, exec, s[24:25]
	s_cbranch_vccnz .LBB86_973
; %bb.972:
	s_waitcnt vmcnt(0)
	v_cmp_gt_f64_e32 vcc, s[2:3], v[2:3]
	s_andn2_b64 s[18:19], s[18:19], exec
	s_and_b64 s[24:25], vcc, exec
	s_or_b64 s[18:19], s[18:19], s[24:25]
	s_cbranch_execz .LBB86_974
	s_branch .LBB86_975
.LBB86_973:
	s_andn2_b64 vcc, exec, s[0:1]
	s_cbranch_vccnz .LBB86_975
.LBB86_974:
	s_waitcnt vmcnt(0)
	v_cmp_le_f64_e32 vcc, s[2:3], v[2:3]
	s_andn2_b64 s[0:1], s[18:19], exec
	s_and_b64 s[18:19], vcc, exec
	s_or_b64 s[18:19], s[0:1], s[18:19]
.LBB86_975:
	v_mul_lo_u32 v0, v4, s12
	v_mov_b32_e32 v1, s9
	s_and_b32 s34, s33, 0xff
	s_cmp_lt_i32 s34, 11
	s_waitcnt vmcnt(0)
	v_ashrrev_i32_e32 v2, 31, v0
	v_add_co_u32_e32 v0, vcc, s8, v0
	v_addc_co_u32_e32 v1, vcc, v1, v2, vcc
	s_cbranch_scc1 .LBB86_1049
; %bb.976:
	s_and_b32 s35, 0xffff, s34
	s_mov_b64 s[26:27], -1
	s_cmp_gt_i32 s35, 25
	s_mov_b64 s[0:1], s[16:17]
	s_cbranch_scc0 .LBB86_1009
; %bb.977:
	s_mov_b64 s[24:25], -1
	s_cmp_gt_i32 s35, 28
	s_mov_b64 s[0:1], s[16:17]
	s_cbranch_scc0 .LBB86_993
; %bb.978:
	s_cmp_gt_i32 s35, 43
	s_mov_b64 s[0:1], s[16:17]
	s_cbranch_scc0 .LBB86_989
; %bb.979:
	;; [unrolled: 4-line block ×3, first 2 shown]
	s_cmp_eq_u32 s35, 46
	s_mov_b64 s[0:1], -1
	s_cbranch_scc0 .LBB86_982
; %bb.981:
	v_cndmask_b32_e64 v2, 0, 1.0, s[18:19]
	v_bfe_u32 v3, v2, 16, 1
	s_movk_i32 s0, 0x7fff
	v_add3_u32 v2, v2, v3, s0
	v_lshrrev_b32_e32 v2, 16, v2
	global_store_dword v[0:1], v2, off
	s_mov_b64 s[0:1], 0
.LBB86_982:
	s_mov_b64 s[24:25], 0
.LBB86_983:
	s_and_b64 vcc, exec, s[24:25]
	s_cbranch_vccz .LBB86_988
; %bb.984:
	s_cmp_eq_u32 s35, 44
	s_mov_b64 s[0:1], -1
	s_cbranch_scc0 .LBB86_988
; %bb.985:
	v_cndmask_b32_e64 v3, 0, 1.0, s[18:19]
	v_lshrrev_b32_e32 v2, 23, v3
	s_movk_i32 s0, 0xff
	v_cmp_ne_u32_e32 vcc, s0, v2
	v_mov_b32_e32 v4, 0xff
	s_and_saveexec_b64 s[24:25], vcc
; %bb.986:
	s_mov_b32 s0, 0x3fffff
	v_and_b32_e32 v4, 0x400000, v3
	v_and_or_b32 v3, v3, s0, v2
	v_cmp_ne_u32_e32 vcc, 0, v4
	v_cmp_ne_u32_e64 s[0:1], 0, v3
	s_and_b64 s[0:1], vcc, s[0:1]
	v_cndmask_b32_e64 v3, 0, 1, s[0:1]
	v_add_u32_e32 v4, v2, v3
; %bb.987:
	s_or_b64 exec, exec, s[24:25]
	s_mov_b64 s[0:1], 0
	global_store_byte v[0:1], v4, off
.LBB86_988:
	s_mov_b64 s[24:25], 0
.LBB86_989:
	s_and_b64 vcc, exec, s[24:25]
	s_cbranch_vccz .LBB86_992
; %bb.990:
	s_cmp_eq_u32 s35, 29
	s_mov_b64 s[0:1], -1
	s_cbranch_scc0 .LBB86_992
; %bb.991:
	s_mov_b32 s0, 0
	v_cndmask_b32_e64 v2, 0, 1, s[18:19]
	v_mov_b32_e32 v3, s0
	global_store_dwordx2 v[0:1], v[2:3], off
	s_mov_b64 s[0:1], 0
.LBB86_992:
	s_mov_b64 s[24:25], 0
.LBB86_993:
	s_and_b64 vcc, exec, s[24:25]
	s_cbranch_vccz .LBB86_1008
; %bb.994:
	s_cmp_lt_i32 s35, 27
	s_mov_b64 s[24:25], -1
	s_cbranch_scc1 .LBB86_1000
; %bb.995:
	s_cmp_gt_i32 s35, 27
	v_cndmask_b32_e64 v2, 0, 1, s[18:19]
	s_cbranch_scc0 .LBB86_997
; %bb.996:
	s_mov_b64 s[24:25], 0
	global_store_dword v[0:1], v2, off
.LBB86_997:
	s_andn2_b64 vcc, exec, s[24:25]
	s_cbranch_vccnz .LBB86_999
; %bb.998:
	global_store_short v[0:1], v2, off
.LBB86_999:
	s_mov_b64 s[24:25], 0
.LBB86_1000:
	s_andn2_b64 vcc, exec, s[24:25]
	s_cbranch_vccnz .LBB86_1008
; %bb.1001:
	v_cndmask_b32_e64 v3, 0, 1.0, s[18:19]
	s_mov_b32 s24, 0x43800000
	v_cmp_gt_u32_e32 vcc, s24, v3
	v_mov_b32_e32 v4, 0x80
	s_and_saveexec_b64 s[24:25], vcc
	s_cbranch_execz .LBB86_1007
; %bb.1002:
	s_mov_b32 s26, 0x3bffffff
	v_cmp_lt_u32_e32 vcc, s26, v3
	s_mov_b64 s[26:27], 0
                                        ; implicit-def: $vgpr2
	s_and_saveexec_b64 s[28:29], vcc
	s_xor_b64 s[28:29], exec, s[28:29]
	s_cbranch_execz .LBB86_1106
; %bb.1003:
	v_bfe_u32 v2, v3, 20, 1
	s_mov_b32 s30, 0x487ffff
	v_add3_u32 v2, v3, v2, s30
	s_mov_b64 s[26:27], exec
	v_lshrrev_b32_e32 v2, 20, v2
                                        ; implicit-def: $vgpr3
	s_andn2_saveexec_b64 s[28:29], s[28:29]
	s_cbranch_execnz .LBB86_1107
.LBB86_1004:
	s_or_b64 exec, exec, s[28:29]
	v_mov_b32_e32 v4, 0
	s_and_saveexec_b64 s[28:29], s[26:27]
.LBB86_1005:
	v_mov_b32_e32 v4, v2
.LBB86_1006:
	s_or_b64 exec, exec, s[28:29]
.LBB86_1007:
	s_or_b64 exec, exec, s[24:25]
	global_store_byte v[0:1], v4, off
.LBB86_1008:
	s_mov_b64 s[26:27], 0
.LBB86_1009:
	s_mov_b64 s[24:25], 0
	s_and_b64 vcc, exec, s[26:27]
	s_cbranch_vccz .LBB86_1050
; %bb.1010:
	s_cmp_gt_i32 s35, 22
	s_mov_b64 s[26:27], -1
	s_cbranch_scc0 .LBB86_1042
; %bb.1011:
	s_cmp_lt_i32 s35, 24
	s_cbranch_scc1 .LBB86_1031
; %bb.1012:
	s_cmp_gt_i32 s35, 24
	s_cbranch_scc0 .LBB86_1020
; %bb.1013:
	v_cndmask_b32_e64 v3, 0, 1.0, s[18:19]
	s_mov_b32 s26, 0x47800000
	v_cmp_gt_u32_e32 vcc, s26, v3
	v_mov_b32_e32 v4, 0x80
	s_and_saveexec_b64 s[26:27], vcc
	s_cbranch_execz .LBB86_1019
; %bb.1014:
	s_mov_b32 s28, 0x37ffffff
	v_cmp_lt_u32_e32 vcc, s28, v3
	s_mov_b64 s[28:29], 0
                                        ; implicit-def: $vgpr2
	s_and_saveexec_b64 s[30:31], vcc
	s_xor_b64 s[30:31], exec, s[30:31]
	s_cbranch_execz .LBB86_1246
; %bb.1015:
	v_bfe_u32 v2, v3, 21, 1
	s_mov_b32 s36, 0x88fffff
	v_add3_u32 v2, v3, v2, s36
	s_mov_b64 s[28:29], exec
	v_lshrrev_b32_e32 v2, 21, v2
                                        ; implicit-def: $vgpr3
	s_andn2_saveexec_b64 s[30:31], s[30:31]
	s_cbranch_execnz .LBB86_1247
.LBB86_1016:
	s_or_b64 exec, exec, s[30:31]
	v_mov_b32_e32 v4, 0
	s_and_saveexec_b64 s[30:31], s[28:29]
.LBB86_1017:
	v_mov_b32_e32 v4, v2
.LBB86_1018:
	s_or_b64 exec, exec, s[30:31]
.LBB86_1019:
	s_or_b64 exec, exec, s[26:27]
	s_mov_b64 s[26:27], 0
	global_store_byte v[0:1], v4, off
.LBB86_1020:
	s_and_b64 vcc, exec, s[26:27]
	s_cbranch_vccz .LBB86_1030
; %bb.1021:
	v_cndmask_b32_e64 v2, 0, 1.0, s[18:19]
	s_mov_b32 s26, 0x43f00000
	v_cmp_gt_u32_e32 vcc, s26, v2
                                        ; implicit-def: $vgpr3
	s_and_saveexec_b64 s[26:27], vcc
	s_xor_b64 s[26:27], exec, s[26:27]
	s_cbranch_execz .LBB86_1027
; %bb.1022:
	s_mov_b32 s28, 0x3c7fffff
	v_cmp_lt_u32_e32 vcc, s28, v2
                                        ; implicit-def: $vgpr3
	s_and_saveexec_b64 s[28:29], vcc
	s_xor_b64 s[28:29], exec, s[28:29]
; %bb.1023:
	v_bfe_u32 v3, v2, 20, 1
	s_mov_b32 s30, 0x407ffff
	v_add3_u32 v2, v2, v3, s30
	v_lshrrev_b32_e32 v3, 20, v2
	v_and_b32_e32 v2, 0xff00000, v2
	s_mov_b32 s30, 0x7f00000
	v_mov_b32_e32 v4, 0x7e
	v_cmp_ne_u32_e32 vcc, s30, v2
	v_cndmask_b32_e32 v3, v4, v3, vcc
                                        ; implicit-def: $vgpr2
; %bb.1024:
	s_andn2_saveexec_b64 s[28:29], s[28:29]
; %bb.1025:
	v_add_f32_e32 v3, 0x46800000, v2
; %bb.1026:
	s_or_b64 exec, exec, s[28:29]
                                        ; implicit-def: $vgpr2
.LBB86_1027:
	s_andn2_saveexec_b64 s[26:27], s[26:27]
; %bb.1028:
	s_mov_b32 s28, 0x7f800000
	v_mov_b32_e32 v3, 0x7e
	v_mov_b32_e32 v4, 0x7f
	v_cmp_lt_u32_e32 vcc, s28, v2
	v_cndmask_b32_e32 v3, v3, v4, vcc
; %bb.1029:
	s_or_b64 exec, exec, s[26:27]
	global_store_byte v[0:1], v3, off
.LBB86_1030:
	s_mov_b64 s[26:27], 0
.LBB86_1031:
	s_andn2_b64 vcc, exec, s[26:27]
	s_cbranch_vccnz .LBB86_1041
; %bb.1032:
	v_cndmask_b32_e64 v2, 0, 1.0, s[18:19]
	s_mov_b32 s26, 0x47800000
	v_cmp_gt_u32_e32 vcc, s26, v2
                                        ; implicit-def: $vgpr3
	s_and_saveexec_b64 s[26:27], vcc
	s_xor_b64 s[26:27], exec, s[26:27]
	s_cbranch_execz .LBB86_1038
; %bb.1033:
	s_mov_b32 s28, 0x387fffff
	v_cmp_lt_u32_e32 vcc, s28, v2
                                        ; implicit-def: $vgpr3
	s_and_saveexec_b64 s[28:29], vcc
	s_xor_b64 s[28:29], exec, s[28:29]
; %bb.1034:
	v_bfe_u32 v3, v2, 21, 1
	s_mov_b32 s30, 0x80fffff
	v_add3_u32 v2, v2, v3, s30
	v_lshrrev_b32_e32 v3, 21, v2
                                        ; implicit-def: $vgpr2
; %bb.1035:
	s_andn2_saveexec_b64 s[28:29], s[28:29]
; %bb.1036:
	v_add_f32_e32 v3, 0x43000000, v2
; %bb.1037:
	s_or_b64 exec, exec, s[28:29]
                                        ; implicit-def: $vgpr2
.LBB86_1038:
	s_andn2_saveexec_b64 s[26:27], s[26:27]
; %bb.1039:
	s_mov_b32 s28, 0x7f800000
	v_mov_b32_e32 v3, 0x7c
	v_mov_b32_e32 v4, 0x7f
	v_cmp_lt_u32_e32 vcc, s28, v2
	v_cndmask_b32_e32 v3, v3, v4, vcc
; %bb.1040:
	s_or_b64 exec, exec, s[26:27]
	global_store_byte v[0:1], v3, off
.LBB86_1041:
	s_mov_b64 s[26:27], 0
.LBB86_1042:
	s_andn2_b64 vcc, exec, s[26:27]
	s_mov_b64 s[26:27], 0
	s_cbranch_vccnz .LBB86_1051
; %bb.1043:
	s_cmp_gt_i32 s35, 14
	s_mov_b64 s[28:29], -1
	s_cbranch_scc0 .LBB86_1047
; %bb.1044:
	s_cmp_eq_u32 s35, 15
	s_mov_b64 s[0:1], -1
	s_cbranch_scc0 .LBB86_1046
; %bb.1045:
	v_cndmask_b32_e64 v2, 0, 1.0, s[18:19]
	v_bfe_u32 v3, v2, 16, 1
	s_movk_i32 s0, 0x7fff
	v_add3_u32 v2, v2, v3, s0
	global_store_short_d16_hi v[0:1], v2, off
	s_mov_b64 s[0:1], 0
.LBB86_1046:
	s_mov_b64 s[28:29], 0
.LBB86_1047:
	s_and_b64 vcc, exec, s[28:29]
	s_cbranch_vccz .LBB86_1051
; %bb.1048:
	s_cmp_lg_u32 s35, 11
	s_cselect_b64 s[28:29], -1, 0
	s_andn2_b64 s[0:1], s[0:1], exec
	s_and_b64 s[28:29], s[28:29], exec
	s_mov_b64 s[26:27], -1
	s_or_b64 s[0:1], s[0:1], s[28:29]
	s_branch .LBB86_1051
.LBB86_1049:
	s_mov_b64 s[26:27], 0
	s_mov_b64 s[24:25], -1
	s_mov_b64 s[0:1], s[16:17]
	s_branch .LBB86_1051
.LBB86_1050:
	s_mov_b64 s[26:27], 0
.LBB86_1051:
	s_andn2_b64 s[16:17], s[16:17], exec
	s_and_b64 s[0:1], s[0:1], exec
	s_and_b64 s[24:25], s[24:25], exec
	;; [unrolled: 1-line block ×3, first 2 shown]
	s_or_b64 s[16:17], s[16:17], s[0:1]
	s_or_b64 exec, exec, s[22:23]
	s_and_saveexec_b64 s[0:1], s[16:17]
	s_cbranch_execz .LBB86_961
.LBB86_1052:
	s_or_b64 s[20:21], s[20:21], exec
	s_andn2_b64 s[26:27], s[26:27], exec
	s_trap 2
	s_or_b64 exec, exec, s[0:1]
	s_and_saveexec_b64 s[0:1], s[26:27]
	s_xor_b64 s[0:1], exec, s[0:1]
	s_cbranch_execnz .LBB86_962
.LBB86_1053:
	s_or_b64 exec, exec, s[0:1]
	s_and_saveexec_b64 s[0:1], s[24:25]
	s_xor_b64 s[0:1], exec, s[0:1]
	s_cbranch_execz .LBB86_1091
.LBB86_1054:
	s_sext_i32_i16 s22, s34
	s_cmp_lt_i32 s22, 5
	s_mov_b64 s[16:17], -1
	s_cbranch_scc1 .LBB86_1075
; %bb.1055:
	s_cmp_lt_i32 s22, 8
	s_cbranch_scc1 .LBB86_1065
; %bb.1056:
	s_cmp_lt_i32 s22, 9
	s_cbranch_scc1 .LBB86_1062
; %bb.1057:
	s_cmp_gt_i32 s22, 9
	s_cbranch_scc0 .LBB86_1059
; %bb.1058:
	s_waitcnt vmcnt(0)
	v_cndmask_b32_e64 v2, 0, 1, s[18:19]
	v_cvt_f64_u32_e32 v[2:3], v2
	v_mov_b32_e32 v4, 0
	v_mov_b32_e32 v5, v4
	s_mov_b64 s[16:17], 0
	global_store_dwordx4 v[0:1], v[2:5], off
.LBB86_1059:
	s_andn2_b64 vcc, exec, s[16:17]
	s_cbranch_vccnz .LBB86_1061
; %bb.1060:
	s_waitcnt vmcnt(0)
	v_cndmask_b32_e64 v2, 0, 1.0, s[18:19]
	v_mov_b32_e32 v3, 0
	global_store_dwordx2 v[0:1], v[2:3], off
.LBB86_1061:
	s_mov_b64 s[16:17], 0
.LBB86_1062:
	s_andn2_b64 vcc, exec, s[16:17]
	s_cbranch_vccnz .LBB86_1064
; %bb.1063:
	s_waitcnt vmcnt(0)
	v_cndmask_b32_e64 v2, 0, 1.0, s[18:19]
	v_cvt_f16_f32_e32 v2, v2
	global_store_dword v[0:1], v2, off
.LBB86_1064:
	s_mov_b64 s[16:17], 0
.LBB86_1065:
	s_andn2_b64 vcc, exec, s[16:17]
	s_cbranch_vccnz .LBB86_1074
; %bb.1066:
	s_sext_i32_i16 s22, s34
	s_cmp_lt_i32 s22, 6
	s_mov_b64 s[16:17], -1
	s_cbranch_scc1 .LBB86_1072
; %bb.1067:
	s_cmp_gt_i32 s22, 6
	s_cbranch_scc0 .LBB86_1069
; %bb.1068:
	s_waitcnt vmcnt(0)
	v_cndmask_b32_e64 v2, 0, 1, s[18:19]
	v_cvt_f64_u32_e32 v[2:3], v2
	s_mov_b64 s[16:17], 0
	global_store_dwordx2 v[0:1], v[2:3], off
.LBB86_1069:
	s_andn2_b64 vcc, exec, s[16:17]
	s_cbranch_vccnz .LBB86_1071
; %bb.1070:
	s_waitcnt vmcnt(0)
	v_cndmask_b32_e64 v2, 0, 1.0, s[18:19]
	global_store_dword v[0:1], v2, off
.LBB86_1071:
	s_mov_b64 s[16:17], 0
.LBB86_1072:
	s_andn2_b64 vcc, exec, s[16:17]
	s_cbranch_vccnz .LBB86_1074
; %bb.1073:
	s_waitcnt vmcnt(0)
	v_cndmask_b32_e64 v2, 0, 1.0, s[18:19]
	v_cvt_f16_f32_e32 v2, v2
	global_store_short v[0:1], v2, off
.LBB86_1074:
	s_mov_b64 s[16:17], 0
.LBB86_1075:
	s_andn2_b64 vcc, exec, s[16:17]
	s_cbranch_vccnz .LBB86_1091
; %bb.1076:
	s_sext_i32_i16 s22, s34
	s_cmp_lt_i32 s22, 2
	s_mov_b64 s[16:17], -1
	s_cbranch_scc1 .LBB86_1086
; %bb.1077:
	s_cmp_lt_i32 s22, 3
	s_cbranch_scc1 .LBB86_1083
; %bb.1078:
	s_cmp_gt_i32 s22, 3
	s_cbranch_scc0 .LBB86_1080
; %bb.1079:
	s_mov_b32 s16, 0
	s_waitcnt vmcnt(0)
	v_cndmask_b32_e64 v2, 0, 1, s[18:19]
	v_mov_b32_e32 v3, s16
	s_mov_b64 s[16:17], 0
	global_store_dwordx2 v[0:1], v[2:3], off
.LBB86_1080:
	s_andn2_b64 vcc, exec, s[16:17]
	s_cbranch_vccnz .LBB86_1082
; %bb.1081:
	s_waitcnt vmcnt(0)
	v_cndmask_b32_e64 v2, 0, 1, s[18:19]
	global_store_dword v[0:1], v2, off
.LBB86_1082:
	s_mov_b64 s[16:17], 0
.LBB86_1083:
	s_andn2_b64 vcc, exec, s[16:17]
	s_cbranch_vccnz .LBB86_1085
; %bb.1084:
	s_waitcnt vmcnt(0)
	v_cndmask_b32_e64 v2, 0, 1, s[18:19]
	global_store_short v[0:1], v2, off
.LBB86_1085:
	s_mov_b64 s[16:17], 0
.LBB86_1086:
	s_andn2_b64 vcc, exec, s[16:17]
	s_cbranch_vccnz .LBB86_1091
; %bb.1087:
	s_sext_i32_i16 s22, s34
	s_mov_b64 s[16:17], -1
	s_cmp_gt_i32 s22, 0
	s_waitcnt vmcnt(0)
	v_cndmask_b32_e64 v2, 0, 1, s[18:19]
	s_cbranch_scc0 .LBB86_1089
; %bb.1088:
	s_mov_b64 s[16:17], 0
	global_store_byte v[0:1], v2, off
.LBB86_1089:
	s_andn2_b64 vcc, exec, s[16:17]
	s_cbranch_vccnz .LBB86_1091
; %bb.1090:
	global_store_byte v[0:1], v2, off
.LBB86_1091:
	s_or_b64 exec, exec, s[0:1]
	s_and_b64 s[16:17], s[20:21], exec
                                        ; implicit-def: $vgpr4
.LBB86_1092:
	s_or_saveexec_b64 s[6:7], s[6:7]
	s_mov_b64 s[0:1], 0
                                        ; implicit-def: $sgpr24_sgpr25
                                        ; implicit-def: $sgpr28
                                        ; implicit-def: $vgpr0_vgpr1
	s_xor_b64 exec, exec, s[6:7]
	s_cbranch_execz .LBB86_1659
; %bb.1093:
	v_mul_lo_u32 v5, s13, v4
	v_mov_b32_e32 v1, s11
	s_and_b32 s15, 0xffff, s15
	s_cmp_lt_i32 s15, 11
	s_waitcnt vmcnt(0)
	v_ashrrev_i32_e32 v2, 31, v5
	v_add_co_u32_e32 v0, vcc, s10, v5
	v_addc_co_u32_e32 v1, vcc, v1, v2, vcc
	s_cbranch_scc1 .LBB86_1100
; %bb.1094:
	s_cmp_gt_i32 s15, 25
	s_cbranch_scc0 .LBB86_1102
; %bb.1095:
	s_cmp_gt_i32 s15, 28
	s_cbranch_scc0 .LBB86_1103
	;; [unrolled: 3-line block ×4, first 2 shown]
; %bb.1098:
	s_cmp_eq_u32 s15, 46
	s_mov_b64 s[18:19], 0
	s_cbranch_scc0 .LBB86_1108
; %bb.1099:
	global_load_dword v2, v[0:1], off
	s_mov_b64 s[20:21], -1
	s_waitcnt vmcnt(0)
	v_lshlrev_b32_e32 v2, 16, v2
	v_cvt_f64_f32_e32 v[2:3], v2
	s_branch .LBB86_1109
.LBB86_1100:
	s_mov_b64 s[20:21], 0
                                        ; implicit-def: $vgpr2_vgpr3
	s_mov_b64 s[18:19], s[16:17]
	s_cbranch_execnz .LBB86_1172
.LBB86_1101:
	s_andn2_b64 vcc, exec, s[20:21]
	s_cbranch_vccz .LBB86_1217
	s_branch .LBB86_1656
.LBB86_1102:
	s_mov_b64 s[20:21], 0
                                        ; implicit-def: $vgpr2_vgpr3
	s_cbranch_execnz .LBB86_1139
	s_branch .LBB86_1168
.LBB86_1103:
	s_mov_b64 s[18:19], -1
	s_mov_b64 s[20:21], 0
                                        ; implicit-def: $vgpr2_vgpr3
	s_branch .LBB86_1118
.LBB86_1104:
	s_mov_b64 s[20:21], 0
                                        ; implicit-def: $vgpr2_vgpr3
	s_cbranch_execnz .LBB86_1114
	s_branch .LBB86_1117
.LBB86_1105:
	s_mov_b64 s[18:19], -1
	s_mov_b64 s[20:21], 0
                                        ; implicit-def: $vgpr2_vgpr3
	s_branch .LBB86_1109
.LBB86_1106:
	s_andn2_saveexec_b64 s[28:29], s[28:29]
	s_cbranch_execz .LBB86_1004
.LBB86_1107:
	v_add_f32_e32 v2, 0x46000000, v3
	v_and_b32_e32 v2, 0xff, v2
	v_cmp_ne_u32_e32 vcc, 0, v2
	s_andn2_b64 s[26:27], s[26:27], exec
	s_and_b64 s[30:31], vcc, exec
	s_or_b64 s[26:27], s[26:27], s[30:31]
	s_or_b64 exec, exec, s[28:29]
	v_mov_b32_e32 v4, 0
	s_and_saveexec_b64 s[28:29], s[26:27]
	s_cbranch_execnz .LBB86_1005
	s_branch .LBB86_1006
.LBB86_1108:
	s_mov_b64 s[0:1], -1
                                        ; implicit-def: $vgpr2_vgpr3
	s_mov_b64 s[20:21], 0
.LBB86_1109:
	s_and_b64 vcc, exec, s[18:19]
	s_cbranch_vccz .LBB86_1112
; %bb.1110:
	s_cmp_eq_u32 s15, 44
	s_cbranch_scc0 .LBB86_1113
; %bb.1111:
	global_load_ubyte v6, v[0:1], off
	s_movk_i32 s18, 0xff
	v_bfrev_b32_e32 v7, 4
	v_mov_b32_e32 v8, 0x7ff80000
	v_bfrev_b32_e32 v9, 28
	s_mov_b64 s[0:1], 0
	s_mov_b64 s[20:21], -1
	s_waitcnt vmcnt(0)
	v_lshlrev_b32_e32 v2, 23, v6
	v_cvt_f64_f32_e32 v[2:3], v2
	v_cmp_ne_u32_e32 vcc, s18, v6
	v_cndmask_b32_e32 v2, v7, v2, vcc
	v_cndmask_b32_e32 v3, v8, v3, vcc
	v_cmp_ne_u32_e32 vcc, 0, v6
	v_cndmask_b32_e32 v3, v9, v3, vcc
	v_cndmask_b32_e32 v2, 0, v2, vcc
.LBB86_1112:
	s_branch .LBB86_1117
.LBB86_1113:
	s_mov_b64 s[0:1], -1
                                        ; implicit-def: $vgpr2_vgpr3
	s_branch .LBB86_1117
.LBB86_1114:
	s_cmp_eq_u32 s15, 29
	s_cbranch_scc0 .LBB86_1116
; %bb.1115:
	global_load_dwordx2 v[2:3], v[0:1], off
	s_mov_b64 s[0:1], 0
	s_mov_b64 s[20:21], -1
	s_mov_b64 s[18:19], 0
	s_waitcnt vmcnt(0)
	v_cvt_f64_u32_e32 v[6:7], v3
	v_cvt_f64_u32_e32 v[2:3], v2
	v_ldexp_f64 v[6:7], v[6:7], 32
	v_add_f64 v[2:3], v[6:7], v[2:3]
	s_branch .LBB86_1118
.LBB86_1116:
	s_mov_b64 s[0:1], -1
                                        ; implicit-def: $vgpr2_vgpr3
.LBB86_1117:
	s_mov_b64 s[18:19], 0
.LBB86_1118:
	s_and_b64 vcc, exec, s[18:19]
	s_cbranch_vccz .LBB86_1138
; %bb.1119:
	s_cmp_lt_i32 s15, 27
	s_cbranch_scc1 .LBB86_1122
; %bb.1120:
	s_cmp_gt_i32 s15, 27
	s_cbranch_scc0 .LBB86_1123
; %bb.1121:
	global_load_dword v2, v[0:1], off
	s_mov_b64 s[18:19], 0
	s_waitcnt vmcnt(0)
	v_cvt_f64_u32_e32 v[2:3], v2
	s_branch .LBB86_1124
.LBB86_1122:
	s_mov_b64 s[18:19], -1
                                        ; implicit-def: $vgpr2_vgpr3
	s_branch .LBB86_1127
.LBB86_1123:
	s_mov_b64 s[18:19], -1
                                        ; implicit-def: $vgpr2_vgpr3
.LBB86_1124:
	s_andn2_b64 vcc, exec, s[18:19]
	s_cbranch_vccnz .LBB86_1126
; %bb.1125:
	global_load_ushort v2, v[0:1], off
	s_waitcnt vmcnt(0)
	v_cvt_f64_u32_e32 v[2:3], v2
.LBB86_1126:
	s_mov_b64 s[18:19], 0
.LBB86_1127:
	s_andn2_b64 vcc, exec, s[18:19]
	s_cbranch_vccnz .LBB86_1137
; %bb.1128:
	global_load_ubyte v6, v[0:1], off
	s_movk_i32 s18, 0x7f
	s_waitcnt vmcnt(0)
	v_cmp_lt_i16_e32 vcc, s18, v6
	s_mov_b64 s[18:19], 0
	s_and_saveexec_b64 s[20:21], vcc
	s_xor_b64 s[20:21], exec, s[20:21]
	s_cbranch_execz .LBB86_1132
; %bb.1129:
	s_movk_i32 s18, 0x80
	v_cmp_eq_u16_e32 vcc, s18, v6
	s_mov_b64 s[18:19], -1
	s_and_saveexec_b64 s[22:23], vcc
; %bb.1130:
	s_xor_b64 s[18:19], exec, -1
; %bb.1131:
	s_or_b64 exec, exec, s[22:23]
	s_and_b64 s[18:19], s[18:19], exec
.LBB86_1132:
	s_or_saveexec_b64 s[20:21], s[20:21]
	v_bfrev_b32_e32 v2, 4
	v_mov_b32_e32 v3, 0x7ff80000
	s_xor_b64 exec, exec, s[20:21]
; %bb.1133:
	v_cmp_ne_u16_e32 vcc, 0, v6
	v_mov_b32_e32 v2, 0
	s_andn2_b64 s[18:19], s[18:19], exec
	s_and_b64 s[22:23], vcc, exec
	v_mov_b32_e32 v3, 0
	s_or_b64 s[18:19], s[18:19], s[22:23]
; %bb.1134:
	s_or_b64 exec, exec, s[20:21]
	s_and_saveexec_b64 s[20:21], s[18:19]
	s_cbranch_execz .LBB86_1136
; %bb.1135:
	v_and_b32_e32 v3, 0xffff, v6
	v_lshlrev_b32_e32 v2, 24, v6
	v_and_b32_e32 v6, 7, v3
	v_ffbh_u32_e32 v8, v6
	v_min_u32_e32 v8, 32, v8
	v_subrev_u32_e32 v9, 28, v8
	v_bfe_u32 v7, v3, 3, 4
	v_lshlrev_b32_e32 v3, v9, v3
	v_sub_u32_e32 v8, 29, v8
	v_and_b32_e32 v3, 7, v3
	v_cmp_eq_u32_e32 vcc, 0, v7
	v_cndmask_b32_e32 v7, v7, v8, vcc
	v_cndmask_b32_e32 v3, v6, v3, vcc
	v_mov_b32_e32 v6, 0x3b800000
	v_lshlrev_b32_e32 v3, 20, v3
	v_and_b32_e32 v2, 0x80000000, v2
	v_lshl_add_u32 v6, v7, 23, v6
	v_or3_b32 v2, v2, v6, v3
	v_cvt_f64_f32_e32 v[2:3], v2
.LBB86_1136:
	s_or_b64 exec, exec, s[20:21]
.LBB86_1137:
	s_mov_b64 s[20:21], -1
.LBB86_1138:
	s_branch .LBB86_1168
.LBB86_1139:
	s_cmp_gt_i32 s15, 22
	s_cbranch_scc0 .LBB86_1151
; %bb.1140:
	s_cmp_lt_i32 s15, 24
	s_cbranch_scc1 .LBB86_1152
; %bb.1141:
	s_cmp_gt_i32 s15, 24
	s_cbranch_scc0 .LBB86_1153
; %bb.1142:
	global_load_ubyte v6, v[0:1], off
	s_movk_i32 s4, 0x7f
	s_waitcnt vmcnt(0)
	v_cmp_lt_i16_e32 vcc, s4, v6
	s_mov_b64 s[4:5], 0
	s_and_saveexec_b64 s[18:19], vcc
	s_xor_b64 s[18:19], exec, s[18:19]
	s_cbranch_execz .LBB86_1146
; %bb.1143:
	s_movk_i32 s4, 0x80
	v_cmp_eq_u16_e32 vcc, s4, v6
	s_mov_b64 s[4:5], -1
	s_and_saveexec_b64 s[20:21], vcc
; %bb.1144:
	s_xor_b64 s[4:5], exec, -1
; %bb.1145:
	s_or_b64 exec, exec, s[20:21]
	s_and_b64 s[4:5], s[4:5], exec
.LBB86_1146:
	s_or_saveexec_b64 s[18:19], s[18:19]
	v_bfrev_b32_e32 v2, 4
	v_mov_b32_e32 v3, 0x7ff80000
	s_xor_b64 exec, exec, s[18:19]
; %bb.1147:
	v_cmp_ne_u16_e32 vcc, 0, v6
	v_mov_b32_e32 v2, 0
	s_andn2_b64 s[4:5], s[4:5], exec
	s_and_b64 s[20:21], vcc, exec
	v_mov_b32_e32 v3, 0
	s_or_b64 s[4:5], s[4:5], s[20:21]
; %bb.1148:
	s_or_b64 exec, exec, s[18:19]
	s_and_saveexec_b64 s[18:19], s[4:5]
	s_cbranch_execz .LBB86_1150
; %bb.1149:
	v_and_b32_e32 v3, 0xffff, v6
	v_lshlrev_b32_e32 v2, 24, v6
	v_and_b32_e32 v6, 3, v3
	v_ffbh_u32_e32 v8, v6
	v_min_u32_e32 v8, 32, v8
	v_subrev_u32_e32 v9, 29, v8
	v_bfe_u32 v7, v3, 2, 5
	v_lshlrev_b32_e32 v3, v9, v3
	v_sub_u32_e32 v8, 30, v8
	v_and_b32_e32 v3, 3, v3
	v_cmp_eq_u32_e32 vcc, 0, v7
	v_cndmask_b32_e32 v7, v7, v8, vcc
	v_cndmask_b32_e32 v3, v6, v3, vcc
	v_mov_b32_e32 v6, 0x37800000
	v_lshlrev_b32_e32 v3, 21, v3
	v_and_b32_e32 v2, 0x80000000, v2
	v_lshl_add_u32 v6, v7, 23, v6
	v_or3_b32 v2, v2, v6, v3
	v_cvt_f64_f32_e32 v[2:3], v2
.LBB86_1150:
	s_or_b64 exec, exec, s[18:19]
	s_mov_b64 s[4:5], 0
	s_branch .LBB86_1154
.LBB86_1151:
                                        ; implicit-def: $vgpr2_vgpr3
	s_mov_b64 s[4:5], 0
	s_branch .LBB86_1160
.LBB86_1152:
	s_mov_b64 s[4:5], -1
                                        ; implicit-def: $vgpr2_vgpr3
	s_branch .LBB86_1157
.LBB86_1153:
	s_mov_b64 s[4:5], -1
                                        ; implicit-def: $vgpr2_vgpr3
.LBB86_1154:
	s_and_b64 vcc, exec, s[4:5]
	s_cbranch_vccz .LBB86_1156
; %bb.1155:
	global_load_ubyte v2, v[0:1], off
	s_mov_b32 s4, 0x7f800000
	s_waitcnt vmcnt(0)
	v_lshlrev_b32_e32 v2, 24, v2
	v_and_b32_e32 v3, 0x7f000000, v2
	v_ffbh_u32_e32 v6, v3
	v_min_u32_e32 v6, 32, v6
	v_sub_u32_e64 v6, v6, 4 clamp
	v_lshlrev_b32_e32 v8, v6, v3
	v_lshlrev_b32_e32 v6, 23, v6
	v_lshrrev_b32_e32 v8, 4, v8
	v_add_u32_e32 v7, 0x1000000, v3
	v_sub_u32_e32 v6, v8, v6
	v_ashrrev_i32_e32 v7, 8, v7
	v_add_u32_e32 v6, 0x3c000000, v6
	v_and_or_b32 v6, v7, s4, v6
	v_cmp_ne_u32_e32 vcc, 0, v3
	v_cndmask_b32_e32 v3, 0, v6, vcc
	s_brev_b32 s4, 1
	v_and_or_b32 v2, v2, s4, v3
	v_cvt_f64_f32_e32 v[2:3], v2
.LBB86_1156:
	s_mov_b64 s[4:5], 0
.LBB86_1157:
	s_andn2_b64 vcc, exec, s[4:5]
	s_cbranch_vccnz .LBB86_1159
; %bb.1158:
	global_load_ubyte v2, v[0:1], off
	s_movk_i32 s4, 0x7f00
	s_brev_b32 s5, 16
	s_waitcnt vmcnt(0)
	v_lshlrev_b16_e32 v3, 8, v2
	v_lshlrev_b32_e32 v2, 25, v2
	v_lshrrev_b32_e32 v6, 4, v2
	v_and_or_b32 v7, v3, s4, 0.5
	v_or_b32_e32 v6, 0x70000000, v6
	v_add_f32_e32 v7, -0.5, v7
	v_mul_f32_e32 v6, 0x7800000, v6
	v_cmp_gt_u32_e32 vcc, s5, v2
	v_bfe_i32 v3, v3, 0, 16
	v_cndmask_b32_e32 v2, v6, v7, vcc
	s_brev_b32 s4, 1
	v_and_or_b32 v2, v3, s4, v2
	v_cvt_f64_f32_e32 v[2:3], v2
.LBB86_1159:
	s_mov_b64 s[20:21], -1
	s_mov_b64 s[4:5], 0
	s_cbranch_execnz .LBB86_1168
.LBB86_1160:
	s_cmp_gt_i32 s15, 14
	s_cbranch_scc0 .LBB86_1163
; %bb.1161:
	s_cmp_eq_u32 s15, 15
	s_cbranch_scc0 .LBB86_1164
; %bb.1162:
	global_load_ushort v2, v[0:1], off
	s_mov_b64 s[0:1], 0
	s_mov_b64 s[20:21], -1
	s_waitcnt vmcnt(0)
	v_lshlrev_b32_e32 v2, 16, v2
	v_cvt_f64_f32_e32 v[2:3], v2
	s_branch .LBB86_1165
.LBB86_1163:
	s_mov_b64 s[18:19], -1
                                        ; implicit-def: $vgpr2_vgpr3
	s_branch .LBB86_1166
.LBB86_1164:
	s_mov_b64 s[0:1], -1
                                        ; implicit-def: $vgpr2_vgpr3
.LBB86_1165:
	s_mov_b64 s[18:19], 0
.LBB86_1166:
	s_and_b64 vcc, exec, s[18:19]
	s_cbranch_vccz .LBB86_1168
; %bb.1167:
	s_cmp_lg_u32 s15, 11
	s_mov_b64 s[4:5], -1
	s_cselect_b64 s[0:1], -1, 0
.LBB86_1168:
	s_and_b64 vcc, exec, s[0:1]
	s_mov_b64 s[18:19], s[16:17]
	s_cbranch_vccnz .LBB86_1244
; %bb.1169:
	s_andn2_b64 vcc, exec, s[4:5]
	s_cbranch_vccnz .LBB86_1171
.LBB86_1170:
	global_load_ubyte v3, v[0:1], off
	v_mov_b32_e32 v6, 0x3ff00000
	v_mov_b32_e32 v2, 0
	s_mov_b64 s[20:21], -1
	s_waitcnt vmcnt(0)
	v_cmp_ne_u16_e32 vcc, 0, v3
	v_cndmask_b32_e32 v3, 0, v6, vcc
.LBB86_1171:
	s_branch .LBB86_1101
.LBB86_1172:
	s_cmp_lt_i32 s15, 5
	s_cbranch_scc1 .LBB86_1177
; %bb.1173:
	s_cmp_lt_i32 s15, 8
	s_cbranch_scc1 .LBB86_1178
; %bb.1174:
	;; [unrolled: 3-line block ×3, first 2 shown]
	s_cmp_gt_i32 s15, 9
	s_cbranch_scc0 .LBB86_1180
; %bb.1176:
	global_load_dwordx2 v[2:3], v[0:1], off
	s_mov_b64 s[0:1], 0
	s_branch .LBB86_1181
.LBB86_1177:
                                        ; implicit-def: $vgpr2_vgpr3
	s_branch .LBB86_1198
.LBB86_1178:
                                        ; implicit-def: $vgpr2_vgpr3
	s_branch .LBB86_1187
.LBB86_1179:
	s_mov_b64 s[0:1], -1
                                        ; implicit-def: $vgpr2_vgpr3
	s_branch .LBB86_1184
.LBB86_1180:
	s_mov_b64 s[0:1], -1
                                        ; implicit-def: $vgpr2_vgpr3
.LBB86_1181:
	s_andn2_b64 vcc, exec, s[0:1]
	s_cbranch_vccnz .LBB86_1183
; %bb.1182:
	global_load_dword v2, v[0:1], off
	s_waitcnt vmcnt(0)
	v_cvt_f64_f32_e32 v[2:3], v2
.LBB86_1183:
	s_mov_b64 s[0:1], 0
.LBB86_1184:
	s_andn2_b64 vcc, exec, s[0:1]
	s_cbranch_vccnz .LBB86_1186
; %bb.1185:
	global_load_dword v2, v[0:1], off
	s_waitcnt vmcnt(0)
	v_cvt_f32_f16_e32 v2, v2
	v_cvt_f64_f32_e32 v[2:3], v2
.LBB86_1186:
	s_cbranch_execnz .LBB86_1197
.LBB86_1187:
	s_cmp_lt_i32 s15, 6
	s_cbranch_scc1 .LBB86_1190
; %bb.1188:
	s_cmp_gt_i32 s15, 6
	s_cbranch_scc0 .LBB86_1191
; %bb.1189:
	global_load_dwordx2 v[2:3], v[0:1], off
	s_mov_b64 s[0:1], 0
	s_branch .LBB86_1192
.LBB86_1190:
	s_mov_b64 s[0:1], -1
                                        ; implicit-def: $vgpr2_vgpr3
	s_branch .LBB86_1195
.LBB86_1191:
	s_mov_b64 s[0:1], -1
                                        ; implicit-def: $vgpr2_vgpr3
.LBB86_1192:
	s_andn2_b64 vcc, exec, s[0:1]
	s_cbranch_vccnz .LBB86_1194
; %bb.1193:
	global_load_dword v2, v[0:1], off
	s_waitcnt vmcnt(0)
	v_cvt_f64_f32_e32 v[2:3], v2
.LBB86_1194:
	s_mov_b64 s[0:1], 0
.LBB86_1195:
	s_andn2_b64 vcc, exec, s[0:1]
	s_cbranch_vccnz .LBB86_1197
; %bb.1196:
	global_load_ushort v2, v[0:1], off
	s_waitcnt vmcnt(0)
	v_cvt_f32_f16_e32 v2, v2
	v_cvt_f64_f32_e32 v[2:3], v2
.LBB86_1197:
	s_cbranch_execnz .LBB86_1216
.LBB86_1198:
	s_cmp_lt_i32 s15, 2
	s_cbranch_scc1 .LBB86_1202
; %bb.1199:
	s_cmp_lt_i32 s15, 3
	s_cbranch_scc1 .LBB86_1203
; %bb.1200:
	s_cmp_gt_i32 s15, 3
	s_cbranch_scc0 .LBB86_1204
; %bb.1201:
	global_load_dwordx2 v[2:3], v[0:1], off
	s_mov_b64 s[0:1], 0
	s_waitcnt vmcnt(0)
	v_cvt_f64_i32_e32 v[6:7], v3
	v_cvt_f64_u32_e32 v[2:3], v2
	v_ldexp_f64 v[6:7], v[6:7], 32
	v_add_f64 v[2:3], v[6:7], v[2:3]
	s_branch .LBB86_1205
.LBB86_1202:
                                        ; implicit-def: $vgpr2_vgpr3
	s_branch .LBB86_1211
.LBB86_1203:
	s_mov_b64 s[0:1], -1
                                        ; implicit-def: $vgpr2_vgpr3
	s_branch .LBB86_1208
.LBB86_1204:
	s_mov_b64 s[0:1], -1
                                        ; implicit-def: $vgpr2_vgpr3
.LBB86_1205:
	s_andn2_b64 vcc, exec, s[0:1]
	s_cbranch_vccnz .LBB86_1207
; %bb.1206:
	global_load_dword v2, v[0:1], off
	s_waitcnt vmcnt(0)
	v_cvt_f64_i32_e32 v[2:3], v2
.LBB86_1207:
	s_mov_b64 s[0:1], 0
.LBB86_1208:
	s_andn2_b64 vcc, exec, s[0:1]
	s_cbranch_vccnz .LBB86_1210
; %bb.1209:
	global_load_sshort v2, v[0:1], off
	s_waitcnt vmcnt(0)
	v_cvt_f64_i32_e32 v[2:3], v2
.LBB86_1210:
	s_cbranch_execnz .LBB86_1216
.LBB86_1211:
	s_cmp_gt_i32 s15, 0
	s_cbranch_scc0 .LBB86_1213
; %bb.1212:
	global_load_sbyte v2, v[0:1], off
	s_mov_b64 s[0:1], 0
	s_waitcnt vmcnt(0)
	v_cvt_f64_i32_e32 v[2:3], v2
	s_branch .LBB86_1214
.LBB86_1213:
	s_mov_b64 s[0:1], -1
                                        ; implicit-def: $vgpr2_vgpr3
.LBB86_1214:
	s_andn2_b64 vcc, exec, s[0:1]
	s_cbranch_vccnz .LBB86_1216
; %bb.1215:
	global_load_ubyte v0, v[0:1], off
	s_waitcnt vmcnt(0)
	v_cvt_f64_u32_e32 v[2:3], v0
.LBB86_1216:
.LBB86_1217:
	s_cmp_lt_i32 s14, 1
	s_mov_b64 s[0:1], 0
	s_cbranch_scc1 .LBB86_1221
; %bb.1218:
	s_cmp_gt_i32 s14, 1
	s_cbranch_scc0 .LBB86_1222
; %bb.1219:
	s_cmp_eq_u32 s14, 2
	s_cbranch_scc0 .LBB86_1223
; %bb.1220:
	s_waitcnt vmcnt(0)
	v_cmp_ge_f64_e64 s[4:5], s[2:3], v[2:3]
	s_mov_b64 s[20:21], 0
	s_branch .LBB86_1224
.LBB86_1221:
                                        ; implicit-def: $sgpr4_sgpr5
	s_mov_b64 s[20:21], 0
	s_cbranch_execnz .LBB86_1227
	s_branch .LBB86_1228
.LBB86_1222:
	s_mov_b64 s[20:21], 0
                                        ; implicit-def: $sgpr4_sgpr5
	s_cbranch_execnz .LBB86_1225
	s_branch .LBB86_1226
.LBB86_1223:
	s_mov_b64 s[20:21], -1
                                        ; implicit-def: $sgpr4_sgpr5
.LBB86_1224:
	s_branch .LBB86_1226
.LBB86_1225:
	s_waitcnt vmcnt(0)
	v_cmp_lt_f64_e32 vcc, s[2:3], v[2:3]
	s_andn2_b64 s[4:5], s[4:5], exec
	s_and_b64 s[22:23], vcc, exec
	s_or_b64 s[4:5], s[4:5], s[22:23]
.LBB86_1226:
	s_branch .LBB86_1228
.LBB86_1227:
	s_cmp_lg_u32 s14, 0
	s_mov_b64 s[0:1], -1
	s_cselect_b64 s[20:21], -1, 0
.LBB86_1228:
	s_andn2_b64 vcc, exec, s[20:21]
	s_cbranch_vccnz .LBB86_1230
; %bb.1229:
	s_waitcnt vmcnt(0)
	v_cmp_gt_f64_e32 vcc, s[2:3], v[2:3]
	s_andn2_b64 s[4:5], s[4:5], exec
	s_and_b64 s[20:21], vcc, exec
	s_or_b64 s[4:5], s[4:5], s[20:21]
	s_cbranch_execz .LBB86_1231
	s_branch .LBB86_1232
.LBB86_1230:
	s_andn2_b64 vcc, exec, s[0:1]
	s_cbranch_vccnz .LBB86_1232
.LBB86_1231:
	s_waitcnt vmcnt(0)
	v_cmp_le_f64_e32 vcc, s[2:3], v[2:3]
	s_andn2_b64 s[0:1], s[4:5], exec
	s_and_b64 s[4:5], vcc, exec
	s_or_b64 s[4:5], s[0:1], s[4:5]
.LBB86_1232:
	s_lshl_b32 s13, s13, 7
	v_add_u32_e32 v5, s13, v5
	v_ashrrev_i32_e32 v1, 31, v5
	s_waitcnt vmcnt(0)
	v_mov_b32_e32 v2, s11
	v_add_co_u32_e32 v0, vcc, s10, v5
	s_cmp_lt_i32 s15, 11
	v_addc_co_u32_e32 v1, vcc, v2, v1, vcc
	s_cbranch_scc1 .LBB86_1239
; %bb.1233:
	s_cmp_gt_i32 s15, 25
	s_mov_b64 s[20:21], 0
	s_cbranch_scc0 .LBB86_1241
; %bb.1234:
	s_cmp_gt_i32 s15, 28
	s_cbranch_scc0 .LBB86_1242
; %bb.1235:
	s_cmp_gt_i32 s15, 43
	;; [unrolled: 3-line block ×3, first 2 shown]
	s_cbranch_scc0 .LBB86_1245
; %bb.1237:
	s_cmp_eq_u32 s15, 46
	s_mov_b64 s[24:25], 0
	s_cbranch_scc0 .LBB86_1248
; %bb.1238:
	global_load_dword v2, v[0:1], off
	s_mov_b64 s[0:1], 0
	s_mov_b64 s[22:23], -1
	s_waitcnt vmcnt(0)
	v_lshlrev_b32_e32 v2, 16, v2
	v_cvt_f64_f32_e32 v[2:3], v2
	s_branch .LBB86_1249
.LBB86_1239:
	s_mov_b64 s[22:23], 0
                                        ; implicit-def: $vgpr2_vgpr3
	s_cbranch_execnz .LBB86_1314
.LBB86_1240:
	s_andn2_b64 vcc, exec, s[22:23]
	s_cbranch_vccnz .LBB86_1656
	s_branch .LBB86_1361
.LBB86_1241:
	s_mov_b64 s[22:23], 0
	s_mov_b64 s[0:1], 0
                                        ; implicit-def: $vgpr2_vgpr3
	s_cbranch_execnz .LBB86_1280
	s_branch .LBB86_1310
.LBB86_1242:
	s_mov_b64 s[24:25], -1
	s_mov_b64 s[22:23], 0
	s_mov_b64 s[0:1], 0
                                        ; implicit-def: $vgpr2_vgpr3
	s_branch .LBB86_1259
.LBB86_1243:
	s_mov_b64 s[24:25], -1
	s_mov_b64 s[22:23], 0
	s_mov_b64 s[0:1], 0
                                        ; implicit-def: $vgpr2_vgpr3
	s_branch .LBB86_1254
.LBB86_1244:
	s_or_b64 s[18:19], s[16:17], exec
	s_trap 2
	s_cbranch_execz .LBB86_1170
	s_branch .LBB86_1171
.LBB86_1245:
	s_mov_b64 s[24:25], -1
	s_mov_b64 s[22:23], 0
	s_mov_b64 s[0:1], 0
                                        ; implicit-def: $vgpr2_vgpr3
	s_branch .LBB86_1249
.LBB86_1246:
	s_andn2_saveexec_b64 s[30:31], s[30:31]
	s_cbranch_execz .LBB86_1016
.LBB86_1247:
	v_add_f32_e32 v2, 0x42800000, v3
	v_and_b32_e32 v2, 0xff, v2
	v_cmp_ne_u32_e32 vcc, 0, v2
	s_andn2_b64 s[28:29], s[28:29], exec
	s_and_b64 s[36:37], vcc, exec
	s_or_b64 s[28:29], s[28:29], s[36:37]
	s_or_b64 exec, exec, s[30:31]
	v_mov_b32_e32 v4, 0
	s_and_saveexec_b64 s[30:31], s[28:29]
	s_cbranch_execnz .LBB86_1017
	s_branch .LBB86_1018
.LBB86_1248:
	s_mov_b64 s[0:1], -1
                                        ; implicit-def: $vgpr2_vgpr3
	s_mov_b64 s[22:23], 0
.LBB86_1249:
	s_and_b64 vcc, exec, s[24:25]
	s_cbranch_vccz .LBB86_1253
; %bb.1250:
	s_cmp_eq_u32 s15, 44
	s_cbranch_scc0 .LBB86_1252
; %bb.1251:
	global_load_ubyte v6, v[0:1], off
	s_movk_i32 s22, 0xff
	v_bfrev_b32_e32 v7, 4
	v_mov_b32_e32 v8, 0x7ff80000
	v_bfrev_b32_e32 v9, 28
	s_mov_b64 s[0:1], 0
	s_waitcnt vmcnt(0)
	v_lshlrev_b32_e32 v2, 23, v6
	v_cvt_f64_f32_e32 v[2:3], v2
	v_cmp_ne_u32_e32 vcc, s22, v6
	s_mov_b64 s[22:23], -1
	v_cndmask_b32_e32 v2, v7, v2, vcc
	v_cndmask_b32_e32 v3, v8, v3, vcc
	v_cmp_ne_u32_e32 vcc, 0, v6
	v_cndmask_b32_e32 v3, v9, v3, vcc
	v_cndmask_b32_e32 v2, 0, v2, vcc
	s_branch .LBB86_1253
.LBB86_1252:
	s_mov_b64 s[0:1], -1
                                        ; implicit-def: $vgpr2_vgpr3
.LBB86_1253:
	s_mov_b64 s[24:25], 0
.LBB86_1254:
	s_and_b64 vcc, exec, s[24:25]
	s_cbranch_vccz .LBB86_1258
; %bb.1255:
	s_cmp_eq_u32 s15, 29
	s_cbranch_scc0 .LBB86_1257
; %bb.1256:
	global_load_dwordx2 v[2:3], v[0:1], off
	s_mov_b64 s[0:1], 0
	s_mov_b64 s[22:23], -1
	s_mov_b64 s[24:25], 0
	s_waitcnt vmcnt(0)
	v_cvt_f64_u32_e32 v[6:7], v3
	v_cvt_f64_u32_e32 v[2:3], v2
	v_ldexp_f64 v[6:7], v[6:7], 32
	v_add_f64 v[2:3], v[6:7], v[2:3]
	s_branch .LBB86_1259
.LBB86_1257:
	s_mov_b64 s[0:1], -1
                                        ; implicit-def: $vgpr2_vgpr3
.LBB86_1258:
	s_mov_b64 s[24:25], 0
.LBB86_1259:
	s_and_b64 vcc, exec, s[24:25]
	s_cbranch_vccz .LBB86_1279
; %bb.1260:
	s_cmp_lt_i32 s15, 27
	s_cbranch_scc1 .LBB86_1263
; %bb.1261:
	s_cmp_gt_i32 s15, 27
	s_cbranch_scc0 .LBB86_1264
; %bb.1262:
	global_load_dword v2, v[0:1], off
	s_mov_b64 s[22:23], 0
	s_waitcnt vmcnt(0)
	v_cvt_f64_u32_e32 v[2:3], v2
	s_branch .LBB86_1265
.LBB86_1263:
	s_mov_b64 s[22:23], -1
                                        ; implicit-def: $vgpr2_vgpr3
	s_branch .LBB86_1268
.LBB86_1264:
	s_mov_b64 s[22:23], -1
                                        ; implicit-def: $vgpr2_vgpr3
.LBB86_1265:
	s_andn2_b64 vcc, exec, s[22:23]
	s_cbranch_vccnz .LBB86_1267
; %bb.1266:
	global_load_ushort v2, v[0:1], off
	s_waitcnt vmcnt(0)
	v_cvt_f64_u32_e32 v[2:3], v2
.LBB86_1267:
	s_mov_b64 s[22:23], 0
.LBB86_1268:
	s_andn2_b64 vcc, exec, s[22:23]
	s_cbranch_vccnz .LBB86_1278
; %bb.1269:
	global_load_ubyte v6, v[0:1], off
	s_movk_i32 s22, 0x7f
	s_waitcnt vmcnt(0)
	v_cmp_lt_i16_e32 vcc, s22, v6
	s_mov_b64 s[22:23], 0
	s_and_saveexec_b64 s[24:25], vcc
	s_xor_b64 s[24:25], exec, s[24:25]
	s_cbranch_execz .LBB86_1273
; %bb.1270:
	s_movk_i32 s22, 0x80
	v_cmp_eq_u16_e32 vcc, s22, v6
	s_mov_b64 s[22:23], -1
	s_and_saveexec_b64 s[26:27], vcc
; %bb.1271:
	s_xor_b64 s[22:23], exec, -1
; %bb.1272:
	s_or_b64 exec, exec, s[26:27]
	s_and_b64 s[22:23], s[22:23], exec
.LBB86_1273:
	s_or_saveexec_b64 s[24:25], s[24:25]
	v_bfrev_b32_e32 v2, 4
	v_mov_b32_e32 v3, 0x7ff80000
	s_xor_b64 exec, exec, s[24:25]
; %bb.1274:
	v_cmp_ne_u16_e32 vcc, 0, v6
	v_mov_b32_e32 v2, 0
	s_andn2_b64 s[22:23], s[22:23], exec
	s_and_b64 s[26:27], vcc, exec
	v_mov_b32_e32 v3, 0
	s_or_b64 s[22:23], s[22:23], s[26:27]
; %bb.1275:
	s_or_b64 exec, exec, s[24:25]
	s_and_saveexec_b64 s[24:25], s[22:23]
	s_cbranch_execz .LBB86_1277
; %bb.1276:
	v_and_b32_e32 v3, 0xffff, v6
	v_lshlrev_b32_e32 v2, 24, v6
	v_and_b32_e32 v6, 7, v3
	v_ffbh_u32_e32 v8, v6
	v_min_u32_e32 v8, 32, v8
	v_subrev_u32_e32 v9, 28, v8
	v_bfe_u32 v7, v3, 3, 4
	v_lshlrev_b32_e32 v3, v9, v3
	v_sub_u32_e32 v8, 29, v8
	v_and_b32_e32 v3, 7, v3
	v_cmp_eq_u32_e32 vcc, 0, v7
	v_cndmask_b32_e32 v7, v7, v8, vcc
	v_cndmask_b32_e32 v3, v6, v3, vcc
	v_mov_b32_e32 v6, 0x3b800000
	v_lshlrev_b32_e32 v3, 20, v3
	v_and_b32_e32 v2, 0x80000000, v2
	v_lshl_add_u32 v6, v7, 23, v6
	v_or3_b32 v2, v2, v6, v3
	v_cvt_f64_f32_e32 v[2:3], v2
.LBB86_1277:
	s_or_b64 exec, exec, s[24:25]
.LBB86_1278:
	s_mov_b64 s[22:23], -1
.LBB86_1279:
	s_branch .LBB86_1310
.LBB86_1280:
	s_cmp_gt_i32 s15, 22
	s_cbranch_scc0 .LBB86_1292
; %bb.1281:
	s_cmp_lt_i32 s15, 24
	s_cbranch_scc1 .LBB86_1293
; %bb.1282:
	s_cmp_gt_i32 s15, 24
	s_cbranch_scc0 .LBB86_1294
; %bb.1283:
	global_load_ubyte v6, v[0:1], off
	s_movk_i32 s20, 0x7f
	s_waitcnt vmcnt(0)
	v_cmp_lt_i16_e32 vcc, s20, v6
	s_mov_b64 s[20:21], 0
	s_and_saveexec_b64 s[22:23], vcc
	s_xor_b64 s[22:23], exec, s[22:23]
	s_cbranch_execz .LBB86_1287
; %bb.1284:
	s_movk_i32 s20, 0x80
	v_cmp_eq_u16_e32 vcc, s20, v6
	s_mov_b64 s[20:21], -1
	s_and_saveexec_b64 s[24:25], vcc
; %bb.1285:
	s_xor_b64 s[20:21], exec, -1
; %bb.1286:
	s_or_b64 exec, exec, s[24:25]
	s_and_b64 s[20:21], s[20:21], exec
.LBB86_1287:
	s_or_saveexec_b64 s[22:23], s[22:23]
	v_bfrev_b32_e32 v2, 4
	v_mov_b32_e32 v3, 0x7ff80000
	s_xor_b64 exec, exec, s[22:23]
; %bb.1288:
	v_cmp_ne_u16_e32 vcc, 0, v6
	v_mov_b32_e32 v2, 0
	s_andn2_b64 s[20:21], s[20:21], exec
	s_and_b64 s[24:25], vcc, exec
	v_mov_b32_e32 v3, 0
	s_or_b64 s[20:21], s[20:21], s[24:25]
; %bb.1289:
	s_or_b64 exec, exec, s[22:23]
	s_and_saveexec_b64 s[22:23], s[20:21]
	s_cbranch_execz .LBB86_1291
; %bb.1290:
	v_and_b32_e32 v3, 0xffff, v6
	v_lshlrev_b32_e32 v2, 24, v6
	v_and_b32_e32 v6, 3, v3
	v_ffbh_u32_e32 v8, v6
	v_min_u32_e32 v8, 32, v8
	v_subrev_u32_e32 v9, 29, v8
	v_bfe_u32 v7, v3, 2, 5
	v_lshlrev_b32_e32 v3, v9, v3
	v_sub_u32_e32 v8, 30, v8
	v_and_b32_e32 v3, 3, v3
	v_cmp_eq_u32_e32 vcc, 0, v7
	v_cndmask_b32_e32 v7, v7, v8, vcc
	v_cndmask_b32_e32 v3, v6, v3, vcc
	v_mov_b32_e32 v6, 0x37800000
	v_lshlrev_b32_e32 v3, 21, v3
	v_and_b32_e32 v2, 0x80000000, v2
	v_lshl_add_u32 v6, v7, 23, v6
	v_or3_b32 v2, v2, v6, v3
	v_cvt_f64_f32_e32 v[2:3], v2
.LBB86_1291:
	s_or_b64 exec, exec, s[22:23]
	s_mov_b64 s[20:21], 0
	s_branch .LBB86_1295
.LBB86_1292:
	s_mov_b64 s[20:21], -1
                                        ; implicit-def: $vgpr2_vgpr3
	s_branch .LBB86_1301
.LBB86_1293:
	s_mov_b64 s[20:21], -1
                                        ; implicit-def: $vgpr2_vgpr3
	s_branch .LBB86_1298
.LBB86_1294:
	s_mov_b64 s[20:21], -1
                                        ; implicit-def: $vgpr2_vgpr3
.LBB86_1295:
	s_and_b64 vcc, exec, s[20:21]
	s_cbranch_vccz .LBB86_1297
; %bb.1296:
	global_load_ubyte v2, v[0:1], off
	s_mov_b32 s20, 0x7f800000
	s_waitcnt vmcnt(0)
	v_lshlrev_b32_e32 v2, 24, v2
	v_and_b32_e32 v3, 0x7f000000, v2
	v_ffbh_u32_e32 v6, v3
	v_min_u32_e32 v6, 32, v6
	v_sub_u32_e64 v6, v6, 4 clamp
	v_lshlrev_b32_e32 v8, v6, v3
	v_lshlrev_b32_e32 v6, 23, v6
	v_lshrrev_b32_e32 v8, 4, v8
	v_add_u32_e32 v7, 0x1000000, v3
	v_sub_u32_e32 v6, v8, v6
	v_ashrrev_i32_e32 v7, 8, v7
	v_add_u32_e32 v6, 0x3c000000, v6
	v_and_or_b32 v6, v7, s20, v6
	v_cmp_ne_u32_e32 vcc, 0, v3
	v_cndmask_b32_e32 v3, 0, v6, vcc
	s_brev_b32 s20, 1
	v_and_or_b32 v2, v2, s20, v3
	v_cvt_f64_f32_e32 v[2:3], v2
.LBB86_1297:
	s_mov_b64 s[20:21], 0
.LBB86_1298:
	s_andn2_b64 vcc, exec, s[20:21]
	s_cbranch_vccnz .LBB86_1300
; %bb.1299:
	global_load_ubyte v2, v[0:1], off
	s_movk_i32 s20, 0x7f00
	s_brev_b32 s21, 16
	s_waitcnt vmcnt(0)
	v_lshlrev_b16_e32 v3, 8, v2
	v_lshlrev_b32_e32 v2, 25, v2
	v_lshrrev_b32_e32 v6, 4, v2
	v_and_or_b32 v7, v3, s20, 0.5
	v_or_b32_e32 v6, 0x70000000, v6
	v_add_f32_e32 v7, -0.5, v7
	v_mul_f32_e32 v6, 0x7800000, v6
	v_cmp_gt_u32_e32 vcc, s21, v2
	v_bfe_i32 v3, v3, 0, 16
	v_cndmask_b32_e32 v2, v6, v7, vcc
	s_brev_b32 s20, 1
	v_and_or_b32 v2, v3, s20, v2
	v_cvt_f64_f32_e32 v[2:3], v2
.LBB86_1300:
	s_mov_b64 s[20:21], 0
	s_mov_b64 s[22:23], -1
.LBB86_1301:
	s_andn2_b64 vcc, exec, s[20:21]
	s_mov_b64 s[20:21], 0
	s_cbranch_vccnz .LBB86_1310
; %bb.1302:
	s_cmp_gt_i32 s15, 14
	s_cbranch_scc0 .LBB86_1305
; %bb.1303:
	s_cmp_eq_u32 s15, 15
	s_cbranch_scc0 .LBB86_1306
; %bb.1304:
	global_load_ushort v2, v[0:1], off
	s_mov_b64 s[0:1], 0
	s_mov_b64 s[22:23], -1
	s_waitcnt vmcnt(0)
	v_lshlrev_b32_e32 v2, 16, v2
	v_cvt_f64_f32_e32 v[2:3], v2
	s_branch .LBB86_1307
.LBB86_1305:
	s_mov_b64 s[24:25], -1
                                        ; implicit-def: $vgpr2_vgpr3
	s_branch .LBB86_1308
.LBB86_1306:
	s_mov_b64 s[0:1], -1
                                        ; implicit-def: $vgpr2_vgpr3
.LBB86_1307:
	s_mov_b64 s[24:25], 0
.LBB86_1308:
	s_and_b64 vcc, exec, s[24:25]
	s_cbranch_vccz .LBB86_1310
; %bb.1309:
	s_cmp_lg_u32 s15, 11
	s_mov_b64 s[20:21], -1
	s_cselect_b64 s[0:1], -1, 0
.LBB86_1310:
	s_and_b64 vcc, exec, s[0:1]
	s_cbranch_vccnz .LBB86_1389
; %bb.1311:
	s_andn2_b64 vcc, exec, s[20:21]
	s_cbranch_vccnz .LBB86_1313
.LBB86_1312:
	global_load_ubyte v3, v[0:1], off
	v_mov_b32_e32 v6, 0x3ff00000
	v_mov_b32_e32 v2, 0
	s_mov_b64 s[22:23], -1
	s_waitcnt vmcnt(0)
	v_cmp_ne_u16_e32 vcc, 0, v3
	v_cndmask_b32_e32 v3, 0, v6, vcc
.LBB86_1313:
	s_branch .LBB86_1240
.LBB86_1314:
	s_cmp_lt_i32 s15, 5
	s_cbranch_scc1 .LBB86_1319
; %bb.1315:
	s_cmp_lt_i32 s15, 8
	s_cbranch_scc1 .LBB86_1320
; %bb.1316:
	;; [unrolled: 3-line block ×3, first 2 shown]
	s_cmp_gt_i32 s15, 9
	s_cbranch_scc0 .LBB86_1322
; %bb.1318:
	global_load_dwordx2 v[2:3], v[0:1], off
	s_mov_b64 s[0:1], 0
	s_branch .LBB86_1323
.LBB86_1319:
                                        ; implicit-def: $vgpr2_vgpr3
	s_branch .LBB86_1341
.LBB86_1320:
	s_mov_b64 s[0:1], -1
                                        ; implicit-def: $vgpr2_vgpr3
	s_branch .LBB86_1329
.LBB86_1321:
	s_mov_b64 s[0:1], -1
                                        ; implicit-def: $vgpr2_vgpr3
	s_branch .LBB86_1326
.LBB86_1322:
	s_mov_b64 s[0:1], -1
                                        ; implicit-def: $vgpr2_vgpr3
.LBB86_1323:
	s_andn2_b64 vcc, exec, s[0:1]
	s_cbranch_vccnz .LBB86_1325
; %bb.1324:
	global_load_dword v2, v[0:1], off
	s_waitcnt vmcnt(0)
	v_cvt_f64_f32_e32 v[2:3], v2
.LBB86_1325:
	s_mov_b64 s[0:1], 0
.LBB86_1326:
	s_andn2_b64 vcc, exec, s[0:1]
	s_cbranch_vccnz .LBB86_1328
; %bb.1327:
	global_load_dword v2, v[0:1], off
	s_waitcnt vmcnt(0)
	v_cvt_f32_f16_e32 v2, v2
	v_cvt_f64_f32_e32 v[2:3], v2
.LBB86_1328:
	s_mov_b64 s[0:1], 0
.LBB86_1329:
	s_andn2_b64 vcc, exec, s[0:1]
	s_cbranch_vccnz .LBB86_1340
; %bb.1330:
	s_cmp_lt_i32 s15, 6
	s_cbranch_scc1 .LBB86_1333
; %bb.1331:
	s_cmp_gt_i32 s15, 6
	s_cbranch_scc0 .LBB86_1334
; %bb.1332:
	global_load_dwordx2 v[2:3], v[0:1], off
	s_mov_b64 s[0:1], 0
	s_branch .LBB86_1335
.LBB86_1333:
	s_mov_b64 s[0:1], -1
                                        ; implicit-def: $vgpr2_vgpr3
	s_branch .LBB86_1338
.LBB86_1334:
	s_mov_b64 s[0:1], -1
                                        ; implicit-def: $vgpr2_vgpr3
.LBB86_1335:
	s_andn2_b64 vcc, exec, s[0:1]
	s_cbranch_vccnz .LBB86_1337
; %bb.1336:
	global_load_dword v2, v[0:1], off
	s_waitcnt vmcnt(0)
	v_cvt_f64_f32_e32 v[2:3], v2
.LBB86_1337:
	s_mov_b64 s[0:1], 0
.LBB86_1338:
	s_andn2_b64 vcc, exec, s[0:1]
	s_cbranch_vccnz .LBB86_1340
; %bb.1339:
	global_load_ushort v2, v[0:1], off
	s_waitcnt vmcnt(0)
	v_cvt_f32_f16_e32 v2, v2
	v_cvt_f64_f32_e32 v[2:3], v2
.LBB86_1340:
	s_cbranch_execnz .LBB86_1360
.LBB86_1341:
	s_cmp_lt_i32 s15, 2
	s_cbranch_scc1 .LBB86_1345
; %bb.1342:
	s_cmp_lt_i32 s15, 3
	s_cbranch_scc1 .LBB86_1346
; %bb.1343:
	s_cmp_gt_i32 s15, 3
	s_cbranch_scc0 .LBB86_1347
; %bb.1344:
	global_load_dwordx2 v[2:3], v[0:1], off
	s_mov_b64 s[0:1], 0
	s_waitcnt vmcnt(0)
	v_cvt_f64_i32_e32 v[6:7], v3
	v_cvt_f64_u32_e32 v[2:3], v2
	v_ldexp_f64 v[6:7], v[6:7], 32
	v_add_f64 v[2:3], v[6:7], v[2:3]
	s_branch .LBB86_1348
.LBB86_1345:
	s_mov_b64 s[0:1], -1
                                        ; implicit-def: $vgpr2_vgpr3
	s_branch .LBB86_1354
.LBB86_1346:
	s_mov_b64 s[0:1], -1
                                        ; implicit-def: $vgpr2_vgpr3
	s_branch .LBB86_1351
.LBB86_1347:
	s_mov_b64 s[0:1], -1
                                        ; implicit-def: $vgpr2_vgpr3
.LBB86_1348:
	s_andn2_b64 vcc, exec, s[0:1]
	s_cbranch_vccnz .LBB86_1350
; %bb.1349:
	global_load_dword v2, v[0:1], off
	s_waitcnt vmcnt(0)
	v_cvt_f64_i32_e32 v[2:3], v2
.LBB86_1350:
	s_mov_b64 s[0:1], 0
.LBB86_1351:
	s_andn2_b64 vcc, exec, s[0:1]
	s_cbranch_vccnz .LBB86_1353
; %bb.1352:
	global_load_sshort v2, v[0:1], off
	s_waitcnt vmcnt(0)
	v_cvt_f64_i32_e32 v[2:3], v2
.LBB86_1353:
	s_mov_b64 s[0:1], 0
.LBB86_1354:
	s_andn2_b64 vcc, exec, s[0:1]
	s_cbranch_vccnz .LBB86_1360
; %bb.1355:
	s_cmp_gt_i32 s15, 0
	s_cbranch_scc0 .LBB86_1357
; %bb.1356:
	global_load_sbyte v2, v[0:1], off
	s_mov_b64 s[0:1], 0
	s_waitcnt vmcnt(0)
	v_cvt_f64_i32_e32 v[2:3], v2
	s_branch .LBB86_1358
.LBB86_1357:
	s_mov_b64 s[0:1], -1
                                        ; implicit-def: $vgpr2_vgpr3
.LBB86_1358:
	s_andn2_b64 vcc, exec, s[0:1]
	s_cbranch_vccnz .LBB86_1360
; %bb.1359:
	global_load_ubyte v0, v[0:1], off
	s_waitcnt vmcnt(0)
	v_cvt_f64_u32_e32 v[2:3], v0
.LBB86_1360:
.LBB86_1361:
	s_cmp_lt_i32 s14, 1
	s_mov_b64 s[0:1], 0
	s_cbranch_scc1 .LBB86_1365
; %bb.1362:
	s_cmp_gt_i32 s14, 1
	s_cbranch_scc0 .LBB86_1366
; %bb.1363:
	s_cmp_eq_u32 s14, 2
	s_cbranch_scc0 .LBB86_1367
; %bb.1364:
	s_waitcnt vmcnt(0)
	v_cmp_ge_f64_e64 s[20:21], s[2:3], v[2:3]
	s_mov_b64 s[22:23], 0
	s_branch .LBB86_1368
.LBB86_1365:
                                        ; implicit-def: $sgpr20_sgpr21
	s_mov_b64 s[22:23], 0
	s_cbranch_execnz .LBB86_1372
	s_branch .LBB86_1373
.LBB86_1366:
	s_mov_b64 s[24:25], -1
	s_mov_b64 s[22:23], 0
                                        ; implicit-def: $sgpr20_sgpr21
	s_branch .LBB86_1369
.LBB86_1367:
	s_mov_b64 s[22:23], -1
                                        ; implicit-def: $sgpr20_sgpr21
.LBB86_1368:
	s_mov_b64 s[24:25], 0
.LBB86_1369:
	s_and_b64 vcc, exec, s[24:25]
	s_cbranch_vccz .LBB86_1371
; %bb.1370:
	s_waitcnt vmcnt(0)
	v_cmp_lt_f64_e32 vcc, s[2:3], v[2:3]
	s_andn2_b64 s[20:21], s[20:21], exec
	s_and_b64 s[24:25], vcc, exec
	s_or_b64 s[20:21], s[20:21], s[24:25]
.LBB86_1371:
	s_branch .LBB86_1373
.LBB86_1372:
	s_cmp_lg_u32 s14, 0
	s_mov_b64 s[0:1], -1
	s_cselect_b64 s[22:23], -1, 0
.LBB86_1373:
	s_andn2_b64 vcc, exec, s[22:23]
	s_cbranch_vccnz .LBB86_1375
; %bb.1374:
	s_waitcnt vmcnt(0)
	v_cmp_gt_f64_e32 vcc, s[2:3], v[2:3]
	s_andn2_b64 s[20:21], s[20:21], exec
	s_and_b64 s[22:23], vcc, exec
	s_or_b64 s[20:21], s[20:21], s[22:23]
	s_cbranch_execz .LBB86_1376
	s_branch .LBB86_1377
.LBB86_1375:
	s_andn2_b64 vcc, exec, s[0:1]
	s_cbranch_vccnz .LBB86_1377
.LBB86_1376:
	s_waitcnt vmcnt(0)
	v_cmp_le_f64_e32 vcc, s[2:3], v[2:3]
	s_andn2_b64 s[0:1], s[20:21], exec
	s_and_b64 s[20:21], vcc, exec
	s_or_b64 s[20:21], s[0:1], s[20:21]
.LBB86_1377:
	v_add_u32_e32 v5, s13, v5
	v_ashrrev_i32_e32 v1, 31, v5
	s_waitcnt vmcnt(0)
	v_mov_b32_e32 v2, s11
	v_add_co_u32_e32 v0, vcc, s10, v5
	s_cmp_lt_i32 s15, 11
	v_addc_co_u32_e32 v1, vcc, v2, v1, vcc
	s_cbranch_scc1 .LBB86_1384
; %bb.1378:
	s_cmp_gt_i32 s15, 25
	s_mov_b64 s[22:23], 0
	s_cbranch_scc0 .LBB86_1386
; %bb.1379:
	s_cmp_gt_i32 s15, 28
	s_cbranch_scc0 .LBB86_1387
; %bb.1380:
	s_cmp_gt_i32 s15, 43
	s_cbranch_scc0 .LBB86_1388
; %bb.1381:
	s_cmp_gt_i32 s15, 45
	s_cbranch_scc0 .LBB86_1390
; %bb.1382:
	s_cmp_eq_u32 s15, 46
	s_mov_b64 s[26:27], 0
	s_cbranch_scc0 .LBB86_1391
; %bb.1383:
	global_load_dword v2, v[0:1], off
	s_mov_b64 s[0:1], 0
	s_mov_b64 s[24:25], -1
	s_waitcnt vmcnt(0)
	v_lshlrev_b32_e32 v2, 16, v2
	v_cvt_f64_f32_e32 v[2:3], v2
	s_branch .LBB86_1392
.LBB86_1384:
	s_mov_b64 s[24:25], 0
                                        ; implicit-def: $vgpr2_vgpr3
	s_cbranch_execnz .LBB86_1458
.LBB86_1385:
	s_andn2_b64 vcc, exec, s[24:25]
	s_cbranch_vccnz .LBB86_1656
	s_branch .LBB86_1506
.LBB86_1386:
	s_mov_b64 s[26:27], -1
	s_mov_b64 s[24:25], 0
	s_mov_b64 s[0:1], 0
                                        ; implicit-def: $vgpr2_vgpr3
	s_branch .LBB86_1423
.LBB86_1387:
	s_mov_b64 s[26:27], -1
	s_mov_b64 s[24:25], 0
	s_mov_b64 s[0:1], 0
                                        ; implicit-def: $vgpr2_vgpr3
	s_branch .LBB86_1402
.LBB86_1388:
	s_mov_b64 s[26:27], -1
	s_mov_b64 s[24:25], 0
	s_mov_b64 s[0:1], 0
                                        ; implicit-def: $vgpr2_vgpr3
	s_branch .LBB86_1397
.LBB86_1389:
	s_trap 2
	s_or_b64 s[18:19], s[18:19], exec
	s_cbranch_execz .LBB86_1312
	s_branch .LBB86_1313
.LBB86_1390:
	s_mov_b64 s[26:27], -1
	s_mov_b64 s[24:25], 0
	s_mov_b64 s[0:1], 0
                                        ; implicit-def: $vgpr2_vgpr3
	s_branch .LBB86_1392
.LBB86_1391:
	s_mov_b64 s[0:1], -1
                                        ; implicit-def: $vgpr2_vgpr3
	s_mov_b64 s[24:25], 0
.LBB86_1392:
	s_and_b64 vcc, exec, s[26:27]
	s_cbranch_vccz .LBB86_1396
; %bb.1393:
	s_cmp_eq_u32 s15, 44
	s_cbranch_scc0 .LBB86_1395
; %bb.1394:
	global_load_ubyte v6, v[0:1], off
	s_movk_i32 s24, 0xff
	v_bfrev_b32_e32 v7, 4
	v_mov_b32_e32 v8, 0x7ff80000
	v_bfrev_b32_e32 v9, 28
	s_mov_b64 s[0:1], 0
	s_waitcnt vmcnt(0)
	v_lshlrev_b32_e32 v2, 23, v6
	v_cvt_f64_f32_e32 v[2:3], v2
	v_cmp_ne_u32_e32 vcc, s24, v6
	s_mov_b64 s[24:25], -1
	v_cndmask_b32_e32 v2, v7, v2, vcc
	v_cndmask_b32_e32 v3, v8, v3, vcc
	v_cmp_ne_u32_e32 vcc, 0, v6
	v_cndmask_b32_e32 v3, v9, v3, vcc
	v_cndmask_b32_e32 v2, 0, v2, vcc
	s_branch .LBB86_1396
.LBB86_1395:
	s_mov_b64 s[0:1], -1
                                        ; implicit-def: $vgpr2_vgpr3
.LBB86_1396:
	s_mov_b64 s[26:27], 0
.LBB86_1397:
	s_and_b64 vcc, exec, s[26:27]
	s_cbranch_vccz .LBB86_1401
; %bb.1398:
	s_cmp_eq_u32 s15, 29
	s_cbranch_scc0 .LBB86_1400
; %bb.1399:
	global_load_dwordx2 v[2:3], v[0:1], off
	s_mov_b64 s[0:1], 0
	s_mov_b64 s[24:25], -1
	s_mov_b64 s[26:27], 0
	s_waitcnt vmcnt(0)
	v_cvt_f64_u32_e32 v[6:7], v3
	v_cvt_f64_u32_e32 v[2:3], v2
	v_ldexp_f64 v[6:7], v[6:7], 32
	v_add_f64 v[2:3], v[6:7], v[2:3]
	s_branch .LBB86_1402
.LBB86_1400:
	s_mov_b64 s[0:1], -1
                                        ; implicit-def: $vgpr2_vgpr3
.LBB86_1401:
	s_mov_b64 s[26:27], 0
.LBB86_1402:
	s_and_b64 vcc, exec, s[26:27]
	s_cbranch_vccz .LBB86_1422
; %bb.1403:
	s_cmp_lt_i32 s15, 27
	s_cbranch_scc1 .LBB86_1406
; %bb.1404:
	s_cmp_gt_i32 s15, 27
	s_cbranch_scc0 .LBB86_1407
; %bb.1405:
	global_load_dword v2, v[0:1], off
	s_mov_b64 s[24:25], 0
	s_waitcnt vmcnt(0)
	v_cvt_f64_u32_e32 v[2:3], v2
	s_branch .LBB86_1408
.LBB86_1406:
	s_mov_b64 s[24:25], -1
                                        ; implicit-def: $vgpr2_vgpr3
	s_branch .LBB86_1411
.LBB86_1407:
	s_mov_b64 s[24:25], -1
                                        ; implicit-def: $vgpr2_vgpr3
.LBB86_1408:
	s_andn2_b64 vcc, exec, s[24:25]
	s_cbranch_vccnz .LBB86_1410
; %bb.1409:
	global_load_ushort v2, v[0:1], off
	s_waitcnt vmcnt(0)
	v_cvt_f64_u32_e32 v[2:3], v2
.LBB86_1410:
	s_mov_b64 s[24:25], 0
.LBB86_1411:
	s_andn2_b64 vcc, exec, s[24:25]
	s_cbranch_vccnz .LBB86_1421
; %bb.1412:
	global_load_ubyte v6, v[0:1], off
	s_movk_i32 s24, 0x7f
	s_waitcnt vmcnt(0)
	v_cmp_lt_i16_e32 vcc, s24, v6
	s_mov_b64 s[24:25], 0
	s_and_saveexec_b64 s[26:27], vcc
	s_xor_b64 s[26:27], exec, s[26:27]
	s_cbranch_execz .LBB86_1416
; %bb.1413:
	s_movk_i32 s24, 0x80
	v_cmp_eq_u16_e32 vcc, s24, v6
	s_mov_b64 s[24:25], -1
	s_and_saveexec_b64 s[28:29], vcc
; %bb.1414:
	s_xor_b64 s[24:25], exec, -1
; %bb.1415:
	s_or_b64 exec, exec, s[28:29]
	s_and_b64 s[24:25], s[24:25], exec
.LBB86_1416:
	s_or_saveexec_b64 s[26:27], s[26:27]
	v_bfrev_b32_e32 v2, 4
	v_mov_b32_e32 v3, 0x7ff80000
	s_xor_b64 exec, exec, s[26:27]
; %bb.1417:
	v_cmp_ne_u16_e32 vcc, 0, v6
	v_mov_b32_e32 v2, 0
	s_andn2_b64 s[24:25], s[24:25], exec
	s_and_b64 s[28:29], vcc, exec
	v_mov_b32_e32 v3, 0
	s_or_b64 s[24:25], s[24:25], s[28:29]
; %bb.1418:
	s_or_b64 exec, exec, s[26:27]
	s_and_saveexec_b64 s[26:27], s[24:25]
	s_cbranch_execz .LBB86_1420
; %bb.1419:
	v_and_b32_e32 v3, 0xffff, v6
	v_lshlrev_b32_e32 v2, 24, v6
	v_and_b32_e32 v6, 7, v3
	v_ffbh_u32_e32 v8, v6
	v_min_u32_e32 v8, 32, v8
	v_subrev_u32_e32 v9, 28, v8
	v_bfe_u32 v7, v3, 3, 4
	v_lshlrev_b32_e32 v3, v9, v3
	v_sub_u32_e32 v8, 29, v8
	v_and_b32_e32 v3, 7, v3
	v_cmp_eq_u32_e32 vcc, 0, v7
	v_cndmask_b32_e32 v7, v7, v8, vcc
	v_cndmask_b32_e32 v3, v6, v3, vcc
	v_mov_b32_e32 v6, 0x3b800000
	v_lshlrev_b32_e32 v3, 20, v3
	v_and_b32_e32 v2, 0x80000000, v2
	v_lshl_add_u32 v6, v7, 23, v6
	v_or3_b32 v2, v2, v6, v3
	v_cvt_f64_f32_e32 v[2:3], v2
.LBB86_1420:
	s_or_b64 exec, exec, s[26:27]
.LBB86_1421:
	s_mov_b64 s[24:25], -1
.LBB86_1422:
	s_mov_b64 s[26:27], 0
.LBB86_1423:
	s_and_b64 vcc, exec, s[26:27]
	s_cbranch_vccz .LBB86_1454
; %bb.1424:
	s_cmp_gt_i32 s15, 22
	s_cbranch_scc0 .LBB86_1436
; %bb.1425:
	s_cmp_lt_i32 s15, 24
	s_cbranch_scc1 .LBB86_1437
; %bb.1426:
	s_cmp_gt_i32 s15, 24
	s_cbranch_scc0 .LBB86_1438
; %bb.1427:
	global_load_ubyte v6, v[0:1], off
	s_movk_i32 s22, 0x7f
	s_waitcnt vmcnt(0)
	v_cmp_lt_i16_e32 vcc, s22, v6
	s_mov_b64 s[22:23], 0
	s_and_saveexec_b64 s[24:25], vcc
	s_xor_b64 s[24:25], exec, s[24:25]
	s_cbranch_execz .LBB86_1431
; %bb.1428:
	s_movk_i32 s22, 0x80
	v_cmp_eq_u16_e32 vcc, s22, v6
	s_mov_b64 s[22:23], -1
	s_and_saveexec_b64 s[26:27], vcc
; %bb.1429:
	s_xor_b64 s[22:23], exec, -1
; %bb.1430:
	s_or_b64 exec, exec, s[26:27]
	s_and_b64 s[22:23], s[22:23], exec
.LBB86_1431:
	s_or_saveexec_b64 s[24:25], s[24:25]
	v_bfrev_b32_e32 v2, 4
	v_mov_b32_e32 v3, 0x7ff80000
	s_xor_b64 exec, exec, s[24:25]
; %bb.1432:
	v_cmp_ne_u16_e32 vcc, 0, v6
	v_mov_b32_e32 v2, 0
	s_andn2_b64 s[22:23], s[22:23], exec
	s_and_b64 s[26:27], vcc, exec
	v_mov_b32_e32 v3, 0
	s_or_b64 s[22:23], s[22:23], s[26:27]
; %bb.1433:
	s_or_b64 exec, exec, s[24:25]
	s_and_saveexec_b64 s[24:25], s[22:23]
	s_cbranch_execz .LBB86_1435
; %bb.1434:
	v_and_b32_e32 v3, 0xffff, v6
	v_lshlrev_b32_e32 v2, 24, v6
	v_and_b32_e32 v6, 3, v3
	v_ffbh_u32_e32 v8, v6
	v_min_u32_e32 v8, 32, v8
	v_subrev_u32_e32 v9, 29, v8
	v_bfe_u32 v7, v3, 2, 5
	v_lshlrev_b32_e32 v3, v9, v3
	v_sub_u32_e32 v8, 30, v8
	v_and_b32_e32 v3, 3, v3
	v_cmp_eq_u32_e32 vcc, 0, v7
	v_cndmask_b32_e32 v7, v7, v8, vcc
	v_cndmask_b32_e32 v3, v6, v3, vcc
	v_mov_b32_e32 v6, 0x37800000
	v_lshlrev_b32_e32 v3, 21, v3
	v_and_b32_e32 v2, 0x80000000, v2
	v_lshl_add_u32 v6, v7, 23, v6
	v_or3_b32 v2, v2, v6, v3
	v_cvt_f64_f32_e32 v[2:3], v2
.LBB86_1435:
	s_or_b64 exec, exec, s[24:25]
	s_mov_b64 s[22:23], 0
	s_branch .LBB86_1439
.LBB86_1436:
	s_mov_b64 s[22:23], -1
                                        ; implicit-def: $vgpr2_vgpr3
	s_branch .LBB86_1445
.LBB86_1437:
	s_mov_b64 s[22:23], -1
                                        ; implicit-def: $vgpr2_vgpr3
	s_branch .LBB86_1442
.LBB86_1438:
	s_mov_b64 s[22:23], -1
                                        ; implicit-def: $vgpr2_vgpr3
.LBB86_1439:
	s_and_b64 vcc, exec, s[22:23]
	s_cbranch_vccz .LBB86_1441
; %bb.1440:
	global_load_ubyte v2, v[0:1], off
	s_mov_b32 s22, 0x7f800000
	s_waitcnt vmcnt(0)
	v_lshlrev_b32_e32 v2, 24, v2
	v_and_b32_e32 v3, 0x7f000000, v2
	v_ffbh_u32_e32 v6, v3
	v_min_u32_e32 v6, 32, v6
	v_sub_u32_e64 v6, v6, 4 clamp
	v_lshlrev_b32_e32 v8, v6, v3
	v_lshlrev_b32_e32 v6, 23, v6
	v_lshrrev_b32_e32 v8, 4, v8
	v_add_u32_e32 v7, 0x1000000, v3
	v_sub_u32_e32 v6, v8, v6
	v_ashrrev_i32_e32 v7, 8, v7
	v_add_u32_e32 v6, 0x3c000000, v6
	v_and_or_b32 v6, v7, s22, v6
	v_cmp_ne_u32_e32 vcc, 0, v3
	v_cndmask_b32_e32 v3, 0, v6, vcc
	s_brev_b32 s22, 1
	v_and_or_b32 v2, v2, s22, v3
	v_cvt_f64_f32_e32 v[2:3], v2
.LBB86_1441:
	s_mov_b64 s[22:23], 0
.LBB86_1442:
	s_andn2_b64 vcc, exec, s[22:23]
	s_cbranch_vccnz .LBB86_1444
; %bb.1443:
	global_load_ubyte v2, v[0:1], off
	s_movk_i32 s22, 0x7f00
	s_brev_b32 s23, 16
	s_waitcnt vmcnt(0)
	v_lshlrev_b16_e32 v3, 8, v2
	v_lshlrev_b32_e32 v2, 25, v2
	v_lshrrev_b32_e32 v6, 4, v2
	v_and_or_b32 v7, v3, s22, 0.5
	v_or_b32_e32 v6, 0x70000000, v6
	v_add_f32_e32 v7, -0.5, v7
	v_mul_f32_e32 v6, 0x7800000, v6
	v_cmp_gt_u32_e32 vcc, s23, v2
	v_bfe_i32 v3, v3, 0, 16
	v_cndmask_b32_e32 v2, v6, v7, vcc
	s_brev_b32 s22, 1
	v_and_or_b32 v2, v3, s22, v2
	v_cvt_f64_f32_e32 v[2:3], v2
.LBB86_1444:
	s_mov_b64 s[22:23], 0
	s_mov_b64 s[24:25], -1
.LBB86_1445:
	s_andn2_b64 vcc, exec, s[22:23]
	s_mov_b64 s[22:23], 0
	s_cbranch_vccnz .LBB86_1454
; %bb.1446:
	s_cmp_gt_i32 s15, 14
	s_cbranch_scc0 .LBB86_1449
; %bb.1447:
	s_cmp_eq_u32 s15, 15
	s_cbranch_scc0 .LBB86_1450
; %bb.1448:
	global_load_ushort v2, v[0:1], off
	s_mov_b64 s[0:1], 0
	s_mov_b64 s[24:25], -1
	s_waitcnt vmcnt(0)
	v_lshlrev_b32_e32 v2, 16, v2
	v_cvt_f64_f32_e32 v[2:3], v2
	s_branch .LBB86_1451
.LBB86_1449:
	s_mov_b64 s[26:27], -1
                                        ; implicit-def: $vgpr2_vgpr3
	s_branch .LBB86_1452
.LBB86_1450:
	s_mov_b64 s[0:1], -1
                                        ; implicit-def: $vgpr2_vgpr3
.LBB86_1451:
	s_mov_b64 s[26:27], 0
.LBB86_1452:
	s_and_b64 vcc, exec, s[26:27]
	s_cbranch_vccz .LBB86_1454
; %bb.1453:
	s_cmp_lg_u32 s15, 11
	s_mov_b64 s[22:23], -1
	s_cselect_b64 s[0:1], -1, 0
.LBB86_1454:
	s_and_b64 vcc, exec, s[0:1]
	s_cbranch_vccnz .LBB86_1533
; %bb.1455:
	s_andn2_b64 vcc, exec, s[22:23]
	s_cbranch_vccnz .LBB86_1457
.LBB86_1456:
	global_load_ubyte v3, v[0:1], off
	v_mov_b32_e32 v6, 0x3ff00000
	v_mov_b32_e32 v2, 0
	s_mov_b64 s[24:25], -1
	s_waitcnt vmcnt(0)
	v_cmp_ne_u16_e32 vcc, 0, v3
	v_cndmask_b32_e32 v3, 0, v6, vcc
.LBB86_1457:
	s_branch .LBB86_1385
.LBB86_1458:
	s_cmp_lt_i32 s15, 5
	s_cbranch_scc1 .LBB86_1463
; %bb.1459:
	s_cmp_lt_i32 s15, 8
	s_cbranch_scc1 .LBB86_1464
; %bb.1460:
	;; [unrolled: 3-line block ×3, first 2 shown]
	s_cmp_gt_i32 s15, 9
	s_cbranch_scc0 .LBB86_1466
; %bb.1462:
	global_load_dwordx2 v[2:3], v[0:1], off
	s_mov_b64 s[0:1], 0
	s_branch .LBB86_1467
.LBB86_1463:
	s_mov_b64 s[0:1], -1
                                        ; implicit-def: $vgpr2_vgpr3
	s_branch .LBB86_1485
.LBB86_1464:
	s_mov_b64 s[0:1], -1
                                        ; implicit-def: $vgpr2_vgpr3
	s_branch .LBB86_1473
.LBB86_1465:
	s_mov_b64 s[0:1], -1
                                        ; implicit-def: $vgpr2_vgpr3
	s_branch .LBB86_1470
.LBB86_1466:
	s_mov_b64 s[0:1], -1
                                        ; implicit-def: $vgpr2_vgpr3
.LBB86_1467:
	s_andn2_b64 vcc, exec, s[0:1]
	s_cbranch_vccnz .LBB86_1469
; %bb.1468:
	global_load_dword v2, v[0:1], off
	s_waitcnt vmcnt(0)
	v_cvt_f64_f32_e32 v[2:3], v2
.LBB86_1469:
	s_mov_b64 s[0:1], 0
.LBB86_1470:
	s_andn2_b64 vcc, exec, s[0:1]
	s_cbranch_vccnz .LBB86_1472
; %bb.1471:
	global_load_dword v2, v[0:1], off
	s_waitcnt vmcnt(0)
	v_cvt_f32_f16_e32 v2, v2
	v_cvt_f64_f32_e32 v[2:3], v2
.LBB86_1472:
	s_mov_b64 s[0:1], 0
.LBB86_1473:
	s_andn2_b64 vcc, exec, s[0:1]
	s_cbranch_vccnz .LBB86_1484
; %bb.1474:
	s_cmp_lt_i32 s15, 6
	s_cbranch_scc1 .LBB86_1477
; %bb.1475:
	s_cmp_gt_i32 s15, 6
	s_cbranch_scc0 .LBB86_1478
; %bb.1476:
	global_load_dwordx2 v[2:3], v[0:1], off
	s_mov_b64 s[0:1], 0
	s_branch .LBB86_1479
.LBB86_1477:
	s_mov_b64 s[0:1], -1
                                        ; implicit-def: $vgpr2_vgpr3
	s_branch .LBB86_1482
.LBB86_1478:
	s_mov_b64 s[0:1], -1
                                        ; implicit-def: $vgpr2_vgpr3
.LBB86_1479:
	s_andn2_b64 vcc, exec, s[0:1]
	s_cbranch_vccnz .LBB86_1481
; %bb.1480:
	global_load_dword v2, v[0:1], off
	s_waitcnt vmcnt(0)
	v_cvt_f64_f32_e32 v[2:3], v2
.LBB86_1481:
	s_mov_b64 s[0:1], 0
.LBB86_1482:
	s_andn2_b64 vcc, exec, s[0:1]
	s_cbranch_vccnz .LBB86_1484
; %bb.1483:
	global_load_ushort v2, v[0:1], off
	s_waitcnt vmcnt(0)
	v_cvt_f32_f16_e32 v2, v2
	v_cvt_f64_f32_e32 v[2:3], v2
.LBB86_1484:
	s_mov_b64 s[0:1], 0
.LBB86_1485:
	s_andn2_b64 vcc, exec, s[0:1]
	s_cbranch_vccnz .LBB86_1505
; %bb.1486:
	s_cmp_lt_i32 s15, 2
	s_cbranch_scc1 .LBB86_1490
; %bb.1487:
	s_cmp_lt_i32 s15, 3
	s_cbranch_scc1 .LBB86_1491
; %bb.1488:
	s_cmp_gt_i32 s15, 3
	s_cbranch_scc0 .LBB86_1492
; %bb.1489:
	global_load_dwordx2 v[2:3], v[0:1], off
	s_mov_b64 s[0:1], 0
	s_waitcnt vmcnt(0)
	v_cvt_f64_i32_e32 v[6:7], v3
	v_cvt_f64_u32_e32 v[2:3], v2
	v_ldexp_f64 v[6:7], v[6:7], 32
	v_add_f64 v[2:3], v[6:7], v[2:3]
	s_branch .LBB86_1493
.LBB86_1490:
	s_mov_b64 s[0:1], -1
                                        ; implicit-def: $vgpr2_vgpr3
	s_branch .LBB86_1499
.LBB86_1491:
	s_mov_b64 s[0:1], -1
                                        ; implicit-def: $vgpr2_vgpr3
	s_branch .LBB86_1496
.LBB86_1492:
	s_mov_b64 s[0:1], -1
                                        ; implicit-def: $vgpr2_vgpr3
.LBB86_1493:
	s_andn2_b64 vcc, exec, s[0:1]
	s_cbranch_vccnz .LBB86_1495
; %bb.1494:
	global_load_dword v2, v[0:1], off
	s_waitcnt vmcnt(0)
	v_cvt_f64_i32_e32 v[2:3], v2
.LBB86_1495:
	s_mov_b64 s[0:1], 0
.LBB86_1496:
	s_andn2_b64 vcc, exec, s[0:1]
	s_cbranch_vccnz .LBB86_1498
; %bb.1497:
	global_load_sshort v2, v[0:1], off
	s_waitcnt vmcnt(0)
	v_cvt_f64_i32_e32 v[2:3], v2
.LBB86_1498:
	s_mov_b64 s[0:1], 0
.LBB86_1499:
	s_andn2_b64 vcc, exec, s[0:1]
	s_cbranch_vccnz .LBB86_1505
; %bb.1500:
	s_cmp_gt_i32 s15, 0
	s_cbranch_scc0 .LBB86_1502
; %bb.1501:
	global_load_sbyte v2, v[0:1], off
	s_mov_b64 s[0:1], 0
	s_waitcnt vmcnt(0)
	v_cvt_f64_i32_e32 v[2:3], v2
	s_branch .LBB86_1503
.LBB86_1502:
	s_mov_b64 s[0:1], -1
                                        ; implicit-def: $vgpr2_vgpr3
.LBB86_1503:
	s_andn2_b64 vcc, exec, s[0:1]
	s_cbranch_vccnz .LBB86_1505
; %bb.1504:
	global_load_ubyte v0, v[0:1], off
	s_waitcnt vmcnt(0)
	v_cvt_f64_u32_e32 v[2:3], v0
.LBB86_1505:
.LBB86_1506:
	s_cmp_lt_i32 s14, 1
	s_mov_b64 s[0:1], 0
	s_cbranch_scc1 .LBB86_1510
; %bb.1507:
	s_cmp_gt_i32 s14, 1
	s_cbranch_scc0 .LBB86_1513
; %bb.1508:
	s_cmp_eq_u32 s14, 2
	s_cbranch_scc0 .LBB86_1514
; %bb.1509:
	s_waitcnt vmcnt(0)
	v_cmp_ge_f64_e64 s[22:23], s[2:3], v[2:3]
	s_mov_b64 s[24:25], 0
	s_branch .LBB86_1515
.LBB86_1510:
                                        ; implicit-def: $sgpr22_sgpr23
	s_mov_b64 s[24:25], 0
	s_cbranch_execnz .LBB86_1519
.LBB86_1511:
	s_andn2_b64 vcc, exec, s[24:25]
	s_cbranch_vccnz .LBB86_1520
.LBB86_1512:
	s_waitcnt vmcnt(0)
	v_cmp_gt_f64_e32 vcc, s[2:3], v[2:3]
	s_andn2_b64 s[22:23], s[22:23], exec
	s_and_b64 s[24:25], vcc, exec
	s_or_b64 s[22:23], s[22:23], s[24:25]
	s_cbranch_execz .LBB86_1521
	s_branch .LBB86_1522
.LBB86_1513:
	s_mov_b64 s[26:27], -1
	s_mov_b64 s[24:25], 0
                                        ; implicit-def: $sgpr22_sgpr23
	s_branch .LBB86_1516
.LBB86_1514:
	s_mov_b64 s[24:25], -1
                                        ; implicit-def: $sgpr22_sgpr23
.LBB86_1515:
	s_mov_b64 s[26:27], 0
.LBB86_1516:
	s_and_b64 vcc, exec, s[26:27]
	s_cbranch_vccz .LBB86_1518
; %bb.1517:
	s_waitcnt vmcnt(0)
	v_cmp_lt_f64_e32 vcc, s[2:3], v[2:3]
	s_andn2_b64 s[22:23], s[22:23], exec
	s_and_b64 s[26:27], vcc, exec
	s_or_b64 s[22:23], s[22:23], s[26:27]
.LBB86_1518:
	s_branch .LBB86_1511
.LBB86_1519:
	s_cmp_lg_u32 s14, 0
	s_mov_b64 s[0:1], -1
	s_cselect_b64 s[24:25], -1, 0
	s_andn2_b64 vcc, exec, s[24:25]
	s_cbranch_vccz .LBB86_1512
.LBB86_1520:
	s_andn2_b64 vcc, exec, s[0:1]
	s_cbranch_vccnz .LBB86_1522
.LBB86_1521:
	s_waitcnt vmcnt(0)
	v_cmp_le_f64_e32 vcc, s[2:3], v[2:3]
	s_andn2_b64 s[0:1], s[22:23], exec
	s_and_b64 s[22:23], vcc, exec
	s_or_b64 s[22:23], s[0:1], s[22:23]
.LBB86_1522:
	v_add_u32_e32 v0, s13, v5
	v_ashrrev_i32_e32 v1, 31, v0
	s_waitcnt vmcnt(0)
	v_mov_b32_e32 v2, s11
	v_add_co_u32_e32 v0, vcc, s10, v0
	s_cmp_lt_i32 s15, 11
	v_addc_co_u32_e32 v1, vcc, v2, v1, vcc
	s_cbranch_scc1 .LBB86_1529
; %bb.1523:
	s_cmp_gt_i32 s15, 25
	s_mov_b64 s[10:11], 0
	s_cbranch_scc0 .LBB86_1530
; %bb.1524:
	s_cmp_gt_i32 s15, 28
	s_cbranch_scc0 .LBB86_1531
; %bb.1525:
	s_cmp_gt_i32 s15, 43
	;; [unrolled: 3-line block ×3, first 2 shown]
	s_cbranch_scc0 .LBB86_1534
; %bb.1527:
	s_cmp_eq_u32 s15, 46
	s_mov_b64 s[26:27], 0
	s_cbranch_scc0 .LBB86_1535
; %bb.1528:
	global_load_dword v2, v[0:1], off
	s_mov_b64 s[0:1], 0
	s_mov_b64 s[24:25], -1
	s_waitcnt vmcnt(0)
	v_lshlrev_b32_e32 v2, 16, v2
	v_cvt_f64_f32_e32 v[2:3], v2
	s_branch .LBB86_1536
.LBB86_1529:
	s_mov_b64 s[0:1], -1
	s_mov_b64 s[24:25], 0
                                        ; implicit-def: $vgpr2_vgpr3
	s_branch .LBB86_1602
.LBB86_1530:
	s_mov_b64 s[26:27], -1
	s_mov_b64 s[24:25], 0
	s_mov_b64 s[0:1], 0
                                        ; implicit-def: $vgpr2_vgpr3
	s_branch .LBB86_1567
.LBB86_1531:
	s_mov_b64 s[26:27], -1
	s_mov_b64 s[24:25], 0
	s_mov_b64 s[0:1], 0
                                        ; implicit-def: $vgpr2_vgpr3
	s_branch .LBB86_1546
.LBB86_1532:
	s_mov_b64 s[26:27], -1
	s_mov_b64 s[24:25], 0
	s_mov_b64 s[0:1], 0
                                        ; implicit-def: $vgpr2_vgpr3
	s_branch .LBB86_1541
.LBB86_1533:
	s_trap 2
	s_or_b64 s[18:19], s[18:19], exec
	s_cbranch_execz .LBB86_1456
	s_branch .LBB86_1457
.LBB86_1534:
	s_mov_b64 s[26:27], -1
	s_mov_b64 s[24:25], 0
	s_mov_b64 s[0:1], 0
                                        ; implicit-def: $vgpr2_vgpr3
	s_branch .LBB86_1536
.LBB86_1535:
	s_mov_b64 s[0:1], -1
                                        ; implicit-def: $vgpr2_vgpr3
	s_mov_b64 s[24:25], 0
.LBB86_1536:
	s_and_b64 vcc, exec, s[26:27]
	s_cbranch_vccz .LBB86_1540
; %bb.1537:
	s_cmp_eq_u32 s15, 44
	s_cbranch_scc0 .LBB86_1539
; %bb.1538:
	global_load_ubyte v5, v[0:1], off
	s_movk_i32 s13, 0xff
	v_bfrev_b32_e32 v6, 4
	v_mov_b32_e32 v7, 0x7ff80000
	v_bfrev_b32_e32 v8, 28
	s_mov_b64 s[0:1], 0
	s_mov_b64 s[24:25], -1
	s_waitcnt vmcnt(0)
	v_lshlrev_b32_e32 v2, 23, v5
	v_cvt_f64_f32_e32 v[2:3], v2
	v_cmp_ne_u32_e32 vcc, s13, v5
	v_cndmask_b32_e32 v2, v6, v2, vcc
	v_cndmask_b32_e32 v3, v7, v3, vcc
	v_cmp_ne_u32_e32 vcc, 0, v5
	v_cndmask_b32_e32 v3, v8, v3, vcc
	v_cndmask_b32_e32 v2, 0, v2, vcc
	s_branch .LBB86_1540
.LBB86_1539:
	s_mov_b64 s[0:1], -1
                                        ; implicit-def: $vgpr2_vgpr3
.LBB86_1540:
	s_mov_b64 s[26:27], 0
.LBB86_1541:
	s_and_b64 vcc, exec, s[26:27]
	s_cbranch_vccz .LBB86_1545
; %bb.1542:
	s_cmp_eq_u32 s15, 29
	s_cbranch_scc0 .LBB86_1544
; %bb.1543:
	global_load_dwordx2 v[2:3], v[0:1], off
	s_mov_b64 s[0:1], 0
	s_mov_b64 s[24:25], -1
	s_mov_b64 s[26:27], 0
	s_waitcnt vmcnt(0)
	v_cvt_f64_u32_e32 v[5:6], v3
	v_cvt_f64_u32_e32 v[2:3], v2
	v_ldexp_f64 v[5:6], v[5:6], 32
	v_add_f64 v[2:3], v[5:6], v[2:3]
	s_branch .LBB86_1546
.LBB86_1544:
	s_mov_b64 s[0:1], -1
                                        ; implicit-def: $vgpr2_vgpr3
.LBB86_1545:
	s_mov_b64 s[26:27], 0
.LBB86_1546:
	s_and_b64 vcc, exec, s[26:27]
	s_cbranch_vccz .LBB86_1566
; %bb.1547:
	s_cmp_lt_i32 s15, 27
	s_cbranch_scc1 .LBB86_1550
; %bb.1548:
	s_cmp_gt_i32 s15, 27
	s_cbranch_scc0 .LBB86_1551
; %bb.1549:
	global_load_dword v2, v[0:1], off
	s_mov_b64 s[24:25], 0
	s_waitcnt vmcnt(0)
	v_cvt_f64_u32_e32 v[2:3], v2
	s_branch .LBB86_1552
.LBB86_1550:
	s_mov_b64 s[24:25], -1
                                        ; implicit-def: $vgpr2_vgpr3
	s_branch .LBB86_1555
.LBB86_1551:
	s_mov_b64 s[24:25], -1
                                        ; implicit-def: $vgpr2_vgpr3
.LBB86_1552:
	s_andn2_b64 vcc, exec, s[24:25]
	s_cbranch_vccnz .LBB86_1554
; %bb.1553:
	global_load_ushort v2, v[0:1], off
	s_waitcnt vmcnt(0)
	v_cvt_f64_u32_e32 v[2:3], v2
.LBB86_1554:
	s_mov_b64 s[24:25], 0
.LBB86_1555:
	s_andn2_b64 vcc, exec, s[24:25]
	s_cbranch_vccnz .LBB86_1565
; %bb.1556:
	global_load_ubyte v5, v[0:1], off
	s_movk_i32 s13, 0x7f
	s_mov_b64 s[24:25], 0
	s_waitcnt vmcnt(0)
	v_cmp_lt_i16_e32 vcc, s13, v5
	s_and_saveexec_b64 s[26:27], vcc
	s_xor_b64 s[26:27], exec, s[26:27]
	s_cbranch_execz .LBB86_1560
; %bb.1557:
	s_movk_i32 s13, 0x80
	v_cmp_eq_u16_e32 vcc, s13, v5
	s_mov_b64 s[24:25], -1
	s_and_saveexec_b64 s[28:29], vcc
; %bb.1558:
	s_xor_b64 s[24:25], exec, -1
; %bb.1559:
	s_or_b64 exec, exec, s[28:29]
	s_and_b64 s[24:25], s[24:25], exec
.LBB86_1560:
	s_or_saveexec_b64 s[26:27], s[26:27]
	v_bfrev_b32_e32 v2, 4
	v_mov_b32_e32 v3, 0x7ff80000
	s_xor_b64 exec, exec, s[26:27]
; %bb.1561:
	v_cmp_ne_u16_e32 vcc, 0, v5
	v_mov_b32_e32 v2, 0
	s_andn2_b64 s[24:25], s[24:25], exec
	s_and_b64 s[28:29], vcc, exec
	v_mov_b32_e32 v3, 0
	s_or_b64 s[24:25], s[24:25], s[28:29]
; %bb.1562:
	s_or_b64 exec, exec, s[26:27]
	s_and_saveexec_b64 s[26:27], s[24:25]
	s_cbranch_execz .LBB86_1564
; %bb.1563:
	v_and_b32_e32 v3, 0xffff, v5
	v_lshlrev_b32_e32 v2, 24, v5
	v_and_b32_e32 v5, 7, v3
	v_ffbh_u32_e32 v7, v5
	v_min_u32_e32 v7, 32, v7
	v_subrev_u32_e32 v8, 28, v7
	v_bfe_u32 v6, v3, 3, 4
	v_lshlrev_b32_e32 v3, v8, v3
	v_sub_u32_e32 v7, 29, v7
	v_and_b32_e32 v3, 7, v3
	v_cmp_eq_u32_e32 vcc, 0, v6
	v_cndmask_b32_e32 v6, v6, v7, vcc
	v_cndmask_b32_e32 v3, v5, v3, vcc
	v_mov_b32_e32 v5, 0x3b800000
	v_lshlrev_b32_e32 v3, 20, v3
	v_and_b32_e32 v2, 0x80000000, v2
	v_lshl_add_u32 v5, v6, 23, v5
	v_or3_b32 v2, v2, v5, v3
	v_cvt_f64_f32_e32 v[2:3], v2
.LBB86_1564:
	s_or_b64 exec, exec, s[26:27]
.LBB86_1565:
	s_mov_b64 s[24:25], -1
.LBB86_1566:
	s_mov_b64 s[26:27], 0
.LBB86_1567:
	s_and_b64 vcc, exec, s[26:27]
	s_cbranch_vccz .LBB86_1598
; %bb.1568:
	s_cmp_gt_i32 s15, 22
	s_cbranch_scc0 .LBB86_1580
; %bb.1569:
	s_cmp_lt_i32 s15, 24
	s_cbranch_scc1 .LBB86_1581
; %bb.1570:
	s_cmp_gt_i32 s15, 24
	s_cbranch_scc0 .LBB86_1582
; %bb.1571:
	global_load_ubyte v5, v[0:1], off
	s_movk_i32 s10, 0x7f
	s_waitcnt vmcnt(0)
	v_cmp_lt_i16_e32 vcc, s10, v5
	s_mov_b64 s[10:11], 0
	s_and_saveexec_b64 s[24:25], vcc
	s_xor_b64 s[24:25], exec, s[24:25]
	s_cbranch_execz .LBB86_1575
; %bb.1572:
	s_movk_i32 s10, 0x80
	v_cmp_eq_u16_e32 vcc, s10, v5
	s_mov_b64 s[10:11], -1
	s_and_saveexec_b64 s[26:27], vcc
; %bb.1573:
	s_xor_b64 s[10:11], exec, -1
; %bb.1574:
	s_or_b64 exec, exec, s[26:27]
	s_and_b64 s[10:11], s[10:11], exec
.LBB86_1575:
	s_or_saveexec_b64 s[24:25], s[24:25]
	v_bfrev_b32_e32 v2, 4
	v_mov_b32_e32 v3, 0x7ff80000
	s_xor_b64 exec, exec, s[24:25]
; %bb.1576:
	v_cmp_ne_u16_e32 vcc, 0, v5
	v_mov_b32_e32 v2, 0
	s_andn2_b64 s[10:11], s[10:11], exec
	s_and_b64 s[26:27], vcc, exec
	v_mov_b32_e32 v3, 0
	s_or_b64 s[10:11], s[10:11], s[26:27]
; %bb.1577:
	s_or_b64 exec, exec, s[24:25]
	s_and_saveexec_b64 s[24:25], s[10:11]
	s_cbranch_execz .LBB86_1579
; %bb.1578:
	v_and_b32_e32 v3, 0xffff, v5
	v_lshlrev_b32_e32 v2, 24, v5
	v_and_b32_e32 v5, 3, v3
	v_ffbh_u32_e32 v7, v5
	v_min_u32_e32 v7, 32, v7
	v_subrev_u32_e32 v8, 29, v7
	v_bfe_u32 v6, v3, 2, 5
	v_lshlrev_b32_e32 v3, v8, v3
	v_sub_u32_e32 v7, 30, v7
	v_and_b32_e32 v3, 3, v3
	v_cmp_eq_u32_e32 vcc, 0, v6
	v_cndmask_b32_e32 v6, v6, v7, vcc
	v_cndmask_b32_e32 v3, v5, v3, vcc
	v_mov_b32_e32 v5, 0x37800000
	v_lshlrev_b32_e32 v3, 21, v3
	v_and_b32_e32 v2, 0x80000000, v2
	v_lshl_add_u32 v5, v6, 23, v5
	v_or3_b32 v2, v2, v5, v3
	v_cvt_f64_f32_e32 v[2:3], v2
.LBB86_1579:
	s_or_b64 exec, exec, s[24:25]
	s_mov_b64 s[10:11], 0
	s_branch .LBB86_1583
.LBB86_1580:
	s_mov_b64 s[10:11], -1
                                        ; implicit-def: $vgpr2_vgpr3
	s_branch .LBB86_1589
.LBB86_1581:
	s_mov_b64 s[10:11], -1
                                        ; implicit-def: $vgpr2_vgpr3
	s_branch .LBB86_1586
.LBB86_1582:
	s_mov_b64 s[10:11], -1
                                        ; implicit-def: $vgpr2_vgpr3
.LBB86_1583:
	s_and_b64 vcc, exec, s[10:11]
	s_cbranch_vccz .LBB86_1585
; %bb.1584:
	global_load_ubyte v2, v[0:1], off
	s_mov_b32 s10, 0x7f800000
	s_waitcnt vmcnt(0)
	v_lshlrev_b32_e32 v2, 24, v2
	v_and_b32_e32 v3, 0x7f000000, v2
	v_ffbh_u32_e32 v5, v3
	v_min_u32_e32 v5, 32, v5
	v_sub_u32_e64 v5, v5, 4 clamp
	v_lshlrev_b32_e32 v7, v5, v3
	v_lshlrev_b32_e32 v5, 23, v5
	v_lshrrev_b32_e32 v7, 4, v7
	v_add_u32_e32 v6, 0x1000000, v3
	v_sub_u32_e32 v5, v7, v5
	v_ashrrev_i32_e32 v6, 8, v6
	v_add_u32_e32 v5, 0x3c000000, v5
	v_and_or_b32 v5, v6, s10, v5
	v_cmp_ne_u32_e32 vcc, 0, v3
	v_cndmask_b32_e32 v3, 0, v5, vcc
	s_brev_b32 s10, 1
	v_and_or_b32 v2, v2, s10, v3
	v_cvt_f64_f32_e32 v[2:3], v2
.LBB86_1585:
	s_mov_b64 s[10:11], 0
.LBB86_1586:
	s_andn2_b64 vcc, exec, s[10:11]
	s_cbranch_vccnz .LBB86_1588
; %bb.1587:
	global_load_ubyte v2, v[0:1], off
	s_movk_i32 s10, 0x7f00
	s_brev_b32 s11, 16
	s_waitcnt vmcnt(0)
	v_lshlrev_b16_e32 v3, 8, v2
	v_lshlrev_b32_e32 v2, 25, v2
	v_lshrrev_b32_e32 v5, 4, v2
	v_and_or_b32 v6, v3, s10, 0.5
	v_or_b32_e32 v5, 0x70000000, v5
	v_add_f32_e32 v6, -0.5, v6
	v_mul_f32_e32 v5, 0x7800000, v5
	v_cmp_gt_u32_e32 vcc, s11, v2
	v_bfe_i32 v3, v3, 0, 16
	v_cndmask_b32_e32 v2, v5, v6, vcc
	s_brev_b32 s10, 1
	v_and_or_b32 v2, v3, s10, v2
	v_cvt_f64_f32_e32 v[2:3], v2
.LBB86_1588:
	s_mov_b64 s[10:11], 0
	s_mov_b64 s[24:25], -1
.LBB86_1589:
	s_andn2_b64 vcc, exec, s[10:11]
	s_mov_b64 s[10:11], 0
	s_cbranch_vccnz .LBB86_1598
; %bb.1590:
	s_cmp_gt_i32 s15, 14
	s_cbranch_scc0 .LBB86_1593
; %bb.1591:
	s_cmp_eq_u32 s15, 15
	s_cbranch_scc0 .LBB86_1594
; %bb.1592:
	global_load_ushort v2, v[0:1], off
	s_mov_b64 s[0:1], 0
	s_mov_b64 s[24:25], -1
	s_waitcnt vmcnt(0)
	v_lshlrev_b32_e32 v2, 16, v2
	v_cvt_f64_f32_e32 v[2:3], v2
	s_branch .LBB86_1595
.LBB86_1593:
	s_mov_b64 s[26:27], -1
                                        ; implicit-def: $vgpr2_vgpr3
	s_branch .LBB86_1596
.LBB86_1594:
	s_mov_b64 s[0:1], -1
                                        ; implicit-def: $vgpr2_vgpr3
.LBB86_1595:
	s_mov_b64 s[26:27], 0
.LBB86_1596:
	s_and_b64 vcc, exec, s[26:27]
	s_cbranch_vccz .LBB86_1598
; %bb.1597:
	s_cmp_lg_u32 s15, 11
	s_mov_b64 s[10:11], -1
	s_cselect_b64 s[0:1], -1, 0
.LBB86_1598:
	s_and_b64 vcc, exec, s[0:1]
	s_cbranch_vccnz .LBB86_2150
; %bb.1599:
	s_andn2_b64 vcc, exec, s[10:11]
	s_cbranch_vccnz .LBB86_1601
.LBB86_1600:
	global_load_ubyte v3, v[0:1], off
	v_mov_b32_e32 v5, 0x3ff00000
	v_mov_b32_e32 v2, 0
	s_mov_b64 s[24:25], -1
	s_waitcnt vmcnt(0)
	v_cmp_ne_u16_e32 vcc, 0, v3
	v_cndmask_b32_e32 v3, 0, v5, vcc
.LBB86_1601:
	s_mov_b64 s[0:1], 0
.LBB86_1602:
	s_and_b64 vcc, exec, s[0:1]
	s_cbranch_vccz .LBB86_1651
; %bb.1603:
	s_cmp_lt_i32 s15, 5
	s_cbranch_scc1 .LBB86_1608
; %bb.1604:
	s_cmp_lt_i32 s15, 8
	s_cbranch_scc1 .LBB86_1609
	;; [unrolled: 3-line block ×3, first 2 shown]
; %bb.1606:
	s_cmp_gt_i32 s15, 9
	s_cbranch_scc0 .LBB86_1611
; %bb.1607:
	global_load_dwordx2 v[2:3], v[0:1], off
	s_mov_b64 s[0:1], 0
	s_branch .LBB86_1612
.LBB86_1608:
	s_mov_b64 s[0:1], -1
                                        ; implicit-def: $vgpr2_vgpr3
	s_branch .LBB86_1630
.LBB86_1609:
	s_mov_b64 s[0:1], -1
                                        ; implicit-def: $vgpr2_vgpr3
	s_branch .LBB86_1618
.LBB86_1610:
	s_mov_b64 s[0:1], -1
                                        ; implicit-def: $vgpr2_vgpr3
	s_branch .LBB86_1615
.LBB86_1611:
	s_mov_b64 s[0:1], -1
                                        ; implicit-def: $vgpr2_vgpr3
.LBB86_1612:
	s_andn2_b64 vcc, exec, s[0:1]
	s_cbranch_vccnz .LBB86_1614
; %bb.1613:
	global_load_dword v2, v[0:1], off
	s_waitcnt vmcnt(0)
	v_cvt_f64_f32_e32 v[2:3], v2
.LBB86_1614:
	s_mov_b64 s[0:1], 0
.LBB86_1615:
	s_andn2_b64 vcc, exec, s[0:1]
	s_cbranch_vccnz .LBB86_1617
; %bb.1616:
	global_load_dword v2, v[0:1], off
	s_waitcnt vmcnt(0)
	v_cvt_f32_f16_e32 v2, v2
	v_cvt_f64_f32_e32 v[2:3], v2
.LBB86_1617:
	s_mov_b64 s[0:1], 0
.LBB86_1618:
	s_andn2_b64 vcc, exec, s[0:1]
	s_cbranch_vccnz .LBB86_1629
; %bb.1619:
	s_cmp_lt_i32 s15, 6
	s_cbranch_scc1 .LBB86_1622
; %bb.1620:
	s_cmp_gt_i32 s15, 6
	s_cbranch_scc0 .LBB86_1623
; %bb.1621:
	global_load_dwordx2 v[2:3], v[0:1], off
	s_mov_b64 s[0:1], 0
	s_branch .LBB86_1624
.LBB86_1622:
	s_mov_b64 s[0:1], -1
                                        ; implicit-def: $vgpr2_vgpr3
	s_branch .LBB86_1627
.LBB86_1623:
	s_mov_b64 s[0:1], -1
                                        ; implicit-def: $vgpr2_vgpr3
.LBB86_1624:
	s_andn2_b64 vcc, exec, s[0:1]
	s_cbranch_vccnz .LBB86_1626
; %bb.1625:
	global_load_dword v2, v[0:1], off
	s_waitcnt vmcnt(0)
	v_cvt_f64_f32_e32 v[2:3], v2
.LBB86_1626:
	s_mov_b64 s[0:1], 0
.LBB86_1627:
	s_andn2_b64 vcc, exec, s[0:1]
	s_cbranch_vccnz .LBB86_1629
; %bb.1628:
	global_load_ushort v2, v[0:1], off
	s_waitcnt vmcnt(0)
	v_cvt_f32_f16_e32 v2, v2
	v_cvt_f64_f32_e32 v[2:3], v2
.LBB86_1629:
	s_mov_b64 s[0:1], 0
.LBB86_1630:
	s_andn2_b64 vcc, exec, s[0:1]
	s_cbranch_vccnz .LBB86_1650
; %bb.1631:
	s_cmp_lt_i32 s15, 2
	s_cbranch_scc1 .LBB86_1635
; %bb.1632:
	s_cmp_lt_i32 s15, 3
	s_cbranch_scc1 .LBB86_1636
; %bb.1633:
	s_cmp_gt_i32 s15, 3
	s_cbranch_scc0 .LBB86_1637
; %bb.1634:
	global_load_dwordx2 v[2:3], v[0:1], off
	s_mov_b64 s[0:1], 0
	s_waitcnt vmcnt(0)
	v_cvt_f64_i32_e32 v[5:6], v3
	v_cvt_f64_u32_e32 v[2:3], v2
	v_ldexp_f64 v[5:6], v[5:6], 32
	v_add_f64 v[2:3], v[5:6], v[2:3]
	s_branch .LBB86_1638
.LBB86_1635:
	s_mov_b64 s[0:1], -1
                                        ; implicit-def: $vgpr2_vgpr3
	s_branch .LBB86_1644
.LBB86_1636:
	s_mov_b64 s[0:1], -1
                                        ; implicit-def: $vgpr2_vgpr3
	s_branch .LBB86_1641
.LBB86_1637:
	s_mov_b64 s[0:1], -1
                                        ; implicit-def: $vgpr2_vgpr3
.LBB86_1638:
	s_andn2_b64 vcc, exec, s[0:1]
	s_cbranch_vccnz .LBB86_1640
; %bb.1639:
	global_load_dword v2, v[0:1], off
	s_waitcnt vmcnt(0)
	v_cvt_f64_i32_e32 v[2:3], v2
.LBB86_1640:
	s_mov_b64 s[0:1], 0
.LBB86_1641:
	s_andn2_b64 vcc, exec, s[0:1]
	s_cbranch_vccnz .LBB86_1643
; %bb.1642:
	global_load_sshort v2, v[0:1], off
	s_waitcnt vmcnt(0)
	v_cvt_f64_i32_e32 v[2:3], v2
.LBB86_1643:
	s_mov_b64 s[0:1], 0
.LBB86_1644:
	s_andn2_b64 vcc, exec, s[0:1]
	s_cbranch_vccnz .LBB86_1650
; %bb.1645:
	s_cmp_gt_i32 s15, 0
	s_cbranch_scc0 .LBB86_1647
; %bb.1646:
	global_load_sbyte v2, v[0:1], off
	s_mov_b64 s[0:1], 0
	s_waitcnt vmcnt(0)
	v_cvt_f64_i32_e32 v[2:3], v2
	s_branch .LBB86_1648
.LBB86_1647:
	s_mov_b64 s[0:1], -1
                                        ; implicit-def: $vgpr2_vgpr3
.LBB86_1648:
	s_andn2_b64 vcc, exec, s[0:1]
	s_cbranch_vccnz .LBB86_1650
; %bb.1649:
	global_load_ubyte v0, v[0:1], off
	s_waitcnt vmcnt(0)
	v_cvt_f64_u32_e32 v[2:3], v0
.LBB86_1650:
	s_mov_b64 s[24:25], -1
.LBB86_1651:
	s_andn2_b64 vcc, exec, s[24:25]
	s_cbranch_vccnz .LBB86_1656
; %bb.1652:
	s_cmp_lt_i32 s14, 1
	s_mov_b64 s[0:1], 0
	s_cbranch_scc1 .LBB86_1702
; %bb.1653:
	s_cmp_gt_i32 s14, 1
	s_cbranch_scc0 .LBB86_1703
; %bb.1654:
	s_cmp_eq_u32 s14, 2
	s_cbranch_scc0 .LBB86_1704
; %bb.1655:
	s_waitcnt vmcnt(0)
	v_cmp_ge_f64_e64 s[24:25], s[2:3], v[2:3]
	s_mov_b64 s[10:11], 0
	s_branch .LBB86_1705
.LBB86_1656:
	s_mov_b64 s[0:1], 0
                                        ; implicit-def: $sgpr24_sgpr25
.LBB86_1657:
	s_mov_b64 s[2:3], 0
                                        ; implicit-def: $sgpr28
                                        ; implicit-def: $vgpr0_vgpr1
.LBB86_1658:
	s_and_b64 s[4:5], s[2:3], exec
	s_andn2_b64 s[2:3], s[16:17], exec
	s_and_b64 s[8:9], s[18:19], exec
	s_and_b64 s[0:1], s[0:1], exec
	s_or_b64 s[16:17], s[2:3], s[8:9]
.LBB86_1659:
	s_or_b64 exec, exec, s[6:7]
	s_and_saveexec_b64 s[2:3], s[16:17]
	s_cbranch_execz .LBB86_1662
; %bb.1660:
	; divergent unreachable
	s_or_b64 exec, exec, s[2:3]
	s_and_saveexec_b64 s[2:3], s[4:5]
	s_xor_b64 s[2:3], exec, s[2:3]
	s_cbranch_execnz .LBB86_1663
.LBB86_1661:
	s_or_b64 exec, exec, s[2:3]
	s_and_saveexec_b64 s[2:3], s[0:1]
	s_cbranch_execnz .LBB86_1664
	s_branch .LBB86_1701
.LBB86_1662:
	s_or_b64 exec, exec, s[2:3]
	s_and_saveexec_b64 s[2:3], s[4:5]
	s_xor_b64 s[2:3], exec, s[2:3]
	s_cbranch_execz .LBB86_1661
.LBB86_1663:
	s_waitcnt vmcnt(0)
	v_cndmask_b32_e64 v2, 0, 1, s[24:25]
	global_store_byte v[0:1], v2, off
	s_or_b64 exec, exec, s[2:3]
	s_and_saveexec_b64 s[2:3], s[0:1]
	s_cbranch_execz .LBB86_1701
.LBB86_1664:
	s_sext_i32_i16 s2, s28
	s_cmp_lt_i32 s2, 5
	s_mov_b64 s[0:1], -1
	s_cbranch_scc1 .LBB86_1685
; %bb.1665:
	s_cmp_lt_i32 s2, 8
	s_cbranch_scc1 .LBB86_1675
; %bb.1666:
	s_cmp_lt_i32 s2, 9
	s_cbranch_scc1 .LBB86_1672
; %bb.1667:
	s_cmp_gt_i32 s2, 9
	s_cbranch_scc0 .LBB86_1669
; %bb.1668:
	s_waitcnt vmcnt(0)
	v_cndmask_b32_e64 v2, 0, 1, s[24:25]
	v_cvt_f64_u32_e32 v[2:3], v2
	v_mov_b32_e32 v4, 0
	v_mov_b32_e32 v5, v4
	s_mov_b64 s[0:1], 0
	global_store_dwordx4 v[0:1], v[2:5], off
.LBB86_1669:
	s_andn2_b64 vcc, exec, s[0:1]
	s_cbranch_vccnz .LBB86_1671
; %bb.1670:
	s_waitcnt vmcnt(0)
	v_cndmask_b32_e64 v2, 0, 1.0, s[24:25]
	v_mov_b32_e32 v3, 0
	global_store_dwordx2 v[0:1], v[2:3], off
.LBB86_1671:
	s_mov_b64 s[0:1], 0
.LBB86_1672:
	s_andn2_b64 vcc, exec, s[0:1]
	s_cbranch_vccnz .LBB86_1674
; %bb.1673:
	s_waitcnt vmcnt(0)
	v_cndmask_b32_e64 v2, 0, 1.0, s[24:25]
	v_cvt_f16_f32_e32 v2, v2
	global_store_dword v[0:1], v2, off
.LBB86_1674:
	s_mov_b64 s[0:1], 0
.LBB86_1675:
	s_andn2_b64 vcc, exec, s[0:1]
	s_cbranch_vccnz .LBB86_1684
; %bb.1676:
	s_sext_i32_i16 s2, s28
	s_cmp_lt_i32 s2, 6
	s_mov_b64 s[0:1], -1
	s_cbranch_scc1 .LBB86_1682
; %bb.1677:
	s_cmp_gt_i32 s2, 6
	s_cbranch_scc0 .LBB86_1679
; %bb.1678:
	s_waitcnt vmcnt(0)
	v_cndmask_b32_e64 v2, 0, 1, s[24:25]
	v_cvt_f64_u32_e32 v[2:3], v2
	s_mov_b64 s[0:1], 0
	global_store_dwordx2 v[0:1], v[2:3], off
.LBB86_1679:
	s_andn2_b64 vcc, exec, s[0:1]
	s_cbranch_vccnz .LBB86_1681
; %bb.1680:
	s_waitcnt vmcnt(0)
	v_cndmask_b32_e64 v2, 0, 1.0, s[24:25]
	global_store_dword v[0:1], v2, off
.LBB86_1681:
	s_mov_b64 s[0:1], 0
.LBB86_1682:
	s_andn2_b64 vcc, exec, s[0:1]
	s_cbranch_vccnz .LBB86_1684
; %bb.1683:
	s_waitcnt vmcnt(0)
	v_cndmask_b32_e64 v2, 0, 1.0, s[24:25]
	v_cvt_f16_f32_e32 v2, v2
	global_store_short v[0:1], v2, off
.LBB86_1684:
	s_mov_b64 s[0:1], 0
.LBB86_1685:
	s_andn2_b64 vcc, exec, s[0:1]
	s_cbranch_vccnz .LBB86_1701
; %bb.1686:
	s_sext_i32_i16 s2, s28
	s_cmp_lt_i32 s2, 2
	s_mov_b64 s[0:1], -1
	s_cbranch_scc1 .LBB86_1696
; %bb.1687:
	s_cmp_lt_i32 s2, 3
	s_cbranch_scc1 .LBB86_1693
; %bb.1688:
	s_cmp_gt_i32 s2, 3
	s_cbranch_scc0 .LBB86_1690
; %bb.1689:
	s_mov_b32 s0, 0
	s_waitcnt vmcnt(0)
	v_cndmask_b32_e64 v2, 0, 1, s[24:25]
	v_mov_b32_e32 v3, s0
	global_store_dwordx2 v[0:1], v[2:3], off
	s_mov_b64 s[0:1], 0
.LBB86_1690:
	s_andn2_b64 vcc, exec, s[0:1]
	s_cbranch_vccnz .LBB86_1692
; %bb.1691:
	s_waitcnt vmcnt(0)
	v_cndmask_b32_e64 v2, 0, 1, s[24:25]
	global_store_dword v[0:1], v2, off
.LBB86_1692:
	s_mov_b64 s[0:1], 0
.LBB86_1693:
	s_andn2_b64 vcc, exec, s[0:1]
	s_cbranch_vccnz .LBB86_1695
; %bb.1694:
	s_waitcnt vmcnt(0)
	v_cndmask_b32_e64 v2, 0, 1, s[24:25]
	global_store_short v[0:1], v2, off
.LBB86_1695:
	s_mov_b64 s[0:1], 0
.LBB86_1696:
	s_andn2_b64 vcc, exec, s[0:1]
	s_cbranch_vccnz .LBB86_1701
; %bb.1697:
	s_sext_i32_i16 s2, s28
	s_mov_b64 s[0:1], -1
	s_cmp_gt_i32 s2, 0
	s_waitcnt vmcnt(0)
	v_cndmask_b32_e64 v2, 0, 1, s[24:25]
	s_cbranch_scc0 .LBB86_1699
; %bb.1698:
	global_store_byte v[0:1], v2, off
	s_mov_b64 s[0:1], 0
.LBB86_1699:
	s_andn2_b64 vcc, exec, s[0:1]
	s_cbranch_vccnz .LBB86_1701
; %bb.1700:
	global_store_byte v[0:1], v2, off
	s_endpgm
.LBB86_1701:
	s_endpgm
.LBB86_1702:
	s_mov_b64 s[26:27], -1
                                        ; implicit-def: $sgpr24_sgpr25
	s_mov_b64 s[10:11], 0
	s_branch .LBB86_1709
.LBB86_1703:
	s_mov_b64 s[26:27], -1
	s_mov_b64 s[10:11], 0
                                        ; implicit-def: $sgpr24_sgpr25
	s_branch .LBB86_1706
.LBB86_1704:
	s_mov_b64 s[10:11], -1
                                        ; implicit-def: $sgpr24_sgpr25
.LBB86_1705:
	s_mov_b64 s[26:27], 0
.LBB86_1706:
	s_and_b64 vcc, exec, s[26:27]
	s_cbranch_vccz .LBB86_1708
; %bb.1707:
	s_waitcnt vmcnt(0)
	v_cmp_lt_f64_e32 vcc, s[2:3], v[2:3]
	s_andn2_b64 s[24:25], s[24:25], exec
	s_and_b64 s[26:27], vcc, exec
	s_or_b64 s[24:25], s[24:25], s[26:27]
.LBB86_1708:
	s_mov_b64 s[26:27], 0
.LBB86_1709:
	s_and_b64 vcc, exec, s[26:27]
	s_cbranch_vccz .LBB86_1791
; %bb.1710:
	s_cmp_lg_u32 s14, 0
	s_mov_b64 s[0:1], -1
	s_cselect_b64 s[10:11], -1, 0
	s_andn2_b64 vcc, exec, s[10:11]
	s_cbranch_vccz .LBB86_1792
.LBB86_1711:
	s_andn2_b64 vcc, exec, s[0:1]
	s_cbranch_vccnz .LBB86_1713
.LBB86_1712:
	s_waitcnt vmcnt(0)
	v_cmp_le_f64_e32 vcc, s[2:3], v[2:3]
	s_andn2_b64 s[0:1], s[24:25], exec
	s_and_b64 s[2:3], vcc, exec
	s_or_b64 s[24:25], s[0:1], s[2:3]
.LBB86_1713:
	s_waitcnt vmcnt(0)
	v_mul_lo_u32 v2, s12, v4
	v_mov_b32_e32 v1, s9
	s_and_b32 s28, s33, 0xff
	s_cmp_lt_i32 s28, 11
	v_ashrrev_i32_e32 v3, 31, v2
	v_add_co_u32_e32 v0, vcc, s8, v2
	v_addc_co_u32_e32 v1, vcc, v1, v3, vcc
	s_cbranch_scc1 .LBB86_1793
; %bb.1714:
	s_and_b32 s13, 0xffff, s28
	s_mov_b64 s[14:15], -1
	s_mov_b64 s[2:3], 0
	s_cmp_gt_i32 s13, 25
	s_mov_b64 s[10:11], 0
	s_mov_b64 s[0:1], 0
	s_cbranch_scc0 .LBB86_1747
; %bb.1715:
	s_cmp_gt_i32 s13, 28
	s_cbranch_scc0 .LBB86_1730
; %bb.1716:
	s_cmp_gt_i32 s13, 43
	;; [unrolled: 3-line block ×3, first 2 shown]
	s_cbranch_scc0 .LBB86_1720
; %bb.1718:
	s_mov_b64 s[0:1], -1
	s_mov_b64 s[14:15], 0
	s_cmp_eq_u32 s13, 46
	s_cbranch_scc0 .LBB86_1720
; %bb.1719:
	v_cndmask_b32_e64 v3, 0, 1.0, s[4:5]
	v_bfe_u32 v4, v3, 16, 1
	s_movk_i32 s0, 0x7fff
	v_add3_u32 v3, v3, v4, s0
	v_lshrrev_b32_e32 v3, 16, v3
	global_store_dword v[0:1], v3, off
	s_mov_b64 s[0:1], 0
	s_mov_b64 s[10:11], -1
.LBB86_1720:
	s_and_b64 vcc, exec, s[14:15]
	s_cbranch_vccz .LBB86_1725
; %bb.1721:
	s_cmp_eq_u32 s13, 44
	s_mov_b64 s[0:1], -1
	s_cbranch_scc0 .LBB86_1725
; %bb.1722:
	v_cndmask_b32_e64 v4, 0, 1.0, s[4:5]
	v_lshrrev_b32_e32 v3, 23, v4
	s_movk_i32 s0, 0xff
	v_cmp_ne_u32_e32 vcc, s0, v3
	v_mov_b32_e32 v5, 0xff
	s_and_saveexec_b64 s[10:11], vcc
; %bb.1723:
	s_mov_b32 s0, 0x3fffff
	v_and_b32_e32 v5, 0x400000, v4
	v_and_or_b32 v4, v4, s0, v3
	v_cmp_ne_u32_e32 vcc, 0, v5
	v_cmp_ne_u32_e64 s[0:1], 0, v4
	s_and_b64 s[0:1], vcc, s[0:1]
	v_cndmask_b32_e64 v4, 0, 1, s[0:1]
	v_add_u32_e32 v5, v3, v4
; %bb.1724:
	s_or_b64 exec, exec, s[10:11]
	s_mov_b64 s[0:1], 0
	s_mov_b64 s[10:11], -1
	global_store_byte v[0:1], v5, off
.LBB86_1725:
	s_mov_b64 s[14:15], 0
.LBB86_1726:
	s_and_b64 vcc, exec, s[14:15]
	s_cbranch_vccz .LBB86_1729
; %bb.1727:
	s_cmp_eq_u32 s13, 29
	s_mov_b64 s[0:1], -1
	s_cbranch_scc0 .LBB86_1729
; %bb.1728:
	s_mov_b32 s0, 0
	v_cndmask_b32_e64 v3, 0, 1, s[4:5]
	v_mov_b32_e32 v4, s0
	global_store_dwordx2 v[0:1], v[3:4], off
	s_mov_b64 s[0:1], 0
	s_mov_b64 s[10:11], -1
.LBB86_1729:
	s_mov_b64 s[14:15], 0
.LBB86_1730:
	s_and_b64 vcc, exec, s[14:15]
	s_cbranch_vccz .LBB86_1746
; %bb.1731:
	s_cmp_lt_i32 s13, 27
	s_mov_b64 s[10:11], -1
	s_cbranch_scc1 .LBB86_1737
; %bb.1732:
	s_cmp_gt_i32 s13, 27
	s_cbranch_scc0 .LBB86_1734
; %bb.1733:
	v_cndmask_b32_e64 v3, 0, 1, s[4:5]
	s_mov_b64 s[10:11], 0
	global_store_dword v[0:1], v3, off
.LBB86_1734:
	s_andn2_b64 vcc, exec, s[10:11]
	s_cbranch_vccnz .LBB86_1736
; %bb.1735:
	v_cndmask_b32_e64 v3, 0, 1, s[4:5]
	global_store_short v[0:1], v3, off
.LBB86_1736:
	s_mov_b64 s[10:11], 0
.LBB86_1737:
	s_andn2_b64 vcc, exec, s[10:11]
	s_cbranch_vccnz .LBB86_1745
; %bb.1738:
	v_cndmask_b32_e64 v4, 0, 1.0, s[4:5]
	s_mov_b32 s10, 0x43800000
	v_cmp_gt_u32_e32 vcc, s10, v4
	v_mov_b32_e32 v5, 0x80
	s_and_saveexec_b64 s[10:11], vcc
	s_cbranch_execz .LBB86_1744
; %bb.1739:
	s_mov_b32 s14, 0x3bffffff
	v_cmp_lt_u32_e32 vcc, s14, v4
	s_mov_b64 s[14:15], 0
                                        ; implicit-def: $vgpr3
	s_and_saveexec_b64 s[26:27], vcc
	s_xor_b64 s[26:27], exec, s[26:27]
	s_cbranch_execz .LBB86_2151
; %bb.1740:
	v_bfe_u32 v3, v4, 20, 1
	s_mov_b32 s29, 0x487ffff
	v_add3_u32 v3, v4, v3, s29
	s_mov_b64 s[14:15], exec
	v_lshrrev_b32_e32 v3, 20, v3
                                        ; implicit-def: $vgpr4
	s_andn2_saveexec_b64 s[26:27], s[26:27]
	s_cbranch_execnz .LBB86_2152
.LBB86_1741:
	s_or_b64 exec, exec, s[26:27]
	v_mov_b32_e32 v5, 0
	s_and_saveexec_b64 s[26:27], s[14:15]
.LBB86_1742:
	v_mov_b32_e32 v5, v3
.LBB86_1743:
	s_or_b64 exec, exec, s[26:27]
.LBB86_1744:
	s_or_b64 exec, exec, s[10:11]
	global_store_byte v[0:1], v5, off
.LBB86_1745:
	s_mov_b64 s[10:11], -1
.LBB86_1746:
	s_mov_b64 s[14:15], 0
.LBB86_1747:
	s_and_b64 vcc, exec, s[14:15]
	s_cbranch_vccz .LBB86_1787
; %bb.1748:
	s_cmp_gt_i32 s13, 22
	s_mov_b64 s[2:3], -1
	s_cbranch_scc0 .LBB86_1780
; %bb.1749:
	s_cmp_lt_i32 s13, 24
	s_cbranch_scc1 .LBB86_1769
; %bb.1750:
	s_cmp_gt_i32 s13, 24
	s_cbranch_scc0 .LBB86_1758
; %bb.1751:
	v_cndmask_b32_e64 v4, 0, 1.0, s[4:5]
	s_mov_b32 s2, 0x47800000
	v_cmp_gt_u32_e32 vcc, s2, v4
	v_mov_b32_e32 v5, 0x80
	s_and_saveexec_b64 s[2:3], vcc
	s_cbranch_execz .LBB86_1757
; %bb.1752:
	s_mov_b32 s10, 0x37ffffff
	v_cmp_lt_u32_e32 vcc, s10, v4
	s_mov_b64 s[10:11], 0
                                        ; implicit-def: $vgpr3
	s_and_saveexec_b64 s[14:15], vcc
	s_xor_b64 s[14:15], exec, s[14:15]
	s_cbranch_execz .LBB86_2154
; %bb.1753:
	v_bfe_u32 v3, v4, 21, 1
	s_mov_b32 s26, 0x88fffff
	v_add3_u32 v3, v4, v3, s26
	s_mov_b64 s[10:11], exec
	v_lshrrev_b32_e32 v3, 21, v3
                                        ; implicit-def: $vgpr4
	s_andn2_saveexec_b64 s[14:15], s[14:15]
	s_cbranch_execnz .LBB86_2155
.LBB86_1754:
	s_or_b64 exec, exec, s[14:15]
	v_mov_b32_e32 v5, 0
	s_and_saveexec_b64 s[14:15], s[10:11]
.LBB86_1755:
	v_mov_b32_e32 v5, v3
.LBB86_1756:
	s_or_b64 exec, exec, s[14:15]
.LBB86_1757:
	s_or_b64 exec, exec, s[2:3]
	s_mov_b64 s[2:3], 0
	global_store_byte v[0:1], v5, off
.LBB86_1758:
	s_and_b64 vcc, exec, s[2:3]
	s_cbranch_vccz .LBB86_1768
; %bb.1759:
	v_cndmask_b32_e64 v3, 0, 1.0, s[4:5]
	s_mov_b32 s2, 0x43f00000
	v_cmp_gt_u32_e32 vcc, s2, v3
                                        ; implicit-def: $vgpr4
	s_and_saveexec_b64 s[2:3], vcc
	s_xor_b64 s[2:3], exec, s[2:3]
	s_cbranch_execz .LBB86_1765
; %bb.1760:
	s_mov_b32 s10, 0x3c7fffff
	v_cmp_lt_u32_e32 vcc, s10, v3
                                        ; implicit-def: $vgpr4
	s_and_saveexec_b64 s[10:11], vcc
	s_xor_b64 s[10:11], exec, s[10:11]
; %bb.1761:
	v_bfe_u32 v4, v3, 20, 1
	s_mov_b32 s14, 0x407ffff
	v_add3_u32 v3, v3, v4, s14
	v_lshrrev_b32_e32 v4, 20, v3
	v_and_b32_e32 v3, 0xff00000, v3
	s_mov_b32 s14, 0x7f00000
	v_mov_b32_e32 v5, 0x7e
	v_cmp_ne_u32_e32 vcc, s14, v3
	v_cndmask_b32_e32 v4, v5, v4, vcc
                                        ; implicit-def: $vgpr3
; %bb.1762:
	s_andn2_saveexec_b64 s[10:11], s[10:11]
; %bb.1763:
	v_add_f32_e32 v4, 0x46800000, v3
; %bb.1764:
	s_or_b64 exec, exec, s[10:11]
                                        ; implicit-def: $vgpr3
.LBB86_1765:
	s_andn2_saveexec_b64 s[2:3], s[2:3]
; %bb.1766:
	s_mov_b32 s10, 0x7f800000
	v_mov_b32_e32 v4, 0x7e
	v_mov_b32_e32 v5, 0x7f
	v_cmp_lt_u32_e32 vcc, s10, v3
	v_cndmask_b32_e32 v4, v4, v5, vcc
; %bb.1767:
	s_or_b64 exec, exec, s[2:3]
	global_store_byte v[0:1], v4, off
.LBB86_1768:
	s_mov_b64 s[2:3], 0
.LBB86_1769:
	s_andn2_b64 vcc, exec, s[2:3]
	s_cbranch_vccnz .LBB86_1779
; %bb.1770:
	v_cndmask_b32_e64 v3, 0, 1.0, s[4:5]
	s_mov_b32 s2, 0x47800000
	v_cmp_gt_u32_e32 vcc, s2, v3
                                        ; implicit-def: $vgpr4
	s_and_saveexec_b64 s[2:3], vcc
	s_xor_b64 s[2:3], exec, s[2:3]
	s_cbranch_execz .LBB86_1776
; %bb.1771:
	s_mov_b32 s10, 0x387fffff
	v_cmp_lt_u32_e32 vcc, s10, v3
                                        ; implicit-def: $vgpr4
	s_and_saveexec_b64 s[10:11], vcc
	s_xor_b64 s[10:11], exec, s[10:11]
; %bb.1772:
	v_bfe_u32 v4, v3, 21, 1
	s_mov_b32 s14, 0x80fffff
	v_add3_u32 v3, v3, v4, s14
	v_lshrrev_b32_e32 v4, 21, v3
                                        ; implicit-def: $vgpr3
; %bb.1773:
	s_andn2_saveexec_b64 s[10:11], s[10:11]
; %bb.1774:
	v_add_f32_e32 v4, 0x43000000, v3
; %bb.1775:
	s_or_b64 exec, exec, s[10:11]
                                        ; implicit-def: $vgpr3
.LBB86_1776:
	s_andn2_saveexec_b64 s[2:3], s[2:3]
; %bb.1777:
	s_mov_b32 s10, 0x7f800000
	v_mov_b32_e32 v4, 0x7c
	v_mov_b32_e32 v5, 0x7f
	v_cmp_lt_u32_e32 vcc, s10, v3
	v_cndmask_b32_e32 v4, v4, v5, vcc
; %bb.1778:
	s_or_b64 exec, exec, s[2:3]
	global_store_byte v[0:1], v4, off
.LBB86_1779:
	s_mov_b64 s[2:3], 0
	s_mov_b64 s[10:11], -1
.LBB86_1780:
	s_andn2_b64 vcc, exec, s[2:3]
	s_mov_b64 s[2:3], 0
	s_cbranch_vccnz .LBB86_1787
; %bb.1781:
	s_cmp_gt_i32 s13, 14
	s_mov_b64 s[14:15], -1
	s_cbranch_scc0 .LBB86_1785
; %bb.1782:
	s_cmp_eq_u32 s13, 15
	s_mov_b64 s[0:1], -1
	s_cbranch_scc0 .LBB86_1784
; %bb.1783:
	v_cndmask_b32_e64 v3, 0, 1.0, s[4:5]
	v_bfe_u32 v4, v3, 16, 1
	s_movk_i32 s0, 0x7fff
	v_add3_u32 v3, v3, v4, s0
	global_store_short_d16_hi v[0:1], v3, off
	s_mov_b64 s[0:1], 0
	s_mov_b64 s[10:11], -1
.LBB86_1784:
	s_mov_b64 s[14:15], 0
.LBB86_1785:
	s_and_b64 vcc, exec, s[14:15]
	s_cbranch_vccz .LBB86_1787
; %bb.1786:
	s_cmp_lg_u32 s13, 11
	s_mov_b64 s[2:3], -1
	s_cselect_b64 s[0:1], -1, 0
.LBB86_1787:
	s_and_b64 vcc, exec, s[0:1]
	s_cbranch_vccnz .LBB86_2153
; %bb.1788:
	s_andn2_b64 vcc, exec, s[2:3]
	s_cbranch_vccnz .LBB86_1790
.LBB86_1789:
	v_cndmask_b32_e64 v3, 0, 1, s[4:5]
	s_mov_b64 s[10:11], -1
	global_store_byte v[0:1], v3, off
.LBB86_1790:
	s_mov_b64 s[0:1], 0
	s_branch .LBB86_1794
.LBB86_1791:
	s_andn2_b64 vcc, exec, s[10:11]
	s_cbranch_vccnz .LBB86_1711
.LBB86_1792:
	s_waitcnt vmcnt(0)
	v_cmp_gt_f64_e32 vcc, s[2:3], v[2:3]
	s_andn2_b64 s[10:11], s[24:25], exec
	s_and_b64 s[14:15], vcc, exec
	s_or_b64 s[24:25], s[10:11], s[14:15]
	s_cbranch_execz .LBB86_1712
	s_branch .LBB86_1713
.LBB86_1793:
	s_mov_b64 s[0:1], -1
	s_mov_b64 s[10:11], 0
.LBB86_1794:
	s_and_b64 vcc, exec, s[0:1]
	s_cbranch_vccz .LBB86_1833
; %bb.1795:
	s_and_b32 s2, 0xffff, s28
	s_cmp_lt_i32 s2, 5
	s_mov_b64 s[0:1], -1
	s_cbranch_scc1 .LBB86_1816
; %bb.1796:
	s_cmp_lt_i32 s2, 8
	s_cbranch_scc1 .LBB86_1806
; %bb.1797:
	s_cmp_lt_i32 s2, 9
	s_cbranch_scc1 .LBB86_1803
; %bb.1798:
	s_cmp_gt_i32 s2, 9
	s_cbranch_scc0 .LBB86_1800
; %bb.1799:
	v_cndmask_b32_e64 v3, 0, 1, s[4:5]
	v_cvt_f64_u32_e32 v[3:4], v3
	v_mov_b32_e32 v5, 0
	v_mov_b32_e32 v6, v5
	s_mov_b64 s[0:1], 0
	global_store_dwordx4 v[0:1], v[3:6], off
.LBB86_1800:
	s_andn2_b64 vcc, exec, s[0:1]
	s_cbranch_vccnz .LBB86_1802
; %bb.1801:
	v_cndmask_b32_e64 v3, 0, 1.0, s[4:5]
	v_mov_b32_e32 v4, 0
	global_store_dwordx2 v[0:1], v[3:4], off
.LBB86_1802:
	s_mov_b64 s[0:1], 0
.LBB86_1803:
	s_andn2_b64 vcc, exec, s[0:1]
	s_cbranch_vccnz .LBB86_1805
; %bb.1804:
	v_cndmask_b32_e64 v3, 0, 1.0, s[4:5]
	v_cvt_f16_f32_e32 v3, v3
	global_store_dword v[0:1], v3, off
.LBB86_1805:
	s_mov_b64 s[0:1], 0
.LBB86_1806:
	s_andn2_b64 vcc, exec, s[0:1]
	s_cbranch_vccnz .LBB86_1815
; %bb.1807:
	s_cmp_lt_i32 s2, 6
	s_mov_b64 s[0:1], -1
	s_cbranch_scc1 .LBB86_1813
; %bb.1808:
	s_cmp_gt_i32 s2, 6
	s_cbranch_scc0 .LBB86_1810
; %bb.1809:
	v_cndmask_b32_e64 v3, 0, 1, s[4:5]
	v_cvt_f64_u32_e32 v[3:4], v3
	s_mov_b64 s[0:1], 0
	global_store_dwordx2 v[0:1], v[3:4], off
.LBB86_1810:
	s_andn2_b64 vcc, exec, s[0:1]
	s_cbranch_vccnz .LBB86_1812
; %bb.1811:
	v_cndmask_b32_e64 v3, 0, 1.0, s[4:5]
	global_store_dword v[0:1], v3, off
.LBB86_1812:
	s_mov_b64 s[0:1], 0
.LBB86_1813:
	s_andn2_b64 vcc, exec, s[0:1]
	s_cbranch_vccnz .LBB86_1815
; %bb.1814:
	v_cndmask_b32_e64 v3, 0, 1.0, s[4:5]
	v_cvt_f16_f32_e32 v3, v3
	global_store_short v[0:1], v3, off
.LBB86_1815:
	s_mov_b64 s[0:1], 0
.LBB86_1816:
	s_andn2_b64 vcc, exec, s[0:1]
	s_cbranch_vccnz .LBB86_1832
; %bb.1817:
	s_cmp_lt_i32 s2, 2
	s_mov_b64 s[0:1], -1
	s_cbranch_scc1 .LBB86_1827
; %bb.1818:
	s_cmp_lt_i32 s2, 3
	s_cbranch_scc1 .LBB86_1824
; %bb.1819:
	s_cmp_gt_i32 s2, 3
	s_cbranch_scc0 .LBB86_1821
; %bb.1820:
	s_mov_b32 s0, 0
	v_cndmask_b32_e64 v3, 0, 1, s[4:5]
	v_mov_b32_e32 v4, s0
	global_store_dwordx2 v[0:1], v[3:4], off
	s_mov_b64 s[0:1], 0
.LBB86_1821:
	s_andn2_b64 vcc, exec, s[0:1]
	s_cbranch_vccnz .LBB86_1823
; %bb.1822:
	v_cndmask_b32_e64 v3, 0, 1, s[4:5]
	global_store_dword v[0:1], v3, off
.LBB86_1823:
	s_mov_b64 s[0:1], 0
.LBB86_1824:
	s_andn2_b64 vcc, exec, s[0:1]
	s_cbranch_vccnz .LBB86_1826
; %bb.1825:
	v_cndmask_b32_e64 v3, 0, 1, s[4:5]
	global_store_short v[0:1], v3, off
.LBB86_1826:
	s_mov_b64 s[0:1], 0
.LBB86_1827:
	s_andn2_b64 vcc, exec, s[0:1]
	s_cbranch_vccnz .LBB86_1832
; %bb.1828:
	s_mov_b64 s[0:1], -1
	s_cmp_gt_i32 s2, 0
	v_cndmask_b32_e64 v3, 0, 1, s[4:5]
	s_cbranch_scc0 .LBB86_1830
; %bb.1829:
	global_store_byte v[0:1], v3, off
	s_mov_b64 s[0:1], 0
.LBB86_1830:
	s_andn2_b64 vcc, exec, s[0:1]
	s_cbranch_vccnz .LBB86_1832
; %bb.1831:
	global_store_byte v[0:1], v3, off
.LBB86_1832:
	s_mov_b64 s[10:11], -1
.LBB86_1833:
	s_andn2_b64 vcc, exec, s[10:11]
	s_cbranch_vccnz .LBB86_2148
; %bb.1834:
	s_lshl_b32 s14, s12, 7
	v_add_u32_e32 v2, s14, v2
	v_ashrrev_i32_e32 v1, 31, v2
	v_mov_b32_e32 v3, s9
	v_add_co_u32_e32 v0, vcc, s8, v2
	s_cmp_lt_i32 s28, 11
	v_addc_co_u32_e32 v1, vcc, v3, v1, vcc
	s_cbranch_scc1 .LBB86_1912
; %bb.1835:
	s_and_b32 s15, 0xffff, s28
	s_mov_b64 s[10:11], -1
	s_mov_b64 s[2:3], 0
	s_cmp_gt_i32 s15, 25
	s_mov_b64 s[4:5], 0
	s_mov_b64 s[0:1], 0
	s_cbranch_scc0 .LBB86_1868
; %bb.1836:
	s_cmp_gt_i32 s15, 28
	s_cbranch_scc0 .LBB86_1851
; %bb.1837:
	s_cmp_gt_i32 s15, 43
	;; [unrolled: 3-line block ×3, first 2 shown]
	s_cbranch_scc0 .LBB86_1841
; %bb.1839:
	s_mov_b64 s[0:1], -1
	s_mov_b64 s[10:11], 0
	s_cmp_eq_u32 s15, 46
	s_cbranch_scc0 .LBB86_1841
; %bb.1840:
	v_cndmask_b32_e64 v3, 0, 1.0, s[20:21]
	v_bfe_u32 v4, v3, 16, 1
	s_movk_i32 s0, 0x7fff
	v_add3_u32 v3, v3, v4, s0
	v_lshrrev_b32_e32 v3, 16, v3
	global_store_dword v[0:1], v3, off
	s_mov_b64 s[0:1], 0
	s_mov_b64 s[4:5], -1
.LBB86_1841:
	s_and_b64 vcc, exec, s[10:11]
	s_cbranch_vccz .LBB86_1846
; %bb.1842:
	s_cmp_eq_u32 s15, 44
	s_mov_b64 s[0:1], -1
	s_cbranch_scc0 .LBB86_1846
; %bb.1843:
	v_cndmask_b32_e64 v4, 0, 1.0, s[20:21]
	v_lshrrev_b32_e32 v3, 23, v4
	s_movk_i32 s0, 0xff
	v_cmp_ne_u32_e32 vcc, s0, v3
	v_mov_b32_e32 v5, 0xff
	s_and_saveexec_b64 s[4:5], vcc
; %bb.1844:
	s_mov_b32 s0, 0x3fffff
	v_and_b32_e32 v5, 0x400000, v4
	v_and_or_b32 v4, v4, s0, v3
	v_cmp_ne_u32_e32 vcc, 0, v5
	v_cmp_ne_u32_e64 s[0:1], 0, v4
	s_and_b64 s[0:1], vcc, s[0:1]
	v_cndmask_b32_e64 v4, 0, 1, s[0:1]
	v_add_u32_e32 v5, v3, v4
; %bb.1845:
	s_or_b64 exec, exec, s[4:5]
	s_mov_b64 s[0:1], 0
	s_mov_b64 s[4:5], -1
	global_store_byte v[0:1], v5, off
.LBB86_1846:
	s_mov_b64 s[10:11], 0
.LBB86_1847:
	s_and_b64 vcc, exec, s[10:11]
	s_cbranch_vccz .LBB86_1850
; %bb.1848:
	s_cmp_eq_u32 s15, 29
	s_mov_b64 s[0:1], -1
	s_cbranch_scc0 .LBB86_1850
; %bb.1849:
	s_mov_b32 s0, 0
	v_cndmask_b32_e64 v3, 0, 1, s[20:21]
	v_mov_b32_e32 v4, s0
	global_store_dwordx2 v[0:1], v[3:4], off
	s_mov_b64 s[0:1], 0
	s_mov_b64 s[4:5], -1
.LBB86_1850:
	s_mov_b64 s[10:11], 0
.LBB86_1851:
	s_and_b64 vcc, exec, s[10:11]
	s_cbranch_vccz .LBB86_1867
; %bb.1852:
	s_cmp_lt_i32 s15, 27
	s_mov_b64 s[4:5], -1
	s_cbranch_scc1 .LBB86_1858
; %bb.1853:
	s_cmp_gt_i32 s15, 27
	s_cbranch_scc0 .LBB86_1855
; %bb.1854:
	v_cndmask_b32_e64 v3, 0, 1, s[20:21]
	s_mov_b64 s[4:5], 0
	global_store_dword v[0:1], v3, off
.LBB86_1855:
	s_andn2_b64 vcc, exec, s[4:5]
	s_cbranch_vccnz .LBB86_1857
; %bb.1856:
	v_cndmask_b32_e64 v3, 0, 1, s[20:21]
	global_store_short v[0:1], v3, off
.LBB86_1857:
	s_mov_b64 s[4:5], 0
.LBB86_1858:
	s_andn2_b64 vcc, exec, s[4:5]
	s_cbranch_vccnz .LBB86_1866
; %bb.1859:
	v_cndmask_b32_e64 v4, 0, 1.0, s[20:21]
	s_mov_b32 s4, 0x43800000
	v_cmp_gt_u32_e32 vcc, s4, v4
	v_mov_b32_e32 v5, 0x80
	s_and_saveexec_b64 s[4:5], vcc
	s_cbranch_execz .LBB86_1865
; %bb.1860:
	s_mov_b32 s10, 0x3bffffff
	v_cmp_lt_u32_e32 vcc, s10, v4
	s_mov_b64 s[10:11], 0
                                        ; implicit-def: $vgpr3
	s_and_saveexec_b64 s[12:13], vcc
	s_xor_b64 s[12:13], exec, s[12:13]
	s_cbranch_execz .LBB86_2156
; %bb.1861:
	v_bfe_u32 v3, v4, 20, 1
	s_mov_b32 s26, 0x487ffff
	v_add3_u32 v3, v4, v3, s26
	s_mov_b64 s[10:11], exec
	v_lshrrev_b32_e32 v3, 20, v3
                                        ; implicit-def: $vgpr4
	s_andn2_saveexec_b64 s[12:13], s[12:13]
	s_cbranch_execnz .LBB86_2157
.LBB86_1862:
	s_or_b64 exec, exec, s[12:13]
	v_mov_b32_e32 v5, 0
	s_and_saveexec_b64 s[12:13], s[10:11]
.LBB86_1863:
	v_mov_b32_e32 v5, v3
.LBB86_1864:
	s_or_b64 exec, exec, s[12:13]
.LBB86_1865:
	s_or_b64 exec, exec, s[4:5]
	global_store_byte v[0:1], v5, off
.LBB86_1866:
	s_mov_b64 s[4:5], -1
.LBB86_1867:
	s_mov_b64 s[10:11], 0
.LBB86_1868:
	s_and_b64 vcc, exec, s[10:11]
	s_cbranch_vccz .LBB86_1908
; %bb.1869:
	s_cmp_gt_i32 s15, 22
	s_mov_b64 s[2:3], -1
	s_cbranch_scc0 .LBB86_1901
; %bb.1870:
	s_cmp_lt_i32 s15, 24
	s_cbranch_scc1 .LBB86_1890
; %bb.1871:
	s_cmp_gt_i32 s15, 24
	s_cbranch_scc0 .LBB86_1879
; %bb.1872:
	v_cndmask_b32_e64 v4, 0, 1.0, s[20:21]
	s_mov_b32 s2, 0x47800000
	v_cmp_gt_u32_e32 vcc, s2, v4
	v_mov_b32_e32 v5, 0x80
	s_and_saveexec_b64 s[2:3], vcc
	s_cbranch_execz .LBB86_1878
; %bb.1873:
	s_mov_b32 s4, 0x37ffffff
	v_cmp_lt_u32_e32 vcc, s4, v4
	s_mov_b64 s[4:5], 0
                                        ; implicit-def: $vgpr3
	s_and_saveexec_b64 s[10:11], vcc
	s_xor_b64 s[10:11], exec, s[10:11]
	s_cbranch_execz .LBB86_2159
; %bb.1874:
	v_bfe_u32 v3, v4, 21, 1
	s_mov_b32 s12, 0x88fffff
	v_add3_u32 v3, v4, v3, s12
	s_mov_b64 s[4:5], exec
	v_lshrrev_b32_e32 v3, 21, v3
                                        ; implicit-def: $vgpr4
	s_andn2_saveexec_b64 s[10:11], s[10:11]
	s_cbranch_execnz .LBB86_2160
.LBB86_1875:
	s_or_b64 exec, exec, s[10:11]
	v_mov_b32_e32 v5, 0
	s_and_saveexec_b64 s[10:11], s[4:5]
.LBB86_1876:
	v_mov_b32_e32 v5, v3
.LBB86_1877:
	s_or_b64 exec, exec, s[10:11]
.LBB86_1878:
	s_or_b64 exec, exec, s[2:3]
	s_mov_b64 s[2:3], 0
	global_store_byte v[0:1], v5, off
.LBB86_1879:
	s_and_b64 vcc, exec, s[2:3]
	s_cbranch_vccz .LBB86_1889
; %bb.1880:
	v_cndmask_b32_e64 v3, 0, 1.0, s[20:21]
	s_mov_b32 s2, 0x43f00000
	v_cmp_gt_u32_e32 vcc, s2, v3
                                        ; implicit-def: $vgpr4
	s_and_saveexec_b64 s[2:3], vcc
	s_xor_b64 s[2:3], exec, s[2:3]
	s_cbranch_execz .LBB86_1886
; %bb.1881:
	s_mov_b32 s4, 0x3c7fffff
	v_cmp_lt_u32_e32 vcc, s4, v3
                                        ; implicit-def: $vgpr4
	s_and_saveexec_b64 s[4:5], vcc
	s_xor_b64 s[4:5], exec, s[4:5]
; %bb.1882:
	v_bfe_u32 v4, v3, 20, 1
	s_mov_b32 s10, 0x407ffff
	v_add3_u32 v3, v3, v4, s10
	v_lshrrev_b32_e32 v4, 20, v3
	v_and_b32_e32 v3, 0xff00000, v3
	s_mov_b32 s10, 0x7f00000
	v_mov_b32_e32 v5, 0x7e
	v_cmp_ne_u32_e32 vcc, s10, v3
	v_cndmask_b32_e32 v4, v5, v4, vcc
                                        ; implicit-def: $vgpr3
; %bb.1883:
	s_andn2_saveexec_b64 s[4:5], s[4:5]
; %bb.1884:
	v_add_f32_e32 v4, 0x46800000, v3
; %bb.1885:
	s_or_b64 exec, exec, s[4:5]
                                        ; implicit-def: $vgpr3
.LBB86_1886:
	s_andn2_saveexec_b64 s[2:3], s[2:3]
; %bb.1887:
	s_mov_b32 s4, 0x7f800000
	v_mov_b32_e32 v4, 0x7e
	v_mov_b32_e32 v5, 0x7f
	v_cmp_lt_u32_e32 vcc, s4, v3
	v_cndmask_b32_e32 v4, v4, v5, vcc
; %bb.1888:
	s_or_b64 exec, exec, s[2:3]
	global_store_byte v[0:1], v4, off
.LBB86_1889:
	s_mov_b64 s[2:3], 0
.LBB86_1890:
	s_andn2_b64 vcc, exec, s[2:3]
	s_cbranch_vccnz .LBB86_1900
; %bb.1891:
	v_cndmask_b32_e64 v3, 0, 1.0, s[20:21]
	s_mov_b32 s2, 0x47800000
	v_cmp_gt_u32_e32 vcc, s2, v3
                                        ; implicit-def: $vgpr4
	s_and_saveexec_b64 s[2:3], vcc
	s_xor_b64 s[2:3], exec, s[2:3]
	s_cbranch_execz .LBB86_1897
; %bb.1892:
	s_mov_b32 s4, 0x387fffff
	v_cmp_lt_u32_e32 vcc, s4, v3
                                        ; implicit-def: $vgpr4
	s_and_saveexec_b64 s[4:5], vcc
	s_xor_b64 s[4:5], exec, s[4:5]
; %bb.1893:
	v_bfe_u32 v4, v3, 21, 1
	s_mov_b32 s10, 0x80fffff
	v_add3_u32 v3, v3, v4, s10
	v_lshrrev_b32_e32 v4, 21, v3
                                        ; implicit-def: $vgpr3
; %bb.1894:
	s_andn2_saveexec_b64 s[4:5], s[4:5]
; %bb.1895:
	v_add_f32_e32 v4, 0x43000000, v3
; %bb.1896:
	s_or_b64 exec, exec, s[4:5]
                                        ; implicit-def: $vgpr3
.LBB86_1897:
	s_andn2_saveexec_b64 s[2:3], s[2:3]
; %bb.1898:
	s_mov_b32 s4, 0x7f800000
	v_mov_b32_e32 v4, 0x7c
	v_mov_b32_e32 v5, 0x7f
	v_cmp_lt_u32_e32 vcc, s4, v3
	v_cndmask_b32_e32 v4, v4, v5, vcc
; %bb.1899:
	s_or_b64 exec, exec, s[2:3]
	global_store_byte v[0:1], v4, off
.LBB86_1900:
	s_mov_b64 s[2:3], 0
	s_mov_b64 s[4:5], -1
.LBB86_1901:
	s_andn2_b64 vcc, exec, s[2:3]
	s_mov_b64 s[2:3], 0
	s_cbranch_vccnz .LBB86_1908
; %bb.1902:
	s_cmp_gt_i32 s15, 14
	s_mov_b64 s[10:11], -1
	s_cbranch_scc0 .LBB86_1906
; %bb.1903:
	s_cmp_eq_u32 s15, 15
	s_mov_b64 s[0:1], -1
	s_cbranch_scc0 .LBB86_1905
; %bb.1904:
	v_cndmask_b32_e64 v3, 0, 1.0, s[20:21]
	v_bfe_u32 v4, v3, 16, 1
	s_movk_i32 s0, 0x7fff
	v_add3_u32 v3, v3, v4, s0
	global_store_short_d16_hi v[0:1], v3, off
	s_mov_b64 s[0:1], 0
	s_mov_b64 s[4:5], -1
.LBB86_1905:
	s_mov_b64 s[10:11], 0
.LBB86_1906:
	s_and_b64 vcc, exec, s[10:11]
	s_cbranch_vccz .LBB86_1908
; %bb.1907:
	s_cmp_lg_u32 s15, 11
	s_mov_b64 s[2:3], -1
	s_cselect_b64 s[0:1], -1, 0
.LBB86_1908:
	s_and_b64 vcc, exec, s[0:1]
	s_cbranch_vccnz .LBB86_2158
; %bb.1909:
	s_andn2_b64 vcc, exec, s[2:3]
	s_cbranch_vccnz .LBB86_1911
.LBB86_1910:
	v_cndmask_b32_e64 v3, 0, 1, s[20:21]
	s_mov_b64 s[4:5], -1
	global_store_byte v[0:1], v3, off
.LBB86_1911:
	s_mov_b64 s[0:1], 0
	s_branch .LBB86_1913
.LBB86_1912:
	s_mov_b64 s[0:1], -1
	s_mov_b64 s[4:5], 0
.LBB86_1913:
	s_and_b64 vcc, exec, s[0:1]
	s_cbranch_vccz .LBB86_1952
; %bb.1914:
	s_and_b32 s2, 0xffff, s28
	s_cmp_lt_i32 s2, 5
	s_mov_b64 s[0:1], -1
	s_cbranch_scc1 .LBB86_1935
; %bb.1915:
	s_cmp_lt_i32 s2, 8
	s_cbranch_scc1 .LBB86_1925
; %bb.1916:
	s_cmp_lt_i32 s2, 9
	s_cbranch_scc1 .LBB86_1922
; %bb.1917:
	s_cmp_gt_i32 s2, 9
	s_cbranch_scc0 .LBB86_1919
; %bb.1918:
	v_cndmask_b32_e64 v3, 0, 1, s[20:21]
	v_cvt_f64_u32_e32 v[3:4], v3
	v_mov_b32_e32 v5, 0
	v_mov_b32_e32 v6, v5
	s_mov_b64 s[0:1], 0
	global_store_dwordx4 v[0:1], v[3:6], off
.LBB86_1919:
	s_andn2_b64 vcc, exec, s[0:1]
	s_cbranch_vccnz .LBB86_1921
; %bb.1920:
	v_cndmask_b32_e64 v3, 0, 1.0, s[20:21]
	v_mov_b32_e32 v4, 0
	global_store_dwordx2 v[0:1], v[3:4], off
.LBB86_1921:
	s_mov_b64 s[0:1], 0
.LBB86_1922:
	s_andn2_b64 vcc, exec, s[0:1]
	s_cbranch_vccnz .LBB86_1924
; %bb.1923:
	v_cndmask_b32_e64 v3, 0, 1.0, s[20:21]
	v_cvt_f16_f32_e32 v3, v3
	global_store_dword v[0:1], v3, off
.LBB86_1924:
	s_mov_b64 s[0:1], 0
.LBB86_1925:
	s_andn2_b64 vcc, exec, s[0:1]
	s_cbranch_vccnz .LBB86_1934
; %bb.1926:
	s_cmp_lt_i32 s2, 6
	s_mov_b64 s[0:1], -1
	s_cbranch_scc1 .LBB86_1932
; %bb.1927:
	s_cmp_gt_i32 s2, 6
	s_cbranch_scc0 .LBB86_1929
; %bb.1928:
	v_cndmask_b32_e64 v3, 0, 1, s[20:21]
	v_cvt_f64_u32_e32 v[3:4], v3
	s_mov_b64 s[0:1], 0
	global_store_dwordx2 v[0:1], v[3:4], off
.LBB86_1929:
	s_andn2_b64 vcc, exec, s[0:1]
	s_cbranch_vccnz .LBB86_1931
; %bb.1930:
	v_cndmask_b32_e64 v3, 0, 1.0, s[20:21]
	global_store_dword v[0:1], v3, off
.LBB86_1931:
	s_mov_b64 s[0:1], 0
.LBB86_1932:
	s_andn2_b64 vcc, exec, s[0:1]
	s_cbranch_vccnz .LBB86_1934
; %bb.1933:
	v_cndmask_b32_e64 v3, 0, 1.0, s[20:21]
	v_cvt_f16_f32_e32 v3, v3
	global_store_short v[0:1], v3, off
.LBB86_1934:
	s_mov_b64 s[0:1], 0
.LBB86_1935:
	s_andn2_b64 vcc, exec, s[0:1]
	s_cbranch_vccnz .LBB86_1951
; %bb.1936:
	s_cmp_lt_i32 s2, 2
	s_mov_b64 s[0:1], -1
	s_cbranch_scc1 .LBB86_1946
; %bb.1937:
	s_cmp_lt_i32 s2, 3
	s_cbranch_scc1 .LBB86_1943
; %bb.1938:
	s_cmp_gt_i32 s2, 3
	s_cbranch_scc0 .LBB86_1940
; %bb.1939:
	s_mov_b32 s0, 0
	v_cndmask_b32_e64 v3, 0, 1, s[20:21]
	v_mov_b32_e32 v4, s0
	global_store_dwordx2 v[0:1], v[3:4], off
	s_mov_b64 s[0:1], 0
.LBB86_1940:
	s_andn2_b64 vcc, exec, s[0:1]
	s_cbranch_vccnz .LBB86_1942
; %bb.1941:
	v_cndmask_b32_e64 v3, 0, 1, s[20:21]
	global_store_dword v[0:1], v3, off
.LBB86_1942:
	s_mov_b64 s[0:1], 0
.LBB86_1943:
	s_andn2_b64 vcc, exec, s[0:1]
	s_cbranch_vccnz .LBB86_1945
; %bb.1944:
	v_cndmask_b32_e64 v3, 0, 1, s[20:21]
	global_store_short v[0:1], v3, off
.LBB86_1945:
	s_mov_b64 s[0:1], 0
.LBB86_1946:
	s_andn2_b64 vcc, exec, s[0:1]
	s_cbranch_vccnz .LBB86_1951
; %bb.1947:
	s_mov_b64 s[0:1], -1
	s_cmp_gt_i32 s2, 0
	v_cndmask_b32_e64 v3, 0, 1, s[20:21]
	s_cbranch_scc0 .LBB86_1949
; %bb.1948:
	global_store_byte v[0:1], v3, off
	s_mov_b64 s[0:1], 0
.LBB86_1949:
	s_andn2_b64 vcc, exec, s[0:1]
	s_cbranch_vccnz .LBB86_1951
; %bb.1950:
	global_store_byte v[0:1], v3, off
.LBB86_1951:
	s_mov_b64 s[4:5], -1
.LBB86_1952:
	s_andn2_b64 vcc, exec, s[4:5]
	s_cbranch_vccnz .LBB86_2148
; %bb.1953:
	v_add_u32_e32 v2, s14, v2
	v_ashrrev_i32_e32 v1, 31, v2
	v_mov_b32_e32 v3, s9
	v_add_co_u32_e32 v0, vcc, s8, v2
	s_cmp_lt_i32 s28, 11
	v_addc_co_u32_e32 v1, vcc, v3, v1, vcc
	s_cbranch_scc1 .LBB86_2031
; %bb.1954:
	s_and_b32 s15, 0xffff, s28
	s_mov_b64 s[10:11], -1
	s_mov_b64 s[2:3], 0
	s_cmp_gt_i32 s15, 25
	s_mov_b64 s[4:5], 0
	s_mov_b64 s[0:1], 0
	s_cbranch_scc0 .LBB86_1987
; %bb.1955:
	s_cmp_gt_i32 s15, 28
	s_cbranch_scc0 .LBB86_1970
; %bb.1956:
	s_cmp_gt_i32 s15, 43
	;; [unrolled: 3-line block ×3, first 2 shown]
	s_cbranch_scc0 .LBB86_1960
; %bb.1958:
	s_mov_b64 s[0:1], -1
	s_mov_b64 s[10:11], 0
	s_cmp_eq_u32 s15, 46
	s_cbranch_scc0 .LBB86_1960
; %bb.1959:
	v_cndmask_b32_e64 v3, 0, 1.0, s[22:23]
	v_bfe_u32 v4, v3, 16, 1
	s_movk_i32 s0, 0x7fff
	v_add3_u32 v3, v3, v4, s0
	v_lshrrev_b32_e32 v3, 16, v3
	global_store_dword v[0:1], v3, off
	s_mov_b64 s[0:1], 0
	s_mov_b64 s[4:5], -1
.LBB86_1960:
	s_and_b64 vcc, exec, s[10:11]
	s_cbranch_vccz .LBB86_1965
; %bb.1961:
	s_cmp_eq_u32 s15, 44
	s_mov_b64 s[0:1], -1
	s_cbranch_scc0 .LBB86_1965
; %bb.1962:
	v_cndmask_b32_e64 v4, 0, 1.0, s[22:23]
	v_lshrrev_b32_e32 v3, 23, v4
	s_movk_i32 s0, 0xff
	v_cmp_ne_u32_e32 vcc, s0, v3
	v_mov_b32_e32 v5, 0xff
	s_and_saveexec_b64 s[4:5], vcc
; %bb.1963:
	s_mov_b32 s0, 0x3fffff
	v_and_b32_e32 v5, 0x400000, v4
	v_and_or_b32 v4, v4, s0, v3
	v_cmp_ne_u32_e32 vcc, 0, v5
	v_cmp_ne_u32_e64 s[0:1], 0, v4
	s_and_b64 s[0:1], vcc, s[0:1]
	v_cndmask_b32_e64 v4, 0, 1, s[0:1]
	v_add_u32_e32 v5, v3, v4
; %bb.1964:
	s_or_b64 exec, exec, s[4:5]
	s_mov_b64 s[0:1], 0
	s_mov_b64 s[4:5], -1
	global_store_byte v[0:1], v5, off
.LBB86_1965:
	s_mov_b64 s[10:11], 0
.LBB86_1966:
	s_and_b64 vcc, exec, s[10:11]
	s_cbranch_vccz .LBB86_1969
; %bb.1967:
	s_cmp_eq_u32 s15, 29
	s_mov_b64 s[0:1], -1
	s_cbranch_scc0 .LBB86_1969
; %bb.1968:
	s_mov_b32 s0, 0
	v_cndmask_b32_e64 v3, 0, 1, s[22:23]
	v_mov_b32_e32 v4, s0
	global_store_dwordx2 v[0:1], v[3:4], off
	s_mov_b64 s[0:1], 0
	s_mov_b64 s[4:5], -1
.LBB86_1969:
	s_mov_b64 s[10:11], 0
.LBB86_1970:
	s_and_b64 vcc, exec, s[10:11]
	s_cbranch_vccz .LBB86_1986
; %bb.1971:
	s_cmp_lt_i32 s15, 27
	s_mov_b64 s[4:5], -1
	s_cbranch_scc1 .LBB86_1977
; %bb.1972:
	s_cmp_gt_i32 s15, 27
	s_cbranch_scc0 .LBB86_1974
; %bb.1973:
	v_cndmask_b32_e64 v3, 0, 1, s[22:23]
	s_mov_b64 s[4:5], 0
	global_store_dword v[0:1], v3, off
.LBB86_1974:
	s_andn2_b64 vcc, exec, s[4:5]
	s_cbranch_vccnz .LBB86_1976
; %bb.1975:
	v_cndmask_b32_e64 v3, 0, 1, s[22:23]
	global_store_short v[0:1], v3, off
.LBB86_1976:
	s_mov_b64 s[4:5], 0
.LBB86_1977:
	s_andn2_b64 vcc, exec, s[4:5]
	s_cbranch_vccnz .LBB86_1985
; %bb.1978:
	v_cndmask_b32_e64 v4, 0, 1.0, s[22:23]
	s_mov_b32 s4, 0x43800000
	v_cmp_gt_u32_e32 vcc, s4, v4
	v_mov_b32_e32 v5, 0x80
	s_and_saveexec_b64 s[4:5], vcc
	s_cbranch_execz .LBB86_1984
; %bb.1979:
	s_mov_b32 s10, 0x3bffffff
	v_cmp_lt_u32_e32 vcc, s10, v4
	s_mov_b64 s[10:11], 0
                                        ; implicit-def: $vgpr3
	s_and_saveexec_b64 s[12:13], vcc
	s_xor_b64 s[12:13], exec, s[12:13]
	s_cbranch_execz .LBB86_2161
; %bb.1980:
	v_bfe_u32 v3, v4, 20, 1
	s_mov_b32 s20, 0x487ffff
	v_add3_u32 v3, v4, v3, s20
	s_mov_b64 s[10:11], exec
	v_lshrrev_b32_e32 v3, 20, v3
                                        ; implicit-def: $vgpr4
	s_andn2_saveexec_b64 s[12:13], s[12:13]
	s_cbranch_execnz .LBB86_2162
.LBB86_1981:
	s_or_b64 exec, exec, s[12:13]
	v_mov_b32_e32 v5, 0
	s_and_saveexec_b64 s[12:13], s[10:11]
.LBB86_1982:
	v_mov_b32_e32 v5, v3
.LBB86_1983:
	s_or_b64 exec, exec, s[12:13]
.LBB86_1984:
	s_or_b64 exec, exec, s[4:5]
	global_store_byte v[0:1], v5, off
.LBB86_1985:
	s_mov_b64 s[4:5], -1
.LBB86_1986:
	s_mov_b64 s[10:11], 0
.LBB86_1987:
	s_and_b64 vcc, exec, s[10:11]
	s_cbranch_vccz .LBB86_2027
; %bb.1988:
	s_cmp_gt_i32 s15, 22
	s_mov_b64 s[2:3], -1
	s_cbranch_scc0 .LBB86_2020
; %bb.1989:
	s_cmp_lt_i32 s15, 24
	s_cbranch_scc1 .LBB86_2009
; %bb.1990:
	s_cmp_gt_i32 s15, 24
	s_cbranch_scc0 .LBB86_1998
; %bb.1991:
	v_cndmask_b32_e64 v4, 0, 1.0, s[22:23]
	s_mov_b32 s2, 0x47800000
	v_cmp_gt_u32_e32 vcc, s2, v4
	v_mov_b32_e32 v5, 0x80
	s_and_saveexec_b64 s[2:3], vcc
	s_cbranch_execz .LBB86_1997
; %bb.1992:
	s_mov_b32 s4, 0x37ffffff
	v_cmp_lt_u32_e32 vcc, s4, v4
	s_mov_b64 s[4:5], 0
                                        ; implicit-def: $vgpr3
	s_and_saveexec_b64 s[10:11], vcc
	s_xor_b64 s[10:11], exec, s[10:11]
	s_cbranch_execz .LBB86_2164
; %bb.1993:
	v_bfe_u32 v3, v4, 21, 1
	s_mov_b32 s12, 0x88fffff
	v_add3_u32 v3, v4, v3, s12
	s_mov_b64 s[4:5], exec
	v_lshrrev_b32_e32 v3, 21, v3
                                        ; implicit-def: $vgpr4
	s_andn2_saveexec_b64 s[10:11], s[10:11]
	s_cbranch_execnz .LBB86_2165
.LBB86_1994:
	s_or_b64 exec, exec, s[10:11]
	v_mov_b32_e32 v5, 0
	s_and_saveexec_b64 s[10:11], s[4:5]
.LBB86_1995:
	v_mov_b32_e32 v5, v3
.LBB86_1996:
	s_or_b64 exec, exec, s[10:11]
.LBB86_1997:
	s_or_b64 exec, exec, s[2:3]
	s_mov_b64 s[2:3], 0
	global_store_byte v[0:1], v5, off
.LBB86_1998:
	s_and_b64 vcc, exec, s[2:3]
	s_cbranch_vccz .LBB86_2008
; %bb.1999:
	v_cndmask_b32_e64 v3, 0, 1.0, s[22:23]
	s_mov_b32 s2, 0x43f00000
	v_cmp_gt_u32_e32 vcc, s2, v3
                                        ; implicit-def: $vgpr4
	s_and_saveexec_b64 s[2:3], vcc
	s_xor_b64 s[2:3], exec, s[2:3]
	s_cbranch_execz .LBB86_2005
; %bb.2000:
	s_mov_b32 s4, 0x3c7fffff
	v_cmp_lt_u32_e32 vcc, s4, v3
                                        ; implicit-def: $vgpr4
	s_and_saveexec_b64 s[4:5], vcc
	s_xor_b64 s[4:5], exec, s[4:5]
; %bb.2001:
	v_bfe_u32 v4, v3, 20, 1
	s_mov_b32 s10, 0x407ffff
	v_add3_u32 v3, v3, v4, s10
	v_lshrrev_b32_e32 v4, 20, v3
	v_and_b32_e32 v3, 0xff00000, v3
	s_mov_b32 s10, 0x7f00000
	v_mov_b32_e32 v5, 0x7e
	v_cmp_ne_u32_e32 vcc, s10, v3
	v_cndmask_b32_e32 v4, v5, v4, vcc
                                        ; implicit-def: $vgpr3
; %bb.2002:
	s_andn2_saveexec_b64 s[4:5], s[4:5]
; %bb.2003:
	v_add_f32_e32 v4, 0x46800000, v3
; %bb.2004:
	s_or_b64 exec, exec, s[4:5]
                                        ; implicit-def: $vgpr3
.LBB86_2005:
	s_andn2_saveexec_b64 s[2:3], s[2:3]
; %bb.2006:
	s_mov_b32 s4, 0x7f800000
	v_mov_b32_e32 v4, 0x7e
	v_mov_b32_e32 v5, 0x7f
	v_cmp_lt_u32_e32 vcc, s4, v3
	v_cndmask_b32_e32 v4, v4, v5, vcc
; %bb.2007:
	s_or_b64 exec, exec, s[2:3]
	global_store_byte v[0:1], v4, off
.LBB86_2008:
	s_mov_b64 s[2:3], 0
.LBB86_2009:
	s_andn2_b64 vcc, exec, s[2:3]
	s_cbranch_vccnz .LBB86_2019
; %bb.2010:
	v_cndmask_b32_e64 v3, 0, 1.0, s[22:23]
	s_mov_b32 s2, 0x47800000
	v_cmp_gt_u32_e32 vcc, s2, v3
                                        ; implicit-def: $vgpr4
	s_and_saveexec_b64 s[2:3], vcc
	s_xor_b64 s[2:3], exec, s[2:3]
	s_cbranch_execz .LBB86_2016
; %bb.2011:
	s_mov_b32 s4, 0x387fffff
	v_cmp_lt_u32_e32 vcc, s4, v3
                                        ; implicit-def: $vgpr4
	s_and_saveexec_b64 s[4:5], vcc
	s_xor_b64 s[4:5], exec, s[4:5]
; %bb.2012:
	v_bfe_u32 v4, v3, 21, 1
	s_mov_b32 s10, 0x80fffff
	v_add3_u32 v3, v3, v4, s10
	v_lshrrev_b32_e32 v4, 21, v3
                                        ; implicit-def: $vgpr3
; %bb.2013:
	s_andn2_saveexec_b64 s[4:5], s[4:5]
; %bb.2014:
	v_add_f32_e32 v4, 0x43000000, v3
; %bb.2015:
	s_or_b64 exec, exec, s[4:5]
                                        ; implicit-def: $vgpr3
.LBB86_2016:
	s_andn2_saveexec_b64 s[2:3], s[2:3]
; %bb.2017:
	s_mov_b32 s4, 0x7f800000
	v_mov_b32_e32 v4, 0x7c
	v_mov_b32_e32 v5, 0x7f
	v_cmp_lt_u32_e32 vcc, s4, v3
	v_cndmask_b32_e32 v4, v4, v5, vcc
; %bb.2018:
	s_or_b64 exec, exec, s[2:3]
	global_store_byte v[0:1], v4, off
.LBB86_2019:
	s_mov_b64 s[2:3], 0
	s_mov_b64 s[4:5], -1
.LBB86_2020:
	s_andn2_b64 vcc, exec, s[2:3]
	s_mov_b64 s[2:3], 0
	s_cbranch_vccnz .LBB86_2027
; %bb.2021:
	s_cmp_gt_i32 s15, 14
	s_mov_b64 s[10:11], -1
	s_cbranch_scc0 .LBB86_2025
; %bb.2022:
	s_cmp_eq_u32 s15, 15
	s_mov_b64 s[0:1], -1
	s_cbranch_scc0 .LBB86_2024
; %bb.2023:
	v_cndmask_b32_e64 v3, 0, 1.0, s[22:23]
	v_bfe_u32 v4, v3, 16, 1
	s_movk_i32 s0, 0x7fff
	v_add3_u32 v3, v3, v4, s0
	global_store_short_d16_hi v[0:1], v3, off
	s_mov_b64 s[0:1], 0
	s_mov_b64 s[4:5], -1
.LBB86_2024:
	s_mov_b64 s[10:11], 0
.LBB86_2025:
	s_and_b64 vcc, exec, s[10:11]
	s_cbranch_vccz .LBB86_2027
; %bb.2026:
	s_cmp_lg_u32 s15, 11
	s_mov_b64 s[2:3], -1
	s_cselect_b64 s[0:1], -1, 0
.LBB86_2027:
	s_and_b64 vcc, exec, s[0:1]
	s_cbranch_vccnz .LBB86_2163
; %bb.2028:
	s_andn2_b64 vcc, exec, s[2:3]
	s_cbranch_vccnz .LBB86_2030
.LBB86_2029:
	v_cndmask_b32_e64 v3, 0, 1, s[22:23]
	s_mov_b64 s[4:5], -1
	global_store_byte v[0:1], v3, off
.LBB86_2030:
	s_mov_b64 s[0:1], 0
	s_branch .LBB86_2032
.LBB86_2031:
	s_mov_b64 s[0:1], -1
	s_mov_b64 s[4:5], 0
.LBB86_2032:
	s_and_b64 vcc, exec, s[0:1]
	s_cbranch_vccz .LBB86_2071
; %bb.2033:
	s_and_b32 s2, 0xffff, s28
	s_cmp_lt_i32 s2, 5
	s_mov_b64 s[0:1], -1
	s_cbranch_scc1 .LBB86_2054
; %bb.2034:
	s_cmp_lt_i32 s2, 8
	s_cbranch_scc1 .LBB86_2044
; %bb.2035:
	s_cmp_lt_i32 s2, 9
	s_cbranch_scc1 .LBB86_2041
; %bb.2036:
	s_cmp_gt_i32 s2, 9
	s_cbranch_scc0 .LBB86_2038
; %bb.2037:
	v_cndmask_b32_e64 v3, 0, 1, s[22:23]
	v_cvt_f64_u32_e32 v[3:4], v3
	v_mov_b32_e32 v5, 0
	v_mov_b32_e32 v6, v5
	s_mov_b64 s[0:1], 0
	global_store_dwordx4 v[0:1], v[3:6], off
.LBB86_2038:
	s_andn2_b64 vcc, exec, s[0:1]
	s_cbranch_vccnz .LBB86_2040
; %bb.2039:
	v_cndmask_b32_e64 v3, 0, 1.0, s[22:23]
	v_mov_b32_e32 v4, 0
	global_store_dwordx2 v[0:1], v[3:4], off
.LBB86_2040:
	s_mov_b64 s[0:1], 0
.LBB86_2041:
	s_andn2_b64 vcc, exec, s[0:1]
	s_cbranch_vccnz .LBB86_2043
; %bb.2042:
	v_cndmask_b32_e64 v3, 0, 1.0, s[22:23]
	v_cvt_f16_f32_e32 v3, v3
	global_store_dword v[0:1], v3, off
.LBB86_2043:
	s_mov_b64 s[0:1], 0
.LBB86_2044:
	s_andn2_b64 vcc, exec, s[0:1]
	s_cbranch_vccnz .LBB86_2053
; %bb.2045:
	s_cmp_lt_i32 s2, 6
	s_mov_b64 s[0:1], -1
	s_cbranch_scc1 .LBB86_2051
; %bb.2046:
	s_cmp_gt_i32 s2, 6
	s_cbranch_scc0 .LBB86_2048
; %bb.2047:
	v_cndmask_b32_e64 v3, 0, 1, s[22:23]
	v_cvt_f64_u32_e32 v[3:4], v3
	s_mov_b64 s[0:1], 0
	global_store_dwordx2 v[0:1], v[3:4], off
.LBB86_2048:
	s_andn2_b64 vcc, exec, s[0:1]
	s_cbranch_vccnz .LBB86_2050
; %bb.2049:
	v_cndmask_b32_e64 v3, 0, 1.0, s[22:23]
	global_store_dword v[0:1], v3, off
.LBB86_2050:
	s_mov_b64 s[0:1], 0
.LBB86_2051:
	s_andn2_b64 vcc, exec, s[0:1]
	s_cbranch_vccnz .LBB86_2053
; %bb.2052:
	v_cndmask_b32_e64 v3, 0, 1.0, s[22:23]
	v_cvt_f16_f32_e32 v3, v3
	global_store_short v[0:1], v3, off
.LBB86_2053:
	s_mov_b64 s[0:1], 0
.LBB86_2054:
	s_andn2_b64 vcc, exec, s[0:1]
	s_cbranch_vccnz .LBB86_2070
; %bb.2055:
	s_cmp_lt_i32 s2, 2
	s_mov_b64 s[0:1], -1
	s_cbranch_scc1 .LBB86_2065
; %bb.2056:
	s_cmp_lt_i32 s2, 3
	s_cbranch_scc1 .LBB86_2062
; %bb.2057:
	s_cmp_gt_i32 s2, 3
	s_cbranch_scc0 .LBB86_2059
; %bb.2058:
	s_mov_b32 s0, 0
	v_cndmask_b32_e64 v3, 0, 1, s[22:23]
	v_mov_b32_e32 v4, s0
	global_store_dwordx2 v[0:1], v[3:4], off
	s_mov_b64 s[0:1], 0
.LBB86_2059:
	s_andn2_b64 vcc, exec, s[0:1]
	s_cbranch_vccnz .LBB86_2061
; %bb.2060:
	v_cndmask_b32_e64 v3, 0, 1, s[22:23]
	global_store_dword v[0:1], v3, off
.LBB86_2061:
	s_mov_b64 s[0:1], 0
.LBB86_2062:
	s_andn2_b64 vcc, exec, s[0:1]
	s_cbranch_vccnz .LBB86_2064
; %bb.2063:
	v_cndmask_b32_e64 v3, 0, 1, s[22:23]
	global_store_short v[0:1], v3, off
.LBB86_2064:
	s_mov_b64 s[0:1], 0
.LBB86_2065:
	s_andn2_b64 vcc, exec, s[0:1]
	s_cbranch_vccnz .LBB86_2070
; %bb.2066:
	s_mov_b64 s[0:1], -1
	s_cmp_gt_i32 s2, 0
	v_cndmask_b32_e64 v3, 0, 1, s[22:23]
	s_cbranch_scc0 .LBB86_2068
; %bb.2067:
	global_store_byte v[0:1], v3, off
	s_mov_b64 s[0:1], 0
.LBB86_2068:
	s_andn2_b64 vcc, exec, s[0:1]
	s_cbranch_vccnz .LBB86_2070
; %bb.2069:
	global_store_byte v[0:1], v3, off
.LBB86_2070:
	s_mov_b64 s[4:5], -1
.LBB86_2071:
	s_andn2_b64 vcc, exec, s[4:5]
	s_cbranch_vccnz .LBB86_2148
; %bb.2072:
	v_add_u32_e32 v0, s14, v2
	v_ashrrev_i32_e32 v1, 31, v0
	v_mov_b32_e32 v2, s9
	v_add_co_u32_e32 v0, vcc, s8, v0
	s_cmp_lt_i32 s28, 11
	v_addc_co_u32_e32 v1, vcc, v2, v1, vcc
	s_cbranch_scc1 .LBB86_2149
; %bb.2073:
	s_and_b32 s12, 0xffff, s28
	s_mov_b64 s[4:5], -1
	s_mov_b64 s[2:3], 0
	s_cmp_gt_i32 s12, 25
	s_mov_b64 s[0:1], 0
	s_cbranch_scc0 .LBB86_2106
; %bb.2074:
	s_cmp_gt_i32 s12, 28
	s_cbranch_scc0 .LBB86_2090
; %bb.2075:
	s_cmp_gt_i32 s12, 43
	;; [unrolled: 3-line block ×3, first 2 shown]
	s_cbranch_scc0 .LBB86_2080
; %bb.2077:
	s_cmp_eq_u32 s12, 46
	s_mov_b64 s[0:1], -1
	s_cbranch_scc0 .LBB86_2079
; %bb.2078:
	v_cndmask_b32_e64 v2, 0, 1.0, s[24:25]
	v_bfe_u32 v3, v2, 16, 1
	s_movk_i32 s0, 0x7fff
	v_add3_u32 v2, v2, v3, s0
	v_lshrrev_b32_e32 v2, 16, v2
	global_store_dword v[0:1], v2, off
	s_mov_b64 s[0:1], 0
.LBB86_2079:
	s_mov_b64 s[4:5], 0
.LBB86_2080:
	s_and_b64 vcc, exec, s[4:5]
	s_cbranch_vccz .LBB86_2085
; %bb.2081:
	s_cmp_eq_u32 s12, 44
	s_mov_b64 s[0:1], -1
	s_cbranch_scc0 .LBB86_2085
; %bb.2082:
	v_cndmask_b32_e64 v3, 0, 1.0, s[24:25]
	v_lshrrev_b32_e32 v2, 23, v3
	s_movk_i32 s0, 0xff
	v_cmp_ne_u32_e32 vcc, s0, v2
	v_mov_b32_e32 v4, 0xff
	s_and_saveexec_b64 s[4:5], vcc
; %bb.2083:
	s_mov_b32 s0, 0x3fffff
	v_and_b32_e32 v4, 0x400000, v3
	v_and_or_b32 v3, v3, s0, v2
	v_cmp_ne_u32_e32 vcc, 0, v4
	v_cmp_ne_u32_e64 s[0:1], 0, v3
	s_and_b64 s[0:1], vcc, s[0:1]
	v_cndmask_b32_e64 v3, 0, 1, s[0:1]
	v_add_u32_e32 v4, v2, v3
; %bb.2084:
	s_or_b64 exec, exec, s[4:5]
	s_mov_b64 s[0:1], 0
	global_store_byte v[0:1], v4, off
.LBB86_2085:
	s_mov_b64 s[4:5], 0
.LBB86_2086:
	s_and_b64 vcc, exec, s[4:5]
	s_cbranch_vccz .LBB86_2089
; %bb.2087:
	s_cmp_eq_u32 s12, 29
	s_mov_b64 s[0:1], -1
	s_cbranch_scc0 .LBB86_2089
; %bb.2088:
	s_mov_b32 s0, 0
	v_cndmask_b32_e64 v2, 0, 1, s[24:25]
	v_mov_b32_e32 v3, s0
	global_store_dwordx2 v[0:1], v[2:3], off
	s_mov_b64 s[0:1], 0
.LBB86_2089:
	s_mov_b64 s[4:5], 0
.LBB86_2090:
	s_and_b64 vcc, exec, s[4:5]
	s_cbranch_vccz .LBB86_2105
; %bb.2091:
	s_cmp_lt_i32 s12, 27
	s_mov_b64 s[4:5], -1
	s_cbranch_scc1 .LBB86_2097
; %bb.2092:
	s_cmp_gt_i32 s12, 27
	v_cndmask_b32_e64 v2, 0, 1, s[24:25]
	s_cbranch_scc0 .LBB86_2094
; %bb.2093:
	global_store_dword v[0:1], v2, off
	s_mov_b64 s[4:5], 0
.LBB86_2094:
	s_andn2_b64 vcc, exec, s[4:5]
	s_cbranch_vccnz .LBB86_2096
; %bb.2095:
	global_store_short v[0:1], v2, off
.LBB86_2096:
	s_mov_b64 s[4:5], 0
.LBB86_2097:
	s_andn2_b64 vcc, exec, s[4:5]
	s_cbranch_vccnz .LBB86_2105
; %bb.2098:
	v_cndmask_b32_e64 v3, 0, 1.0, s[24:25]
	s_mov_b32 s4, 0x43800000
	v_cmp_gt_u32_e32 vcc, s4, v3
	v_mov_b32_e32 v4, 0x80
	s_and_saveexec_b64 s[4:5], vcc
	s_cbranch_execz .LBB86_2104
; %bb.2099:
	s_mov_b32 s8, 0x3bffffff
	v_cmp_lt_u32_e32 vcc, s8, v3
	s_mov_b64 s[8:9], 0
                                        ; implicit-def: $vgpr2
	s_and_saveexec_b64 s[10:11], vcc
	s_xor_b64 s[10:11], exec, s[10:11]
	s_cbranch_execz .LBB86_2166
; %bb.2100:
	v_bfe_u32 v2, v3, 20, 1
	s_mov_b32 s13, 0x487ffff
	v_add3_u32 v2, v3, v2, s13
	s_mov_b64 s[8:9], exec
	v_lshrrev_b32_e32 v2, 20, v2
                                        ; implicit-def: $vgpr3
	s_andn2_saveexec_b64 s[10:11], s[10:11]
	s_cbranch_execnz .LBB86_2167
.LBB86_2101:
	s_or_b64 exec, exec, s[10:11]
	v_mov_b32_e32 v4, 0
	s_and_saveexec_b64 s[10:11], s[8:9]
.LBB86_2102:
	v_mov_b32_e32 v4, v2
.LBB86_2103:
	s_or_b64 exec, exec, s[10:11]
.LBB86_2104:
	s_or_b64 exec, exec, s[4:5]
	global_store_byte v[0:1], v4, off
.LBB86_2105:
	s_mov_b64 s[4:5], 0
.LBB86_2106:
	s_and_b64 vcc, exec, s[4:5]
	s_cbranch_vccz .LBB86_2146
; %bb.2107:
	s_cmp_gt_i32 s12, 22
	s_mov_b64 s[2:3], -1
	s_cbranch_scc0 .LBB86_2139
; %bb.2108:
	s_cmp_lt_i32 s12, 24
	s_cbranch_scc1 .LBB86_2128
; %bb.2109:
	s_cmp_gt_i32 s12, 24
	s_cbranch_scc0 .LBB86_2117
; %bb.2110:
	v_cndmask_b32_e64 v3, 0, 1.0, s[24:25]
	s_mov_b32 s2, 0x47800000
	v_cmp_gt_u32_e32 vcc, s2, v3
	v_mov_b32_e32 v4, 0x80
	s_and_saveexec_b64 s[2:3], vcc
	s_cbranch_execz .LBB86_2116
; %bb.2111:
	s_mov_b32 s4, 0x37ffffff
	v_cmp_lt_u32_e32 vcc, s4, v3
	s_mov_b64 s[4:5], 0
                                        ; implicit-def: $vgpr2
	s_and_saveexec_b64 s[8:9], vcc
	s_xor_b64 s[8:9], exec, s[8:9]
	s_cbranch_execz .LBB86_2169
; %bb.2112:
	v_bfe_u32 v2, v3, 21, 1
	s_mov_b32 s10, 0x88fffff
	v_add3_u32 v2, v3, v2, s10
	s_mov_b64 s[4:5], exec
	v_lshrrev_b32_e32 v2, 21, v2
                                        ; implicit-def: $vgpr3
	s_andn2_saveexec_b64 s[8:9], s[8:9]
	s_cbranch_execnz .LBB86_2170
.LBB86_2113:
	s_or_b64 exec, exec, s[8:9]
	v_mov_b32_e32 v4, 0
	s_and_saveexec_b64 s[8:9], s[4:5]
.LBB86_2114:
	v_mov_b32_e32 v4, v2
.LBB86_2115:
	s_or_b64 exec, exec, s[8:9]
.LBB86_2116:
	s_or_b64 exec, exec, s[2:3]
	s_mov_b64 s[2:3], 0
	global_store_byte v[0:1], v4, off
.LBB86_2117:
	s_and_b64 vcc, exec, s[2:3]
	s_cbranch_vccz .LBB86_2127
; %bb.2118:
	v_cndmask_b32_e64 v2, 0, 1.0, s[24:25]
	s_mov_b32 s2, 0x43f00000
	v_cmp_gt_u32_e32 vcc, s2, v2
                                        ; implicit-def: $vgpr3
	s_and_saveexec_b64 s[2:3], vcc
	s_xor_b64 s[2:3], exec, s[2:3]
	s_cbranch_execz .LBB86_2124
; %bb.2119:
	s_mov_b32 s4, 0x3c7fffff
	v_cmp_lt_u32_e32 vcc, s4, v2
                                        ; implicit-def: $vgpr3
	s_and_saveexec_b64 s[4:5], vcc
	s_xor_b64 s[4:5], exec, s[4:5]
; %bb.2120:
	v_bfe_u32 v3, v2, 20, 1
	s_mov_b32 s8, 0x407ffff
	v_add3_u32 v2, v2, v3, s8
	v_lshrrev_b32_e32 v3, 20, v2
	v_and_b32_e32 v2, 0xff00000, v2
	s_mov_b32 s8, 0x7f00000
	v_mov_b32_e32 v4, 0x7e
	v_cmp_ne_u32_e32 vcc, s8, v2
	v_cndmask_b32_e32 v3, v4, v3, vcc
                                        ; implicit-def: $vgpr2
; %bb.2121:
	s_andn2_saveexec_b64 s[4:5], s[4:5]
; %bb.2122:
	v_add_f32_e32 v3, 0x46800000, v2
; %bb.2123:
	s_or_b64 exec, exec, s[4:5]
                                        ; implicit-def: $vgpr2
.LBB86_2124:
	s_andn2_saveexec_b64 s[2:3], s[2:3]
; %bb.2125:
	s_mov_b32 s4, 0x7f800000
	v_mov_b32_e32 v3, 0x7e
	v_mov_b32_e32 v4, 0x7f
	v_cmp_lt_u32_e32 vcc, s4, v2
	v_cndmask_b32_e32 v3, v3, v4, vcc
; %bb.2126:
	s_or_b64 exec, exec, s[2:3]
	global_store_byte v[0:1], v3, off
.LBB86_2127:
	s_mov_b64 s[2:3], 0
.LBB86_2128:
	s_andn2_b64 vcc, exec, s[2:3]
	s_cbranch_vccnz .LBB86_2138
; %bb.2129:
	v_cndmask_b32_e64 v2, 0, 1.0, s[24:25]
	s_mov_b32 s2, 0x47800000
	v_cmp_gt_u32_e32 vcc, s2, v2
                                        ; implicit-def: $vgpr3
	s_and_saveexec_b64 s[2:3], vcc
	s_xor_b64 s[2:3], exec, s[2:3]
	s_cbranch_execz .LBB86_2135
; %bb.2130:
	s_mov_b32 s4, 0x387fffff
	v_cmp_lt_u32_e32 vcc, s4, v2
                                        ; implicit-def: $vgpr3
	s_and_saveexec_b64 s[4:5], vcc
	s_xor_b64 s[4:5], exec, s[4:5]
; %bb.2131:
	v_bfe_u32 v3, v2, 21, 1
	s_mov_b32 s8, 0x80fffff
	v_add3_u32 v2, v2, v3, s8
	v_lshrrev_b32_e32 v3, 21, v2
                                        ; implicit-def: $vgpr2
; %bb.2132:
	s_andn2_saveexec_b64 s[4:5], s[4:5]
; %bb.2133:
	v_add_f32_e32 v3, 0x43000000, v2
; %bb.2134:
	s_or_b64 exec, exec, s[4:5]
                                        ; implicit-def: $vgpr2
.LBB86_2135:
	s_andn2_saveexec_b64 s[2:3], s[2:3]
; %bb.2136:
	s_mov_b32 s4, 0x7f800000
	v_mov_b32_e32 v3, 0x7c
	v_mov_b32_e32 v4, 0x7f
	v_cmp_lt_u32_e32 vcc, s4, v2
	v_cndmask_b32_e32 v3, v3, v4, vcc
; %bb.2137:
	s_or_b64 exec, exec, s[2:3]
	global_store_byte v[0:1], v3, off
.LBB86_2138:
	s_mov_b64 s[2:3], 0
.LBB86_2139:
	s_andn2_b64 vcc, exec, s[2:3]
	s_mov_b64 s[2:3], 0
	s_cbranch_vccnz .LBB86_2146
; %bb.2140:
	s_cmp_gt_i32 s12, 14
	s_mov_b64 s[4:5], -1
	s_cbranch_scc0 .LBB86_2144
; %bb.2141:
	s_cmp_eq_u32 s12, 15
	s_mov_b64 s[0:1], -1
	s_cbranch_scc0 .LBB86_2143
; %bb.2142:
	v_cndmask_b32_e64 v2, 0, 1.0, s[24:25]
	v_bfe_u32 v3, v2, 16, 1
	s_movk_i32 s0, 0x7fff
	v_add3_u32 v2, v2, v3, s0
	global_store_short_d16_hi v[0:1], v2, off
	s_mov_b64 s[0:1], 0
.LBB86_2143:
	s_mov_b64 s[4:5], 0
.LBB86_2144:
	s_and_b64 vcc, exec, s[4:5]
	s_cbranch_vccz .LBB86_2146
; %bb.2145:
	s_cmp_lg_u32 s12, 11
	s_mov_b64 s[2:3], -1
	s_cselect_b64 s[0:1], -1, 0
.LBB86_2146:
	s_and_b64 vcc, exec, s[0:1]
	s_cbranch_vccnz .LBB86_2168
.LBB86_2147:
	s_mov_b64 s[0:1], 0
	s_branch .LBB86_1658
.LBB86_2148:
	s_mov_b64 s[0:1], 0
	s_branch .LBB86_1657
.LBB86_2149:
	s_mov_b64 s[2:3], 0
	s_mov_b64 s[0:1], -1
	s_branch .LBB86_1658
.LBB86_2150:
	s_trap 2
	s_or_b64 s[18:19], s[18:19], exec
	s_cbranch_execz .LBB86_1600
	s_branch .LBB86_1601
.LBB86_2151:
	s_andn2_saveexec_b64 s[26:27], s[26:27]
	s_cbranch_execz .LBB86_1741
.LBB86_2152:
	v_add_f32_e32 v3, 0x46000000, v4
	v_and_b32_e32 v3, 0xff, v3
	v_cmp_ne_u32_e32 vcc, 0, v3
	s_andn2_b64 s[14:15], s[14:15], exec
	s_and_b64 s[30:31], vcc, exec
	s_or_b64 s[14:15], s[14:15], s[30:31]
	s_or_b64 exec, exec, s[26:27]
	v_mov_b32_e32 v5, 0
	s_and_saveexec_b64 s[26:27], s[14:15]
	s_cbranch_execnz .LBB86_1742
	s_branch .LBB86_1743
.LBB86_2153:
	s_trap 2
	s_or_b64 s[18:19], s[18:19], exec
	s_cbranch_execz .LBB86_1789
	s_branch .LBB86_1790
.LBB86_2154:
	s_andn2_saveexec_b64 s[14:15], s[14:15]
	s_cbranch_execz .LBB86_1754
.LBB86_2155:
	v_add_f32_e32 v3, 0x42800000, v4
	v_and_b32_e32 v3, 0xff, v3
	v_cmp_ne_u32_e32 vcc, 0, v3
	s_andn2_b64 s[10:11], s[10:11], exec
	s_and_b64 s[26:27], vcc, exec
	s_or_b64 s[10:11], s[10:11], s[26:27]
	s_or_b64 exec, exec, s[14:15]
	v_mov_b32_e32 v5, 0
	s_and_saveexec_b64 s[14:15], s[10:11]
	s_cbranch_execnz .LBB86_1755
	s_branch .LBB86_1756
.LBB86_2156:
	s_andn2_saveexec_b64 s[12:13], s[12:13]
	s_cbranch_execz .LBB86_1862
.LBB86_2157:
	v_add_f32_e32 v3, 0x46000000, v4
	v_and_b32_e32 v3, 0xff, v3
	v_cmp_ne_u32_e32 vcc, 0, v3
	s_andn2_b64 s[10:11], s[10:11], exec
	s_and_b64 s[26:27], vcc, exec
	s_or_b64 s[10:11], s[10:11], s[26:27]
	s_or_b64 exec, exec, s[12:13]
	v_mov_b32_e32 v5, 0
	s_and_saveexec_b64 s[12:13], s[10:11]
	s_cbranch_execnz .LBB86_1863
	s_branch .LBB86_1864
.LBB86_2158:
	s_trap 2
	s_or_b64 s[18:19], s[18:19], exec
	s_cbranch_execz .LBB86_1910
	s_branch .LBB86_1911
.LBB86_2159:
	s_andn2_saveexec_b64 s[10:11], s[10:11]
	s_cbranch_execz .LBB86_1875
.LBB86_2160:
	v_add_f32_e32 v3, 0x42800000, v4
	v_and_b32_e32 v3, 0xff, v3
	v_cmp_ne_u32_e32 vcc, 0, v3
	s_andn2_b64 s[4:5], s[4:5], exec
	s_and_b64 s[12:13], vcc, exec
	s_or_b64 s[4:5], s[4:5], s[12:13]
	s_or_b64 exec, exec, s[10:11]
	v_mov_b32_e32 v5, 0
	s_and_saveexec_b64 s[10:11], s[4:5]
	s_cbranch_execnz .LBB86_1876
	s_branch .LBB86_1877
.LBB86_2161:
	s_andn2_saveexec_b64 s[12:13], s[12:13]
	s_cbranch_execz .LBB86_1981
.LBB86_2162:
	v_add_f32_e32 v3, 0x46000000, v4
	v_and_b32_e32 v3, 0xff, v3
	v_cmp_ne_u32_e32 vcc, 0, v3
	s_andn2_b64 s[10:11], s[10:11], exec
	s_and_b64 s[20:21], vcc, exec
	s_or_b64 s[10:11], s[10:11], s[20:21]
	s_or_b64 exec, exec, s[12:13]
	v_mov_b32_e32 v5, 0
	s_and_saveexec_b64 s[12:13], s[10:11]
	s_cbranch_execnz .LBB86_1982
	s_branch .LBB86_1983
.LBB86_2163:
	s_trap 2
	s_or_b64 s[18:19], s[18:19], exec
	s_cbranch_execz .LBB86_2029
	s_branch .LBB86_2030
.LBB86_2164:
	s_andn2_saveexec_b64 s[10:11], s[10:11]
	s_cbranch_execz .LBB86_1994
.LBB86_2165:
	v_add_f32_e32 v3, 0x42800000, v4
	v_and_b32_e32 v3, 0xff, v3
	v_cmp_ne_u32_e32 vcc, 0, v3
	s_andn2_b64 s[4:5], s[4:5], exec
	s_and_b64 s[12:13], vcc, exec
	s_or_b64 s[4:5], s[4:5], s[12:13]
	s_or_b64 exec, exec, s[10:11]
	v_mov_b32_e32 v5, 0
	s_and_saveexec_b64 s[10:11], s[4:5]
	s_cbranch_execnz .LBB86_1995
	s_branch .LBB86_1996
.LBB86_2166:
	s_andn2_saveexec_b64 s[10:11], s[10:11]
	s_cbranch_execz .LBB86_2101
.LBB86_2167:
	v_add_f32_e32 v2, 0x46000000, v3
	v_and_b32_e32 v2, 0xff, v2
	v_cmp_ne_u32_e32 vcc, 0, v2
	s_andn2_b64 s[8:9], s[8:9], exec
	s_and_b64 s[14:15], vcc, exec
	s_or_b64 s[8:9], s[8:9], s[14:15]
	s_or_b64 exec, exec, s[10:11]
	v_mov_b32_e32 v4, 0
	s_and_saveexec_b64 s[10:11], s[8:9]
	s_cbranch_execnz .LBB86_2102
	s_branch .LBB86_2103
.LBB86_2168:
	s_mov_b64 s[2:3], 0
	s_or_b64 s[18:19], s[18:19], exec
	s_trap 2
	s_branch .LBB86_2147
.LBB86_2169:
	s_andn2_saveexec_b64 s[8:9], s[8:9]
	s_cbranch_execz .LBB86_2113
.LBB86_2170:
	v_add_f32_e32 v2, 0x42800000, v3
	v_and_b32_e32 v2, 0xff, v2
	v_cmp_ne_u32_e32 vcc, 0, v2
	s_andn2_b64 s[4:5], s[4:5], exec
	s_and_b64 s[10:11], vcc, exec
	s_or_b64 s[4:5], s[4:5], s[10:11]
	s_or_b64 exec, exec, s[8:9]
	v_mov_b32_e32 v4, 0
	s_and_saveexec_b64 s[8:9], s[4:5]
	s_cbranch_execnz .LBB86_2114
	s_branch .LBB86_2115
	.section	.rodata,"a",@progbits
	.p2align	6, 0x0
	.amdhsa_kernel _ZN2at6native32elementwise_kernel_manual_unrollILi128ELi4EZNS0_15gpu_kernel_implIZNS0_21compare_scalar_kernelIdEEvRNS_18TensorIteratorBaseENS0_12_GLOBAL__N_16OpTypeET_EUldE_EEvS5_RKS8_EUlibE_EEviT1_
		.amdhsa_group_segment_fixed_size 0
		.amdhsa_private_segment_fixed_size 0
		.amdhsa_kernarg_size 56
		.amdhsa_user_sgpr_count 6
		.amdhsa_user_sgpr_private_segment_buffer 1
		.amdhsa_user_sgpr_dispatch_ptr 0
		.amdhsa_user_sgpr_queue_ptr 0
		.amdhsa_user_sgpr_kernarg_segment_ptr 1
		.amdhsa_user_sgpr_dispatch_id 0
		.amdhsa_user_sgpr_flat_scratch_init 0
		.amdhsa_user_sgpr_private_segment_size 0
		.amdhsa_uses_dynamic_stack 0
		.amdhsa_system_sgpr_private_segment_wavefront_offset 0
		.amdhsa_system_sgpr_workgroup_id_x 1
		.amdhsa_system_sgpr_workgroup_id_y 0
		.amdhsa_system_sgpr_workgroup_id_z 0
		.amdhsa_system_sgpr_workgroup_info 0
		.amdhsa_system_vgpr_workitem_id 0
		.amdhsa_next_free_vgpr 10
		.amdhsa_next_free_sgpr 48
		.amdhsa_reserve_vcc 1
		.amdhsa_reserve_flat_scratch 0
		.amdhsa_float_round_mode_32 0
		.amdhsa_float_round_mode_16_64 0
		.amdhsa_float_denorm_mode_32 3
		.amdhsa_float_denorm_mode_16_64 3
		.amdhsa_dx10_clamp 1
		.amdhsa_ieee_mode 1
		.amdhsa_fp16_overflow 0
		.amdhsa_exception_fp_ieee_invalid_op 0
		.amdhsa_exception_fp_denorm_src 0
		.amdhsa_exception_fp_ieee_div_zero 0
		.amdhsa_exception_fp_ieee_overflow 0
		.amdhsa_exception_fp_ieee_underflow 0
		.amdhsa_exception_fp_ieee_inexact 0
		.amdhsa_exception_int_div_zero 0
	.end_amdhsa_kernel
	.section	.text._ZN2at6native32elementwise_kernel_manual_unrollILi128ELi4EZNS0_15gpu_kernel_implIZNS0_21compare_scalar_kernelIdEEvRNS_18TensorIteratorBaseENS0_12_GLOBAL__N_16OpTypeET_EUldE_EEvS5_RKS8_EUlibE_EEviT1_,"axG",@progbits,_ZN2at6native32elementwise_kernel_manual_unrollILi128ELi4EZNS0_15gpu_kernel_implIZNS0_21compare_scalar_kernelIdEEvRNS_18TensorIteratorBaseENS0_12_GLOBAL__N_16OpTypeET_EUldE_EEvS5_RKS8_EUlibE_EEviT1_,comdat
.Lfunc_end86:
	.size	_ZN2at6native32elementwise_kernel_manual_unrollILi128ELi4EZNS0_15gpu_kernel_implIZNS0_21compare_scalar_kernelIdEEvRNS_18TensorIteratorBaseENS0_12_GLOBAL__N_16OpTypeET_EUldE_EEvS5_RKS8_EUlibE_EEviT1_, .Lfunc_end86-_ZN2at6native32elementwise_kernel_manual_unrollILi128ELi4EZNS0_15gpu_kernel_implIZNS0_21compare_scalar_kernelIdEEvRNS_18TensorIteratorBaseENS0_12_GLOBAL__N_16OpTypeET_EUldE_EEvS5_RKS8_EUlibE_EEviT1_
                                        ; -- End function
	.set _ZN2at6native32elementwise_kernel_manual_unrollILi128ELi4EZNS0_15gpu_kernel_implIZNS0_21compare_scalar_kernelIdEEvRNS_18TensorIteratorBaseENS0_12_GLOBAL__N_16OpTypeET_EUldE_EEvS5_RKS8_EUlibE_EEviT1_.num_vgpr, 10
	.set _ZN2at6native32elementwise_kernel_manual_unrollILi128ELi4EZNS0_15gpu_kernel_implIZNS0_21compare_scalar_kernelIdEEvRNS_18TensorIteratorBaseENS0_12_GLOBAL__N_16OpTypeET_EUldE_EEvS5_RKS8_EUlibE_EEviT1_.num_agpr, 0
	.set _ZN2at6native32elementwise_kernel_manual_unrollILi128ELi4EZNS0_15gpu_kernel_implIZNS0_21compare_scalar_kernelIdEEvRNS_18TensorIteratorBaseENS0_12_GLOBAL__N_16OpTypeET_EUldE_EEvS5_RKS8_EUlibE_EEviT1_.numbered_sgpr, 48
	.set _ZN2at6native32elementwise_kernel_manual_unrollILi128ELi4EZNS0_15gpu_kernel_implIZNS0_21compare_scalar_kernelIdEEvRNS_18TensorIteratorBaseENS0_12_GLOBAL__N_16OpTypeET_EUldE_EEvS5_RKS8_EUlibE_EEviT1_.num_named_barrier, 0
	.set _ZN2at6native32elementwise_kernel_manual_unrollILi128ELi4EZNS0_15gpu_kernel_implIZNS0_21compare_scalar_kernelIdEEvRNS_18TensorIteratorBaseENS0_12_GLOBAL__N_16OpTypeET_EUldE_EEvS5_RKS8_EUlibE_EEviT1_.private_seg_size, 0
	.set _ZN2at6native32elementwise_kernel_manual_unrollILi128ELi4EZNS0_15gpu_kernel_implIZNS0_21compare_scalar_kernelIdEEvRNS_18TensorIteratorBaseENS0_12_GLOBAL__N_16OpTypeET_EUldE_EEvS5_RKS8_EUlibE_EEviT1_.uses_vcc, 1
	.set _ZN2at6native32elementwise_kernel_manual_unrollILi128ELi4EZNS0_15gpu_kernel_implIZNS0_21compare_scalar_kernelIdEEvRNS_18TensorIteratorBaseENS0_12_GLOBAL__N_16OpTypeET_EUldE_EEvS5_RKS8_EUlibE_EEviT1_.uses_flat_scratch, 0
	.set _ZN2at6native32elementwise_kernel_manual_unrollILi128ELi4EZNS0_15gpu_kernel_implIZNS0_21compare_scalar_kernelIdEEvRNS_18TensorIteratorBaseENS0_12_GLOBAL__N_16OpTypeET_EUldE_EEvS5_RKS8_EUlibE_EEviT1_.has_dyn_sized_stack, 0
	.set _ZN2at6native32elementwise_kernel_manual_unrollILi128ELi4EZNS0_15gpu_kernel_implIZNS0_21compare_scalar_kernelIdEEvRNS_18TensorIteratorBaseENS0_12_GLOBAL__N_16OpTypeET_EUldE_EEvS5_RKS8_EUlibE_EEviT1_.has_recursion, 0
	.set _ZN2at6native32elementwise_kernel_manual_unrollILi128ELi4EZNS0_15gpu_kernel_implIZNS0_21compare_scalar_kernelIdEEvRNS_18TensorIteratorBaseENS0_12_GLOBAL__N_16OpTypeET_EUldE_EEvS5_RKS8_EUlibE_EEviT1_.has_indirect_call, 0
	.section	.AMDGPU.csdata,"",@progbits
; Kernel info:
; codeLenInByte = 31872
; TotalNumSgprs: 52
; NumVgprs: 10
; ScratchSize: 0
; MemoryBound: 1
; FloatMode: 240
; IeeeMode: 1
; LDSByteSize: 0 bytes/workgroup (compile time only)
; SGPRBlocks: 6
; VGPRBlocks: 2
; NumSGPRsForWavesPerEU: 52
; NumVGPRsForWavesPerEU: 10
; Occupancy: 10
; WaveLimiterHint : 0
; COMPUTE_PGM_RSRC2:SCRATCH_EN: 0
; COMPUTE_PGM_RSRC2:USER_SGPR: 6
; COMPUTE_PGM_RSRC2:TRAP_HANDLER: 0
; COMPUTE_PGM_RSRC2:TGID_X_EN: 1
; COMPUTE_PGM_RSRC2:TGID_Y_EN: 0
; COMPUTE_PGM_RSRC2:TGID_Z_EN: 0
; COMPUTE_PGM_RSRC2:TIDIG_COMP_CNT: 0
	.section	.text._ZN2at6native32elementwise_kernel_manual_unrollILi128ELi4EZNS0_15gpu_kernel_implIZNS0_21compare_scalar_kernelIdEEvRNS_18TensorIteratorBaseENS0_12_GLOBAL__N_16OpTypeET_EUldE_EEvS5_RKS8_EUlibE0_EEviT1_,"axG",@progbits,_ZN2at6native32elementwise_kernel_manual_unrollILi128ELi4EZNS0_15gpu_kernel_implIZNS0_21compare_scalar_kernelIdEEvRNS_18TensorIteratorBaseENS0_12_GLOBAL__N_16OpTypeET_EUldE_EEvS5_RKS8_EUlibE0_EEviT1_,comdat
	.globl	_ZN2at6native32elementwise_kernel_manual_unrollILi128ELi4EZNS0_15gpu_kernel_implIZNS0_21compare_scalar_kernelIdEEvRNS_18TensorIteratorBaseENS0_12_GLOBAL__N_16OpTypeET_EUldE_EEvS5_RKS8_EUlibE0_EEviT1_ ; -- Begin function _ZN2at6native32elementwise_kernel_manual_unrollILi128ELi4EZNS0_15gpu_kernel_implIZNS0_21compare_scalar_kernelIdEEvRNS_18TensorIteratorBaseENS0_12_GLOBAL__N_16OpTypeET_EUldE_EEvS5_RKS8_EUlibE0_EEviT1_
	.p2align	8
	.type	_ZN2at6native32elementwise_kernel_manual_unrollILi128ELi4EZNS0_15gpu_kernel_implIZNS0_21compare_scalar_kernelIdEEvRNS_18TensorIteratorBaseENS0_12_GLOBAL__N_16OpTypeET_EUldE_EEvS5_RKS8_EUlibE0_EEviT1_,@function
_ZN2at6native32elementwise_kernel_manual_unrollILi128ELi4EZNS0_15gpu_kernel_implIZNS0_21compare_scalar_kernelIdEEvRNS_18TensorIteratorBaseENS0_12_GLOBAL__N_16OpTypeET_EUldE_EEvS5_RKS8_EUlibE0_EEviT1_: ; @_ZN2at6native32elementwise_kernel_manual_unrollILi128ELi4EZNS0_15gpu_kernel_implIZNS0_21compare_scalar_kernelIdEEvRNS_18TensorIteratorBaseENS0_12_GLOBAL__N_16OpTypeET_EUldE_EEvS5_RKS8_EUlibE0_EEviT1_
; %bb.0:
	s_load_dword s72, s[4:5], 0x0
	s_load_dword s33, s[4:5], 0x8
	s_add_u32 s34, s4, 8
	s_addc_u32 s35, s5, 0
	v_lshl_or_b32 v8, s6, 9, v0
	v_or_b32_e32 v15, 0x180, v8
	s_waitcnt lgkmcnt(0)
	s_add_i32 s74, s33, -1
	s_cmp_gt_u32 s74, 1
	v_cmp_le_i32_e32 vcc, s72, v15
	s_cselect_b64 s[40:41], -1, 0
	s_mov_b64 s[6:7], 0
	s_mov_b64 s[28:29], 0
	s_and_saveexec_b64 s[0:1], vcc
	s_xor_b64 s[42:43], exec, s[0:1]
	s_cbranch_execz .LBB87_1151
; %bb.1:
	s_load_dwordx4 s[28:31], s[34:35], 0x4
	s_load_dwordx2 s[46:47], s[34:35], 0x14
	s_load_dword s76, s[34:35], 0x158
	s_load_dwordx2 s[44:45], s[34:35], 0x160
	s_load_dword s75, s[34:35], 0x168
	s_cmp_lg_u32 s33, 0
	s_load_dwordx4 s[36:39], s[34:35], 0xc4
	s_load_dwordx4 s[24:27], s[34:35], 0x148
	s_cselect_b64 s[52:53], -1, 0
	s_add_u32 s50, s34, 0xc4
	s_addc_u32 s51, s35, 0
	s_min_u32 s78, s74, 15
	s_cmp_gt_u32 s33, 1
	s_cselect_b64 s[48:49], -1, 0
	s_waitcnt lgkmcnt(0)
	s_bfe_u32 s77, s75, 0x80008
	v_cmp_gt_i32_e32 vcc, s72, v8
	s_mov_b64 s[2:3], -1
	s_mov_b64 s[62:63], 0
	s_mov_b64 s[56:57], 0
	;; [unrolled: 1-line block ×3, first 2 shown]
	s_and_saveexec_b64 s[58:59], vcc
	s_cbranch_execz .LBB87_282
; %bb.2:
	s_andn2_b64 vcc, exec, s[40:41]
	s_cbranch_vccnz .LBB87_7
; %bb.3:
	s_andn2_b64 vcc, exec, s[52:53]
	s_cbranch_vccnz .LBB87_8
; %bb.4:
	s_add_i32 s61, s78, 1
	s_cmp_eq_u32 s74, 2
	s_cbranch_scc1 .LBB87_9
; %bb.5:
	s_and_b32 s60, s61, 28
	v_mov_b32_e32 v2, 0
	s_mov_b32 s64, 0
	s_mov_b64 s[54:55], s[34:35]
	s_mov_b64 s[56:57], s[50:51]
	v_mov_b32_e32 v0, 0
	v_mov_b32_e32 v1, v8
.LBB87_6:                               ; =>This Inner Loop Header: Depth=1
	s_load_dwordx8 s[16:23], s[54:55], 0x4
	s_load_dwordx4 s[0:3], s[54:55], 0x24
	s_load_dwordx8 s[8:15], s[56:57], 0x0
	s_add_u32 s54, s54, 48
	s_addc_u32 s55, s55, 0
	s_waitcnt lgkmcnt(0)
	v_mul_hi_u32 v3, s17, v1
	s_add_i32 s64, s64, 4
	s_add_u32 s56, s56, 32
	s_addc_u32 s57, s57, 0
	v_add_u32_e32 v3, v1, v3
	v_lshrrev_b32_e32 v3, s18, v3
	v_mul_lo_u32 v4, v3, s16
	v_mul_hi_u32 v5, s20, v3
	s_cmp_lg_u32 s60, s64
	v_sub_u32_e32 v1, v1, v4
	v_add_u32_e32 v4, v3, v5
	v_mul_lo_u32 v5, v1, s8
	v_mul_lo_u32 v6, v1, s9
	v_lshrrev_b32_e32 v1, s21, v4
	v_mul_lo_u32 v4, v1, s19
	v_mul_hi_u32 v7, s23, v1
	v_sub_u32_e32 v3, v3, v4
	v_add_u32_e32 v4, v1, v7
	v_lshrrev_b32_e32 v4, s0, v4
	v_mul_hi_u32 v9, s2, v4
	v_mul_lo_u32 v10, v4, s22
	v_mul_lo_u32 v7, v3, s10
	;; [unrolled: 1-line block ×3, first 2 shown]
	v_sub_u32_e32 v10, v1, v10
	v_add_u32_e32 v1, v4, v9
	v_lshrrev_b32_e32 v1, s3, v1
	v_mul_lo_u32 v9, v1, s1
	v_mul_lo_u32 v11, v10, s12
	;; [unrolled: 1-line block ×3, first 2 shown]
	v_add3_u32 v0, v5, v0, v7
	v_sub_u32_e32 v4, v4, v9
	v_mul_lo_u32 v9, v4, s14
	v_mul_lo_u32 v4, v4, s15
	v_add3_u32 v2, v6, v2, v3
	v_add3_u32 v0, v11, v0, v9
	;; [unrolled: 1-line block ×3, first 2 shown]
	s_cbranch_scc1 .LBB87_6
	s_branch .LBB87_10
.LBB87_7:
                                        ; implicit-def: $vgpr0
                                        ; implicit-def: $vgpr2
	s_branch .LBB87_14
.LBB87_8:
	v_mov_b32_e32 v0, 0
	v_mov_b32_e32 v2, 0
	s_branch .LBB87_13
.LBB87_9:
	s_mov_b32 s60, 0
	v_mov_b32_e32 v0, 0
	v_mov_b32_e32 v2, 0
	;; [unrolled: 1-line block ×3, first 2 shown]
.LBB87_10:
	s_and_b32 s8, s61, 3
	s_cmp_eq_u32 s8, 0
	s_cbranch_scc1 .LBB87_13
; %bb.11:
	s_lshl_b32 s0, s60, 3
	s_add_u32 s0, s34, s0
	s_addc_u32 s1, s35, 0
	s_add_u32 s0, s0, 0xc4
	s_addc_u32 s1, s1, 0
	s_mul_i32 s2, s60, 12
	s_add_u32 s2, s34, s2
	s_addc_u32 s3, s35, 0
.LBB87_12:                              ; =>This Inner Loop Header: Depth=1
	s_load_dwordx2 s[10:11], s[2:3], 0x4
	s_load_dword s9, s[2:3], 0xc
	s_load_dwordx2 s[12:13], s[0:1], 0x0
	s_add_u32 s2, s2, 12
	s_addc_u32 s3, s3, 0
	s_waitcnt lgkmcnt(0)
	v_mul_hi_u32 v3, s11, v1
	s_add_u32 s0, s0, 8
	s_addc_u32 s1, s1, 0
	s_add_i32 s8, s8, -1
	v_add_u32_e32 v3, v1, v3
	v_lshrrev_b32_e32 v4, s9, v3
	v_mul_lo_u32 v3, v4, s10
	s_cmp_lg_u32 s8, 0
	v_sub_u32_e32 v3, v1, v3
	v_mad_u64_u32 v[0:1], s[10:11], v3, s12, v[0:1]
	v_mad_u64_u32 v[2:3], s[10:11], v3, s13, v[2:3]
	v_mov_b32_e32 v1, v4
	s_cbranch_scc1 .LBB87_12
.LBB87_13:
	s_cbranch_execnz .LBB87_16
.LBB87_14:
	v_mul_hi_u32 v0, s29, v8
	s_andn2_b64 vcc, exec, s[48:49]
	v_add_u32_e32 v0, v8, v0
	v_lshrrev_b32_e32 v1, s30, v0
	v_mul_lo_u32 v0, v1, s28
	v_sub_u32_e32 v2, v8, v0
	v_mul_lo_u32 v0, v2, s36
	v_mul_lo_u32 v2, v2, s37
	s_cbranch_vccnz .LBB87_16
; %bb.15:
	v_mul_hi_u32 v3, s46, v1
	v_add_u32_e32 v3, v1, v3
	v_lshrrev_b32_e32 v3, s47, v3
	v_mul_lo_u32 v3, v3, s31
	v_sub_u32_e32 v3, v1, v3
	v_mad_u64_u32 v[0:1], s[0:1], v3, s38, v[0:1]
	v_mad_u64_u32 v[2:3], s[0:1], v3, s39, v[2:3]
.LBB87_16:
	v_mov_b32_e32 v3, s27
	s_and_b32 s12, 0xffff, s77
	v_add_co_u32_e32 v1, vcc, s26, v2
	s_cmp_lt_i32 s12, 11
	v_addc_co_u32_e32 v2, vcc, 0, v3, vcc
	s_cbranch_scc1 .LBB87_23
; %bb.17:
	s_cmp_gt_i32 s12, 25
	s_cbranch_scc0 .LBB87_29
; %bb.18:
	s_cmp_gt_i32 s12, 28
	s_cbranch_scc0 .LBB87_31
; %bb.19:
	s_cmp_gt_i32 s12, 43
	s_cbranch_scc0 .LBB87_33
; %bb.20:
	s_cmp_gt_i32 s12, 45
	s_cbranch_scc0 .LBB87_55
; %bb.21:
	s_cmp_eq_u32 s12, 46
	s_mov_b64 s[8:9], 0
	s_cbranch_scc0 .LBB87_57
; %bb.22:
	global_load_dword v3, v[1:2], off
	s_mov_b64 s[0:1], -1
	s_mov_b64 s[2:3], 0
	s_waitcnt vmcnt(0)
	v_lshlrev_b32_e32 v3, 16, v3
	v_cvt_f64_f32_e32 v[3:4], v3
	s_branch .LBB87_59
.LBB87_23:
	s_mov_b64 s[2:3], 0
                                        ; implicit-def: $vgpr3_vgpr4
	s_mov_b64 s[0:1], 0
	s_cbranch_execnz .LBB87_232
.LBB87_24:
	s_andn2_b64 vcc, exec, s[0:1]
	s_cbranch_vccnz .LBB87_279
.LBB87_25:
	s_cmp_lt_i32 s76, 1
	s_mov_b64 s[0:1], 0
	s_cbranch_scc1 .LBB87_30
; %bb.26:
	s_cmp_gt_i32 s76, 1
	s_cbranch_scc0 .LBB87_32
; %bb.27:
	s_cmp_eq_u32 s76, 2
	s_cbranch_scc0 .LBB87_34
; %bb.28:
	s_waitcnt vmcnt(0)
	v_cmp_ge_f64_e64 s[8:9], s[44:45], v[3:4]
	s_mov_b64 s[10:11], 0
	s_branch .LBB87_35
.LBB87_29:
	s_mov_b64 s[2:3], 0
	s_mov_b64 s[0:1], 0
                                        ; implicit-def: $vgpr3_vgpr4
	s_cbranch_execnz .LBB87_199
	s_branch .LBB87_231
.LBB87_30:
                                        ; implicit-def: $sgpr8_sgpr9
	s_mov_b64 s[10:11], 0
	s_cbranch_execnz .LBB87_39
	s_branch .LBB87_40
.LBB87_31:
	s_mov_b64 s[8:9], -1
	s_mov_b64 s[2:3], 0
	s_mov_b64 s[0:1], 0
                                        ; implicit-def: $vgpr3_vgpr4
	s_branch .LBB87_178
.LBB87_32:
	s_mov_b64 s[12:13], -1
	s_mov_b64 s[10:11], 0
                                        ; implicit-def: $sgpr8_sgpr9
	s_branch .LBB87_36
.LBB87_33:
	s_mov_b64 s[8:9], -1
	s_mov_b64 s[2:3], 0
	s_mov_b64 s[0:1], 0
                                        ; implicit-def: $vgpr3_vgpr4
	s_branch .LBB87_173
.LBB87_34:
	s_mov_b64 s[10:11], -1
                                        ; implicit-def: $sgpr8_sgpr9
.LBB87_35:
	s_mov_b64 s[12:13], 0
.LBB87_36:
	s_and_b64 vcc, exec, s[12:13]
	s_cbranch_vccz .LBB87_38
; %bb.37:
	s_waitcnt vmcnt(0)
	v_cmp_lt_f64_e32 vcc, s[44:45], v[3:4]
	s_andn2_b64 s[8:9], s[8:9], exec
	s_and_b64 s[12:13], vcc, exec
	s_or_b64 s[8:9], s[8:9], s[12:13]
.LBB87_38:
	s_branch .LBB87_40
.LBB87_39:
	s_cmp_lg_u32 s76, 0
	s_mov_b64 s[0:1], -1
	s_cselect_b64 s[10:11], -1, 0
.LBB87_40:
	s_andn2_b64 vcc, exec, s[10:11]
	s_cbranch_vccnz .LBB87_42
; %bb.41:
	s_waitcnt vmcnt(0)
	v_cmp_gt_f64_e32 vcc, s[44:45], v[3:4]
	s_andn2_b64 s[8:9], s[8:9], exec
	s_and_b64 s[10:11], vcc, exec
	s_or_b64 s[8:9], s[8:9], s[10:11]
	s_cbranch_execz .LBB87_43
	s_branch .LBB87_44
.LBB87_42:
	s_andn2_b64 vcc, exec, s[0:1]
	s_cbranch_vccnz .LBB87_44
.LBB87_43:
	s_waitcnt vmcnt(0)
	v_cmp_le_f64_e32 vcc, s[44:45], v[3:4]
	s_andn2_b64 s[0:1], s[8:9], exec
	s_and_b64 s[8:9], vcc, exec
	s_or_b64 s[8:9], s[0:1], s[8:9]
.LBB87_44:
	v_mov_b32_e32 v1, s25
	s_and_b32 s16, s75, 0xff
	v_add_co_u32_e32 v0, vcc, s24, v0
	s_cmp_lt_i32 s16, 11
	v_addc_co_u32_e32 v1, vcc, 0, v1, vcc
	s_cbranch_scc1 .LBB87_51
; %bb.45:
	s_and_b32 s17, 0xffff, s16
	s_cmp_gt_i32 s17, 25
	s_cbranch_scc0 .LBB87_53
; %bb.46:
	s_cmp_gt_i32 s17, 28
	s_cbranch_scc0 .LBB87_54
; %bb.47:
	;; [unrolled: 3-line block ×4, first 2 shown]
	s_mov_b64 s[12:13], 0
	s_mov_b64 s[0:1], -1
	s_cmp_eq_u32 s17, 46
	s_mov_b64 s[10:11], 0
	s_cbranch_scc0 .LBB87_63
; %bb.50:
	v_cndmask_b32_e64 v2, 0, 1.0, s[8:9]
	s_waitcnt vmcnt(0)
	v_bfe_u32 v3, v2, 16, 1
	s_movk_i32 s0, 0x7fff
	v_add3_u32 v2, v2, v3, s0
	v_lshrrev_b32_e32 v2, 16, v2
	global_store_dword v[0:1], v2, off
	s_mov_b64 s[10:11], -1
	s_mov_b64 s[0:1], 0
	s_branch .LBB87_63
.LBB87_51:
	s_mov_b64 s[0:1], 0
	s_mov_b64 s[10:11], 0
	s_cbranch_execnz .LBB87_132
.LBB87_52:
	s_andn2_b64 vcc, exec, s[10:11]
	s_cbranch_vccnz .LBB87_280
	s_branch .LBB87_170
.LBB87_53:
	s_mov_b64 s[12:13], -1
	s_mov_b64 s[0:1], 0
	s_mov_b64 s[10:11], 0
	s_branch .LBB87_90
.LBB87_54:
	s_mov_b64 s[12:13], -1
	s_mov_b64 s[0:1], 0
	s_mov_b64 s[10:11], 0
	s_branch .LBB87_73
.LBB87_55:
	s_mov_b64 s[8:9], -1
	s_mov_b64 s[2:3], 0
	s_branch .LBB87_58
.LBB87_56:
	s_mov_b64 s[12:13], -1
	s_mov_b64 s[0:1], 0
	s_mov_b64 s[10:11], 0
	s_branch .LBB87_69
.LBB87_57:
	s_mov_b64 s[2:3], -1
.LBB87_58:
	s_mov_b64 s[0:1], 0
                                        ; implicit-def: $vgpr3_vgpr4
.LBB87_59:
	s_and_b64 vcc, exec, s[8:9]
	s_cbranch_vccz .LBB87_172
; %bb.60:
	s_cmp_eq_u32 s12, 44
	s_cbranch_scc0 .LBB87_171
; %bb.61:
	global_load_ubyte v5, v[1:2], off
	s_movk_i32 s2, 0xff
	v_bfrev_b32_e32 v6, 4
	v_mov_b32_e32 v7, 0x7ff80000
	v_bfrev_b32_e32 v9, 28
	s_mov_b64 s[0:1], -1
	s_waitcnt vmcnt(0)
	v_lshlrev_b32_e32 v3, 23, v5
	v_cvt_f64_f32_e32 v[3:4], v3
	v_cmp_ne_u32_e32 vcc, s2, v5
	s_mov_b64 s[2:3], 0
	v_cndmask_b32_e32 v3, v6, v3, vcc
	v_cndmask_b32_e32 v4, v7, v4, vcc
	v_cmp_ne_u32_e32 vcc, 0, v5
	v_cndmask_b32_e32 v4, v9, v4, vcc
	v_cndmask_b32_e32 v3, 0, v3, vcc
	s_branch .LBB87_172
.LBB87_62:
	s_mov_b64 s[12:13], -1
	s_mov_b64 s[0:1], 0
	s_mov_b64 s[10:11], 0
.LBB87_63:
	s_and_b64 vcc, exec, s[12:13]
	s_cbranch_vccz .LBB87_68
; %bb.64:
	s_cmp_eq_u32 s17, 44
	s_mov_b64 s[0:1], -1
	s_cbranch_scc0 .LBB87_68
; %bb.65:
	s_waitcnt vmcnt(0)
	v_cndmask_b32_e64 v3, 0, 1.0, s[8:9]
	v_lshrrev_b32_e32 v2, 23, v3
	s_movk_i32 s0, 0xff
	v_cmp_ne_u32_e32 vcc, s0, v2
	v_mov_b32_e32 v4, 0xff
	s_and_saveexec_b64 s[10:11], vcc
; %bb.66:
	s_mov_b32 s0, 0x3fffff
	v_and_b32_e32 v4, 0x400000, v3
	v_and_or_b32 v3, v3, s0, v2
	v_cmp_ne_u32_e32 vcc, 0, v4
	v_cmp_ne_u32_e64 s[0:1], 0, v3
	s_and_b64 s[0:1], vcc, s[0:1]
	v_cndmask_b32_e64 v3, 0, 1, s[0:1]
	v_add_u32_e32 v4, v2, v3
; %bb.67:
	s_or_b64 exec, exec, s[10:11]
	s_mov_b64 s[10:11], -1
	s_mov_b64 s[0:1], 0
	global_store_byte v[0:1], v4, off
.LBB87_68:
	s_mov_b64 s[12:13], 0
.LBB87_69:
	s_and_b64 vcc, exec, s[12:13]
	s_cbranch_vccz .LBB87_72
; %bb.70:
	s_cmp_eq_u32 s17, 29
	s_mov_b64 s[0:1], -1
	s_cbranch_scc0 .LBB87_72
; %bb.71:
	s_mov_b32 s0, 0
	v_cndmask_b32_e64 v2, 0, 1, s[8:9]
	s_waitcnt vmcnt(0)
	v_mov_b32_e32 v3, s0
	global_store_dwordx2 v[0:1], v[2:3], off
	s_mov_b64 s[10:11], -1
	s_mov_b64 s[0:1], 0
.LBB87_72:
	s_mov_b64 s[12:13], 0
.LBB87_73:
	s_and_b64 vcc, exec, s[12:13]
	s_cbranch_vccz .LBB87_89
; %bb.74:
	s_cmp_lt_i32 s17, 27
	s_mov_b64 s[10:11], -1
	s_cbranch_scc1 .LBB87_80
; %bb.75:
	s_cmp_gt_i32 s17, 27
	s_cbranch_scc0 .LBB87_77
; %bb.76:
	v_cndmask_b32_e64 v2, 0, 1, s[8:9]
	s_mov_b64 s[10:11], 0
	global_store_dword v[0:1], v2, off
.LBB87_77:
	s_andn2_b64 vcc, exec, s[10:11]
	s_cbranch_vccnz .LBB87_79
; %bb.78:
	v_cndmask_b32_e64 v2, 0, 1, s[8:9]
	global_store_short v[0:1], v2, off
.LBB87_79:
	s_mov_b64 s[10:11], 0
.LBB87_80:
	s_andn2_b64 vcc, exec, s[10:11]
	s_cbranch_vccnz .LBB87_88
; %bb.81:
	s_waitcnt vmcnt(0)
	v_cndmask_b32_e64 v3, 0, 1.0, s[8:9]
	s_mov_b32 s10, 0x43800000
	v_cmp_gt_u32_e32 vcc, s10, v3
	v_mov_b32_e32 v4, 0x80
	s_and_saveexec_b64 s[10:11], vcc
	s_cbranch_execz .LBB87_87
; %bb.82:
	s_mov_b32 s12, 0x3bffffff
	v_cmp_lt_u32_e32 vcc, s12, v3
	s_mov_b64 s[12:13], 0
                                        ; implicit-def: $vgpr2
	s_and_saveexec_b64 s[14:15], vcc
	s_xor_b64 s[14:15], exec, s[14:15]
	s_cbranch_execz .LBB87_339
; %bb.83:
	v_bfe_u32 v2, v3, 20, 1
	s_mov_b32 s18, 0x487ffff
	v_add3_u32 v2, v3, v2, s18
	s_mov_b64 s[12:13], exec
	v_lshrrev_b32_e32 v2, 20, v2
                                        ; implicit-def: $vgpr3
	s_andn2_saveexec_b64 s[14:15], s[14:15]
	s_cbranch_execnz .LBB87_340
.LBB87_84:
	s_or_b64 exec, exec, s[14:15]
	v_mov_b32_e32 v4, 0
	s_and_saveexec_b64 s[14:15], s[12:13]
.LBB87_85:
	v_mov_b32_e32 v4, v2
.LBB87_86:
	s_or_b64 exec, exec, s[14:15]
.LBB87_87:
	s_or_b64 exec, exec, s[10:11]
	global_store_byte v[0:1], v4, off
.LBB87_88:
	s_mov_b64 s[10:11], -1
.LBB87_89:
	s_mov_b64 s[12:13], 0
.LBB87_90:
	s_and_b64 vcc, exec, s[12:13]
	s_cbranch_vccz .LBB87_131
; %bb.91:
	s_cmp_gt_i32 s17, 22
	s_mov_b64 s[12:13], -1
	s_cbranch_scc0 .LBB87_123
; %bb.92:
	s_cmp_lt_i32 s17, 24
	s_mov_b64 s[10:11], -1
	s_cbranch_scc1 .LBB87_112
; %bb.93:
	s_cmp_gt_i32 s17, 24
	s_cbranch_scc0 .LBB87_101
; %bb.94:
	s_waitcnt vmcnt(0)
	v_cndmask_b32_e64 v3, 0, 1.0, s[8:9]
	s_mov_b32 s10, 0x47800000
	v_cmp_gt_u32_e32 vcc, s10, v3
	v_mov_b32_e32 v4, 0x80
	s_and_saveexec_b64 s[10:11], vcc
	s_cbranch_execz .LBB87_100
; %bb.95:
	s_mov_b32 s12, 0x37ffffff
	v_cmp_lt_u32_e32 vcc, s12, v3
	s_mov_b64 s[12:13], 0
                                        ; implicit-def: $vgpr2
	s_and_saveexec_b64 s[14:15], vcc
	s_xor_b64 s[14:15], exec, s[14:15]
	s_cbranch_execz .LBB87_343
; %bb.96:
	v_bfe_u32 v2, v3, 21, 1
	s_mov_b32 s18, 0x88fffff
	v_add3_u32 v2, v3, v2, s18
	s_mov_b64 s[12:13], exec
	v_lshrrev_b32_e32 v2, 21, v2
                                        ; implicit-def: $vgpr3
	s_andn2_saveexec_b64 s[14:15], s[14:15]
	s_cbranch_execnz .LBB87_344
.LBB87_97:
	s_or_b64 exec, exec, s[14:15]
	v_mov_b32_e32 v4, 0
	s_and_saveexec_b64 s[14:15], s[12:13]
.LBB87_98:
	v_mov_b32_e32 v4, v2
.LBB87_99:
	s_or_b64 exec, exec, s[14:15]
.LBB87_100:
	s_or_b64 exec, exec, s[10:11]
	s_mov_b64 s[10:11], 0
	global_store_byte v[0:1], v4, off
.LBB87_101:
	s_and_b64 vcc, exec, s[10:11]
	s_cbranch_vccz .LBB87_111
; %bb.102:
	v_cndmask_b32_e64 v2, 0, 1.0, s[8:9]
	s_mov_b32 s10, 0x43f00000
	v_cmp_gt_u32_e32 vcc, s10, v2
                                        ; implicit-def: $vgpr3
	s_and_saveexec_b64 s[10:11], vcc
	s_xor_b64 s[10:11], exec, s[10:11]
	s_cbranch_execz .LBB87_108
; %bb.103:
	s_mov_b32 s12, 0x3c7fffff
	v_cmp_lt_u32_e32 vcc, s12, v2
                                        ; implicit-def: $vgpr3
	s_and_saveexec_b64 s[12:13], vcc
	s_xor_b64 s[12:13], exec, s[12:13]
	s_cbranch_execz .LBB87_105
; %bb.104:
	s_waitcnt vmcnt(0)
	v_bfe_u32 v3, v2, 20, 1
	s_mov_b32 s14, 0x407ffff
	v_add3_u32 v2, v2, v3, s14
	v_lshrrev_b32_e32 v3, 20, v2
	v_and_b32_e32 v2, 0xff00000, v2
	s_mov_b32 s14, 0x7f00000
	v_mov_b32_e32 v4, 0x7e
	v_cmp_ne_u32_e32 vcc, s14, v2
	v_cndmask_b32_e32 v3, v4, v3, vcc
                                        ; implicit-def: $vgpr2
.LBB87_105:
	s_andn2_saveexec_b64 s[12:13], s[12:13]
	s_cbranch_execz .LBB87_107
; %bb.106:
	s_waitcnt vmcnt(0)
	v_add_f32_e32 v3, 0x46800000, v2
.LBB87_107:
	s_or_b64 exec, exec, s[12:13]
                                        ; implicit-def: $vgpr2
.LBB87_108:
	s_andn2_saveexec_b64 s[10:11], s[10:11]
	s_cbranch_execz .LBB87_110
; %bb.109:
	s_mov_b32 s12, 0x7f800000
	s_waitcnt vmcnt(0)
	v_mov_b32_e32 v3, 0x7e
	v_mov_b32_e32 v4, 0x7f
	v_cmp_lt_u32_e32 vcc, s12, v2
	v_cndmask_b32_e32 v3, v3, v4, vcc
.LBB87_110:
	s_or_b64 exec, exec, s[10:11]
	s_waitcnt vmcnt(0)
	global_store_byte v[0:1], v3, off
.LBB87_111:
	s_mov_b64 s[10:11], 0
.LBB87_112:
	s_andn2_b64 vcc, exec, s[10:11]
	s_cbranch_vccnz .LBB87_122
; %bb.113:
	v_cndmask_b32_e64 v2, 0, 1.0, s[8:9]
	s_mov_b32 s10, 0x47800000
	v_cmp_gt_u32_e32 vcc, s10, v2
                                        ; implicit-def: $vgpr3
	s_and_saveexec_b64 s[10:11], vcc
	s_xor_b64 s[10:11], exec, s[10:11]
	s_cbranch_execz .LBB87_119
; %bb.114:
	s_mov_b32 s12, 0x387fffff
	v_cmp_lt_u32_e32 vcc, s12, v2
                                        ; implicit-def: $vgpr3
	s_and_saveexec_b64 s[12:13], vcc
	s_xor_b64 s[12:13], exec, s[12:13]
	s_cbranch_execz .LBB87_116
; %bb.115:
	s_waitcnt vmcnt(0)
	v_bfe_u32 v3, v2, 21, 1
	s_mov_b32 s14, 0x80fffff
	v_add3_u32 v2, v2, v3, s14
	v_lshrrev_b32_e32 v3, 21, v2
                                        ; implicit-def: $vgpr2
.LBB87_116:
	s_andn2_saveexec_b64 s[12:13], s[12:13]
	s_cbranch_execz .LBB87_118
; %bb.117:
	s_waitcnt vmcnt(0)
	v_add_f32_e32 v3, 0x43000000, v2
.LBB87_118:
	s_or_b64 exec, exec, s[12:13]
                                        ; implicit-def: $vgpr2
.LBB87_119:
	s_andn2_saveexec_b64 s[10:11], s[10:11]
	s_cbranch_execz .LBB87_121
; %bb.120:
	s_mov_b32 s12, 0x7f800000
	s_waitcnt vmcnt(0)
	v_mov_b32_e32 v3, 0x7c
	v_mov_b32_e32 v4, 0x7f
	v_cmp_lt_u32_e32 vcc, s12, v2
	v_cndmask_b32_e32 v3, v3, v4, vcc
.LBB87_121:
	s_or_b64 exec, exec, s[10:11]
	s_waitcnt vmcnt(0)
	global_store_byte v[0:1], v3, off
.LBB87_122:
	s_mov_b64 s[12:13], 0
	s_mov_b64 s[10:11], -1
.LBB87_123:
	s_andn2_b64 vcc, exec, s[12:13]
	s_cbranch_vccnz .LBB87_131
; %bb.124:
	s_cmp_gt_i32 s17, 14
	s_mov_b64 s[12:13], -1
	s_cbranch_scc0 .LBB87_128
; %bb.125:
	s_cmp_eq_u32 s17, 15
	s_mov_b64 s[0:1], -1
	s_cbranch_scc0 .LBB87_127
; %bb.126:
	v_cndmask_b32_e64 v2, 0, 1.0, s[8:9]
	s_waitcnt vmcnt(0)
	v_bfe_u32 v3, v2, 16, 1
	s_movk_i32 s0, 0x7fff
	v_add3_u32 v2, v2, v3, s0
	global_store_short_d16_hi v[0:1], v2, off
	s_mov_b64 s[10:11], -1
	s_mov_b64 s[0:1], 0
.LBB87_127:
	s_mov_b64 s[12:13], 0
.LBB87_128:
	s_and_b64 vcc, exec, s[12:13]
	s_cbranch_vccz .LBB87_131
; %bb.129:
	s_cmp_eq_u32 s17, 11
	s_mov_b64 s[0:1], -1
	s_cbranch_scc0 .LBB87_131
; %bb.130:
	v_cndmask_b32_e64 v2, 0, 1, s[8:9]
	s_mov_b64 s[10:11], -1
	s_mov_b64 s[0:1], 0
	global_store_byte v[0:1], v2, off
.LBB87_131:
	s_branch .LBB87_52
.LBB87_132:
	s_and_b32 s12, 0xffff, s16
	s_cmp_lt_i32 s12, 5
	s_mov_b64 s[10:11], -1
	s_cbranch_scc1 .LBB87_153
; %bb.133:
	s_cmp_lt_i32 s12, 8
	s_cbranch_scc1 .LBB87_143
; %bb.134:
	s_cmp_lt_i32 s12, 9
	s_cbranch_scc1 .LBB87_140
; %bb.135:
	s_cmp_gt_i32 s12, 9
	s_cbranch_scc0 .LBB87_137
; %bb.136:
	v_cndmask_b32_e64 v2, 0, 1, s[8:9]
	s_waitcnt vmcnt(0)
	v_cvt_f64_u32_e32 v[2:3], v2
	v_mov_b32_e32 v4, 0
	v_mov_b32_e32 v5, v4
	s_mov_b64 s[10:11], 0
	global_store_dwordx4 v[0:1], v[2:5], off
.LBB87_137:
	s_andn2_b64 vcc, exec, s[10:11]
	s_cbranch_vccnz .LBB87_139
; %bb.138:
	v_cndmask_b32_e64 v2, 0, 1.0, s[8:9]
	s_waitcnt vmcnt(0)
	v_mov_b32_e32 v3, 0
	global_store_dwordx2 v[0:1], v[2:3], off
.LBB87_139:
	s_mov_b64 s[10:11], 0
.LBB87_140:
	s_andn2_b64 vcc, exec, s[10:11]
	s_cbranch_vccnz .LBB87_142
; %bb.141:
	v_cndmask_b32_e64 v2, 0, 1.0, s[8:9]
	v_cvt_f16_f32_e32 v2, v2
	global_store_dword v[0:1], v2, off
.LBB87_142:
	s_mov_b64 s[10:11], 0
.LBB87_143:
	s_andn2_b64 vcc, exec, s[10:11]
	s_cbranch_vccnz .LBB87_152
; %bb.144:
	s_cmp_lt_i32 s12, 6
	s_mov_b64 s[10:11], -1
	s_cbranch_scc1 .LBB87_150
; %bb.145:
	s_cmp_gt_i32 s12, 6
	s_cbranch_scc0 .LBB87_147
; %bb.146:
	v_cndmask_b32_e64 v2, 0, 1, s[8:9]
	s_waitcnt vmcnt(0)
	v_cvt_f64_u32_e32 v[2:3], v2
	s_mov_b64 s[10:11], 0
	global_store_dwordx2 v[0:1], v[2:3], off
.LBB87_147:
	s_andn2_b64 vcc, exec, s[10:11]
	s_cbranch_vccnz .LBB87_149
; %bb.148:
	v_cndmask_b32_e64 v2, 0, 1.0, s[8:9]
	global_store_dword v[0:1], v2, off
.LBB87_149:
	s_mov_b64 s[10:11], 0
.LBB87_150:
	s_andn2_b64 vcc, exec, s[10:11]
	s_cbranch_vccnz .LBB87_152
; %bb.151:
	v_cndmask_b32_e64 v2, 0, 1.0, s[8:9]
	v_cvt_f16_f32_e32 v2, v2
	global_store_short v[0:1], v2, off
.LBB87_152:
	s_mov_b64 s[10:11], 0
.LBB87_153:
	s_andn2_b64 vcc, exec, s[10:11]
	s_cbranch_vccnz .LBB87_169
; %bb.154:
	s_cmp_lt_i32 s12, 2
	s_mov_b64 s[10:11], -1
	s_cbranch_scc1 .LBB87_164
; %bb.155:
	s_cmp_lt_i32 s12, 3
	s_cbranch_scc1 .LBB87_161
; %bb.156:
	s_cmp_gt_i32 s12, 3
	s_cbranch_scc0 .LBB87_158
; %bb.157:
	s_mov_b32 s10, 0
	v_cndmask_b32_e64 v2, 0, 1, s[8:9]
	s_waitcnt vmcnt(0)
	v_mov_b32_e32 v3, s10
	global_store_dwordx2 v[0:1], v[2:3], off
	s_mov_b64 s[10:11], 0
.LBB87_158:
	s_andn2_b64 vcc, exec, s[10:11]
	s_cbranch_vccnz .LBB87_160
; %bb.159:
	v_cndmask_b32_e64 v2, 0, 1, s[8:9]
	global_store_dword v[0:1], v2, off
.LBB87_160:
	s_mov_b64 s[10:11], 0
.LBB87_161:
	s_andn2_b64 vcc, exec, s[10:11]
	s_cbranch_vccnz .LBB87_163
; %bb.162:
	v_cndmask_b32_e64 v2, 0, 1, s[8:9]
	global_store_short v[0:1], v2, off
.LBB87_163:
	s_mov_b64 s[10:11], 0
.LBB87_164:
	s_andn2_b64 vcc, exec, s[10:11]
	s_cbranch_vccnz .LBB87_169
; %bb.165:
	s_cmp_gt_i32 s12, 0
	s_mov_b64 s[10:11], -1
	s_cbranch_scc0 .LBB87_167
; %bb.166:
	v_cndmask_b32_e64 v2, 0, 1, s[8:9]
	global_store_byte v[0:1], v2, off
	s_mov_b64 s[10:11], 0
.LBB87_167:
	s_andn2_b64 vcc, exec, s[10:11]
	s_cbranch_vccnz .LBB87_169
; %bb.168:
	v_cndmask_b32_e64 v2, 0, 1, s[8:9]
	global_store_byte v[0:1], v2, off
.LBB87_169:
.LBB87_170:
	v_add_u32_e32 v8, 0x80, v8
	s_mov_b64 s[8:9], -1
	s_branch .LBB87_281
.LBB87_171:
	s_mov_b64 s[2:3], -1
                                        ; implicit-def: $vgpr3_vgpr4
.LBB87_172:
	s_mov_b64 s[8:9], 0
.LBB87_173:
	s_and_b64 vcc, exec, s[8:9]
	s_cbranch_vccz .LBB87_177
; %bb.174:
	s_cmp_eq_u32 s12, 29
	s_cbranch_scc0 .LBB87_176
; %bb.175:
	global_load_dwordx2 v[3:4], v[1:2], off
	s_mov_b64 s[0:1], -1
	s_mov_b64 s[2:3], 0
	s_mov_b64 s[8:9], 0
	s_waitcnt vmcnt(0)
	v_cvt_f64_u32_e32 v[4:5], v4
	v_cvt_f64_u32_e32 v[6:7], v3
	v_ldexp_f64 v[4:5], v[4:5], 32
	v_add_f64 v[3:4], v[4:5], v[6:7]
	s_branch .LBB87_178
.LBB87_176:
	s_mov_b64 s[2:3], -1
                                        ; implicit-def: $vgpr3_vgpr4
.LBB87_177:
	s_mov_b64 s[8:9], 0
.LBB87_178:
	s_and_b64 vcc, exec, s[8:9]
	s_cbranch_vccz .LBB87_198
; %bb.179:
	s_cmp_lt_i32 s12, 27
	s_cbranch_scc1 .LBB87_182
; %bb.180:
	s_cmp_gt_i32 s12, 27
	s_cbranch_scc0 .LBB87_183
; %bb.181:
	global_load_dword v3, v[1:2], off
	s_mov_b64 s[0:1], 0
	s_waitcnt vmcnt(0)
	v_cvt_f64_u32_e32 v[3:4], v3
	s_branch .LBB87_184
.LBB87_182:
	s_mov_b64 s[0:1], -1
                                        ; implicit-def: $vgpr3_vgpr4
	s_branch .LBB87_187
.LBB87_183:
	s_mov_b64 s[0:1], -1
                                        ; implicit-def: $vgpr3_vgpr4
.LBB87_184:
	s_andn2_b64 vcc, exec, s[0:1]
	s_cbranch_vccnz .LBB87_186
; %bb.185:
	global_load_ushort v3, v[1:2], off
	s_waitcnt vmcnt(0)
	v_cvt_f64_u32_e32 v[3:4], v3
.LBB87_186:
	s_mov_b64 s[0:1], 0
.LBB87_187:
	s_andn2_b64 vcc, exec, s[0:1]
	s_cbranch_vccnz .LBB87_197
; %bb.188:
	global_load_ubyte v5, v[1:2], off
	s_movk_i32 s0, 0x7f
	s_waitcnt vmcnt(0)
	v_cmp_lt_i16_e32 vcc, s0, v5
	s_mov_b64 s[0:1], 0
	s_and_saveexec_b64 s[8:9], vcc
	s_xor_b64 s[8:9], exec, s[8:9]
	s_cbranch_execz .LBB87_192
; %bb.189:
	s_movk_i32 s0, 0x80
	v_cmp_eq_u16_e32 vcc, s0, v5
	s_mov_b64 s[0:1], -1
	s_and_saveexec_b64 s[10:11], vcc
; %bb.190:
	s_xor_b64 s[0:1], exec, -1
; %bb.191:
	s_or_b64 exec, exec, s[10:11]
	s_and_b64 s[0:1], s[0:1], exec
.LBB87_192:
	s_or_saveexec_b64 s[8:9], s[8:9]
	v_bfrev_b32_e32 v3, 4
	v_mov_b32_e32 v4, 0x7ff80000
	s_xor_b64 exec, exec, s[8:9]
; %bb.193:
	v_cmp_ne_u16_e32 vcc, 0, v5
	v_mov_b32_e32 v3, 0
	s_andn2_b64 s[0:1], s[0:1], exec
	s_and_b64 s[10:11], vcc, exec
	v_mov_b32_e32 v4, 0
	s_or_b64 s[0:1], s[0:1], s[10:11]
; %bb.194:
	s_or_b64 exec, exec, s[8:9]
	s_and_saveexec_b64 s[8:9], s[0:1]
	s_cbranch_execz .LBB87_196
; %bb.195:
	v_and_b32_e32 v4, 0xffff, v5
	v_lshlrev_b32_e32 v3, 24, v5
	v_and_b32_e32 v5, 7, v4
	v_ffbh_u32_e32 v7, v5
	v_min_u32_e32 v7, 32, v7
	v_subrev_u32_e32 v9, 28, v7
	v_bfe_u32 v6, v4, 3, 4
	v_lshlrev_b32_e32 v4, v9, v4
	v_sub_u32_e32 v7, 29, v7
	v_and_b32_e32 v4, 7, v4
	v_cmp_eq_u32_e32 vcc, 0, v6
	v_cndmask_b32_e32 v6, v6, v7, vcc
	v_cndmask_b32_e32 v4, v5, v4, vcc
	v_mov_b32_e32 v5, 0x3b800000
	v_lshlrev_b32_e32 v4, 20, v4
	v_and_b32_e32 v3, 0x80000000, v3
	v_lshl_add_u32 v5, v6, 23, v5
	v_or3_b32 v3, v3, v5, v4
	v_cvt_f64_f32_e32 v[3:4], v3
.LBB87_196:
	s_or_b64 exec, exec, s[8:9]
.LBB87_197:
	s_mov_b64 s[0:1], -1
.LBB87_198:
	s_branch .LBB87_231
.LBB87_199:
	s_cmp_gt_i32 s12, 22
	s_cbranch_scc0 .LBB87_211
; %bb.200:
	s_cmp_lt_i32 s12, 24
	s_cbranch_scc1 .LBB87_212
; %bb.201:
	s_cmp_gt_i32 s12, 24
	s_cbranch_scc0 .LBB87_213
; %bb.202:
	global_load_ubyte v5, v[1:2], off
	s_movk_i32 s0, 0x7f
	s_waitcnt vmcnt(0)
	v_cmp_lt_i16_e32 vcc, s0, v5
	s_mov_b64 s[0:1], 0
	s_and_saveexec_b64 s[8:9], vcc
	s_xor_b64 s[8:9], exec, s[8:9]
	s_cbranch_execz .LBB87_206
; %bb.203:
	s_movk_i32 s0, 0x80
	v_cmp_eq_u16_e32 vcc, s0, v5
	s_mov_b64 s[0:1], -1
	s_and_saveexec_b64 s[10:11], vcc
; %bb.204:
	s_xor_b64 s[0:1], exec, -1
; %bb.205:
	s_or_b64 exec, exec, s[10:11]
	s_and_b64 s[0:1], s[0:1], exec
.LBB87_206:
	s_or_saveexec_b64 s[8:9], s[8:9]
	v_bfrev_b32_e32 v3, 4
	v_mov_b32_e32 v4, 0x7ff80000
	s_xor_b64 exec, exec, s[8:9]
; %bb.207:
	v_cmp_ne_u16_e32 vcc, 0, v5
	v_mov_b32_e32 v3, 0
	s_andn2_b64 s[0:1], s[0:1], exec
	s_and_b64 s[10:11], vcc, exec
	v_mov_b32_e32 v4, 0
	s_or_b64 s[0:1], s[0:1], s[10:11]
; %bb.208:
	s_or_b64 exec, exec, s[8:9]
	s_and_saveexec_b64 s[8:9], s[0:1]
	s_cbranch_execz .LBB87_210
; %bb.209:
	v_and_b32_e32 v4, 0xffff, v5
	v_lshlrev_b32_e32 v3, 24, v5
	v_and_b32_e32 v5, 3, v4
	v_ffbh_u32_e32 v7, v5
	v_min_u32_e32 v7, 32, v7
	v_subrev_u32_e32 v9, 29, v7
	v_bfe_u32 v6, v4, 2, 5
	v_lshlrev_b32_e32 v4, v9, v4
	v_sub_u32_e32 v7, 30, v7
	v_and_b32_e32 v4, 3, v4
	v_cmp_eq_u32_e32 vcc, 0, v6
	v_cndmask_b32_e32 v6, v6, v7, vcc
	v_cndmask_b32_e32 v4, v5, v4, vcc
	v_mov_b32_e32 v5, 0x37800000
	v_lshlrev_b32_e32 v4, 21, v4
	v_and_b32_e32 v3, 0x80000000, v3
	v_lshl_add_u32 v5, v6, 23, v5
	v_or3_b32 v3, v3, v5, v4
	v_cvt_f64_f32_e32 v[3:4], v3
.LBB87_210:
	s_or_b64 exec, exec, s[8:9]
	s_mov_b64 s[0:1], 0
	s_branch .LBB87_214
.LBB87_211:
	s_mov_b64 s[8:9], -1
                                        ; implicit-def: $vgpr3_vgpr4
	s_branch .LBB87_220
.LBB87_212:
	s_mov_b64 s[0:1], -1
                                        ; implicit-def: $vgpr3_vgpr4
	s_branch .LBB87_217
.LBB87_213:
	s_mov_b64 s[0:1], -1
                                        ; implicit-def: $vgpr3_vgpr4
.LBB87_214:
	s_and_b64 vcc, exec, s[0:1]
	s_cbranch_vccz .LBB87_216
; %bb.215:
	global_load_ubyte v3, v[1:2], off
	s_mov_b32 s0, 0x7f800000
	s_waitcnt vmcnt(0)
	v_lshlrev_b32_e32 v3, 24, v3
	v_and_b32_e32 v4, 0x7f000000, v3
	v_ffbh_u32_e32 v5, v4
	v_min_u32_e32 v5, 32, v5
	v_sub_u32_e64 v5, v5, 4 clamp
	v_lshlrev_b32_e32 v7, v5, v4
	v_lshlrev_b32_e32 v5, 23, v5
	v_lshrrev_b32_e32 v7, 4, v7
	v_add_u32_e32 v6, 0x1000000, v4
	v_sub_u32_e32 v5, v7, v5
	v_ashrrev_i32_e32 v6, 8, v6
	v_add_u32_e32 v5, 0x3c000000, v5
	v_and_or_b32 v5, v6, s0, v5
	v_cmp_ne_u32_e32 vcc, 0, v4
	v_cndmask_b32_e32 v4, 0, v5, vcc
	s_brev_b32 s0, 1
	v_and_or_b32 v3, v3, s0, v4
	v_cvt_f64_f32_e32 v[3:4], v3
.LBB87_216:
	s_mov_b64 s[0:1], 0
.LBB87_217:
	s_andn2_b64 vcc, exec, s[0:1]
	s_cbranch_vccnz .LBB87_219
; %bb.218:
	global_load_ubyte v3, v[1:2], off
	s_movk_i32 s0, 0x7f00
	s_brev_b32 s1, 16
	s_waitcnt vmcnt(0)
	v_lshlrev_b16_e32 v4, 8, v3
	v_lshlrev_b32_e32 v3, 25, v3
	v_lshrrev_b32_e32 v5, 4, v3
	v_and_or_b32 v6, v4, s0, 0.5
	v_or_b32_e32 v5, 0x70000000, v5
	v_add_f32_e32 v6, -0.5, v6
	v_mul_f32_e32 v5, 0x7800000, v5
	v_cmp_gt_u32_e32 vcc, s1, v3
	v_bfe_i32 v4, v4, 0, 16
	v_cndmask_b32_e32 v3, v5, v6, vcc
	s_brev_b32 s0, 1
	v_and_or_b32 v3, v4, s0, v3
	v_cvt_f64_f32_e32 v[3:4], v3
.LBB87_219:
	s_mov_b64 s[8:9], 0
	s_mov_b64 s[0:1], -1
.LBB87_220:
	s_andn2_b64 vcc, exec, s[8:9]
	s_cbranch_vccnz .LBB87_231
; %bb.221:
	s_cmp_gt_i32 s12, 14
	s_cbranch_scc0 .LBB87_224
; %bb.222:
	s_cmp_eq_u32 s12, 15
	s_cbranch_scc0 .LBB87_225
; %bb.223:
	global_load_ushort v3, v[1:2], off
	s_mov_b64 s[0:1], -1
	s_mov_b64 s[2:3], 0
	s_waitcnt vmcnt(0)
	v_lshlrev_b32_e32 v3, 16, v3
	v_cvt_f64_f32_e32 v[3:4], v3
	s_branch .LBB87_226
.LBB87_224:
	s_mov_b64 s[8:9], -1
                                        ; implicit-def: $vgpr3_vgpr4
	s_branch .LBB87_227
.LBB87_225:
	s_mov_b64 s[2:3], -1
                                        ; implicit-def: $vgpr3_vgpr4
.LBB87_226:
	s_mov_b64 s[8:9], 0
.LBB87_227:
	s_and_b64 vcc, exec, s[8:9]
	s_cbranch_vccz .LBB87_231
; %bb.228:
	s_cmp_eq_u32 s12, 11
	s_cbranch_scc0 .LBB87_230
; %bb.229:
	global_load_ubyte v4, v[1:2], off
	v_mov_b32_e32 v5, 0x3ff00000
	v_mov_b32_e32 v3, 0
	s_mov_b64 s[0:1], -1
	s_mov_b64 s[2:3], 0
	s_waitcnt vmcnt(0)
	v_cmp_ne_u16_e32 vcc, 0, v4
	v_cndmask_b32_e32 v4, 0, v5, vcc
	s_branch .LBB87_231
.LBB87_230:
	s_mov_b64 s[2:3], -1
                                        ; implicit-def: $vgpr3_vgpr4
.LBB87_231:
	s_branch .LBB87_24
.LBB87_232:
	s_cmp_lt_i32 s12, 5
	s_cbranch_scc1 .LBB87_237
; %bb.233:
	s_cmp_lt_i32 s12, 8
	s_cbranch_scc1 .LBB87_238
; %bb.234:
	;; [unrolled: 3-line block ×3, first 2 shown]
	s_cmp_gt_i32 s12, 9
	s_cbranch_scc0 .LBB87_240
; %bb.236:
	global_load_dwordx2 v[3:4], v[1:2], off
	s_mov_b64 s[0:1], 0
	s_branch .LBB87_241
.LBB87_237:
                                        ; implicit-def: $vgpr3_vgpr4
	s_branch .LBB87_259
.LBB87_238:
	s_mov_b64 s[0:1], -1
                                        ; implicit-def: $vgpr3_vgpr4
	s_branch .LBB87_247
.LBB87_239:
	s_mov_b64 s[0:1], -1
                                        ; implicit-def: $vgpr3_vgpr4
	s_branch .LBB87_244
.LBB87_240:
	s_mov_b64 s[0:1], -1
                                        ; implicit-def: $vgpr3_vgpr4
.LBB87_241:
	s_andn2_b64 vcc, exec, s[0:1]
	s_cbranch_vccnz .LBB87_243
; %bb.242:
	global_load_dword v3, v[1:2], off
	s_waitcnt vmcnt(0)
	v_cvt_f64_f32_e32 v[3:4], v3
.LBB87_243:
	s_mov_b64 s[0:1], 0
.LBB87_244:
	s_andn2_b64 vcc, exec, s[0:1]
	s_cbranch_vccnz .LBB87_246
; %bb.245:
	global_load_dword v3, v[1:2], off
	s_waitcnt vmcnt(0)
	v_cvt_f32_f16_e32 v3, v3
	v_cvt_f64_f32_e32 v[3:4], v3
.LBB87_246:
	s_mov_b64 s[0:1], 0
.LBB87_247:
	s_andn2_b64 vcc, exec, s[0:1]
	s_cbranch_vccnz .LBB87_258
; %bb.248:
	s_cmp_lt_i32 s12, 6
	s_cbranch_scc1 .LBB87_251
; %bb.249:
	s_cmp_gt_i32 s12, 6
	s_cbranch_scc0 .LBB87_252
; %bb.250:
	global_load_dwordx2 v[3:4], v[1:2], off
	s_mov_b64 s[0:1], 0
	s_branch .LBB87_253
.LBB87_251:
	s_mov_b64 s[0:1], -1
                                        ; implicit-def: $vgpr3_vgpr4
	s_branch .LBB87_256
.LBB87_252:
	s_mov_b64 s[0:1], -1
                                        ; implicit-def: $vgpr3_vgpr4
.LBB87_253:
	s_andn2_b64 vcc, exec, s[0:1]
	s_cbranch_vccnz .LBB87_255
; %bb.254:
	global_load_dword v3, v[1:2], off
	s_waitcnt vmcnt(0)
	v_cvt_f64_f32_e32 v[3:4], v3
.LBB87_255:
	s_mov_b64 s[0:1], 0
.LBB87_256:
	s_andn2_b64 vcc, exec, s[0:1]
	s_cbranch_vccnz .LBB87_258
; %bb.257:
	global_load_ushort v3, v[1:2], off
	s_waitcnt vmcnt(0)
	v_cvt_f32_f16_e32 v3, v3
	v_cvt_f64_f32_e32 v[3:4], v3
.LBB87_258:
	s_cbranch_execnz .LBB87_278
.LBB87_259:
	s_cmp_lt_i32 s12, 2
	s_cbranch_scc1 .LBB87_263
; %bb.260:
	s_cmp_lt_i32 s12, 3
	s_cbranch_scc1 .LBB87_264
; %bb.261:
	s_cmp_gt_i32 s12, 3
	s_cbranch_scc0 .LBB87_265
; %bb.262:
	global_load_dwordx2 v[3:4], v[1:2], off
	s_mov_b64 s[0:1], 0
	s_waitcnt vmcnt(0)
	v_cvt_f64_i32_e32 v[4:5], v4
	v_cvt_f64_u32_e32 v[6:7], v3
	v_ldexp_f64 v[4:5], v[4:5], 32
	v_add_f64 v[3:4], v[4:5], v[6:7]
	s_branch .LBB87_266
.LBB87_263:
	s_mov_b64 s[0:1], -1
                                        ; implicit-def: $vgpr3_vgpr4
	s_branch .LBB87_272
.LBB87_264:
	s_mov_b64 s[0:1], -1
                                        ; implicit-def: $vgpr3_vgpr4
	s_branch .LBB87_269
.LBB87_265:
	s_mov_b64 s[0:1], -1
                                        ; implicit-def: $vgpr3_vgpr4
.LBB87_266:
	s_andn2_b64 vcc, exec, s[0:1]
	s_cbranch_vccnz .LBB87_268
; %bb.267:
	global_load_dword v3, v[1:2], off
	s_waitcnt vmcnt(0)
	v_cvt_f64_i32_e32 v[3:4], v3
.LBB87_268:
	s_mov_b64 s[0:1], 0
.LBB87_269:
	s_andn2_b64 vcc, exec, s[0:1]
	s_cbranch_vccnz .LBB87_271
; %bb.270:
	global_load_sshort v3, v[1:2], off
	s_waitcnt vmcnt(0)
	v_cvt_f64_i32_e32 v[3:4], v3
.LBB87_271:
	s_mov_b64 s[0:1], 0
.LBB87_272:
	s_andn2_b64 vcc, exec, s[0:1]
	s_cbranch_vccnz .LBB87_278
; %bb.273:
	s_cmp_gt_i32 s12, 0
	s_cbranch_scc0 .LBB87_275
; %bb.274:
	global_load_sbyte v3, v[1:2], off
	s_mov_b64 s[0:1], 0
	s_waitcnt vmcnt(0)
	v_cvt_f64_i32_e32 v[3:4], v3
	s_branch .LBB87_276
.LBB87_275:
	s_mov_b64 s[0:1], -1
                                        ; implicit-def: $vgpr3_vgpr4
.LBB87_276:
	s_andn2_b64 vcc, exec, s[0:1]
	s_cbranch_vccnz .LBB87_278
; %bb.277:
	global_load_ubyte v1, v[1:2], off
	s_waitcnt vmcnt(0)
	v_cvt_f64_u32_e32 v[3:4], v1
.LBB87_278:
	s_branch .LBB87_25
.LBB87_279:
	s_mov_b64 s[0:1], 0
.LBB87_280:
	s_mov_b64 s[8:9], 0
                                        ; implicit-def: $vgpr8
.LBB87_281:
	s_and_b64 s[54:55], s[0:1], exec
	s_and_b64 s[56:57], s[2:3], exec
	s_orn2_b64 s[2:3], s[8:9], exec
.LBB87_282:
	s_or_b64 exec, exec, s[58:59]
	s_mov_b64 s[10:11], 0
	s_mov_b64 s[0:1], 0
                                        ; implicit-def: $vgpr1_vgpr2
                                        ; implicit-def: $vgpr0
                                        ; implicit-def: $vgpr3_vgpr4
	s_and_saveexec_b64 s[58:59], s[2:3]
	s_cbranch_execz .LBB87_289
; %bb.283:
	v_cmp_gt_i32_e32 vcc, s72, v8
	s_mov_b64 s[0:1], -1
	s_mov_b64 s[60:61], s[56:57]
	s_mov_b64 s[62:63], s[54:55]
	s_and_saveexec_b64 s[64:65], vcc
	s_cbranch_execz .LBB87_574
; %bb.284:
	s_andn2_b64 vcc, exec, s[40:41]
	s_cbranch_vccnz .LBB87_292
; %bb.285:
	s_andn2_b64 vcc, exec, s[52:53]
	s_cbranch_vccnz .LBB87_293
; %bb.286:
	s_add_i32 s67, s78, 1
	s_cmp_eq_u32 s74, 2
	s_cbranch_scc1 .LBB87_294
; %bb.287:
	s_and_b32 s66, s67, 28
	v_mov_b32_e32 v2, 0
	s_mov_b32 s68, 0
	s_mov_b64 s[60:61], s[34:35]
	s_mov_b64 s[62:63], s[50:51]
	v_mov_b32_e32 v0, 0
	v_mov_b32_e32 v1, v8
.LBB87_288:                             ; =>This Inner Loop Header: Depth=1
	s_load_dwordx8 s[16:23], s[60:61], 0x4
	s_load_dwordx4 s[0:3], s[60:61], 0x24
	s_load_dwordx8 s[8:15], s[62:63], 0x0
	s_add_u32 s60, s60, 48
	s_addc_u32 s61, s61, 0
	s_waitcnt vmcnt(0) lgkmcnt(0)
	v_mul_hi_u32 v3, s17, v1
	s_add_i32 s68, s68, 4
	s_add_u32 s62, s62, 32
	s_addc_u32 s63, s63, 0
	v_add_u32_e32 v3, v1, v3
	v_lshrrev_b32_e32 v3, s18, v3
	v_mul_lo_u32 v4, v3, s16
	v_mul_hi_u32 v5, s20, v3
	s_cmp_eq_u32 s66, s68
	v_sub_u32_e32 v1, v1, v4
	v_add_u32_e32 v4, v3, v5
	v_mul_lo_u32 v5, v1, s8
	v_mul_lo_u32 v6, v1, s9
	v_lshrrev_b32_e32 v1, s21, v4
	v_mul_lo_u32 v4, v1, s19
	v_mul_hi_u32 v7, s23, v1
	v_sub_u32_e32 v3, v3, v4
	v_add_u32_e32 v4, v1, v7
	v_lshrrev_b32_e32 v4, s0, v4
	v_mul_hi_u32 v9, s2, v4
	v_mul_lo_u32 v10, v4, s22
	v_mul_lo_u32 v7, v3, s10
	;; [unrolled: 1-line block ×3, first 2 shown]
	v_sub_u32_e32 v10, v1, v10
	v_add_u32_e32 v1, v4, v9
	v_lshrrev_b32_e32 v1, s3, v1
	v_mul_lo_u32 v9, v1, s1
	v_mul_lo_u32 v11, v10, s12
	;; [unrolled: 1-line block ×3, first 2 shown]
	v_add3_u32 v0, v5, v0, v7
	v_sub_u32_e32 v4, v4, v9
	v_mul_lo_u32 v9, v4, s14
	v_mul_lo_u32 v4, v4, s15
	v_add3_u32 v2, v6, v2, v3
	v_add3_u32 v0, v11, v0, v9
	;; [unrolled: 1-line block ×3, first 2 shown]
	s_cbranch_scc0 .LBB87_288
	s_branch .LBB87_295
.LBB87_289:
	s_or_b64 exec, exec, s[58:59]
	s_mov_b64 s[2:3], 0
	s_and_saveexec_b64 s[8:9], s[56:57]
	s_cbranch_execnz .LBB87_967
.LBB87_290:
	s_or_b64 exec, exec, s[8:9]
	s_and_saveexec_b64 s[8:9], s[62:63]
	s_xor_b64 s[8:9], exec, s[8:9]
	s_cbranch_execz .LBB87_968
.LBB87_291:
	global_load_ubyte v4, v[1:2], off
	v_mov_b32_e32 v5, 0x3ff00000
	s_waitcnt vmcnt(1)
	v_mov_b32_e32 v3, 0
	s_or_b64 s[0:1], s[0:1], exec
	s_waitcnt vmcnt(0)
	v_cmp_ne_u16_e32 vcc, 0, v4
	v_cndmask_b32_e32 v4, 0, v5, vcc
	s_or_b64 exec, exec, s[8:9]
	s_and_saveexec_b64 s[8:9], s[10:11]
	s_cbranch_execz .LBB87_1014
	s_branch .LBB87_969
.LBB87_292:
                                        ; implicit-def: $vgpr0
                                        ; implicit-def: $vgpr2
	s_andn2_b64 vcc, exec, s[0:1]
	s_cbranch_vccz .LBB87_299
	s_branch .LBB87_301
.LBB87_293:
	v_mov_b32_e32 v0, 0
	v_mov_b32_e32 v2, 0
	s_branch .LBB87_298
.LBB87_294:
	s_mov_b32 s66, 0
	v_mov_b32_e32 v0, 0
	v_mov_b32_e32 v2, 0
	;; [unrolled: 1-line block ×3, first 2 shown]
.LBB87_295:
	s_and_b32 s8, s67, 3
	s_cmp_eq_u32 s8, 0
	s_cbranch_scc1 .LBB87_298
; %bb.296:
	s_lshl_b32 s0, s66, 3
	s_add_u32 s0, s34, s0
	s_addc_u32 s1, s35, 0
	s_add_u32 s0, s0, 0xc4
	s_addc_u32 s1, s1, 0
	s_mul_i32 s2, s66, 12
	s_add_u32 s2, s34, s2
	s_addc_u32 s3, s35, 0
.LBB87_297:                             ; =>This Inner Loop Header: Depth=1
	s_load_dwordx2 s[10:11], s[2:3], 0x4
	s_load_dword s9, s[2:3], 0xc
	s_load_dwordx2 s[12:13], s[0:1], 0x0
	s_add_u32 s2, s2, 12
	s_addc_u32 s3, s3, 0
	s_waitcnt vmcnt(0) lgkmcnt(0)
	v_mul_hi_u32 v3, s11, v1
	s_add_u32 s0, s0, 8
	s_addc_u32 s1, s1, 0
	s_add_i32 s8, s8, -1
	v_add_u32_e32 v3, v1, v3
	v_lshrrev_b32_e32 v4, s9, v3
	v_mul_lo_u32 v3, v4, s10
	s_cmp_lg_u32 s8, 0
	v_sub_u32_e32 v3, v1, v3
	v_mad_u64_u32 v[0:1], s[10:11], v3, s12, v[0:1]
	v_mad_u64_u32 v[2:3], s[10:11], v3, s13, v[2:3]
	v_mov_b32_e32 v1, v4
	s_cbranch_scc1 .LBB87_297
.LBB87_298:
	s_cbranch_execnz .LBB87_301
.LBB87_299:
	v_mul_hi_u32 v0, s29, v8
	s_andn2_b64 vcc, exec, s[48:49]
	v_add_u32_e32 v0, v8, v0
	v_lshrrev_b32_e32 v1, s30, v0
	v_mul_lo_u32 v0, v1, s28
	v_sub_u32_e32 v2, v8, v0
	v_mul_lo_u32 v0, v2, s36
	v_mul_lo_u32 v2, v2, s37
	s_cbranch_vccnz .LBB87_301
; %bb.300:
	s_waitcnt vmcnt(0)
	v_mul_hi_u32 v3, s46, v1
	v_add_u32_e32 v3, v1, v3
	v_lshrrev_b32_e32 v3, s47, v3
	v_mul_lo_u32 v3, v3, s31
	v_sub_u32_e32 v3, v1, v3
	v_mad_u64_u32 v[0:1], s[0:1], v3, s38, v[0:1]
	v_mad_u64_u32 v[2:3], s[0:1], v3, s39, v[2:3]
.LBB87_301:
	s_waitcnt vmcnt(0)
	v_mov_b32_e32 v3, s27
	s_and_b32 s12, 0xffff, s77
	v_add_co_u32_e32 v1, vcc, s26, v2
	s_cmp_lt_i32 s12, 11
	v_addc_co_u32_e32 v2, vcc, 0, v3, vcc
	s_cbranch_scc1 .LBB87_308
; %bb.302:
	s_cmp_gt_i32 s12, 25
	s_cbranch_scc0 .LBB87_314
; %bb.303:
	s_cmp_gt_i32 s12, 28
	s_cbranch_scc0 .LBB87_318
	;; [unrolled: 3-line block ×4, first 2 shown]
; %bb.306:
	s_cmp_eq_u32 s12, 46
	s_mov_b64 s[8:9], 0
	s_cbranch_scc0 .LBB87_345
; %bb.307:
	global_load_dword v3, v[1:2], off
	s_mov_b64 s[0:1], -1
	s_mov_b64 s[2:3], 0
	s_waitcnt vmcnt(0)
	v_lshlrev_b32_e32 v3, 16, v3
	v_cvt_f64_f32_e32 v[3:4], v3
	s_branch .LBB87_346
.LBB87_308:
	s_mov_b64 s[0:1], 0
                                        ; implicit-def: $vgpr3_vgpr4
	s_mov_b64 s[2:3], s[56:57]
	s_cbranch_execnz .LBB87_523
.LBB87_309:
	s_andn2_b64 vcc, exec, s[0:1]
	s_cbranch_vccnz .LBB87_571
.LBB87_310:
	s_cmp_lt_i32 s76, 1
	s_mov_b64 s[0:1], 0
	s_cbranch_scc1 .LBB87_315
; %bb.311:
	s_cmp_gt_i32 s76, 1
	s_cbranch_scc0 .LBB87_319
; %bb.312:
	s_cmp_eq_u32 s76, 2
	s_cbranch_scc0 .LBB87_321
; %bb.313:
	s_waitcnt vmcnt(0)
	v_cmp_ge_f64_e64 s[8:9], s[44:45], v[3:4]
	s_mov_b64 s[10:11], 0
	s_branch .LBB87_322
.LBB87_314:
	s_mov_b64 s[8:9], -1
	s_mov_b64 s[0:1], 0
	s_mov_b64 s[2:3], s[56:57]
                                        ; implicit-def: $vgpr3_vgpr4
	s_branch .LBB87_489
.LBB87_315:
                                        ; implicit-def: $sgpr8_sgpr9
	s_mov_b64 s[10:11], 0
	s_cbranch_execnz .LBB87_326
.LBB87_316:
	s_andn2_b64 vcc, exec, s[10:11]
	s_cbranch_vccnz .LBB87_327
.LBB87_317:
	s_waitcnt vmcnt(0)
	v_cmp_gt_f64_e32 vcc, s[44:45], v[3:4]
	s_andn2_b64 s[8:9], s[8:9], exec
	s_and_b64 s[10:11], vcc, exec
	s_or_b64 s[8:9], s[8:9], s[10:11]
	s_cbranch_execz .LBB87_328
	s_branch .LBB87_329
.LBB87_318:
	s_mov_b64 s[8:9], -1
	s_mov_b64 s[0:1], 0
	s_mov_b64 s[2:3], s[56:57]
                                        ; implicit-def: $vgpr3_vgpr4
	s_branch .LBB87_468
.LBB87_319:
	s_mov_b64 s[12:13], -1
	s_mov_b64 s[10:11], 0
                                        ; implicit-def: $sgpr8_sgpr9
	s_branch .LBB87_323
.LBB87_320:
	s_mov_b64 s[8:9], -1
	s_mov_b64 s[0:1], 0
	s_mov_b64 s[2:3], s[56:57]
                                        ; implicit-def: $vgpr3_vgpr4
	s_branch .LBB87_463
.LBB87_321:
	s_mov_b64 s[10:11], -1
                                        ; implicit-def: $sgpr8_sgpr9
.LBB87_322:
	s_mov_b64 s[12:13], 0
.LBB87_323:
	s_and_b64 vcc, exec, s[12:13]
	s_cbranch_vccz .LBB87_325
; %bb.324:
	s_waitcnt vmcnt(0)
	v_cmp_lt_f64_e32 vcc, s[44:45], v[3:4]
	s_andn2_b64 s[8:9], s[8:9], exec
	s_and_b64 s[12:13], vcc, exec
	s_or_b64 s[8:9], s[8:9], s[12:13]
.LBB87_325:
	s_branch .LBB87_316
.LBB87_326:
	s_cmp_lg_u32 s76, 0
	s_mov_b64 s[0:1], -1
	s_cselect_b64 s[10:11], -1, 0
	s_andn2_b64 vcc, exec, s[10:11]
	s_cbranch_vccz .LBB87_317
.LBB87_327:
	s_andn2_b64 vcc, exec, s[0:1]
	s_cbranch_vccnz .LBB87_329
.LBB87_328:
	s_waitcnt vmcnt(0)
	v_cmp_le_f64_e32 vcc, s[44:45], v[3:4]
	s_andn2_b64 s[0:1], s[8:9], exec
	s_and_b64 s[8:9], vcc, exec
	s_or_b64 s[8:9], s[0:1], s[8:9]
.LBB87_329:
	v_mov_b32_e32 v1, s25
	s_and_b32 s16, s75, 0xff
	v_add_co_u32_e32 v0, vcc, s24, v0
	s_cmp_lt_i32 s16, 11
	v_addc_co_u32_e32 v1, vcc, 0, v1, vcc
	s_cbranch_scc1 .LBB87_336
; %bb.330:
	s_and_b32 s17, 0xffff, s16
	s_cmp_gt_i32 s17, 25
	s_cbranch_scc0 .LBB87_337
; %bb.331:
	s_cmp_gt_i32 s17, 28
	s_cbranch_scc0 .LBB87_338
; %bb.332:
	;; [unrolled: 3-line block ×4, first 2 shown]
	s_mov_b64 s[12:13], 0
	s_mov_b64 s[0:1], -1
	s_cmp_eq_u32 s17, 46
	s_mov_b64 s[10:11], 0
	s_cbranch_scc0 .LBB87_350
; %bb.335:
	v_cndmask_b32_e64 v2, 0, 1.0, s[8:9]
	s_waitcnt vmcnt(0)
	v_bfe_u32 v3, v2, 16, 1
	s_movk_i32 s0, 0x7fff
	v_add3_u32 v2, v2, v3, s0
	v_lshrrev_b32_e32 v2, 16, v2
	global_store_dword v[0:1], v2, off
	s_mov_b64 s[10:11], -1
	s_mov_b64 s[0:1], 0
	s_branch .LBB87_350
.LBB87_336:
	s_mov_b64 s[12:13], -1
	s_mov_b64 s[10:11], 0
	s_mov_b64 s[0:1], s[54:55]
	s_branch .LBB87_419
.LBB87_337:
	s_mov_b64 s[12:13], -1
	s_mov_b64 s[10:11], 0
	s_mov_b64 s[0:1], s[54:55]
	s_branch .LBB87_377
.LBB87_338:
	s_mov_b64 s[12:13], -1
	s_mov_b64 s[10:11], 0
	s_mov_b64 s[0:1], s[54:55]
	s_branch .LBB87_360
.LBB87_339:
	s_andn2_saveexec_b64 s[14:15], s[14:15]
	s_cbranch_execz .LBB87_84
.LBB87_340:
	v_add_f32_e32 v2, 0x46000000, v3
	v_and_b32_e32 v2, 0xff, v2
	v_cmp_ne_u32_e32 vcc, 0, v2
	s_andn2_b64 s[12:13], s[12:13], exec
	s_and_b64 s[18:19], vcc, exec
	s_or_b64 s[12:13], s[12:13], s[18:19]
	s_or_b64 exec, exec, s[14:15]
	v_mov_b32_e32 v4, 0
	s_and_saveexec_b64 s[14:15], s[12:13]
	s_cbranch_execnz .LBB87_85
	s_branch .LBB87_86
.LBB87_341:
	s_mov_b64 s[8:9], -1
	s_mov_b64 s[0:1], 0
	s_mov_b64 s[2:3], s[56:57]
                                        ; implicit-def: $vgpr3_vgpr4
	s_branch .LBB87_346
.LBB87_342:
	s_mov_b64 s[12:13], -1
	s_mov_b64 s[10:11], 0
	s_mov_b64 s[0:1], s[54:55]
	s_branch .LBB87_356
.LBB87_343:
	s_andn2_saveexec_b64 s[14:15], s[14:15]
	s_cbranch_execz .LBB87_97
.LBB87_344:
	v_add_f32_e32 v2, 0x42800000, v3
	v_and_b32_e32 v2, 0xff, v2
	v_cmp_ne_u32_e32 vcc, 0, v2
	s_andn2_b64 s[12:13], s[12:13], exec
	s_and_b64 s[18:19], vcc, exec
	s_or_b64 s[12:13], s[12:13], s[18:19]
	s_or_b64 exec, exec, s[14:15]
	v_mov_b32_e32 v4, 0
	s_and_saveexec_b64 s[14:15], s[12:13]
	s_cbranch_execnz .LBB87_98
	s_branch .LBB87_99
.LBB87_345:
	s_mov_b64 s[2:3], -1
                                        ; implicit-def: $vgpr3_vgpr4
	s_mov_b64 s[0:1], 0
.LBB87_346:
	s_and_b64 vcc, exec, s[8:9]
	s_cbranch_vccz .LBB87_462
; %bb.347:
	s_cmp_eq_u32 s12, 44
	s_cbranch_scc0 .LBB87_461
; %bb.348:
	global_load_ubyte v5, v[1:2], off
	s_movk_i32 s2, 0xff
	v_bfrev_b32_e32 v6, 4
	v_mov_b32_e32 v7, 0x7ff80000
	v_bfrev_b32_e32 v9, 28
	s_mov_b64 s[0:1], -1
	s_waitcnt vmcnt(0)
	v_lshlrev_b32_e32 v3, 23, v5
	v_cvt_f64_f32_e32 v[3:4], v3
	v_cmp_ne_u32_e32 vcc, s2, v5
	s_mov_b64 s[2:3], 0
	v_cndmask_b32_e32 v3, v6, v3, vcc
	v_cndmask_b32_e32 v4, v7, v4, vcc
	v_cmp_ne_u32_e32 vcc, 0, v5
	v_cndmask_b32_e32 v4, v9, v4, vcc
	v_cndmask_b32_e32 v3, 0, v3, vcc
	s_branch .LBB87_462
.LBB87_349:
	s_mov_b64 s[12:13], -1
	s_mov_b64 s[10:11], 0
	s_mov_b64 s[0:1], s[54:55]
.LBB87_350:
	s_and_b64 vcc, exec, s[12:13]
	s_cbranch_vccz .LBB87_355
; %bb.351:
	s_cmp_eq_u32 s17, 44
	s_mov_b64 s[0:1], -1
	s_cbranch_scc0 .LBB87_355
; %bb.352:
	s_waitcnt vmcnt(0)
	v_cndmask_b32_e64 v3, 0, 1.0, s[8:9]
	v_lshrrev_b32_e32 v2, 23, v3
	s_movk_i32 s0, 0xff
	v_cmp_ne_u32_e32 vcc, s0, v2
	v_mov_b32_e32 v4, 0xff
	s_and_saveexec_b64 s[10:11], vcc
; %bb.353:
	s_mov_b32 s0, 0x3fffff
	v_and_b32_e32 v4, 0x400000, v3
	v_and_or_b32 v3, v3, s0, v2
	v_cmp_ne_u32_e32 vcc, 0, v4
	v_cmp_ne_u32_e64 s[0:1], 0, v3
	s_and_b64 s[0:1], vcc, s[0:1]
	v_cndmask_b32_e64 v3, 0, 1, s[0:1]
	v_add_u32_e32 v4, v2, v3
; %bb.354:
	s_or_b64 exec, exec, s[10:11]
	s_mov_b64 s[10:11], -1
	s_mov_b64 s[0:1], 0
	global_store_byte v[0:1], v4, off
.LBB87_355:
	s_mov_b64 s[12:13], 0
.LBB87_356:
	s_and_b64 vcc, exec, s[12:13]
	s_cbranch_vccz .LBB87_359
; %bb.357:
	s_cmp_eq_u32 s17, 29
	s_mov_b64 s[0:1], -1
	s_cbranch_scc0 .LBB87_359
; %bb.358:
	s_mov_b32 s0, 0
	v_cndmask_b32_e64 v2, 0, 1, s[8:9]
	s_waitcnt vmcnt(0)
	v_mov_b32_e32 v3, s0
	global_store_dwordx2 v[0:1], v[2:3], off
	s_mov_b64 s[10:11], -1
	s_mov_b64 s[0:1], 0
.LBB87_359:
	s_mov_b64 s[12:13], 0
.LBB87_360:
	s_and_b64 vcc, exec, s[12:13]
	s_cbranch_vccz .LBB87_376
; %bb.361:
	s_cmp_lt_i32 s17, 27
	s_mov_b64 s[10:11], -1
	s_cbranch_scc1 .LBB87_367
; %bb.362:
	s_cmp_gt_i32 s17, 27
	s_cbranch_scc0 .LBB87_364
; %bb.363:
	v_cndmask_b32_e64 v2, 0, 1, s[8:9]
	s_mov_b64 s[10:11], 0
	global_store_dword v[0:1], v2, off
.LBB87_364:
	s_andn2_b64 vcc, exec, s[10:11]
	s_cbranch_vccnz .LBB87_366
; %bb.365:
	v_cndmask_b32_e64 v2, 0, 1, s[8:9]
	global_store_short v[0:1], v2, off
.LBB87_366:
	s_mov_b64 s[10:11], 0
.LBB87_367:
	s_andn2_b64 vcc, exec, s[10:11]
	s_cbranch_vccnz .LBB87_375
; %bb.368:
	s_waitcnt vmcnt(0)
	v_cndmask_b32_e64 v3, 0, 1.0, s[8:9]
	s_mov_b32 s10, 0x43800000
	v_cmp_gt_u32_e32 vcc, s10, v3
	v_mov_b32_e32 v4, 0x80
	s_and_saveexec_b64 s[10:11], vcc
	s_cbranch_execz .LBB87_374
; %bb.369:
	s_mov_b32 s12, 0x3bffffff
	v_cmp_lt_u32_e32 vcc, s12, v3
	s_mov_b64 s[12:13], 0
                                        ; implicit-def: $vgpr2
	s_and_saveexec_b64 s[14:15], vcc
	s_xor_b64 s[14:15], exec, s[14:15]
	s_cbranch_execz .LBB87_602
; %bb.370:
	v_bfe_u32 v2, v3, 20, 1
	s_mov_b32 s18, 0x487ffff
	v_add3_u32 v2, v3, v2, s18
	s_mov_b64 s[12:13], exec
	v_lshrrev_b32_e32 v2, 20, v2
                                        ; implicit-def: $vgpr3
	s_andn2_saveexec_b64 s[14:15], s[14:15]
	s_cbranch_execnz .LBB87_603
.LBB87_371:
	s_or_b64 exec, exec, s[14:15]
	v_mov_b32_e32 v4, 0
	s_and_saveexec_b64 s[14:15], s[12:13]
.LBB87_372:
	v_mov_b32_e32 v4, v2
.LBB87_373:
	s_or_b64 exec, exec, s[14:15]
.LBB87_374:
	s_or_b64 exec, exec, s[10:11]
	global_store_byte v[0:1], v4, off
.LBB87_375:
	s_mov_b64 s[10:11], -1
.LBB87_376:
	s_mov_b64 s[12:13], 0
.LBB87_377:
	s_and_b64 vcc, exec, s[12:13]
	s_cbranch_vccz .LBB87_418
; %bb.378:
	s_cmp_gt_i32 s17, 22
	s_mov_b64 s[12:13], -1
	s_cbranch_scc0 .LBB87_410
; %bb.379:
	s_cmp_lt_i32 s17, 24
	s_mov_b64 s[10:11], -1
	s_cbranch_scc1 .LBB87_399
; %bb.380:
	s_cmp_gt_i32 s17, 24
	s_cbranch_scc0 .LBB87_388
; %bb.381:
	s_waitcnt vmcnt(0)
	v_cndmask_b32_e64 v3, 0, 1.0, s[8:9]
	s_mov_b32 s10, 0x47800000
	v_cmp_gt_u32_e32 vcc, s10, v3
	v_mov_b32_e32 v4, 0x80
	s_and_saveexec_b64 s[10:11], vcc
	s_cbranch_execz .LBB87_387
; %bb.382:
	s_mov_b32 s12, 0x37ffffff
	v_cmp_lt_u32_e32 vcc, s12, v3
	s_mov_b64 s[12:13], 0
                                        ; implicit-def: $vgpr2
	s_and_saveexec_b64 s[14:15], vcc
	s_xor_b64 s[14:15], exec, s[14:15]
	s_cbranch_execz .LBB87_605
; %bb.383:
	v_bfe_u32 v2, v3, 21, 1
	s_mov_b32 s18, 0x88fffff
	v_add3_u32 v2, v3, v2, s18
	s_mov_b64 s[12:13], exec
	v_lshrrev_b32_e32 v2, 21, v2
                                        ; implicit-def: $vgpr3
	s_andn2_saveexec_b64 s[14:15], s[14:15]
	s_cbranch_execnz .LBB87_606
.LBB87_384:
	s_or_b64 exec, exec, s[14:15]
	v_mov_b32_e32 v4, 0
	s_and_saveexec_b64 s[14:15], s[12:13]
.LBB87_385:
	v_mov_b32_e32 v4, v2
.LBB87_386:
	s_or_b64 exec, exec, s[14:15]
.LBB87_387:
	s_or_b64 exec, exec, s[10:11]
	s_mov_b64 s[10:11], 0
	global_store_byte v[0:1], v4, off
.LBB87_388:
	s_and_b64 vcc, exec, s[10:11]
	s_cbranch_vccz .LBB87_398
; %bb.389:
	v_cndmask_b32_e64 v2, 0, 1.0, s[8:9]
	s_mov_b32 s10, 0x43f00000
	v_cmp_gt_u32_e32 vcc, s10, v2
                                        ; implicit-def: $vgpr3
	s_and_saveexec_b64 s[10:11], vcc
	s_xor_b64 s[10:11], exec, s[10:11]
	s_cbranch_execz .LBB87_395
; %bb.390:
	s_mov_b32 s12, 0x3c7fffff
	v_cmp_lt_u32_e32 vcc, s12, v2
                                        ; implicit-def: $vgpr3
	s_and_saveexec_b64 s[12:13], vcc
	s_xor_b64 s[12:13], exec, s[12:13]
	s_cbranch_execz .LBB87_392
; %bb.391:
	s_waitcnt vmcnt(0)
	v_bfe_u32 v3, v2, 20, 1
	s_mov_b32 s14, 0x407ffff
	v_add3_u32 v2, v2, v3, s14
	v_lshrrev_b32_e32 v3, 20, v2
	v_and_b32_e32 v2, 0xff00000, v2
	s_mov_b32 s14, 0x7f00000
	v_mov_b32_e32 v4, 0x7e
	v_cmp_ne_u32_e32 vcc, s14, v2
	v_cndmask_b32_e32 v3, v4, v3, vcc
                                        ; implicit-def: $vgpr2
.LBB87_392:
	s_andn2_saveexec_b64 s[12:13], s[12:13]
	s_cbranch_execz .LBB87_394
; %bb.393:
	s_waitcnt vmcnt(0)
	v_add_f32_e32 v3, 0x46800000, v2
.LBB87_394:
	s_or_b64 exec, exec, s[12:13]
                                        ; implicit-def: $vgpr2
.LBB87_395:
	s_andn2_saveexec_b64 s[10:11], s[10:11]
	s_cbranch_execz .LBB87_397
; %bb.396:
	s_mov_b32 s12, 0x7f800000
	s_waitcnt vmcnt(0)
	v_mov_b32_e32 v3, 0x7e
	v_mov_b32_e32 v4, 0x7f
	v_cmp_lt_u32_e32 vcc, s12, v2
	v_cndmask_b32_e32 v3, v3, v4, vcc
.LBB87_397:
	s_or_b64 exec, exec, s[10:11]
	s_waitcnt vmcnt(0)
	global_store_byte v[0:1], v3, off
.LBB87_398:
	s_mov_b64 s[10:11], 0
.LBB87_399:
	s_andn2_b64 vcc, exec, s[10:11]
	s_cbranch_vccnz .LBB87_409
; %bb.400:
	v_cndmask_b32_e64 v2, 0, 1.0, s[8:9]
	s_mov_b32 s10, 0x47800000
	v_cmp_gt_u32_e32 vcc, s10, v2
                                        ; implicit-def: $vgpr3
	s_and_saveexec_b64 s[10:11], vcc
	s_xor_b64 s[10:11], exec, s[10:11]
	s_cbranch_execz .LBB87_406
; %bb.401:
	s_mov_b32 s12, 0x387fffff
	v_cmp_lt_u32_e32 vcc, s12, v2
                                        ; implicit-def: $vgpr3
	s_and_saveexec_b64 s[12:13], vcc
	s_xor_b64 s[12:13], exec, s[12:13]
	s_cbranch_execz .LBB87_403
; %bb.402:
	s_waitcnt vmcnt(0)
	v_bfe_u32 v3, v2, 21, 1
	s_mov_b32 s14, 0x80fffff
	v_add3_u32 v2, v2, v3, s14
	v_lshrrev_b32_e32 v3, 21, v2
                                        ; implicit-def: $vgpr2
.LBB87_403:
	s_andn2_saveexec_b64 s[12:13], s[12:13]
	s_cbranch_execz .LBB87_405
; %bb.404:
	s_waitcnt vmcnt(0)
	v_add_f32_e32 v3, 0x43000000, v2
.LBB87_405:
	s_or_b64 exec, exec, s[12:13]
                                        ; implicit-def: $vgpr2
.LBB87_406:
	s_andn2_saveexec_b64 s[10:11], s[10:11]
	s_cbranch_execz .LBB87_408
; %bb.407:
	s_mov_b32 s12, 0x7f800000
	s_waitcnt vmcnt(0)
	v_mov_b32_e32 v3, 0x7c
	v_mov_b32_e32 v4, 0x7f
	v_cmp_lt_u32_e32 vcc, s12, v2
	v_cndmask_b32_e32 v3, v3, v4, vcc
.LBB87_408:
	s_or_b64 exec, exec, s[10:11]
	s_waitcnt vmcnt(0)
	global_store_byte v[0:1], v3, off
.LBB87_409:
	s_mov_b64 s[12:13], 0
	s_mov_b64 s[10:11], -1
.LBB87_410:
	s_andn2_b64 vcc, exec, s[12:13]
	s_cbranch_vccnz .LBB87_418
; %bb.411:
	s_cmp_gt_i32 s17, 14
	s_mov_b64 s[12:13], -1
	s_cbranch_scc0 .LBB87_415
; %bb.412:
	s_cmp_eq_u32 s17, 15
	s_mov_b64 s[0:1], -1
	s_cbranch_scc0 .LBB87_414
; %bb.413:
	v_cndmask_b32_e64 v2, 0, 1.0, s[8:9]
	s_waitcnt vmcnt(0)
	v_bfe_u32 v3, v2, 16, 1
	s_movk_i32 s0, 0x7fff
	v_add3_u32 v2, v2, v3, s0
	global_store_short_d16_hi v[0:1], v2, off
	s_mov_b64 s[10:11], -1
	s_mov_b64 s[0:1], 0
.LBB87_414:
	s_mov_b64 s[12:13], 0
.LBB87_415:
	s_and_b64 vcc, exec, s[12:13]
	s_cbranch_vccz .LBB87_418
; %bb.416:
	s_cmp_eq_u32 s17, 11
	s_mov_b64 s[0:1], -1
	s_cbranch_scc0 .LBB87_418
; %bb.417:
	v_cndmask_b32_e64 v2, 0, 1, s[8:9]
	s_mov_b64 s[10:11], -1
	s_mov_b64 s[0:1], 0
	global_store_byte v[0:1], v2, off
.LBB87_418:
	s_mov_b64 s[12:13], 0
.LBB87_419:
	s_and_b64 vcc, exec, s[12:13]
	s_cbranch_vccz .LBB87_458
; %bb.420:
	s_and_b32 s12, 0xffff, s16
	s_cmp_lt_i32 s12, 5
	s_mov_b64 s[10:11], -1
	s_cbranch_scc1 .LBB87_441
; %bb.421:
	s_cmp_lt_i32 s12, 8
	s_cbranch_scc1 .LBB87_431
; %bb.422:
	s_cmp_lt_i32 s12, 9
	s_cbranch_scc1 .LBB87_428
; %bb.423:
	s_cmp_gt_i32 s12, 9
	s_cbranch_scc0 .LBB87_425
; %bb.424:
	v_cndmask_b32_e64 v2, 0, 1, s[8:9]
	s_waitcnt vmcnt(0)
	v_cvt_f64_u32_e32 v[2:3], v2
	v_mov_b32_e32 v4, 0
	v_mov_b32_e32 v5, v4
	s_mov_b64 s[10:11], 0
	global_store_dwordx4 v[0:1], v[2:5], off
.LBB87_425:
	s_andn2_b64 vcc, exec, s[10:11]
	s_cbranch_vccnz .LBB87_427
; %bb.426:
	v_cndmask_b32_e64 v2, 0, 1.0, s[8:9]
	s_waitcnt vmcnt(0)
	v_mov_b32_e32 v3, 0
	global_store_dwordx2 v[0:1], v[2:3], off
.LBB87_427:
	s_mov_b64 s[10:11], 0
.LBB87_428:
	s_andn2_b64 vcc, exec, s[10:11]
	s_cbranch_vccnz .LBB87_430
; %bb.429:
	v_cndmask_b32_e64 v2, 0, 1.0, s[8:9]
	v_cvt_f16_f32_e32 v2, v2
	global_store_dword v[0:1], v2, off
.LBB87_430:
	s_mov_b64 s[10:11], 0
.LBB87_431:
	s_andn2_b64 vcc, exec, s[10:11]
	s_cbranch_vccnz .LBB87_440
; %bb.432:
	s_cmp_lt_i32 s12, 6
	s_mov_b64 s[10:11], -1
	s_cbranch_scc1 .LBB87_438
; %bb.433:
	s_cmp_gt_i32 s12, 6
	s_cbranch_scc0 .LBB87_435
; %bb.434:
	v_cndmask_b32_e64 v2, 0, 1, s[8:9]
	s_waitcnt vmcnt(0)
	v_cvt_f64_u32_e32 v[2:3], v2
	s_mov_b64 s[10:11], 0
	global_store_dwordx2 v[0:1], v[2:3], off
.LBB87_435:
	s_andn2_b64 vcc, exec, s[10:11]
	s_cbranch_vccnz .LBB87_437
; %bb.436:
	v_cndmask_b32_e64 v2, 0, 1.0, s[8:9]
	global_store_dword v[0:1], v2, off
.LBB87_437:
	s_mov_b64 s[10:11], 0
.LBB87_438:
	s_andn2_b64 vcc, exec, s[10:11]
	s_cbranch_vccnz .LBB87_440
; %bb.439:
	v_cndmask_b32_e64 v2, 0, 1.0, s[8:9]
	v_cvt_f16_f32_e32 v2, v2
	global_store_short v[0:1], v2, off
.LBB87_440:
	s_mov_b64 s[10:11], 0
.LBB87_441:
	s_andn2_b64 vcc, exec, s[10:11]
	s_cbranch_vccnz .LBB87_457
; %bb.442:
	s_cmp_lt_i32 s12, 2
	s_mov_b64 s[10:11], -1
	s_cbranch_scc1 .LBB87_452
; %bb.443:
	s_cmp_lt_i32 s12, 3
	s_cbranch_scc1 .LBB87_449
; %bb.444:
	s_cmp_gt_i32 s12, 3
	s_cbranch_scc0 .LBB87_446
; %bb.445:
	s_mov_b32 s10, 0
	v_cndmask_b32_e64 v2, 0, 1, s[8:9]
	s_waitcnt vmcnt(0)
	v_mov_b32_e32 v3, s10
	s_mov_b64 s[10:11], 0
	global_store_dwordx2 v[0:1], v[2:3], off
.LBB87_446:
	s_andn2_b64 vcc, exec, s[10:11]
	s_cbranch_vccnz .LBB87_448
; %bb.447:
	v_cndmask_b32_e64 v2, 0, 1, s[8:9]
	global_store_dword v[0:1], v2, off
.LBB87_448:
	s_mov_b64 s[10:11], 0
.LBB87_449:
	s_andn2_b64 vcc, exec, s[10:11]
	s_cbranch_vccnz .LBB87_451
; %bb.450:
	v_cndmask_b32_e64 v2, 0, 1, s[8:9]
	global_store_short v[0:1], v2, off
.LBB87_451:
	s_mov_b64 s[10:11], 0
.LBB87_452:
	s_andn2_b64 vcc, exec, s[10:11]
	s_cbranch_vccnz .LBB87_457
; %bb.453:
	s_mov_b64 s[10:11], -1
	s_cmp_gt_i32 s12, 0
	v_cndmask_b32_e64 v2, 0, 1, s[8:9]
	s_cbranch_scc0 .LBB87_455
; %bb.454:
	s_mov_b64 s[10:11], 0
	global_store_byte v[0:1], v2, off
.LBB87_455:
	s_andn2_b64 vcc, exec, s[10:11]
	s_cbranch_vccnz .LBB87_457
; %bb.456:
	global_store_byte v[0:1], v2, off
.LBB87_457:
	s_mov_b64 s[10:11], -1
.LBB87_458:
	s_andn2_b64 vcc, exec, s[10:11]
	s_cbranch_vccnz .LBB87_460
; %bb.459:
	v_add_u32_e32 v8, 0x80, v8
	s_mov_b64 s[8:9], -1
	s_branch .LBB87_573
.LBB87_460:
	s_mov_b64 s[8:9], 0
	s_branch .LBB87_572
.LBB87_461:
	s_mov_b64 s[2:3], -1
                                        ; implicit-def: $vgpr3_vgpr4
.LBB87_462:
	s_mov_b64 s[8:9], 0
.LBB87_463:
	s_and_b64 vcc, exec, s[8:9]
	s_cbranch_vccz .LBB87_467
; %bb.464:
	s_cmp_eq_u32 s12, 29
	s_cbranch_scc0 .LBB87_466
; %bb.465:
	global_load_dwordx2 v[3:4], v[1:2], off
	s_mov_b64 s[0:1], -1
	s_mov_b64 s[2:3], 0
	s_mov_b64 s[8:9], 0
	s_waitcnt vmcnt(0)
	v_cvt_f64_u32_e32 v[4:5], v4
	v_cvt_f64_u32_e32 v[6:7], v3
	v_ldexp_f64 v[4:5], v[4:5], 32
	v_add_f64 v[3:4], v[4:5], v[6:7]
	s_branch .LBB87_468
.LBB87_466:
	s_mov_b64 s[2:3], -1
                                        ; implicit-def: $vgpr3_vgpr4
.LBB87_467:
	s_mov_b64 s[8:9], 0
.LBB87_468:
	s_and_b64 vcc, exec, s[8:9]
	s_cbranch_vccz .LBB87_488
; %bb.469:
	s_cmp_lt_i32 s12, 27
	s_cbranch_scc1 .LBB87_472
; %bb.470:
	s_cmp_gt_i32 s12, 27
	s_cbranch_scc0 .LBB87_473
; %bb.471:
	global_load_dword v3, v[1:2], off
	s_mov_b64 s[0:1], 0
	s_waitcnt vmcnt(0)
	v_cvt_f64_u32_e32 v[3:4], v3
	s_branch .LBB87_474
.LBB87_472:
	s_mov_b64 s[0:1], -1
                                        ; implicit-def: $vgpr3_vgpr4
	s_branch .LBB87_477
.LBB87_473:
	s_mov_b64 s[0:1], -1
                                        ; implicit-def: $vgpr3_vgpr4
.LBB87_474:
	s_andn2_b64 vcc, exec, s[0:1]
	s_cbranch_vccnz .LBB87_476
; %bb.475:
	global_load_ushort v3, v[1:2], off
	s_waitcnt vmcnt(0)
	v_cvt_f64_u32_e32 v[3:4], v3
.LBB87_476:
	s_mov_b64 s[0:1], 0
.LBB87_477:
	s_andn2_b64 vcc, exec, s[0:1]
	s_cbranch_vccnz .LBB87_487
; %bb.478:
	global_load_ubyte v5, v[1:2], off
	s_movk_i32 s0, 0x7f
	s_waitcnt vmcnt(0)
	v_cmp_lt_i16_e32 vcc, s0, v5
	s_mov_b64 s[0:1], 0
	s_and_saveexec_b64 s[8:9], vcc
	s_xor_b64 s[8:9], exec, s[8:9]
	s_cbranch_execz .LBB87_482
; %bb.479:
	s_movk_i32 s0, 0x80
	v_cmp_eq_u16_e32 vcc, s0, v5
	s_mov_b64 s[0:1], -1
	s_and_saveexec_b64 s[10:11], vcc
; %bb.480:
	s_xor_b64 s[0:1], exec, -1
; %bb.481:
	s_or_b64 exec, exec, s[10:11]
	s_and_b64 s[0:1], s[0:1], exec
.LBB87_482:
	s_or_saveexec_b64 s[8:9], s[8:9]
	v_bfrev_b32_e32 v3, 4
	v_mov_b32_e32 v4, 0x7ff80000
	s_xor_b64 exec, exec, s[8:9]
; %bb.483:
	v_cmp_ne_u16_e32 vcc, 0, v5
	v_mov_b32_e32 v3, 0
	s_andn2_b64 s[0:1], s[0:1], exec
	s_and_b64 s[10:11], vcc, exec
	v_mov_b32_e32 v4, 0
	s_or_b64 s[0:1], s[0:1], s[10:11]
; %bb.484:
	s_or_b64 exec, exec, s[8:9]
	s_and_saveexec_b64 s[8:9], s[0:1]
	s_cbranch_execz .LBB87_486
; %bb.485:
	v_and_b32_e32 v4, 0xffff, v5
	v_lshlrev_b32_e32 v3, 24, v5
	v_and_b32_e32 v5, 7, v4
	v_ffbh_u32_e32 v7, v5
	v_min_u32_e32 v7, 32, v7
	v_subrev_u32_e32 v9, 28, v7
	v_bfe_u32 v6, v4, 3, 4
	v_lshlrev_b32_e32 v4, v9, v4
	v_sub_u32_e32 v7, 29, v7
	v_and_b32_e32 v4, 7, v4
	v_cmp_eq_u32_e32 vcc, 0, v6
	v_cndmask_b32_e32 v6, v6, v7, vcc
	v_cndmask_b32_e32 v4, v5, v4, vcc
	v_mov_b32_e32 v5, 0x3b800000
	v_lshlrev_b32_e32 v4, 20, v4
	v_and_b32_e32 v3, 0x80000000, v3
	v_lshl_add_u32 v5, v6, 23, v5
	v_or3_b32 v3, v3, v5, v4
	v_cvt_f64_f32_e32 v[3:4], v3
.LBB87_486:
	s_or_b64 exec, exec, s[8:9]
.LBB87_487:
	s_mov_b64 s[0:1], -1
.LBB87_488:
	s_mov_b64 s[8:9], 0
.LBB87_489:
	s_and_b64 vcc, exec, s[8:9]
	s_cbranch_vccz .LBB87_522
; %bb.490:
	s_cmp_gt_i32 s12, 22
	s_cbranch_scc0 .LBB87_502
; %bb.491:
	s_cmp_lt_i32 s12, 24
	s_cbranch_scc1 .LBB87_503
; %bb.492:
	s_cmp_gt_i32 s12, 24
	s_cbranch_scc0 .LBB87_504
; %bb.493:
	global_load_ubyte v5, v[1:2], off
	s_movk_i32 s0, 0x7f
	s_waitcnt vmcnt(0)
	v_cmp_lt_i16_e32 vcc, s0, v5
	s_mov_b64 s[0:1], 0
	s_and_saveexec_b64 s[8:9], vcc
	s_xor_b64 s[8:9], exec, s[8:9]
	s_cbranch_execz .LBB87_497
; %bb.494:
	s_movk_i32 s0, 0x80
	v_cmp_eq_u16_e32 vcc, s0, v5
	s_mov_b64 s[0:1], -1
	s_and_saveexec_b64 s[10:11], vcc
; %bb.495:
	s_xor_b64 s[0:1], exec, -1
; %bb.496:
	s_or_b64 exec, exec, s[10:11]
	s_and_b64 s[0:1], s[0:1], exec
.LBB87_497:
	s_or_saveexec_b64 s[8:9], s[8:9]
	v_bfrev_b32_e32 v3, 4
	v_mov_b32_e32 v4, 0x7ff80000
	s_xor_b64 exec, exec, s[8:9]
; %bb.498:
	v_cmp_ne_u16_e32 vcc, 0, v5
	v_mov_b32_e32 v3, 0
	s_andn2_b64 s[0:1], s[0:1], exec
	s_and_b64 s[10:11], vcc, exec
	v_mov_b32_e32 v4, 0
	s_or_b64 s[0:1], s[0:1], s[10:11]
; %bb.499:
	s_or_b64 exec, exec, s[8:9]
	s_and_saveexec_b64 s[8:9], s[0:1]
	s_cbranch_execz .LBB87_501
; %bb.500:
	v_and_b32_e32 v4, 0xffff, v5
	v_lshlrev_b32_e32 v3, 24, v5
	v_and_b32_e32 v5, 3, v4
	v_ffbh_u32_e32 v7, v5
	v_min_u32_e32 v7, 32, v7
	v_subrev_u32_e32 v9, 29, v7
	v_bfe_u32 v6, v4, 2, 5
	v_lshlrev_b32_e32 v4, v9, v4
	v_sub_u32_e32 v7, 30, v7
	v_and_b32_e32 v4, 3, v4
	v_cmp_eq_u32_e32 vcc, 0, v6
	v_cndmask_b32_e32 v6, v6, v7, vcc
	v_cndmask_b32_e32 v4, v5, v4, vcc
	v_mov_b32_e32 v5, 0x37800000
	v_lshlrev_b32_e32 v4, 21, v4
	v_and_b32_e32 v3, 0x80000000, v3
	v_lshl_add_u32 v5, v6, 23, v5
	v_or3_b32 v3, v3, v5, v4
	v_cvt_f64_f32_e32 v[3:4], v3
.LBB87_501:
	s_or_b64 exec, exec, s[8:9]
	s_mov_b64 s[0:1], 0
	s_branch .LBB87_505
.LBB87_502:
	s_mov_b64 s[8:9], -1
                                        ; implicit-def: $vgpr3_vgpr4
	s_branch .LBB87_511
.LBB87_503:
	s_mov_b64 s[0:1], -1
                                        ; implicit-def: $vgpr3_vgpr4
	s_branch .LBB87_508
.LBB87_504:
	s_mov_b64 s[0:1], -1
                                        ; implicit-def: $vgpr3_vgpr4
.LBB87_505:
	s_and_b64 vcc, exec, s[0:1]
	s_cbranch_vccz .LBB87_507
; %bb.506:
	global_load_ubyte v3, v[1:2], off
	s_mov_b32 s0, 0x7f800000
	s_waitcnt vmcnt(0)
	v_lshlrev_b32_e32 v3, 24, v3
	v_and_b32_e32 v4, 0x7f000000, v3
	v_ffbh_u32_e32 v5, v4
	v_min_u32_e32 v5, 32, v5
	v_sub_u32_e64 v5, v5, 4 clamp
	v_lshlrev_b32_e32 v7, v5, v4
	v_lshlrev_b32_e32 v5, 23, v5
	v_lshrrev_b32_e32 v7, 4, v7
	v_add_u32_e32 v6, 0x1000000, v4
	v_sub_u32_e32 v5, v7, v5
	v_ashrrev_i32_e32 v6, 8, v6
	v_add_u32_e32 v5, 0x3c000000, v5
	v_and_or_b32 v5, v6, s0, v5
	v_cmp_ne_u32_e32 vcc, 0, v4
	v_cndmask_b32_e32 v4, 0, v5, vcc
	s_brev_b32 s0, 1
	v_and_or_b32 v3, v3, s0, v4
	v_cvt_f64_f32_e32 v[3:4], v3
.LBB87_507:
	s_mov_b64 s[0:1], 0
.LBB87_508:
	s_andn2_b64 vcc, exec, s[0:1]
	s_cbranch_vccnz .LBB87_510
; %bb.509:
	global_load_ubyte v3, v[1:2], off
	s_movk_i32 s0, 0x7f00
	s_brev_b32 s1, 16
	s_waitcnt vmcnt(0)
	v_lshlrev_b16_e32 v4, 8, v3
	v_lshlrev_b32_e32 v3, 25, v3
	v_lshrrev_b32_e32 v5, 4, v3
	v_and_or_b32 v6, v4, s0, 0.5
	v_or_b32_e32 v5, 0x70000000, v5
	v_add_f32_e32 v6, -0.5, v6
	v_mul_f32_e32 v5, 0x7800000, v5
	v_cmp_gt_u32_e32 vcc, s1, v3
	v_bfe_i32 v4, v4, 0, 16
	v_cndmask_b32_e32 v3, v5, v6, vcc
	s_brev_b32 s0, 1
	v_and_or_b32 v3, v4, s0, v3
	v_cvt_f64_f32_e32 v[3:4], v3
.LBB87_510:
	s_mov_b64 s[8:9], 0
	s_mov_b64 s[0:1], -1
.LBB87_511:
	s_andn2_b64 vcc, exec, s[8:9]
	s_cbranch_vccnz .LBB87_522
; %bb.512:
	s_cmp_gt_i32 s12, 14
	s_cbranch_scc0 .LBB87_515
; %bb.513:
	s_cmp_eq_u32 s12, 15
	s_cbranch_scc0 .LBB87_516
; %bb.514:
	global_load_ushort v3, v[1:2], off
	s_mov_b64 s[0:1], -1
	s_mov_b64 s[2:3], 0
	s_waitcnt vmcnt(0)
	v_lshlrev_b32_e32 v3, 16, v3
	v_cvt_f64_f32_e32 v[3:4], v3
	s_branch .LBB87_517
.LBB87_515:
	s_mov_b64 s[8:9], -1
                                        ; implicit-def: $vgpr3_vgpr4
	s_branch .LBB87_518
.LBB87_516:
	s_mov_b64 s[2:3], -1
                                        ; implicit-def: $vgpr3_vgpr4
.LBB87_517:
	s_mov_b64 s[8:9], 0
.LBB87_518:
	s_and_b64 vcc, exec, s[8:9]
	s_cbranch_vccz .LBB87_522
; %bb.519:
	s_cmp_eq_u32 s12, 11
	s_cbranch_scc0 .LBB87_521
; %bb.520:
	global_load_ubyte v4, v[1:2], off
	v_mov_b32_e32 v5, 0x3ff00000
	v_mov_b32_e32 v3, 0
	s_mov_b64 s[0:1], -1
	s_mov_b64 s[2:3], 0
	s_waitcnt vmcnt(0)
	v_cmp_ne_u16_e32 vcc, 0, v4
	v_cndmask_b32_e32 v4, 0, v5, vcc
	s_branch .LBB87_522
.LBB87_521:
	s_mov_b64 s[2:3], -1
                                        ; implicit-def: $vgpr3_vgpr4
.LBB87_522:
	s_branch .LBB87_309
.LBB87_523:
	s_cmp_lt_i32 s12, 5
	s_cbranch_scc1 .LBB87_528
; %bb.524:
	s_cmp_lt_i32 s12, 8
	s_cbranch_scc1 .LBB87_529
; %bb.525:
	;; [unrolled: 3-line block ×3, first 2 shown]
	s_cmp_gt_i32 s12, 9
	s_cbranch_scc0 .LBB87_531
; %bb.527:
	global_load_dwordx2 v[3:4], v[1:2], off
	s_mov_b64 s[0:1], 0
	s_branch .LBB87_532
.LBB87_528:
	s_mov_b64 s[0:1], -1
                                        ; implicit-def: $vgpr3_vgpr4
	s_branch .LBB87_550
.LBB87_529:
	s_mov_b64 s[0:1], -1
                                        ; implicit-def: $vgpr3_vgpr4
	s_branch .LBB87_538
.LBB87_530:
	s_mov_b64 s[0:1], -1
                                        ; implicit-def: $vgpr3_vgpr4
	s_branch .LBB87_535
.LBB87_531:
	s_mov_b64 s[0:1], -1
                                        ; implicit-def: $vgpr3_vgpr4
.LBB87_532:
	s_andn2_b64 vcc, exec, s[0:1]
	s_cbranch_vccnz .LBB87_534
; %bb.533:
	global_load_dword v3, v[1:2], off
	s_waitcnt vmcnt(0)
	v_cvt_f64_f32_e32 v[3:4], v3
.LBB87_534:
	s_mov_b64 s[0:1], 0
.LBB87_535:
	s_andn2_b64 vcc, exec, s[0:1]
	s_cbranch_vccnz .LBB87_537
; %bb.536:
	global_load_dword v3, v[1:2], off
	s_waitcnt vmcnt(0)
	v_cvt_f32_f16_e32 v3, v3
	v_cvt_f64_f32_e32 v[3:4], v3
.LBB87_537:
	s_mov_b64 s[0:1], 0
.LBB87_538:
	s_andn2_b64 vcc, exec, s[0:1]
	s_cbranch_vccnz .LBB87_549
; %bb.539:
	s_cmp_lt_i32 s12, 6
	s_cbranch_scc1 .LBB87_542
; %bb.540:
	s_cmp_gt_i32 s12, 6
	s_cbranch_scc0 .LBB87_543
; %bb.541:
	global_load_dwordx2 v[3:4], v[1:2], off
	s_mov_b64 s[0:1], 0
	s_branch .LBB87_544
.LBB87_542:
	s_mov_b64 s[0:1], -1
                                        ; implicit-def: $vgpr3_vgpr4
	s_branch .LBB87_547
.LBB87_543:
	s_mov_b64 s[0:1], -1
                                        ; implicit-def: $vgpr3_vgpr4
.LBB87_544:
	s_andn2_b64 vcc, exec, s[0:1]
	s_cbranch_vccnz .LBB87_546
; %bb.545:
	global_load_dword v3, v[1:2], off
	s_waitcnt vmcnt(0)
	v_cvt_f64_f32_e32 v[3:4], v3
.LBB87_546:
	s_mov_b64 s[0:1], 0
.LBB87_547:
	s_andn2_b64 vcc, exec, s[0:1]
	s_cbranch_vccnz .LBB87_549
; %bb.548:
	global_load_ushort v3, v[1:2], off
	s_waitcnt vmcnt(0)
	v_cvt_f32_f16_e32 v3, v3
	v_cvt_f64_f32_e32 v[3:4], v3
.LBB87_549:
	s_mov_b64 s[0:1], 0
.LBB87_550:
	s_andn2_b64 vcc, exec, s[0:1]
	s_cbranch_vccnz .LBB87_570
; %bb.551:
	s_cmp_lt_i32 s12, 2
	s_cbranch_scc1 .LBB87_555
; %bb.552:
	s_cmp_lt_i32 s12, 3
	s_cbranch_scc1 .LBB87_556
; %bb.553:
	s_cmp_gt_i32 s12, 3
	s_cbranch_scc0 .LBB87_557
; %bb.554:
	global_load_dwordx2 v[3:4], v[1:2], off
	s_mov_b64 s[0:1], 0
	s_waitcnt vmcnt(0)
	v_cvt_f64_i32_e32 v[4:5], v4
	v_cvt_f64_u32_e32 v[6:7], v3
	v_ldexp_f64 v[4:5], v[4:5], 32
	v_add_f64 v[3:4], v[4:5], v[6:7]
	s_branch .LBB87_558
.LBB87_555:
	s_mov_b64 s[0:1], -1
                                        ; implicit-def: $vgpr3_vgpr4
	s_branch .LBB87_564
.LBB87_556:
	s_mov_b64 s[0:1], -1
                                        ; implicit-def: $vgpr3_vgpr4
	s_branch .LBB87_561
.LBB87_557:
	s_mov_b64 s[0:1], -1
                                        ; implicit-def: $vgpr3_vgpr4
.LBB87_558:
	s_andn2_b64 vcc, exec, s[0:1]
	s_cbranch_vccnz .LBB87_560
; %bb.559:
	global_load_dword v3, v[1:2], off
	s_waitcnt vmcnt(0)
	v_cvt_f64_i32_e32 v[3:4], v3
.LBB87_560:
	s_mov_b64 s[0:1], 0
.LBB87_561:
	s_andn2_b64 vcc, exec, s[0:1]
	s_cbranch_vccnz .LBB87_563
; %bb.562:
	global_load_sshort v3, v[1:2], off
	s_waitcnt vmcnt(0)
	v_cvt_f64_i32_e32 v[3:4], v3
.LBB87_563:
	s_mov_b64 s[0:1], 0
.LBB87_564:
	s_andn2_b64 vcc, exec, s[0:1]
	s_cbranch_vccnz .LBB87_570
; %bb.565:
	s_cmp_gt_i32 s12, 0
	s_cbranch_scc0 .LBB87_567
; %bb.566:
	global_load_sbyte v3, v[1:2], off
	s_mov_b64 s[0:1], 0
	s_waitcnt vmcnt(0)
	v_cvt_f64_i32_e32 v[3:4], v3
	s_branch .LBB87_568
.LBB87_567:
	s_mov_b64 s[0:1], -1
                                        ; implicit-def: $vgpr3_vgpr4
.LBB87_568:
	s_andn2_b64 vcc, exec, s[0:1]
	s_cbranch_vccnz .LBB87_570
; %bb.569:
	global_load_ubyte v1, v[1:2], off
	s_waitcnt vmcnt(0)
	v_cvt_f64_u32_e32 v[3:4], v1
.LBB87_570:
	s_branch .LBB87_310
.LBB87_571:
	s_mov_b64 s[8:9], 0
	s_mov_b64 s[0:1], s[54:55]
.LBB87_572:
                                        ; implicit-def: $vgpr8
.LBB87_573:
	s_andn2_b64 s[10:11], s[54:55], exec
	s_and_b64 s[0:1], s[0:1], exec
	s_or_b64 s[62:63], s[10:11], s[0:1]
	s_andn2_b64 s[0:1], s[56:57], exec
	s_and_b64 s[2:3], s[2:3], exec
	s_or_b64 s[60:61], s[0:1], s[2:3]
	s_orn2_b64 s[0:1], s[8:9], exec
.LBB87_574:
	s_or_b64 exec, exec, s[64:65]
	s_mov_b64 s[2:3], 0
	s_mov_b64 s[8:9], 0
	;; [unrolled: 1-line block ×3, first 2 shown]
                                        ; implicit-def: $vgpr1_vgpr2
                                        ; implicit-def: $vgpr0
                                        ; implicit-def: $vgpr3_vgpr4
	s_and_saveexec_b64 s[64:65], s[0:1]
	s_cbranch_execz .LBB87_966
; %bb.575:
	v_cmp_gt_i32_e32 vcc, s72, v8
	s_mov_b64 s[2:3], -1
	s_mov_b64 s[68:69], s[60:61]
	s_mov_b64 s[70:71], s[62:63]
	s_and_saveexec_b64 s[66:67], vcc
	s_cbranch_execz .LBB87_866
; %bb.576:
	s_andn2_b64 vcc, exec, s[40:41]
	s_cbranch_vccnz .LBB87_581
; %bb.577:
	s_andn2_b64 vcc, exec, s[52:53]
	s_cbranch_vccnz .LBB87_582
; %bb.578:
	s_add_i32 s79, s78, 1
	s_cmp_eq_u32 s74, 2
	s_cbranch_scc1 .LBB87_583
; %bb.579:
	s_and_b32 s73, s79, 28
	v_mov_b32_e32 v2, 0
	s_mov_b32 s80, 0
	s_mov_b64 s[68:69], s[34:35]
	s_mov_b64 s[70:71], s[50:51]
	v_mov_b32_e32 v0, 0
	v_mov_b32_e32 v1, v8
.LBB87_580:                             ; =>This Inner Loop Header: Depth=1
	s_load_dwordx8 s[16:23], s[68:69], 0x4
	s_load_dwordx4 s[0:3], s[68:69], 0x24
	s_load_dwordx8 s[8:15], s[70:71], 0x0
	s_add_u32 s68, s68, 48
	s_addc_u32 s69, s69, 0
	s_waitcnt vmcnt(0) lgkmcnt(0)
	v_mul_hi_u32 v3, s17, v1
	s_add_i32 s80, s80, 4
	s_add_u32 s70, s70, 32
	s_addc_u32 s71, s71, 0
	v_add_u32_e32 v3, v1, v3
	v_lshrrev_b32_e32 v3, s18, v3
	v_mul_lo_u32 v4, v3, s16
	v_mul_hi_u32 v5, s20, v3
	s_cmp_eq_u32 s73, s80
	v_sub_u32_e32 v1, v1, v4
	v_add_u32_e32 v4, v3, v5
	v_mul_lo_u32 v5, v1, s8
	v_mul_lo_u32 v6, v1, s9
	v_lshrrev_b32_e32 v1, s21, v4
	v_mul_lo_u32 v4, v1, s19
	v_mul_hi_u32 v7, s23, v1
	v_sub_u32_e32 v3, v3, v4
	v_add_u32_e32 v4, v1, v7
	v_lshrrev_b32_e32 v4, s0, v4
	v_mul_hi_u32 v9, s2, v4
	v_mul_lo_u32 v10, v4, s22
	v_mul_lo_u32 v7, v3, s10
	;; [unrolled: 1-line block ×3, first 2 shown]
	v_sub_u32_e32 v10, v1, v10
	v_add_u32_e32 v1, v4, v9
	v_lshrrev_b32_e32 v1, s3, v1
	v_mul_lo_u32 v9, v1, s1
	v_mul_lo_u32 v11, v10, s12
	;; [unrolled: 1-line block ×3, first 2 shown]
	v_add3_u32 v0, v5, v0, v7
	v_sub_u32_e32 v4, v4, v9
	v_mul_lo_u32 v9, v4, s14
	v_mul_lo_u32 v4, v4, s15
	v_add3_u32 v2, v6, v2, v3
	v_add3_u32 v0, v11, v0, v9
	;; [unrolled: 1-line block ×3, first 2 shown]
	s_cbranch_scc0 .LBB87_580
	s_branch .LBB87_584
.LBB87_581:
	s_mov_b64 s[0:1], -1
                                        ; implicit-def: $vgpr0
                                        ; implicit-def: $vgpr2
	s_branch .LBB87_588
.LBB87_582:
	v_mov_b32_e32 v0, 0
	v_mov_b32_e32 v2, 0
	s_branch .LBB87_587
.LBB87_583:
	s_mov_b32 s73, 0
	v_mov_b32_e32 v0, 0
	v_mov_b32_e32 v2, 0
	v_mov_b32_e32 v1, v8
.LBB87_584:
	s_and_b32 s8, s79, 3
	s_cmp_eq_u32 s8, 0
	s_cbranch_scc1 .LBB87_587
; %bb.585:
	s_lshl_b32 s0, s73, 3
	s_add_u32 s0, s34, s0
	s_addc_u32 s1, s35, 0
	s_add_u32 s0, s0, 0xc4
	s_addc_u32 s1, s1, 0
	s_mul_i32 s2, s73, 12
	s_add_u32 s2, s34, s2
	s_addc_u32 s3, s35, 0
.LBB87_586:                             ; =>This Inner Loop Header: Depth=1
	s_load_dwordx2 s[10:11], s[2:3], 0x4
	s_load_dword s9, s[2:3], 0xc
	s_load_dwordx2 s[12:13], s[0:1], 0x0
	s_add_u32 s2, s2, 12
	s_addc_u32 s3, s3, 0
	s_waitcnt vmcnt(0) lgkmcnt(0)
	v_mul_hi_u32 v3, s11, v1
	s_add_u32 s0, s0, 8
	s_addc_u32 s1, s1, 0
	s_add_i32 s8, s8, -1
	v_add_u32_e32 v3, v1, v3
	v_lshrrev_b32_e32 v4, s9, v3
	v_mul_lo_u32 v3, v4, s10
	s_cmp_lg_u32 s8, 0
	v_sub_u32_e32 v3, v1, v3
	v_mad_u64_u32 v[0:1], s[10:11], v3, s12, v[0:1]
	v_mad_u64_u32 v[2:3], s[10:11], v3, s13, v[2:3]
	v_mov_b32_e32 v1, v4
	s_cbranch_scc1 .LBB87_586
.LBB87_587:
	s_mov_b64 s[0:1], 0
.LBB87_588:
	s_andn2_b64 vcc, exec, s[0:1]
	s_cbranch_vccnz .LBB87_591
; %bb.589:
	v_mul_hi_u32 v0, s29, v8
	s_andn2_b64 vcc, exec, s[48:49]
	v_add_u32_e32 v0, v8, v0
	v_lshrrev_b32_e32 v1, s30, v0
	v_mul_lo_u32 v0, v1, s28
	v_sub_u32_e32 v2, v8, v0
	v_mul_lo_u32 v0, v2, s36
	v_mul_lo_u32 v2, v2, s37
	s_cbranch_vccnz .LBB87_591
; %bb.590:
	s_waitcnt vmcnt(0)
	v_mul_hi_u32 v3, s46, v1
	v_add_u32_e32 v3, v1, v3
	v_lshrrev_b32_e32 v3, s47, v3
	v_mul_lo_u32 v3, v3, s31
	v_sub_u32_e32 v3, v1, v3
	v_mad_u64_u32 v[0:1], s[0:1], v3, s38, v[0:1]
	v_mad_u64_u32 v[2:3], s[0:1], v3, s39, v[2:3]
.LBB87_591:
	s_waitcnt vmcnt(0)
	v_mov_b32_e32 v3, s27
	s_and_b32 s12, 0xffff, s77
	v_add_co_u32_e32 v1, vcc, s26, v2
	s_cmp_lt_i32 s12, 11
	v_addc_co_u32_e32 v2, vcc, 0, v3, vcc
	s_cbranch_scc1 .LBB87_598
; %bb.592:
	s_cmp_gt_i32 s12, 25
	s_cbranch_scc0 .LBB87_599
; %bb.593:
	s_cmp_gt_i32 s12, 28
	s_cbranch_scc0 .LBB87_600
; %bb.594:
	s_cmp_gt_i32 s12, 43
	s_cbranch_scc0 .LBB87_601
; %bb.595:
	s_cmp_gt_i32 s12, 45
	s_cbranch_scc0 .LBB87_604
; %bb.596:
	s_cmp_eq_u32 s12, 46
	s_mov_b64 s[8:9], 0
	s_cbranch_scc0 .LBB87_607
; %bb.597:
	global_load_dword v3, v[1:2], off
	s_mov_b64 s[0:1], -1
	s_mov_b64 s[2:3], 0
	s_waitcnt vmcnt(0)
	v_lshlrev_b32_e32 v3, 16, v3
	v_cvt_f64_f32_e32 v[3:4], v3
	s_branch .LBB87_608
.LBB87_598:
	s_mov_b64 s[8:9], -1
	s_mov_b64 s[0:1], 0
                                        ; implicit-def: $vgpr3_vgpr4
	s_mov_b64 s[2:3], s[60:61]
	s_branch .LBB87_673
.LBB87_599:
	s_mov_b64 s[8:9], -1
	s_mov_b64 s[0:1], 0
	s_mov_b64 s[2:3], s[60:61]
                                        ; implicit-def: $vgpr3_vgpr4
	s_branch .LBB87_639
.LBB87_600:
	s_mov_b64 s[8:9], -1
	s_mov_b64 s[0:1], 0
	s_mov_b64 s[2:3], s[60:61]
                                        ; implicit-def: $vgpr3_vgpr4
	s_branch .LBB87_618
.LBB87_601:
	s_mov_b64 s[8:9], -1
	s_mov_b64 s[0:1], 0
	s_mov_b64 s[2:3], s[60:61]
                                        ; implicit-def: $vgpr3_vgpr4
	s_branch .LBB87_613
.LBB87_602:
	s_andn2_saveexec_b64 s[14:15], s[14:15]
	s_cbranch_execz .LBB87_371
.LBB87_603:
	v_add_f32_e32 v2, 0x46000000, v3
	v_and_b32_e32 v2, 0xff, v2
	v_cmp_ne_u32_e32 vcc, 0, v2
	s_andn2_b64 s[12:13], s[12:13], exec
	s_and_b64 s[18:19], vcc, exec
	s_or_b64 s[12:13], s[12:13], s[18:19]
	s_or_b64 exec, exec, s[14:15]
	v_mov_b32_e32 v4, 0
	s_and_saveexec_b64 s[14:15], s[12:13]
	s_cbranch_execnz .LBB87_372
	s_branch .LBB87_373
.LBB87_604:
	s_mov_b64 s[8:9], -1
	s_mov_b64 s[0:1], 0
	s_mov_b64 s[2:3], s[60:61]
                                        ; implicit-def: $vgpr3_vgpr4
	s_branch .LBB87_608
.LBB87_605:
	s_andn2_saveexec_b64 s[14:15], s[14:15]
	s_cbranch_execz .LBB87_384
.LBB87_606:
	v_add_f32_e32 v2, 0x42800000, v3
	v_and_b32_e32 v2, 0xff, v2
	v_cmp_ne_u32_e32 vcc, 0, v2
	s_andn2_b64 s[12:13], s[12:13], exec
	s_and_b64 s[18:19], vcc, exec
	s_or_b64 s[12:13], s[12:13], s[18:19]
	s_or_b64 exec, exec, s[14:15]
	v_mov_b32_e32 v4, 0
	s_and_saveexec_b64 s[14:15], s[12:13]
	s_cbranch_execnz .LBB87_385
	s_branch .LBB87_386
.LBB87_607:
	s_mov_b64 s[2:3], -1
                                        ; implicit-def: $vgpr3_vgpr4
	s_mov_b64 s[0:1], 0
.LBB87_608:
	s_and_b64 vcc, exec, s[8:9]
	s_cbranch_vccz .LBB87_612
; %bb.609:
	s_cmp_eq_u32 s12, 44
	s_cbranch_scc0 .LBB87_611
; %bb.610:
	global_load_ubyte v5, v[1:2], off
	s_movk_i32 s2, 0xff
	v_bfrev_b32_e32 v6, 4
	v_mov_b32_e32 v7, 0x7ff80000
	v_bfrev_b32_e32 v9, 28
	s_mov_b64 s[0:1], -1
	s_waitcnt vmcnt(0)
	v_lshlrev_b32_e32 v3, 23, v5
	v_cvt_f64_f32_e32 v[3:4], v3
	v_cmp_ne_u32_e32 vcc, s2, v5
	s_mov_b64 s[2:3], 0
	v_cndmask_b32_e32 v3, v6, v3, vcc
	v_cndmask_b32_e32 v4, v7, v4, vcc
	v_cmp_ne_u32_e32 vcc, 0, v5
	v_cndmask_b32_e32 v4, v9, v4, vcc
	v_cndmask_b32_e32 v3, 0, v3, vcc
	s_branch .LBB87_612
.LBB87_611:
	s_mov_b64 s[2:3], -1
                                        ; implicit-def: $vgpr3_vgpr4
.LBB87_612:
	s_mov_b64 s[8:9], 0
.LBB87_613:
	s_and_b64 vcc, exec, s[8:9]
	s_cbranch_vccz .LBB87_617
; %bb.614:
	s_cmp_eq_u32 s12, 29
	s_cbranch_scc0 .LBB87_616
; %bb.615:
	global_load_dwordx2 v[3:4], v[1:2], off
	s_mov_b64 s[0:1], -1
	s_mov_b64 s[2:3], 0
	s_mov_b64 s[8:9], 0
	s_waitcnt vmcnt(0)
	v_cvt_f64_u32_e32 v[4:5], v4
	v_cvt_f64_u32_e32 v[6:7], v3
	v_ldexp_f64 v[4:5], v[4:5], 32
	v_add_f64 v[3:4], v[4:5], v[6:7]
	s_branch .LBB87_618
.LBB87_616:
	s_mov_b64 s[2:3], -1
                                        ; implicit-def: $vgpr3_vgpr4
.LBB87_617:
	s_mov_b64 s[8:9], 0
.LBB87_618:
	s_and_b64 vcc, exec, s[8:9]
	s_cbranch_vccz .LBB87_638
; %bb.619:
	s_cmp_lt_i32 s12, 27
	s_cbranch_scc1 .LBB87_622
; %bb.620:
	s_cmp_gt_i32 s12, 27
	s_cbranch_scc0 .LBB87_623
; %bb.621:
	global_load_dword v3, v[1:2], off
	s_mov_b64 s[0:1], 0
	s_waitcnt vmcnt(0)
	v_cvt_f64_u32_e32 v[3:4], v3
	s_branch .LBB87_624
.LBB87_622:
	s_mov_b64 s[0:1], -1
                                        ; implicit-def: $vgpr3_vgpr4
	s_branch .LBB87_627
.LBB87_623:
	s_mov_b64 s[0:1], -1
                                        ; implicit-def: $vgpr3_vgpr4
.LBB87_624:
	s_andn2_b64 vcc, exec, s[0:1]
	s_cbranch_vccnz .LBB87_626
; %bb.625:
	global_load_ushort v3, v[1:2], off
	s_waitcnt vmcnt(0)
	v_cvt_f64_u32_e32 v[3:4], v3
.LBB87_626:
	s_mov_b64 s[0:1], 0
.LBB87_627:
	s_andn2_b64 vcc, exec, s[0:1]
	s_cbranch_vccnz .LBB87_637
; %bb.628:
	global_load_ubyte v5, v[1:2], off
	s_movk_i32 s0, 0x7f
	s_waitcnt vmcnt(0)
	v_cmp_lt_i16_e32 vcc, s0, v5
	s_mov_b64 s[0:1], 0
	s_and_saveexec_b64 s[8:9], vcc
	s_xor_b64 s[8:9], exec, s[8:9]
	s_cbranch_execz .LBB87_632
; %bb.629:
	s_movk_i32 s0, 0x80
	v_cmp_eq_u16_e32 vcc, s0, v5
	s_mov_b64 s[0:1], -1
	s_and_saveexec_b64 s[10:11], vcc
; %bb.630:
	s_xor_b64 s[0:1], exec, -1
; %bb.631:
	s_or_b64 exec, exec, s[10:11]
	s_and_b64 s[0:1], s[0:1], exec
.LBB87_632:
	s_or_saveexec_b64 s[8:9], s[8:9]
	v_bfrev_b32_e32 v3, 4
	v_mov_b32_e32 v4, 0x7ff80000
	s_xor_b64 exec, exec, s[8:9]
; %bb.633:
	v_cmp_ne_u16_e32 vcc, 0, v5
	v_mov_b32_e32 v3, 0
	s_andn2_b64 s[0:1], s[0:1], exec
	s_and_b64 s[10:11], vcc, exec
	v_mov_b32_e32 v4, 0
	s_or_b64 s[0:1], s[0:1], s[10:11]
; %bb.634:
	s_or_b64 exec, exec, s[8:9]
	s_and_saveexec_b64 s[8:9], s[0:1]
	s_cbranch_execz .LBB87_636
; %bb.635:
	v_and_b32_e32 v4, 0xffff, v5
	v_lshlrev_b32_e32 v3, 24, v5
	v_and_b32_e32 v5, 7, v4
	v_ffbh_u32_e32 v7, v5
	v_min_u32_e32 v7, 32, v7
	v_subrev_u32_e32 v9, 28, v7
	v_bfe_u32 v6, v4, 3, 4
	v_lshlrev_b32_e32 v4, v9, v4
	v_sub_u32_e32 v7, 29, v7
	v_and_b32_e32 v4, 7, v4
	v_cmp_eq_u32_e32 vcc, 0, v6
	v_cndmask_b32_e32 v6, v6, v7, vcc
	v_cndmask_b32_e32 v4, v5, v4, vcc
	v_mov_b32_e32 v5, 0x3b800000
	v_lshlrev_b32_e32 v4, 20, v4
	v_and_b32_e32 v3, 0x80000000, v3
	v_lshl_add_u32 v5, v6, 23, v5
	v_or3_b32 v3, v3, v5, v4
	v_cvt_f64_f32_e32 v[3:4], v3
.LBB87_636:
	s_or_b64 exec, exec, s[8:9]
.LBB87_637:
	s_mov_b64 s[0:1], -1
.LBB87_638:
	s_mov_b64 s[8:9], 0
.LBB87_639:
	s_and_b64 vcc, exec, s[8:9]
	s_cbranch_vccz .LBB87_672
; %bb.640:
	s_cmp_gt_i32 s12, 22
	s_cbranch_scc0 .LBB87_652
; %bb.641:
	s_cmp_lt_i32 s12, 24
	s_cbranch_scc1 .LBB87_653
; %bb.642:
	s_cmp_gt_i32 s12, 24
	s_cbranch_scc0 .LBB87_654
; %bb.643:
	global_load_ubyte v5, v[1:2], off
	s_movk_i32 s0, 0x7f
	s_waitcnt vmcnt(0)
	v_cmp_lt_i16_e32 vcc, s0, v5
	s_mov_b64 s[0:1], 0
	s_and_saveexec_b64 s[8:9], vcc
	s_xor_b64 s[8:9], exec, s[8:9]
	s_cbranch_execz .LBB87_647
; %bb.644:
	s_movk_i32 s0, 0x80
	v_cmp_eq_u16_e32 vcc, s0, v5
	s_mov_b64 s[0:1], -1
	s_and_saveexec_b64 s[10:11], vcc
; %bb.645:
	s_xor_b64 s[0:1], exec, -1
; %bb.646:
	s_or_b64 exec, exec, s[10:11]
	s_and_b64 s[0:1], s[0:1], exec
.LBB87_647:
	s_or_saveexec_b64 s[8:9], s[8:9]
	v_bfrev_b32_e32 v3, 4
	v_mov_b32_e32 v4, 0x7ff80000
	s_xor_b64 exec, exec, s[8:9]
; %bb.648:
	v_cmp_ne_u16_e32 vcc, 0, v5
	v_mov_b32_e32 v3, 0
	s_andn2_b64 s[0:1], s[0:1], exec
	s_and_b64 s[10:11], vcc, exec
	v_mov_b32_e32 v4, 0
	s_or_b64 s[0:1], s[0:1], s[10:11]
; %bb.649:
	s_or_b64 exec, exec, s[8:9]
	s_and_saveexec_b64 s[8:9], s[0:1]
	s_cbranch_execz .LBB87_651
; %bb.650:
	v_and_b32_e32 v4, 0xffff, v5
	v_lshlrev_b32_e32 v3, 24, v5
	v_and_b32_e32 v5, 3, v4
	v_ffbh_u32_e32 v7, v5
	v_min_u32_e32 v7, 32, v7
	v_subrev_u32_e32 v9, 29, v7
	v_bfe_u32 v6, v4, 2, 5
	v_lshlrev_b32_e32 v4, v9, v4
	v_sub_u32_e32 v7, 30, v7
	v_and_b32_e32 v4, 3, v4
	v_cmp_eq_u32_e32 vcc, 0, v6
	v_cndmask_b32_e32 v6, v6, v7, vcc
	v_cndmask_b32_e32 v4, v5, v4, vcc
	v_mov_b32_e32 v5, 0x37800000
	v_lshlrev_b32_e32 v4, 21, v4
	v_and_b32_e32 v3, 0x80000000, v3
	v_lshl_add_u32 v5, v6, 23, v5
	v_or3_b32 v3, v3, v5, v4
	v_cvt_f64_f32_e32 v[3:4], v3
.LBB87_651:
	s_or_b64 exec, exec, s[8:9]
	s_mov_b64 s[0:1], 0
	s_branch .LBB87_655
.LBB87_652:
	s_mov_b64 s[8:9], -1
                                        ; implicit-def: $vgpr3_vgpr4
	s_branch .LBB87_661
.LBB87_653:
	s_mov_b64 s[0:1], -1
                                        ; implicit-def: $vgpr3_vgpr4
	s_branch .LBB87_658
.LBB87_654:
	s_mov_b64 s[0:1], -1
                                        ; implicit-def: $vgpr3_vgpr4
.LBB87_655:
	s_and_b64 vcc, exec, s[0:1]
	s_cbranch_vccz .LBB87_657
; %bb.656:
	global_load_ubyte v3, v[1:2], off
	s_mov_b32 s0, 0x7f800000
	s_waitcnt vmcnt(0)
	v_lshlrev_b32_e32 v3, 24, v3
	v_and_b32_e32 v4, 0x7f000000, v3
	v_ffbh_u32_e32 v5, v4
	v_min_u32_e32 v5, 32, v5
	v_sub_u32_e64 v5, v5, 4 clamp
	v_lshlrev_b32_e32 v7, v5, v4
	v_lshlrev_b32_e32 v5, 23, v5
	v_lshrrev_b32_e32 v7, 4, v7
	v_add_u32_e32 v6, 0x1000000, v4
	v_sub_u32_e32 v5, v7, v5
	v_ashrrev_i32_e32 v6, 8, v6
	v_add_u32_e32 v5, 0x3c000000, v5
	v_and_or_b32 v5, v6, s0, v5
	v_cmp_ne_u32_e32 vcc, 0, v4
	v_cndmask_b32_e32 v4, 0, v5, vcc
	s_brev_b32 s0, 1
	v_and_or_b32 v3, v3, s0, v4
	v_cvt_f64_f32_e32 v[3:4], v3
.LBB87_657:
	s_mov_b64 s[0:1], 0
.LBB87_658:
	s_andn2_b64 vcc, exec, s[0:1]
	s_cbranch_vccnz .LBB87_660
; %bb.659:
	global_load_ubyte v3, v[1:2], off
	s_movk_i32 s0, 0x7f00
	s_brev_b32 s1, 16
	s_waitcnt vmcnt(0)
	v_lshlrev_b16_e32 v4, 8, v3
	v_lshlrev_b32_e32 v3, 25, v3
	v_lshrrev_b32_e32 v5, 4, v3
	v_and_or_b32 v6, v4, s0, 0.5
	v_or_b32_e32 v5, 0x70000000, v5
	v_add_f32_e32 v6, -0.5, v6
	v_mul_f32_e32 v5, 0x7800000, v5
	v_cmp_gt_u32_e32 vcc, s1, v3
	v_bfe_i32 v4, v4, 0, 16
	v_cndmask_b32_e32 v3, v5, v6, vcc
	s_brev_b32 s0, 1
	v_and_or_b32 v3, v4, s0, v3
	v_cvt_f64_f32_e32 v[3:4], v3
.LBB87_660:
	s_mov_b64 s[8:9], 0
	s_mov_b64 s[0:1], -1
.LBB87_661:
	s_andn2_b64 vcc, exec, s[8:9]
	s_cbranch_vccnz .LBB87_672
; %bb.662:
	s_cmp_gt_i32 s12, 14
	s_cbranch_scc0 .LBB87_665
; %bb.663:
	s_cmp_eq_u32 s12, 15
	s_cbranch_scc0 .LBB87_666
; %bb.664:
	global_load_ushort v3, v[1:2], off
	s_mov_b64 s[0:1], -1
	s_mov_b64 s[2:3], 0
	s_waitcnt vmcnt(0)
	v_lshlrev_b32_e32 v3, 16, v3
	v_cvt_f64_f32_e32 v[3:4], v3
	s_branch .LBB87_667
.LBB87_665:
	s_mov_b64 s[8:9], -1
                                        ; implicit-def: $vgpr3_vgpr4
	s_branch .LBB87_668
.LBB87_666:
	s_mov_b64 s[2:3], -1
                                        ; implicit-def: $vgpr3_vgpr4
.LBB87_667:
	s_mov_b64 s[8:9], 0
.LBB87_668:
	s_and_b64 vcc, exec, s[8:9]
	s_cbranch_vccz .LBB87_672
; %bb.669:
	s_cmp_eq_u32 s12, 11
	s_cbranch_scc0 .LBB87_671
; %bb.670:
	global_load_ubyte v4, v[1:2], off
	v_mov_b32_e32 v5, 0x3ff00000
	v_mov_b32_e32 v3, 0
	s_mov_b64 s[0:1], -1
	s_mov_b64 s[2:3], 0
	s_waitcnt vmcnt(0)
	v_cmp_ne_u16_e32 vcc, 0, v4
	v_cndmask_b32_e32 v4, 0, v5, vcc
	s_branch .LBB87_672
.LBB87_671:
	s_mov_b64 s[2:3], -1
                                        ; implicit-def: $vgpr3_vgpr4
.LBB87_672:
	s_mov_b64 s[8:9], 0
.LBB87_673:
	s_and_b64 vcc, exec, s[8:9]
	s_cbranch_vccz .LBB87_722
; %bb.674:
	s_cmp_lt_i32 s12, 5
	s_cbranch_scc1 .LBB87_679
; %bb.675:
	s_cmp_lt_i32 s12, 8
	s_cbranch_scc1 .LBB87_680
	;; [unrolled: 3-line block ×3, first 2 shown]
; %bb.677:
	s_cmp_gt_i32 s12, 9
	s_cbranch_scc0 .LBB87_682
; %bb.678:
	global_load_dwordx2 v[3:4], v[1:2], off
	s_mov_b64 s[0:1], 0
	s_branch .LBB87_683
.LBB87_679:
	s_mov_b64 s[0:1], -1
                                        ; implicit-def: $vgpr3_vgpr4
	s_branch .LBB87_701
.LBB87_680:
	s_mov_b64 s[0:1], -1
                                        ; implicit-def: $vgpr3_vgpr4
	s_branch .LBB87_689
.LBB87_681:
	s_mov_b64 s[0:1], -1
                                        ; implicit-def: $vgpr3_vgpr4
	s_branch .LBB87_686
.LBB87_682:
	s_mov_b64 s[0:1], -1
                                        ; implicit-def: $vgpr3_vgpr4
.LBB87_683:
	s_andn2_b64 vcc, exec, s[0:1]
	s_cbranch_vccnz .LBB87_685
; %bb.684:
	global_load_dword v3, v[1:2], off
	s_waitcnt vmcnt(0)
	v_cvt_f64_f32_e32 v[3:4], v3
.LBB87_685:
	s_mov_b64 s[0:1], 0
.LBB87_686:
	s_andn2_b64 vcc, exec, s[0:1]
	s_cbranch_vccnz .LBB87_688
; %bb.687:
	global_load_dword v3, v[1:2], off
	s_waitcnt vmcnt(0)
	v_cvt_f32_f16_e32 v3, v3
	v_cvt_f64_f32_e32 v[3:4], v3
.LBB87_688:
	s_mov_b64 s[0:1], 0
.LBB87_689:
	s_andn2_b64 vcc, exec, s[0:1]
	s_cbranch_vccnz .LBB87_700
; %bb.690:
	s_cmp_lt_i32 s12, 6
	s_cbranch_scc1 .LBB87_693
; %bb.691:
	s_cmp_gt_i32 s12, 6
	s_cbranch_scc0 .LBB87_694
; %bb.692:
	global_load_dwordx2 v[3:4], v[1:2], off
	s_mov_b64 s[0:1], 0
	s_branch .LBB87_695
.LBB87_693:
	s_mov_b64 s[0:1], -1
                                        ; implicit-def: $vgpr3_vgpr4
	s_branch .LBB87_698
.LBB87_694:
	s_mov_b64 s[0:1], -1
                                        ; implicit-def: $vgpr3_vgpr4
.LBB87_695:
	s_andn2_b64 vcc, exec, s[0:1]
	s_cbranch_vccnz .LBB87_697
; %bb.696:
	global_load_dword v3, v[1:2], off
	s_waitcnt vmcnt(0)
	v_cvt_f64_f32_e32 v[3:4], v3
.LBB87_697:
	s_mov_b64 s[0:1], 0
.LBB87_698:
	s_andn2_b64 vcc, exec, s[0:1]
	s_cbranch_vccnz .LBB87_700
; %bb.699:
	global_load_ushort v3, v[1:2], off
	s_waitcnt vmcnt(0)
	v_cvt_f32_f16_e32 v3, v3
	v_cvt_f64_f32_e32 v[3:4], v3
.LBB87_700:
	s_mov_b64 s[0:1], 0
.LBB87_701:
	s_andn2_b64 vcc, exec, s[0:1]
	s_cbranch_vccnz .LBB87_721
; %bb.702:
	s_cmp_lt_i32 s12, 2
	s_cbranch_scc1 .LBB87_706
; %bb.703:
	s_cmp_lt_i32 s12, 3
	s_cbranch_scc1 .LBB87_707
; %bb.704:
	s_cmp_gt_i32 s12, 3
	s_cbranch_scc0 .LBB87_708
; %bb.705:
	global_load_dwordx2 v[3:4], v[1:2], off
	s_mov_b64 s[0:1], 0
	s_waitcnt vmcnt(0)
	v_cvt_f64_i32_e32 v[4:5], v4
	v_cvt_f64_u32_e32 v[6:7], v3
	v_ldexp_f64 v[4:5], v[4:5], 32
	v_add_f64 v[3:4], v[4:5], v[6:7]
	s_branch .LBB87_709
.LBB87_706:
	s_mov_b64 s[0:1], -1
                                        ; implicit-def: $vgpr3_vgpr4
	s_branch .LBB87_715
.LBB87_707:
	s_mov_b64 s[0:1], -1
                                        ; implicit-def: $vgpr3_vgpr4
	s_branch .LBB87_712
.LBB87_708:
	s_mov_b64 s[0:1], -1
                                        ; implicit-def: $vgpr3_vgpr4
.LBB87_709:
	s_andn2_b64 vcc, exec, s[0:1]
	s_cbranch_vccnz .LBB87_711
; %bb.710:
	global_load_dword v3, v[1:2], off
	s_waitcnt vmcnt(0)
	v_cvt_f64_i32_e32 v[3:4], v3
.LBB87_711:
	s_mov_b64 s[0:1], 0
.LBB87_712:
	s_andn2_b64 vcc, exec, s[0:1]
	s_cbranch_vccnz .LBB87_714
; %bb.713:
	global_load_sshort v3, v[1:2], off
	s_waitcnt vmcnt(0)
	v_cvt_f64_i32_e32 v[3:4], v3
.LBB87_714:
	s_mov_b64 s[0:1], 0
.LBB87_715:
	s_andn2_b64 vcc, exec, s[0:1]
	s_cbranch_vccnz .LBB87_721
; %bb.716:
	s_cmp_gt_i32 s12, 0
	s_cbranch_scc0 .LBB87_718
; %bb.717:
	global_load_sbyte v3, v[1:2], off
	s_mov_b64 s[0:1], 0
	s_waitcnt vmcnt(0)
	v_cvt_f64_i32_e32 v[3:4], v3
	s_branch .LBB87_719
.LBB87_718:
	s_mov_b64 s[0:1], -1
                                        ; implicit-def: $vgpr3_vgpr4
.LBB87_719:
	s_andn2_b64 vcc, exec, s[0:1]
	s_cbranch_vccnz .LBB87_721
; %bb.720:
	global_load_ubyte v1, v[1:2], off
	s_waitcnt vmcnt(0)
	v_cvt_f64_u32_e32 v[3:4], v1
.LBB87_721:
	s_mov_b64 s[0:1], -1
.LBB87_722:
	s_andn2_b64 vcc, exec, s[0:1]
	s_cbranch_vccnz .LBB87_727
; %bb.723:
	s_cmp_lt_i32 s76, 1
	s_mov_b64 s[0:1], 0
	s_cbranch_scc1 .LBB87_728
; %bb.724:
	s_cmp_gt_i32 s76, 1
	s_cbranch_scc0 .LBB87_729
; %bb.725:
	s_cmp_eq_u32 s76, 2
	s_cbranch_scc0 .LBB87_730
; %bb.726:
	s_waitcnt vmcnt(0)
	v_cmp_ge_f64_e64 s[8:9], s[44:45], v[3:4]
	s_mov_b64 s[10:11], 0
	s_branch .LBB87_731
.LBB87_727:
	s_mov_b64 s[8:9], 0
	s_mov_b64 s[0:1], s[62:63]
	s_branch .LBB87_864
.LBB87_728:
	s_mov_b64 s[12:13], -1
                                        ; implicit-def: $sgpr8_sgpr9
	s_mov_b64 s[10:11], 0
	s_branch .LBB87_735
.LBB87_729:
	s_mov_b64 s[12:13], -1
	s_mov_b64 s[10:11], 0
                                        ; implicit-def: $sgpr8_sgpr9
	s_branch .LBB87_732
.LBB87_730:
	s_mov_b64 s[10:11], -1
                                        ; implicit-def: $sgpr8_sgpr9
.LBB87_731:
	s_mov_b64 s[12:13], 0
.LBB87_732:
	s_and_b64 vcc, exec, s[12:13]
	s_cbranch_vccz .LBB87_734
; %bb.733:
	s_waitcnt vmcnt(0)
	v_cmp_lt_f64_e32 vcc, s[44:45], v[3:4]
	s_andn2_b64 s[8:9], s[8:9], exec
	s_and_b64 s[12:13], vcc, exec
	s_or_b64 s[8:9], s[8:9], s[12:13]
.LBB87_734:
	s_mov_b64 s[12:13], 0
.LBB87_735:
	s_and_b64 vcc, exec, s[12:13]
	s_cbranch_vccz .LBB87_746
; %bb.736:
	s_cmp_lg_u32 s76, 0
	s_mov_b64 s[0:1], -1
	s_cselect_b64 s[10:11], -1, 0
	s_andn2_b64 vcc, exec, s[10:11]
	s_cbranch_vccz .LBB87_747
.LBB87_737:
	s_andn2_b64 vcc, exec, s[0:1]
	s_cbranch_vccnz .LBB87_739
.LBB87_738:
	s_waitcnt vmcnt(0)
	v_cmp_le_f64_e32 vcc, s[44:45], v[3:4]
	s_andn2_b64 s[0:1], s[8:9], exec
	s_and_b64 s[8:9], vcc, exec
	s_or_b64 s[8:9], s[0:1], s[8:9]
.LBB87_739:
	v_mov_b32_e32 v1, s25
	s_and_b32 s16, s75, 0xff
	v_add_co_u32_e32 v0, vcc, s24, v0
	s_cmp_lt_i32 s16, 11
	v_addc_co_u32_e32 v1, vcc, 0, v1, vcc
	s_cbranch_scc1 .LBB87_748
; %bb.740:
	s_and_b32 s17, 0xffff, s16
	s_cmp_gt_i32 s17, 25
	s_cbranch_scc0 .LBB87_749
; %bb.741:
	s_cmp_gt_i32 s17, 28
	s_cbranch_scc0 .LBB87_750
; %bb.742:
	s_cmp_gt_i32 s17, 43
	s_cbranch_scc0 .LBB87_751
; %bb.743:
	s_cmp_gt_i32 s17, 45
	s_cbranch_scc0 .LBB87_752
; %bb.744:
	s_mov_b64 s[12:13], 0
	s_mov_b64 s[0:1], -1
	s_cmp_eq_u32 s17, 46
	s_mov_b64 s[10:11], 0
	s_cbranch_scc0 .LBB87_753
; %bb.745:
	v_cndmask_b32_e64 v2, 0, 1.0, s[8:9]
	s_waitcnt vmcnt(0)
	v_bfe_u32 v3, v2, 16, 1
	s_movk_i32 s0, 0x7fff
	v_add3_u32 v2, v2, v3, s0
	v_lshrrev_b32_e32 v2, 16, v2
	global_store_dword v[0:1], v2, off
	s_mov_b64 s[10:11], -1
	s_mov_b64 s[0:1], 0
	s_branch .LBB87_753
.LBB87_746:
	s_andn2_b64 vcc, exec, s[10:11]
	s_cbranch_vccnz .LBB87_737
.LBB87_747:
	s_waitcnt vmcnt(0)
	v_cmp_gt_f64_e32 vcc, s[44:45], v[3:4]
	s_andn2_b64 s[8:9], s[8:9], exec
	s_and_b64 s[10:11], vcc, exec
	s_or_b64 s[8:9], s[8:9], s[10:11]
	s_cbranch_execz .LBB87_738
	s_branch .LBB87_739
.LBB87_748:
	s_mov_b64 s[12:13], -1
	s_mov_b64 s[10:11], 0
	s_mov_b64 s[0:1], s[62:63]
	s_branch .LBB87_822
.LBB87_749:
	s_mov_b64 s[12:13], -1
	s_mov_b64 s[10:11], 0
	s_mov_b64 s[0:1], s[62:63]
	s_branch .LBB87_780
.LBB87_750:
	s_mov_b64 s[12:13], -1
	s_mov_b64 s[10:11], 0
	s_mov_b64 s[0:1], s[62:63]
	s_branch .LBB87_763
.LBB87_751:
	s_mov_b64 s[12:13], -1
	s_mov_b64 s[10:11], 0
	s_mov_b64 s[0:1], s[62:63]
	s_branch .LBB87_759
.LBB87_752:
	s_mov_b64 s[12:13], -1
	s_mov_b64 s[10:11], 0
	s_mov_b64 s[0:1], s[62:63]
.LBB87_753:
	s_and_b64 vcc, exec, s[12:13]
	s_cbranch_vccz .LBB87_758
; %bb.754:
	s_cmp_eq_u32 s17, 44
	s_mov_b64 s[0:1], -1
	s_cbranch_scc0 .LBB87_758
; %bb.755:
	s_waitcnt vmcnt(0)
	v_cndmask_b32_e64 v3, 0, 1.0, s[8:9]
	v_lshrrev_b32_e32 v2, 23, v3
	s_movk_i32 s0, 0xff
	v_cmp_ne_u32_e32 vcc, s0, v2
	v_mov_b32_e32 v4, 0xff
	s_and_saveexec_b64 s[10:11], vcc
; %bb.756:
	s_mov_b32 s0, 0x3fffff
	v_and_b32_e32 v4, 0x400000, v3
	v_and_or_b32 v3, v3, s0, v2
	v_cmp_ne_u32_e32 vcc, 0, v4
	v_cmp_ne_u32_e64 s[0:1], 0, v3
	s_and_b64 s[0:1], vcc, s[0:1]
	v_cndmask_b32_e64 v3, 0, 1, s[0:1]
	v_add_u32_e32 v4, v2, v3
; %bb.757:
	s_or_b64 exec, exec, s[10:11]
	s_mov_b64 s[10:11], -1
	s_mov_b64 s[0:1], 0
	global_store_byte v[0:1], v4, off
.LBB87_758:
	s_mov_b64 s[12:13], 0
.LBB87_759:
	s_and_b64 vcc, exec, s[12:13]
	s_cbranch_vccz .LBB87_762
; %bb.760:
	s_cmp_eq_u32 s17, 29
	s_mov_b64 s[0:1], -1
	s_cbranch_scc0 .LBB87_762
; %bb.761:
	s_mov_b32 s0, 0
	v_cndmask_b32_e64 v2, 0, 1, s[8:9]
	s_waitcnt vmcnt(0)
	v_mov_b32_e32 v3, s0
	global_store_dwordx2 v[0:1], v[2:3], off
	s_mov_b64 s[10:11], -1
	s_mov_b64 s[0:1], 0
.LBB87_762:
	s_mov_b64 s[12:13], 0
.LBB87_763:
	s_and_b64 vcc, exec, s[12:13]
	s_cbranch_vccz .LBB87_779
; %bb.764:
	s_cmp_lt_i32 s17, 27
	s_mov_b64 s[10:11], -1
	s_cbranch_scc1 .LBB87_770
; %bb.765:
	s_cmp_gt_i32 s17, 27
	s_cbranch_scc0 .LBB87_767
; %bb.766:
	v_cndmask_b32_e64 v2, 0, 1, s[8:9]
	s_mov_b64 s[10:11], 0
	global_store_dword v[0:1], v2, off
.LBB87_767:
	s_andn2_b64 vcc, exec, s[10:11]
	s_cbranch_vccnz .LBB87_769
; %bb.768:
	v_cndmask_b32_e64 v2, 0, 1, s[8:9]
	global_store_short v[0:1], v2, off
.LBB87_769:
	s_mov_b64 s[10:11], 0
.LBB87_770:
	s_andn2_b64 vcc, exec, s[10:11]
	s_cbranch_vccnz .LBB87_778
; %bb.771:
	s_waitcnt vmcnt(0)
	v_cndmask_b32_e64 v3, 0, 1.0, s[8:9]
	s_mov_b32 s10, 0x43800000
	v_cmp_gt_u32_e32 vcc, s10, v3
	v_mov_b32_e32 v4, 0x80
	s_and_saveexec_b64 s[10:11], vcc
	s_cbranch_execz .LBB87_777
; %bb.772:
	s_mov_b32 s12, 0x3bffffff
	v_cmp_lt_u32_e32 vcc, s12, v3
	s_mov_b64 s[12:13], 0
                                        ; implicit-def: $vgpr2
	s_and_saveexec_b64 s[14:15], vcc
	s_xor_b64 s[14:15], exec, s[14:15]
	s_cbranch_execz .LBB87_894
; %bb.773:
	v_bfe_u32 v2, v3, 20, 1
	s_mov_b32 s18, 0x487ffff
	v_add3_u32 v2, v3, v2, s18
	s_mov_b64 s[12:13], exec
	v_lshrrev_b32_e32 v2, 20, v2
                                        ; implicit-def: $vgpr3
	s_andn2_saveexec_b64 s[14:15], s[14:15]
	s_cbranch_execnz .LBB87_895
.LBB87_774:
	s_or_b64 exec, exec, s[14:15]
	v_mov_b32_e32 v4, 0
	s_and_saveexec_b64 s[14:15], s[12:13]
.LBB87_775:
	v_mov_b32_e32 v4, v2
.LBB87_776:
	s_or_b64 exec, exec, s[14:15]
.LBB87_777:
	s_or_b64 exec, exec, s[10:11]
	global_store_byte v[0:1], v4, off
.LBB87_778:
	s_mov_b64 s[10:11], -1
.LBB87_779:
	s_mov_b64 s[12:13], 0
.LBB87_780:
	s_and_b64 vcc, exec, s[12:13]
	s_cbranch_vccz .LBB87_821
; %bb.781:
	s_cmp_gt_i32 s17, 22
	s_mov_b64 s[12:13], -1
	s_cbranch_scc0 .LBB87_813
; %bb.782:
	s_cmp_lt_i32 s17, 24
	s_mov_b64 s[10:11], -1
	s_cbranch_scc1 .LBB87_802
; %bb.783:
	s_cmp_gt_i32 s17, 24
	s_cbranch_scc0 .LBB87_791
; %bb.784:
	s_waitcnt vmcnt(0)
	v_cndmask_b32_e64 v3, 0, 1.0, s[8:9]
	s_mov_b32 s10, 0x47800000
	v_cmp_gt_u32_e32 vcc, s10, v3
	v_mov_b32_e32 v4, 0x80
	s_and_saveexec_b64 s[10:11], vcc
	s_cbranch_execz .LBB87_790
; %bb.785:
	s_mov_b32 s12, 0x37ffffff
	v_cmp_lt_u32_e32 vcc, s12, v3
	s_mov_b64 s[12:13], 0
                                        ; implicit-def: $vgpr2
	s_and_saveexec_b64 s[14:15], vcc
	s_xor_b64 s[14:15], exec, s[14:15]
	s_cbranch_execz .LBB87_897
; %bb.786:
	v_bfe_u32 v2, v3, 21, 1
	s_mov_b32 s18, 0x88fffff
	v_add3_u32 v2, v3, v2, s18
	s_mov_b64 s[12:13], exec
	v_lshrrev_b32_e32 v2, 21, v2
                                        ; implicit-def: $vgpr3
	s_andn2_saveexec_b64 s[14:15], s[14:15]
	s_cbranch_execnz .LBB87_898
.LBB87_787:
	s_or_b64 exec, exec, s[14:15]
	v_mov_b32_e32 v4, 0
	s_and_saveexec_b64 s[14:15], s[12:13]
.LBB87_788:
	v_mov_b32_e32 v4, v2
.LBB87_789:
	s_or_b64 exec, exec, s[14:15]
.LBB87_790:
	s_or_b64 exec, exec, s[10:11]
	s_mov_b64 s[10:11], 0
	global_store_byte v[0:1], v4, off
.LBB87_791:
	s_and_b64 vcc, exec, s[10:11]
	s_cbranch_vccz .LBB87_801
; %bb.792:
	v_cndmask_b32_e64 v2, 0, 1.0, s[8:9]
	s_mov_b32 s10, 0x43f00000
	v_cmp_gt_u32_e32 vcc, s10, v2
                                        ; implicit-def: $vgpr3
	s_and_saveexec_b64 s[10:11], vcc
	s_xor_b64 s[10:11], exec, s[10:11]
	s_cbranch_execz .LBB87_798
; %bb.793:
	s_mov_b32 s12, 0x3c7fffff
	v_cmp_lt_u32_e32 vcc, s12, v2
                                        ; implicit-def: $vgpr3
	s_and_saveexec_b64 s[12:13], vcc
	s_xor_b64 s[12:13], exec, s[12:13]
	s_cbranch_execz .LBB87_795
; %bb.794:
	s_waitcnt vmcnt(0)
	v_bfe_u32 v3, v2, 20, 1
	s_mov_b32 s14, 0x407ffff
	v_add3_u32 v2, v2, v3, s14
	v_lshrrev_b32_e32 v3, 20, v2
	v_and_b32_e32 v2, 0xff00000, v2
	s_mov_b32 s14, 0x7f00000
	v_mov_b32_e32 v4, 0x7e
	v_cmp_ne_u32_e32 vcc, s14, v2
	v_cndmask_b32_e32 v3, v4, v3, vcc
                                        ; implicit-def: $vgpr2
.LBB87_795:
	s_andn2_saveexec_b64 s[12:13], s[12:13]
	s_cbranch_execz .LBB87_797
; %bb.796:
	s_waitcnt vmcnt(0)
	v_add_f32_e32 v3, 0x46800000, v2
.LBB87_797:
	s_or_b64 exec, exec, s[12:13]
                                        ; implicit-def: $vgpr2
.LBB87_798:
	s_andn2_saveexec_b64 s[10:11], s[10:11]
	s_cbranch_execz .LBB87_800
; %bb.799:
	s_mov_b32 s12, 0x7f800000
	s_waitcnt vmcnt(0)
	v_mov_b32_e32 v3, 0x7e
	v_mov_b32_e32 v4, 0x7f
	v_cmp_lt_u32_e32 vcc, s12, v2
	v_cndmask_b32_e32 v3, v3, v4, vcc
.LBB87_800:
	s_or_b64 exec, exec, s[10:11]
	s_waitcnt vmcnt(0)
	global_store_byte v[0:1], v3, off
.LBB87_801:
	s_mov_b64 s[10:11], 0
.LBB87_802:
	s_andn2_b64 vcc, exec, s[10:11]
	s_cbranch_vccnz .LBB87_812
; %bb.803:
	v_cndmask_b32_e64 v2, 0, 1.0, s[8:9]
	s_mov_b32 s10, 0x47800000
	v_cmp_gt_u32_e32 vcc, s10, v2
                                        ; implicit-def: $vgpr3
	s_and_saveexec_b64 s[10:11], vcc
	s_xor_b64 s[10:11], exec, s[10:11]
	s_cbranch_execz .LBB87_809
; %bb.804:
	s_mov_b32 s12, 0x387fffff
	v_cmp_lt_u32_e32 vcc, s12, v2
                                        ; implicit-def: $vgpr3
	s_and_saveexec_b64 s[12:13], vcc
	s_xor_b64 s[12:13], exec, s[12:13]
	s_cbranch_execz .LBB87_806
; %bb.805:
	s_waitcnt vmcnt(0)
	v_bfe_u32 v3, v2, 21, 1
	s_mov_b32 s14, 0x80fffff
	v_add3_u32 v2, v2, v3, s14
	v_lshrrev_b32_e32 v3, 21, v2
                                        ; implicit-def: $vgpr2
.LBB87_806:
	s_andn2_saveexec_b64 s[12:13], s[12:13]
	s_cbranch_execz .LBB87_808
; %bb.807:
	s_waitcnt vmcnt(0)
	v_add_f32_e32 v3, 0x43000000, v2
.LBB87_808:
	s_or_b64 exec, exec, s[12:13]
                                        ; implicit-def: $vgpr2
.LBB87_809:
	s_andn2_saveexec_b64 s[10:11], s[10:11]
	s_cbranch_execz .LBB87_811
; %bb.810:
	s_mov_b32 s12, 0x7f800000
	s_waitcnt vmcnt(0)
	v_mov_b32_e32 v3, 0x7c
	v_mov_b32_e32 v4, 0x7f
	v_cmp_lt_u32_e32 vcc, s12, v2
	v_cndmask_b32_e32 v3, v3, v4, vcc
.LBB87_811:
	s_or_b64 exec, exec, s[10:11]
	s_waitcnt vmcnt(0)
	global_store_byte v[0:1], v3, off
.LBB87_812:
	s_mov_b64 s[12:13], 0
	s_mov_b64 s[10:11], -1
.LBB87_813:
	s_andn2_b64 vcc, exec, s[12:13]
	s_cbranch_vccnz .LBB87_821
; %bb.814:
	s_cmp_gt_i32 s17, 14
	s_mov_b64 s[12:13], -1
	s_cbranch_scc0 .LBB87_818
; %bb.815:
	s_cmp_eq_u32 s17, 15
	s_mov_b64 s[0:1], -1
	s_cbranch_scc0 .LBB87_817
; %bb.816:
	v_cndmask_b32_e64 v2, 0, 1.0, s[8:9]
	s_waitcnt vmcnt(0)
	v_bfe_u32 v3, v2, 16, 1
	s_movk_i32 s0, 0x7fff
	v_add3_u32 v2, v2, v3, s0
	global_store_short_d16_hi v[0:1], v2, off
	s_mov_b64 s[10:11], -1
	s_mov_b64 s[0:1], 0
.LBB87_817:
	s_mov_b64 s[12:13], 0
.LBB87_818:
	s_and_b64 vcc, exec, s[12:13]
	s_cbranch_vccz .LBB87_821
; %bb.819:
	s_cmp_eq_u32 s17, 11
	s_mov_b64 s[0:1], -1
	s_cbranch_scc0 .LBB87_821
; %bb.820:
	v_cndmask_b32_e64 v2, 0, 1, s[8:9]
	s_mov_b64 s[10:11], -1
	s_mov_b64 s[0:1], 0
	global_store_byte v[0:1], v2, off
.LBB87_821:
	s_mov_b64 s[12:13], 0
.LBB87_822:
	s_and_b64 vcc, exec, s[12:13]
	s_cbranch_vccz .LBB87_861
; %bb.823:
	s_and_b32 s12, 0xffff, s16
	s_cmp_lt_i32 s12, 5
	s_mov_b64 s[10:11], -1
	s_cbranch_scc1 .LBB87_844
; %bb.824:
	s_cmp_lt_i32 s12, 8
	s_cbranch_scc1 .LBB87_834
; %bb.825:
	s_cmp_lt_i32 s12, 9
	s_cbranch_scc1 .LBB87_831
; %bb.826:
	s_cmp_gt_i32 s12, 9
	s_cbranch_scc0 .LBB87_828
; %bb.827:
	v_cndmask_b32_e64 v2, 0, 1, s[8:9]
	s_waitcnt vmcnt(0)
	v_cvt_f64_u32_e32 v[2:3], v2
	v_mov_b32_e32 v4, 0
	v_mov_b32_e32 v5, v4
	s_mov_b64 s[10:11], 0
	global_store_dwordx4 v[0:1], v[2:5], off
.LBB87_828:
	s_andn2_b64 vcc, exec, s[10:11]
	s_cbranch_vccnz .LBB87_830
; %bb.829:
	v_cndmask_b32_e64 v2, 0, 1.0, s[8:9]
	s_waitcnt vmcnt(0)
	v_mov_b32_e32 v3, 0
	global_store_dwordx2 v[0:1], v[2:3], off
.LBB87_830:
	s_mov_b64 s[10:11], 0
.LBB87_831:
	s_andn2_b64 vcc, exec, s[10:11]
	s_cbranch_vccnz .LBB87_833
; %bb.832:
	v_cndmask_b32_e64 v2, 0, 1.0, s[8:9]
	v_cvt_f16_f32_e32 v2, v2
	global_store_dword v[0:1], v2, off
.LBB87_833:
	s_mov_b64 s[10:11], 0
.LBB87_834:
	s_andn2_b64 vcc, exec, s[10:11]
	s_cbranch_vccnz .LBB87_843
; %bb.835:
	s_cmp_lt_i32 s12, 6
	s_mov_b64 s[10:11], -1
	s_cbranch_scc1 .LBB87_841
; %bb.836:
	s_cmp_gt_i32 s12, 6
	s_cbranch_scc0 .LBB87_838
; %bb.837:
	v_cndmask_b32_e64 v2, 0, 1, s[8:9]
	s_waitcnt vmcnt(0)
	v_cvt_f64_u32_e32 v[2:3], v2
	s_mov_b64 s[10:11], 0
	global_store_dwordx2 v[0:1], v[2:3], off
.LBB87_838:
	s_andn2_b64 vcc, exec, s[10:11]
	s_cbranch_vccnz .LBB87_840
; %bb.839:
	v_cndmask_b32_e64 v2, 0, 1.0, s[8:9]
	global_store_dword v[0:1], v2, off
.LBB87_840:
	s_mov_b64 s[10:11], 0
.LBB87_841:
	s_andn2_b64 vcc, exec, s[10:11]
	s_cbranch_vccnz .LBB87_843
; %bb.842:
	v_cndmask_b32_e64 v2, 0, 1.0, s[8:9]
	v_cvt_f16_f32_e32 v2, v2
	global_store_short v[0:1], v2, off
.LBB87_843:
	s_mov_b64 s[10:11], 0
.LBB87_844:
	s_andn2_b64 vcc, exec, s[10:11]
	s_cbranch_vccnz .LBB87_860
; %bb.845:
	s_cmp_lt_i32 s12, 2
	s_mov_b64 s[10:11], -1
	s_cbranch_scc1 .LBB87_855
; %bb.846:
	s_cmp_lt_i32 s12, 3
	s_cbranch_scc1 .LBB87_852
; %bb.847:
	s_cmp_gt_i32 s12, 3
	s_cbranch_scc0 .LBB87_849
; %bb.848:
	s_mov_b32 s10, 0
	v_cndmask_b32_e64 v2, 0, 1, s[8:9]
	s_waitcnt vmcnt(0)
	v_mov_b32_e32 v3, s10
	s_mov_b64 s[10:11], 0
	global_store_dwordx2 v[0:1], v[2:3], off
.LBB87_849:
	s_andn2_b64 vcc, exec, s[10:11]
	s_cbranch_vccnz .LBB87_851
; %bb.850:
	v_cndmask_b32_e64 v2, 0, 1, s[8:9]
	global_store_dword v[0:1], v2, off
.LBB87_851:
	s_mov_b64 s[10:11], 0
.LBB87_852:
	s_andn2_b64 vcc, exec, s[10:11]
	s_cbranch_vccnz .LBB87_854
; %bb.853:
	v_cndmask_b32_e64 v2, 0, 1, s[8:9]
	global_store_short v[0:1], v2, off
.LBB87_854:
	s_mov_b64 s[10:11], 0
.LBB87_855:
	s_andn2_b64 vcc, exec, s[10:11]
	s_cbranch_vccnz .LBB87_860
; %bb.856:
	s_mov_b64 s[10:11], -1
	s_cmp_gt_i32 s12, 0
	v_cndmask_b32_e64 v2, 0, 1, s[8:9]
	s_cbranch_scc0 .LBB87_858
; %bb.857:
	s_mov_b64 s[10:11], 0
	global_store_byte v[0:1], v2, off
.LBB87_858:
	s_andn2_b64 vcc, exec, s[10:11]
	s_cbranch_vccnz .LBB87_860
; %bb.859:
	global_store_byte v[0:1], v2, off
.LBB87_860:
	s_mov_b64 s[10:11], -1
.LBB87_861:
	s_andn2_b64 vcc, exec, s[10:11]
	s_cbranch_vccnz .LBB87_863
; %bb.862:
	v_add_u32_e32 v8, 0x80, v8
	s_mov_b64 s[8:9], -1
	s_branch .LBB87_865
.LBB87_863:
	s_mov_b64 s[8:9], 0
.LBB87_864:
                                        ; implicit-def: $vgpr8
.LBB87_865:
	s_andn2_b64 s[10:11], s[62:63], exec
	s_and_b64 s[0:1], s[0:1], exec
	s_or_b64 s[70:71], s[10:11], s[0:1]
	s_andn2_b64 s[0:1], s[60:61], exec
	s_and_b64 s[2:3], s[2:3], exec
	s_or_b64 s[68:69], s[0:1], s[2:3]
	s_orn2_b64 s[2:3], s[8:9], exec
.LBB87_866:
	s_or_b64 exec, exec, s[66:67]
	s_mov_b64 s[0:1], 0
	s_mov_b64 s[8:9], 0
	s_mov_b64 s[10:11], 0
                                        ; implicit-def: $vgpr1_vgpr2
                                        ; implicit-def: $vgpr0
                                        ; implicit-def: $vgpr3_vgpr4
	s_and_saveexec_b64 s[66:67], s[2:3]
	s_cbranch_execz .LBB87_965
; %bb.867:
	v_cmp_gt_i32_e32 vcc, s72, v8
	s_mov_b64 s[2:3], 0
	s_mov_b64 s[12:13], s[68:69]
                                        ; implicit-def: $vgpr1_vgpr2
                                        ; implicit-def: $vgpr0
                                        ; implicit-def: $vgpr3_vgpr4
	s_and_saveexec_b64 s[72:73], vcc
	s_cbranch_execz .LBB87_964
; %bb.868:
	s_andn2_b64 vcc, exec, s[40:41]
	s_cbranch_vccnz .LBB87_873
; %bb.869:
	s_andn2_b64 vcc, exec, s[52:53]
	s_cbranch_vccnz .LBB87_874
; %bb.870:
	s_add_i32 s79, s78, 1
	s_cmp_eq_u32 s74, 2
	s_cbranch_scc1 .LBB87_875
; %bb.871:
	s_and_b32 s78, s79, 28
	v_mov_b32_e32 v2, 0
	s_mov_b32 s80, 0
	s_mov_b64 s[52:53], s[34:35]
	v_mov_b32_e32 v0, 0
	v_mov_b32_e32 v1, v8
.LBB87_872:                             ; =>This Inner Loop Header: Depth=1
	s_load_dwordx8 s[16:23], s[52:53], 0x4
	s_load_dwordx4 s[0:3], s[52:53], 0x24
	s_load_dwordx8 s[8:15], s[50:51], 0x0
	s_add_u32 s52, s52, 48
	s_addc_u32 s53, s53, 0
	s_waitcnt vmcnt(0) lgkmcnt(0)
	v_mul_hi_u32 v3, s17, v1
	s_add_i32 s80, s80, 4
	s_add_u32 s50, s50, 32
	s_addc_u32 s51, s51, 0
	v_add_u32_e32 v3, v1, v3
	v_lshrrev_b32_e32 v3, s18, v3
	v_mul_lo_u32 v4, v3, s16
	v_mul_hi_u32 v5, s20, v3
	s_cmp_eq_u32 s78, s80
	v_sub_u32_e32 v1, v1, v4
	v_add_u32_e32 v4, v3, v5
	v_mul_lo_u32 v5, v1, s8
	v_mul_lo_u32 v6, v1, s9
	v_lshrrev_b32_e32 v1, s21, v4
	v_mul_lo_u32 v4, v1, s19
	v_mul_hi_u32 v7, s23, v1
	v_sub_u32_e32 v3, v3, v4
	v_add_u32_e32 v4, v1, v7
	v_lshrrev_b32_e32 v4, s0, v4
	v_mul_hi_u32 v9, s2, v4
	v_mul_lo_u32 v10, v4, s22
	v_mul_lo_u32 v7, v3, s10
	;; [unrolled: 1-line block ×3, first 2 shown]
	v_sub_u32_e32 v10, v1, v10
	v_add_u32_e32 v1, v4, v9
	v_lshrrev_b32_e32 v1, s3, v1
	v_mul_lo_u32 v9, v1, s1
	v_mul_lo_u32 v11, v10, s12
	;; [unrolled: 1-line block ×3, first 2 shown]
	v_add3_u32 v0, v5, v0, v7
	v_sub_u32_e32 v4, v4, v9
	v_mul_lo_u32 v9, v4, s14
	v_mul_lo_u32 v4, v4, s15
	v_add3_u32 v2, v6, v2, v3
	v_add3_u32 v0, v11, v0, v9
	;; [unrolled: 1-line block ×3, first 2 shown]
	s_cbranch_scc0 .LBB87_872
	s_branch .LBB87_876
.LBB87_873:
	s_mov_b64 s[0:1], -1
                                        ; implicit-def: $vgpr0
                                        ; implicit-def: $vgpr2
	s_branch .LBB87_880
.LBB87_874:
	v_mov_b32_e32 v0, 0
	v_mov_b32_e32 v2, 0
	s_branch .LBB87_879
.LBB87_875:
	s_mov_b32 s78, 0
	v_mov_b32_e32 v0, 0
	v_mov_b32_e32 v2, 0
	;; [unrolled: 1-line block ×3, first 2 shown]
.LBB87_876:
	s_and_b32 s8, s79, 3
	s_cmp_eq_u32 s8, 0
	s_cbranch_scc1 .LBB87_879
; %bb.877:
	s_lshl_b32 s0, s78, 3
	s_add_u32 s0, s34, s0
	s_addc_u32 s1, s35, 0
	s_add_u32 s0, s0, 0xc4
	s_addc_u32 s1, s1, 0
	s_mul_i32 s2, s78, 12
	s_add_u32 s2, s34, s2
	s_addc_u32 s3, s35, 0
.LBB87_878:                             ; =>This Inner Loop Header: Depth=1
	s_load_dwordx2 s[10:11], s[2:3], 0x4
	s_load_dword s9, s[2:3], 0xc
	s_load_dwordx2 s[12:13], s[0:1], 0x0
	s_add_u32 s2, s2, 12
	s_addc_u32 s3, s3, 0
	s_waitcnt vmcnt(0) lgkmcnt(0)
	v_mul_hi_u32 v3, s11, v1
	s_add_u32 s0, s0, 8
	s_addc_u32 s1, s1, 0
	s_add_i32 s8, s8, -1
	v_add_u32_e32 v3, v1, v3
	v_lshrrev_b32_e32 v4, s9, v3
	v_mul_lo_u32 v3, v4, s10
	s_cmp_lg_u32 s8, 0
	v_sub_u32_e32 v3, v1, v3
	v_mad_u64_u32 v[0:1], s[10:11], v3, s12, v[0:1]
	v_mad_u64_u32 v[2:3], s[10:11], v3, s13, v[2:3]
	v_mov_b32_e32 v1, v4
	s_cbranch_scc1 .LBB87_878
.LBB87_879:
	s_mov_b64 s[0:1], 0
.LBB87_880:
	s_andn2_b64 vcc, exec, s[0:1]
	s_cbranch_vccnz .LBB87_883
; %bb.881:
	v_mul_hi_u32 v0, s29, v8
	s_andn2_b64 vcc, exec, s[48:49]
	v_add_u32_e32 v0, v8, v0
	v_lshrrev_b32_e32 v1, s30, v0
	v_mul_lo_u32 v0, v1, s28
	v_sub_u32_e32 v2, v8, v0
	v_mul_lo_u32 v0, v2, s36
	v_mul_lo_u32 v2, v2, s37
	s_cbranch_vccnz .LBB87_883
; %bb.882:
	s_waitcnt vmcnt(0)
	v_mul_hi_u32 v3, s46, v1
	v_add_u32_e32 v3, v1, v3
	v_lshrrev_b32_e32 v3, s47, v3
	v_mul_lo_u32 v3, v3, s31
	v_sub_u32_e32 v3, v1, v3
	v_mad_u64_u32 v[0:1], s[0:1], v3, s38, v[0:1]
	v_mad_u64_u32 v[2:3], s[0:1], v3, s39, v[2:3]
.LBB87_883:
	s_waitcnt vmcnt(0)
	v_mov_b32_e32 v3, s27
	s_and_b32 s14, 0xffff, s77
	v_add_co_u32_e32 v1, vcc, s26, v2
	s_cmp_lt_i32 s14, 11
	v_addc_co_u32_e32 v2, vcc, 0, v3, vcc
	s_cbranch_scc1 .LBB87_890
; %bb.884:
	s_cmp_gt_i32 s14, 25
	s_mov_b64 s[2:3], 0
	s_cbranch_scc0 .LBB87_891
; %bb.885:
	s_cmp_gt_i32 s14, 28
	s_cbranch_scc0 .LBB87_892
; %bb.886:
	s_cmp_gt_i32 s14, 43
	;; [unrolled: 3-line block ×3, first 2 shown]
	s_cbranch_scc0 .LBB87_896
; %bb.888:
	s_cmp_eq_u32 s14, 46
	s_mov_b64 s[10:11], 0
	s_cbranch_scc0 .LBB87_899
; %bb.889:
	global_load_dword v3, v[1:2], off
	s_mov_b64 s[0:1], 0
	s_mov_b64 s[8:9], -1
	s_waitcnt vmcnt(0)
	v_lshlrev_b32_e32 v3, 16, v3
	v_cvt_f64_f32_e32 v[3:4], v3
	s_branch .LBB87_900
.LBB87_890:
	s_mov_b64 s[12:13], -1
	s_mov_b64 s[8:9], 0
	s_mov_b64 s[2:3], 0
	;; [unrolled: 1-line block ×3, first 2 shown]
                                        ; implicit-def: $vgpr3_vgpr4
	s_branch .LBB87_963
.LBB87_891:
	s_mov_b64 s[10:11], -1
	s_mov_b64 s[8:9], 0
	s_mov_b64 s[0:1], s[68:69]
                                        ; implicit-def: $vgpr3_vgpr4
	s_branch .LBB87_931
.LBB87_892:
	s_mov_b64 s[10:11], -1
	s_mov_b64 s[8:9], 0
	s_mov_b64 s[0:1], s[68:69]
                                        ; implicit-def: $vgpr3_vgpr4
	s_branch .LBB87_910
.LBB87_893:
	s_mov_b64 s[10:11], -1
	s_mov_b64 s[8:9], 0
	s_mov_b64 s[0:1], s[68:69]
                                        ; implicit-def: $vgpr3_vgpr4
	s_branch .LBB87_905
.LBB87_894:
	s_andn2_saveexec_b64 s[14:15], s[14:15]
	s_cbranch_execz .LBB87_774
.LBB87_895:
	v_add_f32_e32 v2, 0x46000000, v3
	v_and_b32_e32 v2, 0xff, v2
	v_cmp_ne_u32_e32 vcc, 0, v2
	s_andn2_b64 s[12:13], s[12:13], exec
	s_and_b64 s[18:19], vcc, exec
	s_or_b64 s[12:13], s[12:13], s[18:19]
	s_or_b64 exec, exec, s[14:15]
	v_mov_b32_e32 v4, 0
	s_and_saveexec_b64 s[14:15], s[12:13]
	s_cbranch_execnz .LBB87_775
	s_branch .LBB87_776
.LBB87_896:
	s_mov_b64 s[10:11], -1
	s_mov_b64 s[8:9], 0
	s_mov_b64 s[0:1], s[68:69]
                                        ; implicit-def: $vgpr3_vgpr4
	s_branch .LBB87_900
.LBB87_897:
	s_andn2_saveexec_b64 s[14:15], s[14:15]
	s_cbranch_execz .LBB87_787
.LBB87_898:
	v_add_f32_e32 v2, 0x42800000, v3
	v_and_b32_e32 v2, 0xff, v2
	v_cmp_ne_u32_e32 vcc, 0, v2
	s_andn2_b64 s[12:13], s[12:13], exec
	s_and_b64 s[18:19], vcc, exec
	s_or_b64 s[12:13], s[12:13], s[18:19]
	s_or_b64 exec, exec, s[14:15]
	v_mov_b32_e32 v4, 0
	s_and_saveexec_b64 s[14:15], s[12:13]
	s_cbranch_execnz .LBB87_788
	s_branch .LBB87_789
.LBB87_899:
	s_mov_b64 s[0:1], -1
                                        ; implicit-def: $vgpr3_vgpr4
	s_mov_b64 s[8:9], 0
.LBB87_900:
	s_and_b64 vcc, exec, s[10:11]
	s_cbranch_vccz .LBB87_904
; %bb.901:
	s_cmp_eq_u32 s14, 44
	s_cbranch_scc0 .LBB87_903
; %bb.902:
	global_load_ubyte v5, v[1:2], off
	s_movk_i32 s8, 0xff
	v_bfrev_b32_e32 v6, 4
	v_mov_b32_e32 v7, 0x7ff80000
	v_bfrev_b32_e32 v8, 28
	s_mov_b64 s[0:1], 0
	s_waitcnt vmcnt(0)
	v_lshlrev_b32_e32 v3, 23, v5
	v_cvt_f64_f32_e32 v[3:4], v3
	v_cmp_ne_u32_e32 vcc, s8, v5
	s_mov_b64 s[8:9], -1
	v_cndmask_b32_e32 v3, v6, v3, vcc
	v_cndmask_b32_e32 v4, v7, v4, vcc
	v_cmp_ne_u32_e32 vcc, 0, v5
	v_cndmask_b32_e32 v4, v8, v4, vcc
	v_cndmask_b32_e32 v3, 0, v3, vcc
	s_branch .LBB87_904
.LBB87_903:
	s_mov_b64 s[0:1], -1
                                        ; implicit-def: $vgpr3_vgpr4
.LBB87_904:
	s_mov_b64 s[10:11], 0
.LBB87_905:
	s_and_b64 vcc, exec, s[10:11]
	s_cbranch_vccz .LBB87_909
; %bb.906:
	s_cmp_eq_u32 s14, 29
	s_cbranch_scc0 .LBB87_908
; %bb.907:
	global_load_dwordx2 v[3:4], v[1:2], off
	s_mov_b64 s[0:1], 0
	s_mov_b64 s[8:9], -1
	s_mov_b64 s[10:11], 0
	s_waitcnt vmcnt(0)
	v_cvt_f64_u32_e32 v[4:5], v4
	v_cvt_f64_u32_e32 v[6:7], v3
	v_ldexp_f64 v[4:5], v[4:5], 32
	v_add_f64 v[3:4], v[4:5], v[6:7]
	s_branch .LBB87_910
.LBB87_908:
	s_mov_b64 s[0:1], -1
                                        ; implicit-def: $vgpr3_vgpr4
.LBB87_909:
	s_mov_b64 s[10:11], 0
.LBB87_910:
	s_and_b64 vcc, exec, s[10:11]
	s_cbranch_vccz .LBB87_930
; %bb.911:
	s_cmp_lt_i32 s14, 27
	s_cbranch_scc1 .LBB87_914
; %bb.912:
	s_cmp_gt_i32 s14, 27
	s_cbranch_scc0 .LBB87_915
; %bb.913:
	global_load_dword v3, v[1:2], off
	s_mov_b64 s[8:9], 0
	s_waitcnt vmcnt(0)
	v_cvt_f64_u32_e32 v[3:4], v3
	s_branch .LBB87_916
.LBB87_914:
	s_mov_b64 s[8:9], -1
                                        ; implicit-def: $vgpr3_vgpr4
	s_branch .LBB87_919
.LBB87_915:
	s_mov_b64 s[8:9], -1
                                        ; implicit-def: $vgpr3_vgpr4
.LBB87_916:
	s_andn2_b64 vcc, exec, s[8:9]
	s_cbranch_vccnz .LBB87_918
; %bb.917:
	global_load_ushort v3, v[1:2], off
	s_waitcnt vmcnt(0)
	v_cvt_f64_u32_e32 v[3:4], v3
.LBB87_918:
	s_mov_b64 s[8:9], 0
.LBB87_919:
	s_andn2_b64 vcc, exec, s[8:9]
	s_cbranch_vccnz .LBB87_929
; %bb.920:
	global_load_ubyte v5, v[1:2], off
	s_movk_i32 s8, 0x7f
	s_waitcnt vmcnt(0)
	v_cmp_lt_i16_e32 vcc, s8, v5
	s_mov_b64 s[8:9], 0
	s_and_saveexec_b64 s[10:11], vcc
	s_xor_b64 s[10:11], exec, s[10:11]
	s_cbranch_execz .LBB87_924
; %bb.921:
	s_movk_i32 s8, 0x80
	v_cmp_eq_u16_e32 vcc, s8, v5
	s_mov_b64 s[8:9], -1
	s_and_saveexec_b64 s[12:13], vcc
; %bb.922:
	s_xor_b64 s[8:9], exec, -1
; %bb.923:
	s_or_b64 exec, exec, s[12:13]
	s_and_b64 s[8:9], s[8:9], exec
.LBB87_924:
	s_or_saveexec_b64 s[10:11], s[10:11]
	v_bfrev_b32_e32 v3, 4
	v_mov_b32_e32 v4, 0x7ff80000
	s_xor_b64 exec, exec, s[10:11]
; %bb.925:
	v_cmp_ne_u16_e32 vcc, 0, v5
	v_mov_b32_e32 v3, 0
	s_andn2_b64 s[8:9], s[8:9], exec
	s_and_b64 s[12:13], vcc, exec
	v_mov_b32_e32 v4, 0
	s_or_b64 s[8:9], s[8:9], s[12:13]
; %bb.926:
	s_or_b64 exec, exec, s[10:11]
	s_and_saveexec_b64 s[10:11], s[8:9]
	s_cbranch_execz .LBB87_928
; %bb.927:
	v_and_b32_e32 v4, 0xffff, v5
	v_lshlrev_b32_e32 v3, 24, v5
	v_and_b32_e32 v5, 7, v4
	v_ffbh_u32_e32 v7, v5
	v_min_u32_e32 v7, 32, v7
	v_subrev_u32_e32 v8, 28, v7
	v_bfe_u32 v6, v4, 3, 4
	v_lshlrev_b32_e32 v4, v8, v4
	v_sub_u32_e32 v7, 29, v7
	v_and_b32_e32 v4, 7, v4
	v_cmp_eq_u32_e32 vcc, 0, v6
	v_cndmask_b32_e32 v6, v6, v7, vcc
	v_cndmask_b32_e32 v4, v5, v4, vcc
	v_mov_b32_e32 v5, 0x3b800000
	v_lshlrev_b32_e32 v4, 20, v4
	v_and_b32_e32 v3, 0x80000000, v3
	v_lshl_add_u32 v5, v6, 23, v5
	v_or3_b32 v3, v3, v5, v4
	v_cvt_f64_f32_e32 v[3:4], v3
.LBB87_928:
	s_or_b64 exec, exec, s[10:11]
.LBB87_929:
	s_mov_b64 s[8:9], -1
.LBB87_930:
	s_mov_b64 s[10:11], 0
.LBB87_931:
	s_and_b64 vcc, exec, s[10:11]
	s_cbranch_vccz .LBB87_962
; %bb.932:
	s_cmp_gt_i32 s14, 22
	s_cbranch_scc0 .LBB87_944
; %bb.933:
	s_cmp_lt_i32 s14, 24
	s_cbranch_scc1 .LBB87_945
; %bb.934:
	s_cmp_gt_i32 s14, 24
	s_cbranch_scc0 .LBB87_946
; %bb.935:
	global_load_ubyte v5, v[1:2], off
	s_movk_i32 s2, 0x7f
	s_waitcnt vmcnt(0)
	v_cmp_lt_i16_e32 vcc, s2, v5
	s_mov_b64 s[2:3], 0
	s_and_saveexec_b64 s[8:9], vcc
	s_xor_b64 s[8:9], exec, s[8:9]
	s_cbranch_execz .LBB87_939
; %bb.936:
	s_movk_i32 s2, 0x80
	v_cmp_eq_u16_e32 vcc, s2, v5
	s_mov_b64 s[2:3], -1
	s_and_saveexec_b64 s[10:11], vcc
; %bb.937:
	s_xor_b64 s[2:3], exec, -1
; %bb.938:
	s_or_b64 exec, exec, s[10:11]
	s_and_b64 s[2:3], s[2:3], exec
.LBB87_939:
	s_or_saveexec_b64 s[8:9], s[8:9]
	v_bfrev_b32_e32 v3, 4
	v_mov_b32_e32 v4, 0x7ff80000
	s_xor_b64 exec, exec, s[8:9]
; %bb.940:
	v_cmp_ne_u16_e32 vcc, 0, v5
	v_mov_b32_e32 v3, 0
	s_andn2_b64 s[2:3], s[2:3], exec
	s_and_b64 s[10:11], vcc, exec
	v_mov_b32_e32 v4, 0
	s_or_b64 s[2:3], s[2:3], s[10:11]
; %bb.941:
	s_or_b64 exec, exec, s[8:9]
	s_and_saveexec_b64 s[8:9], s[2:3]
	s_cbranch_execz .LBB87_943
; %bb.942:
	v_and_b32_e32 v4, 0xffff, v5
	v_lshlrev_b32_e32 v3, 24, v5
	v_and_b32_e32 v5, 3, v4
	v_ffbh_u32_e32 v7, v5
	v_min_u32_e32 v7, 32, v7
	v_subrev_u32_e32 v8, 29, v7
	v_bfe_u32 v6, v4, 2, 5
	v_lshlrev_b32_e32 v4, v8, v4
	v_sub_u32_e32 v7, 30, v7
	v_and_b32_e32 v4, 3, v4
	v_cmp_eq_u32_e32 vcc, 0, v6
	v_cndmask_b32_e32 v6, v6, v7, vcc
	v_cndmask_b32_e32 v4, v5, v4, vcc
	v_mov_b32_e32 v5, 0x37800000
	v_lshlrev_b32_e32 v4, 21, v4
	v_and_b32_e32 v3, 0x80000000, v3
	v_lshl_add_u32 v5, v6, 23, v5
	v_or3_b32 v3, v3, v5, v4
	v_cvt_f64_f32_e32 v[3:4], v3
.LBB87_943:
	s_or_b64 exec, exec, s[8:9]
	s_mov_b64 s[2:3], 0
	s_branch .LBB87_947
.LBB87_944:
	s_mov_b64 s[2:3], -1
                                        ; implicit-def: $vgpr3_vgpr4
	s_branch .LBB87_953
.LBB87_945:
	s_mov_b64 s[2:3], -1
                                        ; implicit-def: $vgpr3_vgpr4
	s_branch .LBB87_950
.LBB87_946:
	s_mov_b64 s[2:3], -1
                                        ; implicit-def: $vgpr3_vgpr4
.LBB87_947:
	s_and_b64 vcc, exec, s[2:3]
	s_cbranch_vccz .LBB87_949
; %bb.948:
	global_load_ubyte v3, v[1:2], off
	s_mov_b32 s2, 0x7f800000
	s_waitcnt vmcnt(0)
	v_lshlrev_b32_e32 v3, 24, v3
	v_and_b32_e32 v4, 0x7f000000, v3
	v_ffbh_u32_e32 v5, v4
	v_min_u32_e32 v5, 32, v5
	v_sub_u32_e64 v5, v5, 4 clamp
	v_lshlrev_b32_e32 v7, v5, v4
	v_lshlrev_b32_e32 v5, 23, v5
	v_lshrrev_b32_e32 v7, 4, v7
	v_add_u32_e32 v6, 0x1000000, v4
	v_sub_u32_e32 v5, v7, v5
	v_ashrrev_i32_e32 v6, 8, v6
	v_add_u32_e32 v5, 0x3c000000, v5
	v_and_or_b32 v5, v6, s2, v5
	v_cmp_ne_u32_e32 vcc, 0, v4
	v_cndmask_b32_e32 v4, 0, v5, vcc
	s_brev_b32 s2, 1
	v_and_or_b32 v3, v3, s2, v4
	v_cvt_f64_f32_e32 v[3:4], v3
.LBB87_949:
	s_mov_b64 s[2:3], 0
.LBB87_950:
	s_andn2_b64 vcc, exec, s[2:3]
	s_cbranch_vccnz .LBB87_952
; %bb.951:
	global_load_ubyte v3, v[1:2], off
	s_movk_i32 s2, 0x7f00
	s_brev_b32 s3, 16
	s_waitcnt vmcnt(0)
	v_lshlrev_b16_e32 v4, 8, v3
	v_lshlrev_b32_e32 v3, 25, v3
	v_lshrrev_b32_e32 v5, 4, v3
	v_and_or_b32 v6, v4, s2, 0.5
	v_or_b32_e32 v5, 0x70000000, v5
	v_add_f32_e32 v6, -0.5, v6
	v_mul_f32_e32 v5, 0x7800000, v5
	v_cmp_gt_u32_e32 vcc, s3, v3
	v_bfe_i32 v4, v4, 0, 16
	v_cndmask_b32_e32 v3, v5, v6, vcc
	s_brev_b32 s2, 1
	v_and_or_b32 v3, v4, s2, v3
	v_cvt_f64_f32_e32 v[3:4], v3
.LBB87_952:
	s_mov_b64 s[2:3], 0
	s_mov_b64 s[8:9], -1
.LBB87_953:
	s_andn2_b64 vcc, exec, s[2:3]
	s_mov_b64 s[2:3], 0
	s_cbranch_vccnz .LBB87_962
; %bb.954:
	s_cmp_gt_i32 s14, 14
	s_cbranch_scc0 .LBB87_957
; %bb.955:
	s_cmp_eq_u32 s14, 15
	s_cbranch_scc0 .LBB87_958
; %bb.956:
	global_load_ushort v3, v[1:2], off
	s_mov_b64 s[0:1], 0
	s_mov_b64 s[8:9], -1
	s_waitcnt vmcnt(0)
	v_lshlrev_b32_e32 v3, 16, v3
	v_cvt_f64_f32_e32 v[3:4], v3
	s_branch .LBB87_959
.LBB87_957:
	s_mov_b64 s[10:11], -1
                                        ; implicit-def: $vgpr3_vgpr4
	s_branch .LBB87_960
.LBB87_958:
	s_mov_b64 s[0:1], -1
                                        ; implicit-def: $vgpr3_vgpr4
.LBB87_959:
	s_mov_b64 s[10:11], 0
.LBB87_960:
	s_and_b64 vcc, exec, s[10:11]
	s_cbranch_vccz .LBB87_962
; %bb.961:
	s_cmp_lg_u32 s14, 11
	s_cselect_b64 s[10:11], -1, 0
	s_andn2_b64 s[0:1], s[0:1], exec
	s_and_b64 s[10:11], s[10:11], exec
	s_mov_b64 s[2:3], -1
	s_or_b64 s[0:1], s[0:1], s[10:11]
.LBB87_962:
	s_mov_b64 s[12:13], 0
.LBB87_963:
	s_and_b64 s[10:11], s[8:9], exec
	s_and_b64 s[8:9], s[12:13], exec
	s_andn2_b64 s[12:13], s[68:69], exec
	s_and_b64 s[0:1], s[0:1], exec
	s_and_b64 s[2:3], s[2:3], exec
	s_or_b64 s[12:13], s[12:13], s[0:1]
.LBB87_964:
	s_or_b64 exec, exec, s[72:73]
	s_and_b64 s[0:1], s[2:3], exec
	s_andn2_b64 s[2:3], s[68:69], exec
	s_and_b64 s[12:13], s[12:13], exec
	s_and_b64 s[10:11], s[10:11], exec
	;; [unrolled: 1-line block ×3, first 2 shown]
	s_or_b64 s[68:69], s[2:3], s[12:13]
.LBB87_965:
	s_or_b64 exec, exec, s[66:67]
	s_andn2_b64 s[2:3], s[62:63], exec
	s_and_b64 s[12:13], s[70:71], exec
	s_or_b64 s[62:63], s[2:3], s[12:13]
	s_and_b64 s[2:3], s[0:1], exec
	s_andn2_b64 s[0:1], s[60:61], exec
	s_and_b64 s[12:13], s[68:69], exec
	s_and_b64 s[10:11], s[10:11], exec
	;; [unrolled: 1-line block ×3, first 2 shown]
	s_or_b64 s[60:61], s[0:1], s[12:13]
.LBB87_966:
	s_or_b64 exec, exec, s[64:65]
	s_andn2_b64 s[0:1], s[54:55], exec
	s_and_b64 s[12:13], s[62:63], exec
	s_or_b64 s[54:55], s[0:1], s[12:13]
	s_and_b64 s[0:1], s[10:11], exec
	s_and_b64 s[10:11], s[8:9], exec
	;; [unrolled: 1-line block ×3, first 2 shown]
	s_andn2_b64 s[2:3], s[56:57], exec
	s_and_b64 s[8:9], s[60:61], exec
	s_or_b64 s[56:57], s[2:3], s[8:9]
	s_or_b64 exec, exec, s[58:59]
	s_mov_b64 s[2:3], 0
	s_and_saveexec_b64 s[8:9], s[56:57]
	s_cbranch_execz .LBB87_290
.LBB87_967:
	s_mov_b64 s[2:3], exec
	s_andn2_b64 s[62:63], s[62:63], exec
	s_trap 2
	s_or_b64 exec, exec, s[8:9]
	s_and_saveexec_b64 s[8:9], s[62:63]
	s_xor_b64 s[8:9], exec, s[8:9]
	s_cbranch_execnz .LBB87_291
.LBB87_968:
	s_or_b64 exec, exec, s[8:9]
	s_and_saveexec_b64 s[8:9], s[10:11]
	s_cbranch_execz .LBB87_1014
.LBB87_969:
	s_sext_i32_i16 s10, s77
	s_cmp_lt_i32 s10, 5
	s_cbranch_scc1 .LBB87_974
; %bb.970:
	s_cmp_lt_i32 s10, 8
	s_cbranch_scc1 .LBB87_975
; %bb.971:
	;; [unrolled: 3-line block ×3, first 2 shown]
	s_cmp_gt_i32 s10, 9
	s_cbranch_scc0 .LBB87_977
; %bb.973:
	global_load_dwordx2 v[3:4], v[1:2], off
	s_mov_b64 s[10:11], 0
	s_branch .LBB87_978
.LBB87_974:
                                        ; implicit-def: $vgpr3_vgpr4
	s_branch .LBB87_995
.LBB87_975:
                                        ; implicit-def: $vgpr3_vgpr4
	s_branch .LBB87_984
.LBB87_976:
	s_mov_b64 s[10:11], -1
                                        ; implicit-def: $vgpr3_vgpr4
	s_branch .LBB87_981
.LBB87_977:
	s_mov_b64 s[10:11], -1
                                        ; implicit-def: $vgpr3_vgpr4
.LBB87_978:
	s_andn2_b64 vcc, exec, s[10:11]
	s_cbranch_vccnz .LBB87_980
; %bb.979:
	global_load_dword v3, v[1:2], off
	s_waitcnt vmcnt(0)
	v_cvt_f64_f32_e32 v[3:4], v3
.LBB87_980:
	s_mov_b64 s[10:11], 0
.LBB87_981:
	s_andn2_b64 vcc, exec, s[10:11]
	s_cbranch_vccnz .LBB87_983
; %bb.982:
	global_load_dword v3, v[1:2], off
	s_waitcnt vmcnt(0)
	v_cvt_f32_f16_e32 v3, v3
	v_cvt_f64_f32_e32 v[3:4], v3
.LBB87_983:
	s_cbranch_execnz .LBB87_994
.LBB87_984:
	s_sext_i32_i16 s10, s77
	s_cmp_lt_i32 s10, 6
	s_cbranch_scc1 .LBB87_987
; %bb.985:
	s_cmp_gt_i32 s10, 6
	s_cbranch_scc0 .LBB87_988
; %bb.986:
	global_load_dwordx2 v[3:4], v[1:2], off
	s_mov_b64 s[10:11], 0
	s_branch .LBB87_989
.LBB87_987:
	s_mov_b64 s[10:11], -1
                                        ; implicit-def: $vgpr3_vgpr4
	s_branch .LBB87_992
.LBB87_988:
	s_mov_b64 s[10:11], -1
                                        ; implicit-def: $vgpr3_vgpr4
.LBB87_989:
	s_andn2_b64 vcc, exec, s[10:11]
	s_cbranch_vccnz .LBB87_991
; %bb.990:
	global_load_dword v3, v[1:2], off
	s_waitcnt vmcnt(0)
	v_cvt_f64_f32_e32 v[3:4], v3
.LBB87_991:
	s_mov_b64 s[10:11], 0
.LBB87_992:
	s_andn2_b64 vcc, exec, s[10:11]
	s_cbranch_vccnz .LBB87_994
; %bb.993:
	global_load_ushort v3, v[1:2], off
	s_waitcnt vmcnt(0)
	v_cvt_f32_f16_e32 v3, v3
	v_cvt_f64_f32_e32 v[3:4], v3
.LBB87_994:
	s_cbranch_execnz .LBB87_1013
.LBB87_995:
	s_sext_i32_i16 s10, s77
	s_cmp_lt_i32 s10, 2
	s_cbranch_scc1 .LBB87_999
; %bb.996:
	s_cmp_lt_i32 s10, 3
	s_cbranch_scc1 .LBB87_1000
; %bb.997:
	s_cmp_gt_i32 s10, 3
	s_cbranch_scc0 .LBB87_1001
; %bb.998:
	global_load_dwordx2 v[3:4], v[1:2], off
	s_mov_b64 s[10:11], 0
	s_waitcnt vmcnt(0)
	v_cvt_f64_i32_e32 v[4:5], v4
	v_cvt_f64_u32_e32 v[6:7], v3
	v_ldexp_f64 v[4:5], v[4:5], 32
	v_add_f64 v[3:4], v[4:5], v[6:7]
	s_branch .LBB87_1002
.LBB87_999:
                                        ; implicit-def: $vgpr3_vgpr4
	s_branch .LBB87_1008
.LBB87_1000:
	s_mov_b64 s[10:11], -1
                                        ; implicit-def: $vgpr3_vgpr4
	s_branch .LBB87_1005
.LBB87_1001:
	s_mov_b64 s[10:11], -1
                                        ; implicit-def: $vgpr3_vgpr4
.LBB87_1002:
	s_andn2_b64 vcc, exec, s[10:11]
	s_cbranch_vccnz .LBB87_1004
; %bb.1003:
	global_load_dword v3, v[1:2], off
	s_waitcnt vmcnt(0)
	v_cvt_f64_i32_e32 v[3:4], v3
.LBB87_1004:
	s_mov_b64 s[10:11], 0
.LBB87_1005:
	s_andn2_b64 vcc, exec, s[10:11]
	s_cbranch_vccnz .LBB87_1007
; %bb.1006:
	global_load_sshort v3, v[1:2], off
	s_waitcnt vmcnt(0)
	v_cvt_f64_i32_e32 v[3:4], v3
.LBB87_1007:
	s_cbranch_execnz .LBB87_1013
.LBB87_1008:
	s_sext_i32_i16 s10, s77
	s_cmp_gt_i32 s10, 0
	s_cbranch_scc0 .LBB87_1010
; %bb.1009:
	global_load_sbyte v3, v[1:2], off
	s_mov_b64 s[10:11], 0
	s_waitcnt vmcnt(0)
	v_cvt_f64_i32_e32 v[3:4], v3
	s_branch .LBB87_1011
.LBB87_1010:
	s_mov_b64 s[10:11], -1
                                        ; implicit-def: $vgpr3_vgpr4
.LBB87_1011:
	s_andn2_b64 vcc, exec, s[10:11]
	s_cbranch_vccnz .LBB87_1013
; %bb.1012:
	global_load_ubyte v1, v[1:2], off
	s_waitcnt vmcnt(0)
	v_cvt_f64_u32_e32 v[3:4], v1
.LBB87_1013:
	s_or_b64 s[0:1], s[0:1], exec
.LBB87_1014:
	s_or_b64 exec, exec, s[8:9]
	s_mov_b64 s[14:15], 0
	s_mov_b64 s[12:13], 0
                                        ; implicit-def: $sgpr8_sgpr9
                                        ; implicit-def: $sgpr20
                                        ; implicit-def: $vgpr1_vgpr2
	s_and_saveexec_b64 s[10:11], s[0:1]
	s_cbranch_execz .LBB87_1019
; %bb.1015:
	s_cmp_lt_i32 s76, 1
	s_mov_b64 s[0:1], 0
	s_cbranch_scc1 .LBB87_1022
; %bb.1016:
	s_cmp_gt_i32 s76, 1
	s_cbranch_scc0 .LBB87_1023
; %bb.1017:
	s_cmp_eq_u32 s76, 2
	s_cbranch_scc0 .LBB87_1024
; %bb.1018:
	s_waitcnt vmcnt(0)
	v_cmp_ge_f64_e64 s[8:9], s[44:45], v[3:4]
	s_branch .LBB87_1026
.LBB87_1019:
	s_or_b64 exec, exec, s[10:11]
	s_and_saveexec_b64 s[0:1], s[54:55]
	s_cbranch_execnz .LBB87_1111
.LBB87_1020:
	s_or_b64 exec, exec, s[0:1]
	s_and_saveexec_b64 s[0:1], s[14:15]
	s_xor_b64 s[0:1], exec, s[0:1]
	s_cbranch_execz .LBB87_1112
.LBB87_1021:
	v_cndmask_b32_e64 v0, 0, 1, s[8:9]
	global_store_byte v[1:2], v0, off
	s_or_b64 exec, exec, s[0:1]
	s_and_saveexec_b64 s[0:1], s[12:13]
	s_xor_b64 s[0:1], exec, s[0:1]
	s_cbranch_execz .LBB87_1150
	s_branch .LBB87_1113
.LBB87_1022:
                                        ; implicit-def: $sgpr8_sgpr9
	s_cbranch_execnz .LBB87_1029
	s_branch .LBB87_1030
.LBB87_1023:
	s_mov_b64 s[14:15], -1
	s_branch .LBB87_1025
.LBB87_1024:
	s_mov_b64 s[12:13], -1
.LBB87_1025:
                                        ; implicit-def: $sgpr8_sgpr9
.LBB87_1026:
	s_and_b64 vcc, exec, s[14:15]
	s_cbranch_vccz .LBB87_1028
; %bb.1027:
	s_waitcnt vmcnt(0)
	v_cmp_lt_f64_e32 vcc, s[44:45], v[3:4]
	s_andn2_b64 s[8:9], s[8:9], exec
	s_and_b64 s[14:15], vcc, exec
	s_or_b64 s[8:9], s[8:9], s[14:15]
.LBB87_1028:
	s_branch .LBB87_1030
.LBB87_1029:
	s_cmp_lg_u32 s76, 0
	s_mov_b64 s[0:1], -1
	s_cselect_b64 s[12:13], -1, 0
.LBB87_1030:
	s_andn2_b64 vcc, exec, s[12:13]
	s_cbranch_vccnz .LBB87_1032
; %bb.1031:
	s_waitcnt vmcnt(0)
	v_cmp_gt_f64_e32 vcc, s[44:45], v[3:4]
	s_andn2_b64 s[8:9], s[8:9], exec
	s_and_b64 s[12:13], vcc, exec
	s_or_b64 s[8:9], s[8:9], s[12:13]
	s_cbranch_execz .LBB87_1033
	s_branch .LBB87_1034
.LBB87_1032:
	s_andn2_b64 vcc, exec, s[0:1]
	s_cbranch_vccnz .LBB87_1034
.LBB87_1033:
	s_waitcnt vmcnt(0)
	v_cmp_le_f64_e32 vcc, s[44:45], v[3:4]
	s_andn2_b64 s[0:1], s[8:9], exec
	s_and_b64 s[8:9], vcc, exec
	s_or_b64 s[8:9], s[0:1], s[8:9]
.LBB87_1034:
	v_mov_b32_e32 v2, s25
	s_and_b32 s20, s75, 0xff
	v_add_co_u32_e32 v1, vcc, s24, v0
	s_cmp_lt_i32 s20, 11
	v_addc_co_u32_e32 v2, vcc, 0, v2, vcc
	s_cbranch_scc1 .LBB87_1108
; %bb.1035:
	s_and_b32 s21, 0xffff, s20
	s_mov_b64 s[14:15], -1
	s_cmp_gt_i32 s21, 25
	s_mov_b64 s[0:1], s[54:55]
	s_cbranch_scc0 .LBB87_1068
; %bb.1036:
	s_mov_b64 s[12:13], -1
	s_cmp_gt_i32 s21, 28
	s_mov_b64 s[0:1], s[54:55]
	s_cbranch_scc0 .LBB87_1052
; %bb.1037:
	s_cmp_gt_i32 s21, 43
	s_mov_b64 s[0:1], s[54:55]
	s_cbranch_scc0 .LBB87_1048
; %bb.1038:
	;; [unrolled: 4-line block ×3, first 2 shown]
	s_cmp_eq_u32 s21, 46
	s_mov_b64 s[0:1], -1
	s_cbranch_scc0 .LBB87_1041
; %bb.1040:
	v_cndmask_b32_e64 v0, 0, 1.0, s[8:9]
	s_waitcnt vmcnt(0)
	v_bfe_u32 v3, v0, 16, 1
	s_movk_i32 s0, 0x7fff
	v_add3_u32 v0, v0, v3, s0
	v_lshrrev_b32_e32 v0, 16, v0
	global_store_dword v[1:2], v0, off
	s_mov_b64 s[0:1], 0
.LBB87_1041:
	s_mov_b64 s[12:13], 0
.LBB87_1042:
	s_and_b64 vcc, exec, s[12:13]
	s_cbranch_vccz .LBB87_1047
; %bb.1043:
	s_cmp_eq_u32 s21, 44
	s_mov_b64 s[0:1], -1
	s_cbranch_scc0 .LBB87_1047
; %bb.1044:
	s_waitcnt vmcnt(0)
	v_cndmask_b32_e64 v3, 0, 1.0, s[8:9]
	v_lshrrev_b32_e32 v0, 23, v3
	s_movk_i32 s0, 0xff
	v_cmp_ne_u32_e32 vcc, s0, v0
	v_mov_b32_e32 v4, 0xff
	s_and_saveexec_b64 s[12:13], vcc
; %bb.1045:
	s_mov_b32 s0, 0x3fffff
	v_and_b32_e32 v4, 0x400000, v3
	v_and_or_b32 v3, v3, s0, v0
	v_cmp_ne_u32_e32 vcc, 0, v4
	v_cmp_ne_u32_e64 s[0:1], 0, v3
	s_and_b64 s[0:1], vcc, s[0:1]
	v_cndmask_b32_e64 v3, 0, 1, s[0:1]
	v_add_u32_e32 v4, v0, v3
; %bb.1046:
	s_or_b64 exec, exec, s[12:13]
	s_mov_b64 s[0:1], 0
	global_store_byte v[1:2], v4, off
.LBB87_1047:
	s_mov_b64 s[12:13], 0
.LBB87_1048:
	s_and_b64 vcc, exec, s[12:13]
	s_cbranch_vccz .LBB87_1051
; %bb.1049:
	s_cmp_eq_u32 s21, 29
	s_mov_b64 s[0:1], -1
	s_cbranch_scc0 .LBB87_1051
; %bb.1050:
	s_mov_b32 s0, 0
	s_waitcnt vmcnt(0)
	v_cndmask_b32_e64 v3, 0, 1, s[8:9]
	v_mov_b32_e32 v4, s0
	global_store_dwordx2 v[1:2], v[3:4], off
	s_mov_b64 s[0:1], 0
.LBB87_1051:
	s_mov_b64 s[12:13], 0
.LBB87_1052:
	s_and_b64 vcc, exec, s[12:13]
	s_cbranch_vccz .LBB87_1067
; %bb.1053:
	s_cmp_lt_i32 s21, 27
	s_mov_b64 s[12:13], -1
	s_cbranch_scc1 .LBB87_1059
; %bb.1054:
	s_cmp_gt_i32 s21, 27
	s_cbranch_scc0 .LBB87_1056
; %bb.1055:
	v_cndmask_b32_e64 v0, 0, 1, s[8:9]
	s_mov_b64 s[12:13], 0
	global_store_dword v[1:2], v0, off
.LBB87_1056:
	s_andn2_b64 vcc, exec, s[12:13]
	s_cbranch_vccnz .LBB87_1058
; %bb.1057:
	v_cndmask_b32_e64 v0, 0, 1, s[8:9]
	global_store_short v[1:2], v0, off
.LBB87_1058:
	s_mov_b64 s[12:13], 0
.LBB87_1059:
	s_andn2_b64 vcc, exec, s[12:13]
	s_cbranch_vccnz .LBB87_1067
; %bb.1060:
	s_waitcnt vmcnt(0)
	v_cndmask_b32_e64 v3, 0, 1.0, s[8:9]
	s_mov_b32 s12, 0x43800000
	v_cmp_gt_u32_e32 vcc, s12, v3
	v_mov_b32_e32 v4, 0x80
	s_and_saveexec_b64 s[12:13], vcc
	s_cbranch_execz .LBB87_1066
; %bb.1061:
	s_mov_b32 s14, 0x3bffffff
	v_cmp_lt_u32_e32 vcc, s14, v3
	s_mov_b64 s[14:15], 0
                                        ; implicit-def: $vgpr0
	s_and_saveexec_b64 s[16:17], vcc
	s_xor_b64 s[16:17], exec, s[16:17]
	s_cbranch_execz .LBB87_1221
; %bb.1062:
	v_bfe_u32 v0, v3, 20, 1
	s_mov_b32 s18, 0x487ffff
	v_add3_u32 v0, v3, v0, s18
	s_mov_b64 s[14:15], exec
	v_lshrrev_b32_e32 v0, 20, v0
                                        ; implicit-def: $vgpr3
	s_andn2_saveexec_b64 s[16:17], s[16:17]
	s_cbranch_execnz .LBB87_1222
.LBB87_1063:
	s_or_b64 exec, exec, s[16:17]
	v_mov_b32_e32 v4, 0
	s_and_saveexec_b64 s[16:17], s[14:15]
.LBB87_1064:
	v_mov_b32_e32 v4, v0
.LBB87_1065:
	s_or_b64 exec, exec, s[16:17]
.LBB87_1066:
	s_or_b64 exec, exec, s[12:13]
	global_store_byte v[1:2], v4, off
.LBB87_1067:
	s_mov_b64 s[14:15], 0
.LBB87_1068:
	s_mov_b64 s[12:13], 0
	s_and_b64 vcc, exec, s[14:15]
	s_cbranch_vccz .LBB87_1109
; %bb.1069:
	s_cmp_gt_i32 s21, 22
	s_mov_b64 s[14:15], -1
	s_cbranch_scc0 .LBB87_1101
; %bb.1070:
	s_cmp_lt_i32 s21, 24
	s_cbranch_scc1 .LBB87_1090
; %bb.1071:
	s_cmp_gt_i32 s21, 24
	s_cbranch_scc0 .LBB87_1079
; %bb.1072:
	s_waitcnt vmcnt(0)
	v_cndmask_b32_e64 v3, 0, 1.0, s[8:9]
	s_mov_b32 s14, 0x47800000
	v_cmp_gt_u32_e32 vcc, s14, v3
	v_mov_b32_e32 v4, 0x80
	s_and_saveexec_b64 s[14:15], vcc
	s_cbranch_execz .LBB87_1078
; %bb.1073:
	s_mov_b32 s16, 0x37ffffff
	v_cmp_lt_u32_e32 vcc, s16, v3
	s_mov_b64 s[16:17], 0
                                        ; implicit-def: $vgpr0
	s_and_saveexec_b64 s[18:19], vcc
	s_xor_b64 s[18:19], exec, s[18:19]
	s_cbranch_execz .LBB87_1361
; %bb.1074:
	v_bfe_u32 v0, v3, 21, 1
	s_mov_b32 s22, 0x88fffff
	v_add3_u32 v0, v3, v0, s22
	s_mov_b64 s[16:17], exec
	v_lshrrev_b32_e32 v0, 21, v0
                                        ; implicit-def: $vgpr3
	s_andn2_saveexec_b64 s[18:19], s[18:19]
	s_cbranch_execnz .LBB87_1362
.LBB87_1075:
	s_or_b64 exec, exec, s[18:19]
	v_mov_b32_e32 v4, 0
	s_and_saveexec_b64 s[18:19], s[16:17]
.LBB87_1076:
	v_mov_b32_e32 v4, v0
.LBB87_1077:
	s_or_b64 exec, exec, s[18:19]
.LBB87_1078:
	s_or_b64 exec, exec, s[14:15]
	s_mov_b64 s[14:15], 0
	global_store_byte v[1:2], v4, off
.LBB87_1079:
	s_and_b64 vcc, exec, s[14:15]
	s_cbranch_vccz .LBB87_1089
; %bb.1080:
	v_cndmask_b32_e64 v0, 0, 1.0, s[8:9]
	s_mov_b32 s14, 0x43f00000
	v_cmp_gt_u32_e32 vcc, s14, v0
                                        ; implicit-def: $vgpr3
	s_and_saveexec_b64 s[14:15], vcc
	s_xor_b64 s[14:15], exec, s[14:15]
	s_cbranch_execz .LBB87_1086
; %bb.1081:
	s_mov_b32 s16, 0x3c7fffff
	v_cmp_lt_u32_e32 vcc, s16, v0
                                        ; implicit-def: $vgpr3
	s_and_saveexec_b64 s[16:17], vcc
	s_xor_b64 s[16:17], exec, s[16:17]
	s_cbranch_execz .LBB87_1083
; %bb.1082:
	s_waitcnt vmcnt(0)
	v_bfe_u32 v3, v0, 20, 1
	s_mov_b32 s18, 0x407ffff
	v_add3_u32 v0, v0, v3, s18
	v_lshrrev_b32_e32 v3, 20, v0
	v_and_b32_e32 v0, 0xff00000, v0
	s_mov_b32 s18, 0x7f00000
	v_mov_b32_e32 v4, 0x7e
	v_cmp_ne_u32_e32 vcc, s18, v0
	v_cndmask_b32_e32 v3, v4, v3, vcc
                                        ; implicit-def: $vgpr0
.LBB87_1083:
	s_andn2_saveexec_b64 s[16:17], s[16:17]
	s_cbranch_execz .LBB87_1085
; %bb.1084:
	s_waitcnt vmcnt(0)
	v_add_f32_e32 v3, 0x46800000, v0
.LBB87_1085:
	s_or_b64 exec, exec, s[16:17]
                                        ; implicit-def: $vgpr0
.LBB87_1086:
	s_andn2_saveexec_b64 s[14:15], s[14:15]
	s_cbranch_execz .LBB87_1088
; %bb.1087:
	s_mov_b32 s16, 0x7f800000
	s_waitcnt vmcnt(0)
	v_mov_b32_e32 v3, 0x7e
	v_mov_b32_e32 v4, 0x7f
	v_cmp_lt_u32_e32 vcc, s16, v0
	v_cndmask_b32_e32 v3, v3, v4, vcc
.LBB87_1088:
	s_or_b64 exec, exec, s[14:15]
	s_waitcnt vmcnt(0)
	global_store_byte v[1:2], v3, off
.LBB87_1089:
	s_mov_b64 s[14:15], 0
.LBB87_1090:
	s_andn2_b64 vcc, exec, s[14:15]
	s_cbranch_vccnz .LBB87_1100
; %bb.1091:
	v_cndmask_b32_e64 v0, 0, 1.0, s[8:9]
	s_mov_b32 s14, 0x47800000
	v_cmp_gt_u32_e32 vcc, s14, v0
                                        ; implicit-def: $vgpr3
	s_and_saveexec_b64 s[14:15], vcc
	s_xor_b64 s[14:15], exec, s[14:15]
	s_cbranch_execz .LBB87_1097
; %bb.1092:
	s_mov_b32 s16, 0x387fffff
	v_cmp_lt_u32_e32 vcc, s16, v0
                                        ; implicit-def: $vgpr3
	s_and_saveexec_b64 s[16:17], vcc
	s_xor_b64 s[16:17], exec, s[16:17]
	s_cbranch_execz .LBB87_1094
; %bb.1093:
	s_waitcnt vmcnt(0)
	v_bfe_u32 v3, v0, 21, 1
	s_mov_b32 s18, 0x80fffff
	v_add3_u32 v0, v0, v3, s18
	v_lshrrev_b32_e32 v3, 21, v0
                                        ; implicit-def: $vgpr0
.LBB87_1094:
	s_andn2_saveexec_b64 s[16:17], s[16:17]
	s_cbranch_execz .LBB87_1096
; %bb.1095:
	s_waitcnt vmcnt(0)
	v_add_f32_e32 v3, 0x43000000, v0
.LBB87_1096:
	s_or_b64 exec, exec, s[16:17]
                                        ; implicit-def: $vgpr0
.LBB87_1097:
	s_andn2_saveexec_b64 s[14:15], s[14:15]
	s_cbranch_execz .LBB87_1099
; %bb.1098:
	s_mov_b32 s16, 0x7f800000
	s_waitcnt vmcnt(0)
	v_mov_b32_e32 v3, 0x7c
	v_mov_b32_e32 v4, 0x7f
	v_cmp_lt_u32_e32 vcc, s16, v0
	v_cndmask_b32_e32 v3, v3, v4, vcc
.LBB87_1099:
	s_or_b64 exec, exec, s[14:15]
	s_waitcnt vmcnt(0)
	global_store_byte v[1:2], v3, off
.LBB87_1100:
	s_mov_b64 s[14:15], 0
.LBB87_1101:
	s_andn2_b64 vcc, exec, s[14:15]
	s_mov_b64 s[14:15], 0
	s_cbranch_vccnz .LBB87_1110
; %bb.1102:
	s_cmp_gt_i32 s21, 14
	s_mov_b64 s[16:17], -1
	s_cbranch_scc0 .LBB87_1106
; %bb.1103:
	s_cmp_eq_u32 s21, 15
	s_mov_b64 s[0:1], -1
	s_cbranch_scc0 .LBB87_1105
; %bb.1104:
	v_cndmask_b32_e64 v0, 0, 1.0, s[8:9]
	s_waitcnt vmcnt(0)
	v_bfe_u32 v3, v0, 16, 1
	s_movk_i32 s0, 0x7fff
	v_add3_u32 v0, v0, v3, s0
	global_store_short_d16_hi v[1:2], v0, off
	s_mov_b64 s[0:1], 0
.LBB87_1105:
	s_mov_b64 s[16:17], 0
.LBB87_1106:
	s_and_b64 vcc, exec, s[16:17]
	s_cbranch_vccz .LBB87_1110
; %bb.1107:
	s_cmp_lg_u32 s21, 11
	s_cselect_b64 s[16:17], -1, 0
	s_andn2_b64 s[0:1], s[0:1], exec
	s_and_b64 s[16:17], s[16:17], exec
	s_mov_b64 s[14:15], -1
	s_or_b64 s[0:1], s[0:1], s[16:17]
	s_branch .LBB87_1110
.LBB87_1108:
	s_mov_b64 s[14:15], 0
	s_mov_b64 s[12:13], -1
	s_mov_b64 s[0:1], s[54:55]
	s_branch .LBB87_1110
.LBB87_1109:
	s_mov_b64 s[14:15], 0
.LBB87_1110:
	s_andn2_b64 s[16:17], s[54:55], exec
	s_and_b64 s[0:1], s[0:1], exec
	s_and_b64 s[12:13], s[12:13], exec
	;; [unrolled: 1-line block ×3, first 2 shown]
	s_or_b64 s[54:55], s[16:17], s[0:1]
	s_or_b64 exec, exec, s[10:11]
	s_and_saveexec_b64 s[0:1], s[54:55]
	s_cbranch_execz .LBB87_1020
.LBB87_1111:
	s_or_b64 s[2:3], s[2:3], exec
	s_andn2_b64 s[14:15], s[14:15], exec
	s_trap 2
	s_or_b64 exec, exec, s[0:1]
	s_and_saveexec_b64 s[0:1], s[14:15]
	s_xor_b64 s[0:1], exec, s[0:1]
	s_cbranch_execnz .LBB87_1021
.LBB87_1112:
	s_or_b64 exec, exec, s[0:1]
	s_and_saveexec_b64 s[0:1], s[12:13]
	s_xor_b64 s[0:1], exec, s[0:1]
	s_cbranch_execz .LBB87_1150
.LBB87_1113:
	s_sext_i32_i16 s12, s20
	s_cmp_lt_i32 s12, 5
	s_mov_b64 s[10:11], -1
	s_cbranch_scc1 .LBB87_1134
; %bb.1114:
	s_cmp_lt_i32 s12, 8
	s_cbranch_scc1 .LBB87_1124
; %bb.1115:
	s_cmp_lt_i32 s12, 9
	s_cbranch_scc1 .LBB87_1121
; %bb.1116:
	s_cmp_gt_i32 s12, 9
	s_cbranch_scc0 .LBB87_1118
; %bb.1117:
	v_cndmask_b32_e64 v0, 0, 1, s[8:9]
	s_waitcnt vmcnt(0)
	v_cvt_f64_u32_e32 v[3:4], v0
	v_mov_b32_e32 v5, 0
	v_mov_b32_e32 v6, v5
	s_mov_b64 s[10:11], 0
	global_store_dwordx4 v[1:2], v[3:6], off
.LBB87_1118:
	s_andn2_b64 vcc, exec, s[10:11]
	s_cbranch_vccnz .LBB87_1120
; %bb.1119:
	s_waitcnt vmcnt(0)
	v_cndmask_b32_e64 v3, 0, 1.0, s[8:9]
	v_mov_b32_e32 v4, 0
	global_store_dwordx2 v[1:2], v[3:4], off
.LBB87_1120:
	s_mov_b64 s[10:11], 0
.LBB87_1121:
	s_andn2_b64 vcc, exec, s[10:11]
	s_cbranch_vccnz .LBB87_1123
; %bb.1122:
	v_cndmask_b32_e64 v0, 0, 1.0, s[8:9]
	v_cvt_f16_f32_e32 v0, v0
	global_store_dword v[1:2], v0, off
.LBB87_1123:
	s_mov_b64 s[10:11], 0
.LBB87_1124:
	s_andn2_b64 vcc, exec, s[10:11]
	s_cbranch_vccnz .LBB87_1133
; %bb.1125:
	s_sext_i32_i16 s12, s20
	s_cmp_lt_i32 s12, 6
	s_mov_b64 s[10:11], -1
	s_cbranch_scc1 .LBB87_1131
; %bb.1126:
	s_cmp_gt_i32 s12, 6
	s_cbranch_scc0 .LBB87_1128
; %bb.1127:
	v_cndmask_b32_e64 v0, 0, 1, s[8:9]
	s_waitcnt vmcnt(0)
	v_cvt_f64_u32_e32 v[3:4], v0
	s_mov_b64 s[10:11], 0
	global_store_dwordx2 v[1:2], v[3:4], off
.LBB87_1128:
	s_andn2_b64 vcc, exec, s[10:11]
	s_cbranch_vccnz .LBB87_1130
; %bb.1129:
	v_cndmask_b32_e64 v0, 0, 1.0, s[8:9]
	global_store_dword v[1:2], v0, off
.LBB87_1130:
	s_mov_b64 s[10:11], 0
.LBB87_1131:
	s_andn2_b64 vcc, exec, s[10:11]
	s_cbranch_vccnz .LBB87_1133
; %bb.1132:
	v_cndmask_b32_e64 v0, 0, 1.0, s[8:9]
	v_cvt_f16_f32_e32 v0, v0
	global_store_short v[1:2], v0, off
.LBB87_1133:
	s_mov_b64 s[10:11], 0
.LBB87_1134:
	s_andn2_b64 vcc, exec, s[10:11]
	s_cbranch_vccnz .LBB87_1150
; %bb.1135:
	s_sext_i32_i16 s12, s20
	s_cmp_lt_i32 s12, 2
	s_mov_b64 s[10:11], -1
	s_cbranch_scc1 .LBB87_1145
; %bb.1136:
	s_cmp_lt_i32 s12, 3
	s_cbranch_scc1 .LBB87_1142
; %bb.1137:
	s_cmp_gt_i32 s12, 3
	s_cbranch_scc0 .LBB87_1139
; %bb.1138:
	s_mov_b32 s10, 0
	s_waitcnt vmcnt(0)
	v_cndmask_b32_e64 v3, 0, 1, s[8:9]
	v_mov_b32_e32 v4, s10
	s_mov_b64 s[10:11], 0
	global_store_dwordx2 v[1:2], v[3:4], off
.LBB87_1139:
	s_andn2_b64 vcc, exec, s[10:11]
	s_cbranch_vccnz .LBB87_1141
; %bb.1140:
	v_cndmask_b32_e64 v0, 0, 1, s[8:9]
	global_store_dword v[1:2], v0, off
.LBB87_1141:
	s_mov_b64 s[10:11], 0
.LBB87_1142:
	s_andn2_b64 vcc, exec, s[10:11]
	s_cbranch_vccnz .LBB87_1144
; %bb.1143:
	v_cndmask_b32_e64 v0, 0, 1, s[8:9]
	global_store_short v[1:2], v0, off
.LBB87_1144:
	s_mov_b64 s[10:11], 0
.LBB87_1145:
	s_andn2_b64 vcc, exec, s[10:11]
	s_cbranch_vccnz .LBB87_1150
; %bb.1146:
	s_sext_i32_i16 s10, s20
	s_cmp_gt_i32 s10, 0
	s_mov_b64 s[10:11], -1
	s_cbranch_scc0 .LBB87_1148
; %bb.1147:
	v_cndmask_b32_e64 v0, 0, 1, s[8:9]
	s_mov_b64 s[10:11], 0
	global_store_byte v[1:2], v0, off
.LBB87_1148:
	s_andn2_b64 vcc, exec, s[10:11]
	s_cbranch_vccnz .LBB87_1150
; %bb.1149:
	v_cndmask_b32_e64 v0, 0, 1, s[8:9]
	global_store_byte v[1:2], v0, off
.LBB87_1150:
	s_or_b64 exec, exec, s[0:1]
	s_and_b64 s[28:29], s[2:3], exec
                                        ; implicit-def: $vgpr15
                                        ; implicit-def: $vgpr8
.LBB87_1151:
	s_or_saveexec_b64 s[30:31], s[42:43]
	s_mov_b64 s[0:1], 0
                                        ; implicit-def: $sgpr10_sgpr11
                                        ; implicit-def: $vgpr0_vgpr1
                                        ; implicit-def: $sgpr22
	s_xor_b64 exec, exec, s[30:31]
	s_cbranch_execz .LBB87_1774
; %bb.1152:
	v_cndmask_b32_e64 v0, 0, 1, s[40:41]
	v_cmp_ne_u32_e64 s[0:1], 1, v0
	s_andn2_b64 vcc, exec, s[40:41]
	s_cbranch_vccnz .LBB87_1158
; %bb.1153:
	s_cmp_lg_u32 s33, 0
	s_mov_b32 s36, 0
	s_cbranch_scc0 .LBB87_1159
; %bb.1154:
	s_min_u32 s37, s74, 15
	s_add_i32 s37, s37, 1
	s_cmp_eq_u32 s74, 2
	s_cbranch_scc1 .LBB87_1160
; %bb.1155:
	s_and_b32 s36, s37, 28
	s_add_u32 s2, s34, 0xc4
	s_addc_u32 s3, s35, 0
	v_mov_b32_e32 v13, 0
	s_mov_b32 s38, 0
	s_mov_b64 s[6:7], s[34:35]
	v_mov_b32_e32 v6, 0
	v_mov_b32_e32 v0, v8
.LBB87_1156:                            ; =>This Inner Loop Header: Depth=1
	s_load_dwordx8 s[16:23], s[6:7], 0x4
	s_load_dwordx4 s[24:27], s[6:7], 0x24
	s_load_dwordx8 s[8:15], s[2:3], 0x0
	s_add_u32 s6, s6, 48
	s_addc_u32 s7, s7, 0
	s_waitcnt lgkmcnt(0)
	v_mul_hi_u32 v1, s17, v0
	s_add_i32 s38, s38, 4
	s_add_u32 s2, s2, 32
	s_addc_u32 s3, s3, 0
	v_add_u32_e32 v1, v0, v1
	v_lshrrev_b32_e32 v1, s18, v1
	v_mul_lo_u32 v2, v1, s16
	s_waitcnt vmcnt(0)
	v_mul_hi_u32 v3, s20, v1
	s_cmp_lg_u32 s36, s38
	v_sub_u32_e32 v0, v0, v2
	v_add_u32_e32 v2, v1, v3
	v_mul_lo_u32 v3, v0, s8
	v_mul_lo_u32 v4, v0, s9
	v_lshrrev_b32_e32 v0, s21, v2
	v_mul_lo_u32 v2, v0, s19
	v_mul_hi_u32 v5, s23, v0
	v_sub_u32_e32 v1, v1, v2
	v_add_u32_e32 v2, v0, v5
	v_lshrrev_b32_e32 v2, s24, v2
	v_mul_hi_u32 v7, s26, v2
	v_mul_lo_u32 v9, v2, s22
	v_mul_lo_u32 v5, v1, s10
	;; [unrolled: 1-line block ×3, first 2 shown]
	v_sub_u32_e32 v9, v0, v9
	v_add_u32_e32 v0, v2, v7
	v_lshrrev_b32_e32 v0, s27, v0
	v_mul_lo_u32 v7, v0, s25
	v_mul_lo_u32 v10, v9, s12
	;; [unrolled: 1-line block ×3, first 2 shown]
	v_add3_u32 v3, v3, v6, v5
	v_sub_u32_e32 v2, v2, v7
	v_mul_lo_u32 v7, v2, s14
	v_mul_lo_u32 v2, v2, s15
	v_add3_u32 v1, v4, v13, v1
	v_add3_u32 v6, v10, v3, v7
	;; [unrolled: 1-line block ×3, first 2 shown]
	s_cbranch_scc1 .LBB87_1156
; %bb.1157:
	s_and_b32 s8, s37, 3
	s_cmp_eq_u32 s8, 0
	s_cbranch_scc0 .LBB87_1161
	s_branch .LBB87_1163
.LBB87_1158:
                                        ; implicit-def: $vgpr6
                                        ; implicit-def: $vgpr13
	s_branch .LBB87_1164
.LBB87_1159:
	v_mov_b32_e32 v6, 0
	v_mov_b32_e32 v13, 0
	s_branch .LBB87_1163
.LBB87_1160:
	v_mov_b32_e32 v6, 0
	v_mov_b32_e32 v13, 0
	;; [unrolled: 1-line block ×3, first 2 shown]
	s_and_b32 s8, s37, 3
	s_cmp_eq_u32 s8, 0
	s_cbranch_scc1 .LBB87_1163
.LBB87_1161:
	s_lshl_b32 s2, s36, 3
	s_add_u32 s2, s34, s2
	s_addc_u32 s3, s35, 0
	s_add_u32 s2, s2, 0xc4
	s_addc_u32 s3, s3, 0
	s_mul_i32 s6, s36, 12
	s_add_u32 s6, s34, s6
	s_addc_u32 s7, s35, 0
.LBB87_1162:                            ; =>This Inner Loop Header: Depth=1
	s_load_dwordx2 s[10:11], s[6:7], 0x4
	s_load_dword s9, s[6:7], 0xc
	s_load_dwordx2 s[12:13], s[2:3], 0x0
	s_add_u32 s6, s6, 12
	s_addc_u32 s7, s7, 0
	s_waitcnt lgkmcnt(0)
	v_mul_hi_u32 v1, s11, v0
	s_add_u32 s2, s2, 8
	s_addc_u32 s3, s3, 0
	s_add_i32 s8, s8, -1
	v_add_u32_e32 v1, v0, v1
	v_lshrrev_b32_e32 v1, s9, v1
	v_mul_lo_u32 v2, v1, s10
	s_cmp_lg_u32 s8, 0
	v_sub_u32_e32 v0, v0, v2
	v_mad_u64_u32 v[6:7], s[10:11], v0, s12, v[6:7]
	v_mad_u64_u32 v[13:14], s[10:11], v0, s13, v[13:14]
	v_mov_b32_e32 v0, v1
	s_cbranch_scc1 .LBB87_1162
.LBB87_1163:
	s_cbranch_execnz .LBB87_1166
.LBB87_1164:
	s_load_dwordx4 s[8:11], s[34:35], 0x4
	s_load_dwordx2 s[2:3], s[34:35], 0xc4
	s_cmp_lt_u32 s33, 2
	s_waitcnt lgkmcnt(0)
	v_mul_hi_u32 v0, s9, v8
	v_add_u32_e32 v0, v8, v0
	v_lshrrev_b32_e32 v0, s10, v0
	v_mul_lo_u32 v1, v0, s8
	v_sub_u32_e32 v1, v8, v1
	v_mul_lo_u32 v6, v1, s2
	v_mul_lo_u32 v13, v1, s3
	s_cbranch_scc1 .LBB87_1166
; %bb.1165:
	s_load_dwordx4 s[8:11], s[34:35], 0x10
	s_load_dwordx2 s[2:3], s[34:35], 0xcc
	s_waitcnt lgkmcnt(0)
	v_mul_hi_u32 v1, s9, v0
	v_add_u32_e32 v1, v0, v1
	v_lshrrev_b32_e32 v1, s10, v1
	v_mul_lo_u32 v1, v1, s8
	v_sub_u32_e32 v0, v0, v1
	v_mad_u64_u32 v[6:7], s[6:7], v0, s2, v[6:7]
	v_mad_u64_u32 v[13:14], s[2:3], v0, s3, v[13:14]
.LBB87_1166:
	s_and_b64 vcc, exec, s[0:1]
	v_add_u32_e32 v0, 0x80, v8
	s_cbranch_vccnz .LBB87_1172
; %bb.1167:
	s_cmp_lg_u32 s33, 0
	s_mov_b32 s36, 0
	s_cbranch_scc0 .LBB87_1173
; %bb.1168:
	s_min_u32 s37, s74, 15
	s_add_i32 s37, s37, 1
	s_cmp_eq_u32 s74, 2
	s_cbranch_scc1 .LBB87_1174
; %bb.1169:
	s_and_b32 s36, s37, 28
	s_add_u32 s2, s34, 0xc4
	s_addc_u32 s3, s35, 0
	v_mov_b32_e32 v11, 0
	s_mov_b32 s38, 0
	s_mov_b64 s[6:7], s[34:35]
	s_waitcnt vmcnt(0)
	v_mov_b32_e32 v4, 0
	v_mov_b32_e32 v1, v0
.LBB87_1170:                            ; =>This Inner Loop Header: Depth=1
	s_load_dwordx8 s[16:23], s[6:7], 0x4
	s_load_dwordx4 s[24:27], s[6:7], 0x24
	s_load_dwordx8 s[8:15], s[2:3], 0x0
	s_add_u32 s6, s6, 48
	s_addc_u32 s7, s7, 0
	s_waitcnt lgkmcnt(0)
	v_mul_hi_u32 v2, s17, v1
	s_add_i32 s38, s38, 4
	s_add_u32 s2, s2, 32
	s_addc_u32 s3, s3, 0
	v_add_u32_e32 v2, v1, v2
	v_lshrrev_b32_e32 v2, s18, v2
	v_mul_lo_u32 v3, v2, s16
	v_mul_hi_u32 v5, s20, v2
	s_cmp_lg_u32 s36, s38
	v_sub_u32_e32 v1, v1, v3
	v_add_u32_e32 v3, v2, v5
	v_mul_lo_u32 v5, v1, s8
	v_mul_lo_u32 v7, v1, s9
	v_lshrrev_b32_e32 v1, s21, v3
	v_mul_lo_u32 v3, v1, s19
	v_mul_hi_u32 v9, s23, v1
	v_sub_u32_e32 v2, v2, v3
	v_add_u32_e32 v3, v1, v9
	v_lshrrev_b32_e32 v3, s24, v3
	v_mul_hi_u32 v10, s26, v3
	v_mul_lo_u32 v12, v3, s22
	v_mul_lo_u32 v9, v2, s10
	;; [unrolled: 1-line block ×3, first 2 shown]
	v_sub_u32_e32 v12, v1, v12
	v_add_u32_e32 v1, v3, v10
	v_lshrrev_b32_e32 v1, s27, v1
	v_mul_lo_u32 v10, v1, s25
	v_mul_lo_u32 v14, v12, s12
	;; [unrolled: 1-line block ×3, first 2 shown]
	v_add3_u32 v4, v5, v4, v9
	v_sub_u32_e32 v3, v3, v10
	v_mul_lo_u32 v10, v3, s14
	v_mul_lo_u32 v3, v3, s15
	v_add3_u32 v2, v7, v11, v2
	v_add3_u32 v4, v14, v4, v10
	;; [unrolled: 1-line block ×3, first 2 shown]
	s_cbranch_scc1 .LBB87_1170
; %bb.1171:
	s_and_b32 s8, s37, 3
	s_cmp_eq_u32 s8, 0
	s_cbranch_scc0 .LBB87_1175
	s_branch .LBB87_1177
.LBB87_1172:
                                        ; implicit-def: $vgpr4
                                        ; implicit-def: $vgpr11
	s_branch .LBB87_1178
.LBB87_1173:
	s_waitcnt vmcnt(0)
	v_mov_b32_e32 v4, 0
	v_mov_b32_e32 v11, 0
	s_branch .LBB87_1177
.LBB87_1174:
	s_waitcnt vmcnt(0)
	v_mov_b32_e32 v4, 0
	v_mov_b32_e32 v11, 0
	;; [unrolled: 1-line block ×3, first 2 shown]
	s_and_b32 s8, s37, 3
	s_cmp_eq_u32 s8, 0
	s_cbranch_scc1 .LBB87_1177
.LBB87_1175:
	s_lshl_b32 s2, s36, 3
	s_add_u32 s2, s34, s2
	s_addc_u32 s3, s35, 0
	s_add_u32 s2, s2, 0xc4
	s_addc_u32 s3, s3, 0
	s_mul_i32 s6, s36, 12
	s_add_u32 s6, s34, s6
	s_addc_u32 s7, s35, 0
.LBB87_1176:                            ; =>This Inner Loop Header: Depth=1
	s_load_dwordx2 s[10:11], s[6:7], 0x4
	s_load_dword s9, s[6:7], 0xc
	s_load_dwordx2 s[12:13], s[2:3], 0x0
	s_add_u32 s6, s6, 12
	s_addc_u32 s7, s7, 0
	s_waitcnt lgkmcnt(0)
	v_mul_hi_u32 v2, s11, v1
	s_add_u32 s2, s2, 8
	s_addc_u32 s3, s3, 0
	s_add_i32 s8, s8, -1
	v_add_u32_e32 v2, v1, v2
	v_lshrrev_b32_e32 v2, s9, v2
	v_mul_lo_u32 v3, v2, s10
	s_cmp_lg_u32 s8, 0
	v_sub_u32_e32 v1, v1, v3
	v_mad_u64_u32 v[4:5], s[10:11], v1, s12, v[4:5]
	v_mad_u64_u32 v[11:12], s[10:11], v1, s13, v[11:12]
	v_mov_b32_e32 v1, v2
	s_cbranch_scc1 .LBB87_1176
.LBB87_1177:
	s_cbranch_execnz .LBB87_1180
.LBB87_1178:
	s_load_dwordx4 s[8:11], s[34:35], 0x4
	s_load_dwordx2 s[2:3], s[34:35], 0xc4
	s_cmp_lt_u32 s33, 2
	s_waitcnt lgkmcnt(0)
	v_mul_hi_u32 v1, s9, v0
	v_add_u32_e32 v1, v0, v1
	v_lshrrev_b32_e32 v1, s10, v1
	v_mul_lo_u32 v2, v1, s8
	v_sub_u32_e32 v0, v0, v2
	s_waitcnt vmcnt(0)
	v_mul_lo_u32 v4, v0, s2
	v_mul_lo_u32 v11, v0, s3
	s_cbranch_scc1 .LBB87_1180
; %bb.1179:
	s_load_dwordx4 s[8:11], s[34:35], 0x10
	s_load_dwordx2 s[2:3], s[34:35], 0xcc
	s_waitcnt lgkmcnt(0)
	v_mul_hi_u32 v0, s9, v1
	v_add_u32_e32 v0, v1, v0
	v_lshrrev_b32_e32 v0, s10, v0
	v_mul_lo_u32 v0, v0, s8
	v_sub_u32_e32 v0, v1, v0
	v_mad_u64_u32 v[4:5], s[6:7], v0, s2, v[4:5]
	v_mad_u64_u32 v[11:12], s[2:3], v0, s3, v[11:12]
.LBB87_1180:
	s_and_b64 vcc, exec, s[0:1]
	v_add_u32_e32 v0, 0x100, v8
	s_cbranch_vccnz .LBB87_1186
; %bb.1181:
	s_cmp_lg_u32 s33, 0
	s_mov_b32 s36, 0
	s_cbranch_scc0 .LBB87_1187
; %bb.1182:
	s_min_u32 s37, s74, 15
	s_add_i32 s37, s37, 1
	s_cmp_eq_u32 s74, 2
	s_cbranch_scc1 .LBB87_1188
; %bb.1183:
	s_and_b32 s36, s37, 28
	s_add_u32 s2, s34, 0xc4
	s_addc_u32 s3, s35, 0
	v_mov_b32_e32 v9, 0
	s_mov_b32 s38, 0
	s_mov_b64 s[6:7], s[34:35]
	v_mov_b32_e32 v2, 0
	v_mov_b32_e32 v1, v0
.LBB87_1184:                            ; =>This Inner Loop Header: Depth=1
	s_load_dwordx8 s[16:23], s[6:7], 0x4
	s_load_dwordx4 s[24:27], s[6:7], 0x24
	s_load_dwordx8 s[8:15], s[2:3], 0x0
	s_add_u32 s6, s6, 48
	s_addc_u32 s7, s7, 0
	s_waitcnt vmcnt(0) lgkmcnt(0)
	v_mul_hi_u32 v3, s17, v1
	s_add_i32 s38, s38, 4
	s_add_u32 s2, s2, 32
	s_addc_u32 s3, s3, 0
	v_add_u32_e32 v3, v1, v3
	v_lshrrev_b32_e32 v3, s18, v3
	v_mul_lo_u32 v5, v3, s16
	v_mul_hi_u32 v7, s20, v3
	s_cmp_lg_u32 s36, s38
	v_sub_u32_e32 v1, v1, v5
	v_add_u32_e32 v5, v3, v7
	v_mul_lo_u32 v7, v1, s8
	v_mul_lo_u32 v8, v1, s9
	v_lshrrev_b32_e32 v1, s21, v5
	v_mul_lo_u32 v5, v1, s19
	v_mul_hi_u32 v10, s23, v1
	v_sub_u32_e32 v3, v3, v5
	v_add_u32_e32 v5, v1, v10
	v_lshrrev_b32_e32 v5, s24, v5
	v_mul_hi_u32 v12, s26, v5
	v_mul_lo_u32 v14, v5, s22
	v_mul_lo_u32 v10, v3, s10
	;; [unrolled: 1-line block ×3, first 2 shown]
	v_sub_u32_e32 v14, v1, v14
	v_add_u32_e32 v1, v5, v12
	v_lshrrev_b32_e32 v1, s27, v1
	v_mul_lo_u32 v12, v1, s25
	v_mul_lo_u32 v16, v14, s12
	;; [unrolled: 1-line block ×3, first 2 shown]
	v_add3_u32 v2, v7, v2, v10
	v_sub_u32_e32 v5, v5, v12
	v_mul_lo_u32 v12, v5, s14
	v_mul_lo_u32 v5, v5, s15
	v_add3_u32 v3, v8, v9, v3
	v_add3_u32 v2, v16, v2, v12
	;; [unrolled: 1-line block ×3, first 2 shown]
	s_cbranch_scc1 .LBB87_1184
; %bb.1185:
	s_and_b32 s8, s37, 3
	s_cmp_eq_u32 s8, 0
	s_cbranch_scc0 .LBB87_1189
	s_branch .LBB87_1191
.LBB87_1186:
                                        ; implicit-def: $vgpr2
                                        ; implicit-def: $vgpr9
	s_branch .LBB87_1192
.LBB87_1187:
	v_mov_b32_e32 v2, 0
	v_mov_b32_e32 v9, 0
	s_branch .LBB87_1191
.LBB87_1188:
	v_mov_b32_e32 v2, 0
	v_mov_b32_e32 v9, 0
	;; [unrolled: 1-line block ×3, first 2 shown]
	s_and_b32 s8, s37, 3
	s_cmp_eq_u32 s8, 0
	s_cbranch_scc1 .LBB87_1191
.LBB87_1189:
	s_lshl_b32 s2, s36, 3
	s_add_u32 s2, s34, s2
	s_addc_u32 s3, s35, 0
	s_add_u32 s2, s2, 0xc4
	s_addc_u32 s3, s3, 0
	s_mul_i32 s6, s36, 12
	s_add_u32 s6, s34, s6
	s_addc_u32 s7, s35, 0
.LBB87_1190:                            ; =>This Inner Loop Header: Depth=1
	s_load_dwordx2 s[10:11], s[6:7], 0x4
	s_load_dword s9, s[6:7], 0xc
	s_load_dwordx2 s[12:13], s[2:3], 0x0
	s_add_u32 s6, s6, 12
	s_addc_u32 s7, s7, 0
	s_waitcnt vmcnt(0) lgkmcnt(0)
	v_mul_hi_u32 v3, s11, v1
	s_add_u32 s2, s2, 8
	s_addc_u32 s3, s3, 0
	s_add_i32 s8, s8, -1
	v_add_u32_e32 v3, v1, v3
	v_lshrrev_b32_e32 v5, s9, v3
	v_mul_lo_u32 v3, v5, s10
	s_cmp_lg_u32 s8, 0
	v_sub_u32_e32 v1, v1, v3
	v_mad_u64_u32 v[2:3], s[10:11], v1, s12, v[2:3]
	v_mad_u64_u32 v[9:10], s[10:11], v1, s13, v[9:10]
	v_mov_b32_e32 v1, v5
	s_cbranch_scc1 .LBB87_1190
.LBB87_1191:
	s_cbranch_execnz .LBB87_1194
.LBB87_1192:
	s_load_dwordx4 s[8:11], s[34:35], 0x4
	s_load_dwordx2 s[2:3], s[34:35], 0xc4
	s_cmp_lt_u32 s33, 2
	s_waitcnt lgkmcnt(0)
	v_mul_hi_u32 v1, s9, v0
	v_add_u32_e32 v1, v0, v1
	v_lshrrev_b32_e32 v1, s10, v1
	v_mul_lo_u32 v2, v1, s8
	v_sub_u32_e32 v0, v0, v2
	v_mul_lo_u32 v2, v0, s2
	v_mul_lo_u32 v9, v0, s3
	s_cbranch_scc1 .LBB87_1194
; %bb.1193:
	s_load_dwordx4 s[8:11], s[34:35], 0x10
	s_load_dwordx2 s[2:3], s[34:35], 0xcc
	s_waitcnt lgkmcnt(0)
	v_mul_hi_u32 v0, s9, v1
	v_add_u32_e32 v0, v1, v0
	v_lshrrev_b32_e32 v0, s10, v0
	v_mul_lo_u32 v0, v0, s8
	v_sub_u32_e32 v0, v1, v0
	s_waitcnt vmcnt(0)
	v_mad_u64_u32 v[2:3], s[6:7], v0, s2, v[2:3]
	v_mad_u64_u32 v[9:10], s[2:3], v0, s3, v[9:10]
.LBB87_1194:
	s_and_b64 vcc, exec, s[0:1]
	s_cbranch_vccnz .LBB87_1200
; %bb.1195:
	s_cmp_lg_u32 s33, 0
	s_mov_b32 s26, 0
	s_cbranch_scc0 .LBB87_1201
; %bb.1196:
	s_min_u32 s27, s74, 15
	s_add_i32 s27, s27, 1
	s_cmp_eq_u32 s74, 2
	s_cbranch_scc1 .LBB87_1202
; %bb.1197:
	s_and_b32 s26, s27, 28
	s_add_u32 s6, s34, 0xc4
	s_addc_u32 s7, s35, 0
	v_mov_b32_e32 v7, 0
	s_mov_b32 s36, 0
	s_mov_b64 s[24:25], s[34:35]
	v_mov_b32_e32 v0, 0
	v_mov_b32_e32 v1, v15
.LBB87_1198:                            ; =>This Inner Loop Header: Depth=1
	s_load_dwordx8 s[16:23], s[24:25], 0x4
	s_load_dwordx4 s[0:3], s[24:25], 0x24
	s_load_dwordx8 s[8:15], s[6:7], 0x0
	s_add_u32 s24, s24, 48
	s_addc_u32 s25, s25, 0
	s_waitcnt vmcnt(0) lgkmcnt(0)
	v_mul_hi_u32 v3, s17, v1
	s_add_i32 s36, s36, 4
	s_add_u32 s6, s6, 32
	s_addc_u32 s7, s7, 0
	v_add_u32_e32 v3, v1, v3
	v_lshrrev_b32_e32 v3, s18, v3
	v_mul_lo_u32 v5, v3, s16
	v_mul_hi_u32 v8, s20, v3
	s_cmp_lg_u32 s26, s36
	v_sub_u32_e32 v1, v1, v5
	v_add_u32_e32 v5, v3, v8
	v_mul_lo_u32 v8, v1, s8
	v_mul_lo_u32 v10, v1, s9
	v_lshrrev_b32_e32 v1, s21, v5
	v_mul_lo_u32 v5, v1, s19
	v_mul_hi_u32 v12, s23, v1
	v_sub_u32_e32 v3, v3, v5
	v_add_u32_e32 v5, v1, v12
	v_lshrrev_b32_e32 v5, s0, v5
	v_mul_hi_u32 v14, s2, v5
	v_mul_lo_u32 v16, v5, s22
	v_mul_lo_u32 v12, v3, s10
	;; [unrolled: 1-line block ×3, first 2 shown]
	v_sub_u32_e32 v16, v1, v16
	v_add_u32_e32 v1, v5, v14
	v_lshrrev_b32_e32 v1, s3, v1
	v_mul_lo_u32 v14, v1, s1
	v_mul_lo_u32 v17, v16, s12
	;; [unrolled: 1-line block ×3, first 2 shown]
	v_add3_u32 v0, v8, v0, v12
	v_sub_u32_e32 v5, v5, v14
	v_mul_lo_u32 v14, v5, s14
	v_mul_lo_u32 v5, v5, s15
	v_add3_u32 v3, v10, v7, v3
	v_add3_u32 v0, v17, v0, v14
	;; [unrolled: 1-line block ×3, first 2 shown]
	s_cbranch_scc1 .LBB87_1198
; %bb.1199:
	s_and_b32 s6, s27, 3
	s_cmp_eq_u32 s6, 0
	s_cbranch_scc0 .LBB87_1203
	s_branch .LBB87_1205
.LBB87_1200:
                                        ; implicit-def: $vgpr0
                                        ; implicit-def: $vgpr7
	s_branch .LBB87_1206
.LBB87_1201:
	v_mov_b32_e32 v0, 0
	v_mov_b32_e32 v7, 0
	s_branch .LBB87_1205
.LBB87_1202:
	v_mov_b32_e32 v0, 0
	v_mov_b32_e32 v7, 0
	;; [unrolled: 1-line block ×3, first 2 shown]
	s_and_b32 s6, s27, 3
	s_cmp_eq_u32 s6, 0
	s_cbranch_scc1 .LBB87_1205
.LBB87_1203:
	s_lshl_b32 s0, s26, 3
	s_add_u32 s0, s34, s0
	s_addc_u32 s1, s35, 0
	s_add_u32 s0, s0, 0xc4
	s_addc_u32 s1, s1, 0
	s_mul_i32 s2, s26, 12
	s_add_u32 s2, s34, s2
	s_addc_u32 s3, s35, 0
.LBB87_1204:                            ; =>This Inner Loop Header: Depth=1
	s_load_dwordx2 s[8:9], s[2:3], 0x4
	s_load_dword s7, s[2:3], 0xc
	s_load_dwordx2 s[10:11], s[0:1], 0x0
	s_add_u32 s2, s2, 12
	s_addc_u32 s3, s3, 0
	s_waitcnt vmcnt(0) lgkmcnt(0)
	v_mul_hi_u32 v3, s9, v1
	s_add_u32 s0, s0, 8
	s_addc_u32 s1, s1, 0
	s_add_i32 s6, s6, -1
	v_add_u32_e32 v3, v1, v3
	v_lshrrev_b32_e32 v3, s7, v3
	v_mul_lo_u32 v5, v3, s8
	s_cmp_lg_u32 s6, 0
	v_sub_u32_e32 v5, v1, v5
	v_mad_u64_u32 v[0:1], s[8:9], v5, s10, v[0:1]
	v_mad_u64_u32 v[7:8], s[8:9], v5, s11, v[7:8]
	v_mov_b32_e32 v1, v3
	s_cbranch_scc1 .LBB87_1204
.LBB87_1205:
	s_cbranch_execnz .LBB87_1208
.LBB87_1206:
	s_load_dwordx4 s[0:3], s[34:35], 0x4
	s_load_dwordx2 s[6:7], s[34:35], 0xc4
	s_cmp_lt_u32 s33, 2
	s_waitcnt lgkmcnt(0)
	v_mul_hi_u32 v0, s1, v15
	v_add_u32_e32 v0, v15, v0
	v_lshrrev_b32_e32 v1, s2, v0
	v_mul_lo_u32 v0, v1, s0
	s_waitcnt vmcnt(0)
	v_sub_u32_e32 v3, v15, v0
	v_mul_lo_u32 v0, v3, s6
	v_mul_lo_u32 v7, v3, s7
	s_cbranch_scc1 .LBB87_1208
; %bb.1207:
	s_load_dwordx4 s[0:3], s[34:35], 0x10
	s_load_dwordx2 s[6:7], s[34:35], 0xcc
	s_waitcnt lgkmcnt(0)
	v_mul_hi_u32 v3, s1, v1
	v_add_u32_e32 v3, v1, v3
	v_lshrrev_b32_e32 v3, s2, v3
	v_mul_lo_u32 v3, v3, s0
	v_sub_u32_e32 v3, v1, v3
	v_mad_u64_u32 v[0:1], s[0:1], v3, s6, v[0:1]
	v_mad_u64_u32 v[7:8], s[0:1], v3, s7, v[7:8]
.LBB87_1208:
	s_load_dwordx4 s[8:11], s[34:35], 0x148
	s_load_dword s16, s[4:5], 0x170
	s_waitcnt lgkmcnt(0)
	v_mov_b32_e32 v1, s11
	s_bfe_u32 s14, s16, 0x80008
	v_add_co_u32_e32 v12, vcc, s10, v13
	s_cmp_lt_i32 s14, 11
	v_addc_co_u32_e32 v13, vcc, 0, v1, vcc
	s_cbranch_scc1 .LBB87_1215
; %bb.1209:
	s_and_b32 s15, 0xffff, s14
	s_cmp_gt_i32 s15, 25
	s_mov_b64 s[4:5], 0
	s_cbranch_scc0 .LBB87_1217
; %bb.1210:
	s_cmp_gt_i32 s15, 28
	s_cbranch_scc0 .LBB87_1218
; %bb.1211:
	s_cmp_gt_i32 s15, 43
	;; [unrolled: 3-line block ×3, first 2 shown]
	s_cbranch_scc0 .LBB87_1220
; %bb.1213:
	s_cmp_eq_u32 s15, 46
	s_mov_b64 s[2:3], 0
	s_cbranch_scc0 .LBB87_1223
; %bb.1214:
	global_load_dword v1, v[12:13], off
	s_mov_b64 s[0:1], 0
	s_mov_b64 s[6:7], -1
	s_waitcnt vmcnt(0)
	v_lshlrev_b32_e32 v1, 16, v1
	v_cvt_f64_f32_e32 v[14:15], v1
	s_branch .LBB87_1224
.LBB87_1215:
	s_mov_b64 s[6:7], 0
                                        ; implicit-def: $vgpr14_vgpr15
	s_mov_b64 s[2:3], s[28:29]
	s_cbranch_execnz .LBB87_1287
.LBB87_1216:
	s_andn2_b64 vcc, exec, s[6:7]
	s_cbranch_vccz .LBB87_1332
	s_branch .LBB87_1771
.LBB87_1217:
	s_mov_b64 s[6:7], 0
	s_mov_b64 s[0:1], 0
                                        ; implicit-def: $vgpr14_vgpr15
	s_cbranch_execnz .LBB87_1254
	s_branch .LBB87_1283
.LBB87_1218:
	s_mov_b64 s[2:3], -1
	s_mov_b64 s[6:7], 0
	s_mov_b64 s[0:1], 0
                                        ; implicit-def: $vgpr14_vgpr15
	s_branch .LBB87_1233
.LBB87_1219:
	s_mov_b64 s[6:7], 0
	s_mov_b64 s[0:1], 0
                                        ; implicit-def: $vgpr14_vgpr15
	s_cbranch_execnz .LBB87_1229
	s_branch .LBB87_1232
.LBB87_1220:
	s_mov_b64 s[2:3], -1
	s_mov_b64 s[6:7], 0
	s_mov_b64 s[0:1], 0
                                        ; implicit-def: $vgpr14_vgpr15
	s_branch .LBB87_1224
.LBB87_1221:
	s_andn2_saveexec_b64 s[16:17], s[16:17]
	s_cbranch_execz .LBB87_1063
.LBB87_1222:
	v_add_f32_e32 v0, 0x46000000, v3
	v_and_b32_e32 v0, 0xff, v0
	v_cmp_ne_u32_e32 vcc, 0, v0
	s_andn2_b64 s[14:15], s[14:15], exec
	s_and_b64 s[18:19], vcc, exec
	s_or_b64 s[14:15], s[14:15], s[18:19]
	s_or_b64 exec, exec, s[16:17]
	v_mov_b32_e32 v4, 0
	s_and_saveexec_b64 s[16:17], s[14:15]
	s_cbranch_execnz .LBB87_1064
	s_branch .LBB87_1065
.LBB87_1223:
	s_mov_b64 s[0:1], -1
                                        ; implicit-def: $vgpr14_vgpr15
	s_mov_b64 s[6:7], 0
.LBB87_1224:
	s_and_b64 vcc, exec, s[2:3]
	s_cbranch_vccz .LBB87_1227
; %bb.1225:
	s_cmp_eq_u32 s15, 44
	s_cbranch_scc0 .LBB87_1228
; %bb.1226:
	global_load_ubyte v1, v[12:13], off
	s_movk_i32 s2, 0xff
	s_waitcnt vmcnt(1)
	v_bfrev_b32_e32 v3, 4
	v_mov_b32_e32 v5, 0x7ff80000
	s_mov_b64 s[0:1], 0
	s_mov_b64 s[6:7], -1
	s_waitcnt vmcnt(0)
	v_lshlrev_b32_e32 v8, 23, v1
	v_cvt_f64_f32_e32 v[14:15], v8
	v_cmp_ne_u32_e32 vcc, s2, v1
	v_bfrev_b32_e32 v8, 28
	v_cndmask_b32_e32 v3, v3, v14, vcc
	v_cndmask_b32_e32 v5, v5, v15, vcc
	v_cmp_ne_u32_e32 vcc, 0, v1
	v_cndmask_b32_e32 v15, v8, v5, vcc
	v_cndmask_b32_e32 v14, 0, v3, vcc
.LBB87_1227:
	s_branch .LBB87_1232
.LBB87_1228:
	s_mov_b64 s[0:1], -1
                                        ; implicit-def: $vgpr14_vgpr15
	s_branch .LBB87_1232
.LBB87_1229:
	s_cmp_eq_u32 s15, 29
	s_cbranch_scc0 .LBB87_1231
; %bb.1230:
	global_load_dwordx2 v[14:15], v[12:13], off
	s_mov_b64 s[0:1], 0
	s_mov_b64 s[6:7], -1
	s_mov_b64 s[2:3], 0
	s_waitcnt vmcnt(0)
	v_cvt_f64_u32_e32 v[15:16], v15
	v_cvt_f64_u32_e32 v[17:18], v14
	v_ldexp_f64 v[15:16], v[15:16], 32
	v_add_f64 v[14:15], v[15:16], v[17:18]
	s_branch .LBB87_1233
.LBB87_1231:
	s_mov_b64 s[0:1], -1
                                        ; implicit-def: $vgpr14_vgpr15
.LBB87_1232:
	s_mov_b64 s[2:3], 0
.LBB87_1233:
	s_and_b64 vcc, exec, s[2:3]
	s_cbranch_vccz .LBB87_1253
; %bb.1234:
	s_cmp_lt_i32 s15, 27
	s_cbranch_scc1 .LBB87_1237
; %bb.1235:
	s_cmp_gt_i32 s15, 27
	s_cbranch_scc0 .LBB87_1238
; %bb.1236:
	global_load_dword v1, v[12:13], off
	s_mov_b64 s[2:3], 0
	s_waitcnt vmcnt(0)
	v_cvt_f64_u32_e32 v[14:15], v1
	s_branch .LBB87_1239
.LBB87_1237:
	s_mov_b64 s[2:3], -1
                                        ; implicit-def: $vgpr14_vgpr15
	s_branch .LBB87_1242
.LBB87_1238:
	s_mov_b64 s[2:3], -1
                                        ; implicit-def: $vgpr14_vgpr15
.LBB87_1239:
	s_andn2_b64 vcc, exec, s[2:3]
	s_cbranch_vccnz .LBB87_1241
; %bb.1240:
	global_load_ushort v1, v[12:13], off
	s_waitcnt vmcnt(0)
	v_cvt_f64_u32_e32 v[14:15], v1
.LBB87_1241:
	s_mov_b64 s[2:3], 0
.LBB87_1242:
	s_andn2_b64 vcc, exec, s[2:3]
	s_cbranch_vccnz .LBB87_1252
; %bb.1243:
	global_load_ubyte v1, v[12:13], off
	s_movk_i32 s2, 0x7f
	s_waitcnt vmcnt(0)
	v_cmp_lt_i16_e32 vcc, s2, v1
	s_mov_b64 s[2:3], 0
	s_and_saveexec_b64 s[6:7], vcc
	s_xor_b64 s[6:7], exec, s[6:7]
	s_cbranch_execz .LBB87_1247
; %bb.1244:
	s_movk_i32 s2, 0x80
	v_cmp_eq_u16_e32 vcc, s2, v1
	s_mov_b64 s[2:3], -1
	s_and_saveexec_b64 s[12:13], vcc
; %bb.1245:
	s_xor_b64 s[2:3], exec, -1
; %bb.1246:
	s_or_b64 exec, exec, s[12:13]
	s_and_b64 s[2:3], s[2:3], exec
.LBB87_1247:
	s_or_saveexec_b64 s[6:7], s[6:7]
	v_bfrev_b32_e32 v14, 4
	v_mov_b32_e32 v15, 0x7ff80000
	s_xor_b64 exec, exec, s[6:7]
; %bb.1248:
	v_cmp_ne_u16_e32 vcc, 0, v1
	v_mov_b32_e32 v14, 0
	s_andn2_b64 s[2:3], s[2:3], exec
	s_and_b64 s[12:13], vcc, exec
	v_mov_b32_e32 v15, 0
	s_or_b64 s[2:3], s[2:3], s[12:13]
; %bb.1249:
	s_or_b64 exec, exec, s[6:7]
	s_and_saveexec_b64 s[6:7], s[2:3]
	s_cbranch_execz .LBB87_1251
; %bb.1250:
	v_lshlrev_b32_e32 v3, 24, v1
	v_and_b32_e32 v1, 0xffff, v1
	v_and_b32_e32 v5, 7, v1
	v_ffbh_u32_e32 v10, v5
	v_min_u32_e32 v10, 32, v10
	v_subrev_u32_e32 v14, 28, v10
	v_bfe_u32 v8, v1, 3, 4
	v_lshlrev_b32_e32 v1, v14, v1
	v_sub_u32_e32 v10, 29, v10
	v_and_b32_e32 v1, 7, v1
	v_cmp_eq_u32_e32 vcc, 0, v8
	v_cndmask_b32_e32 v8, v8, v10, vcc
	v_cndmask_b32_e32 v1, v5, v1, vcc
	v_mov_b32_e32 v5, 0x3b800000
	v_lshlrev_b32_e32 v1, 20, v1
	v_and_b32_e32 v3, 0x80000000, v3
	v_lshl_add_u32 v5, v8, 23, v5
	v_or3_b32 v1, v3, v5, v1
	v_cvt_f64_f32_e32 v[14:15], v1
.LBB87_1251:
	s_or_b64 exec, exec, s[6:7]
.LBB87_1252:
	s_mov_b64 s[6:7], -1
.LBB87_1253:
	s_branch .LBB87_1283
.LBB87_1254:
	s_cmp_gt_i32 s15, 22
	s_cbranch_scc0 .LBB87_1266
; %bb.1255:
	s_cmp_lt_i32 s15, 24
	s_cbranch_scc1 .LBB87_1267
; %bb.1256:
	s_cmp_gt_i32 s15, 24
	s_cbranch_scc0 .LBB87_1268
; %bb.1257:
	global_load_ubyte v1, v[12:13], off
	s_movk_i32 s2, 0x7f
	s_waitcnt vmcnt(0)
	v_cmp_lt_i16_e32 vcc, s2, v1
	s_mov_b64 s[2:3], 0
	s_and_saveexec_b64 s[4:5], vcc
	s_xor_b64 s[4:5], exec, s[4:5]
	s_cbranch_execz .LBB87_1261
; %bb.1258:
	s_movk_i32 s2, 0x80
	v_cmp_eq_u16_e32 vcc, s2, v1
	s_mov_b64 s[2:3], -1
	s_and_saveexec_b64 s[6:7], vcc
; %bb.1259:
	s_xor_b64 s[2:3], exec, -1
; %bb.1260:
	s_or_b64 exec, exec, s[6:7]
	s_and_b64 s[2:3], s[2:3], exec
.LBB87_1261:
	s_or_saveexec_b64 s[4:5], s[4:5]
	v_bfrev_b32_e32 v14, 4
	v_mov_b32_e32 v15, 0x7ff80000
	s_xor_b64 exec, exec, s[4:5]
; %bb.1262:
	v_cmp_ne_u16_e32 vcc, 0, v1
	v_mov_b32_e32 v14, 0
	s_andn2_b64 s[2:3], s[2:3], exec
	s_and_b64 s[6:7], vcc, exec
	v_mov_b32_e32 v15, 0
	s_or_b64 s[2:3], s[2:3], s[6:7]
; %bb.1263:
	s_or_b64 exec, exec, s[4:5]
	s_and_saveexec_b64 s[4:5], s[2:3]
	s_cbranch_execz .LBB87_1265
; %bb.1264:
	v_lshlrev_b32_e32 v3, 24, v1
	v_and_b32_e32 v1, 0xffff, v1
	v_and_b32_e32 v5, 3, v1
	v_ffbh_u32_e32 v10, v5
	v_min_u32_e32 v10, 32, v10
	v_subrev_u32_e32 v14, 29, v10
	v_bfe_u32 v8, v1, 2, 5
	v_lshlrev_b32_e32 v1, v14, v1
	v_sub_u32_e32 v10, 30, v10
	v_and_b32_e32 v1, 3, v1
	v_cmp_eq_u32_e32 vcc, 0, v8
	v_cndmask_b32_e32 v8, v8, v10, vcc
	v_cndmask_b32_e32 v1, v5, v1, vcc
	v_mov_b32_e32 v5, 0x37800000
	v_lshlrev_b32_e32 v1, 21, v1
	v_and_b32_e32 v3, 0x80000000, v3
	v_lshl_add_u32 v5, v8, 23, v5
	v_or3_b32 v1, v3, v5, v1
	v_cvt_f64_f32_e32 v[14:15], v1
.LBB87_1265:
	s_or_b64 exec, exec, s[4:5]
	s_mov_b64 s[2:3], 0
	s_branch .LBB87_1269
.LBB87_1266:
                                        ; implicit-def: $vgpr14_vgpr15
	s_mov_b64 s[4:5], 0
	s_branch .LBB87_1275
.LBB87_1267:
	s_mov_b64 s[2:3], -1
                                        ; implicit-def: $vgpr14_vgpr15
	s_branch .LBB87_1272
.LBB87_1268:
	s_mov_b64 s[2:3], -1
                                        ; implicit-def: $vgpr14_vgpr15
.LBB87_1269:
	s_and_b64 vcc, exec, s[2:3]
	s_cbranch_vccz .LBB87_1271
; %bb.1270:
	global_load_ubyte v1, v[12:13], off
	s_mov_b32 s2, 0x7f800000
	s_waitcnt vmcnt(0)
	v_lshlrev_b32_e32 v1, 24, v1
	v_and_b32_e32 v3, 0x7f000000, v1
	v_ffbh_u32_e32 v5, v3
	v_min_u32_e32 v5, 32, v5
	v_sub_u32_e64 v5, v5, 4 clamp
	v_lshlrev_b32_e32 v10, v5, v3
	v_lshlrev_b32_e32 v5, 23, v5
	v_lshrrev_b32_e32 v10, 4, v10
	v_add_u32_e32 v8, 0x1000000, v3
	v_sub_u32_e32 v5, v10, v5
	v_ashrrev_i32_e32 v8, 8, v8
	v_add_u32_e32 v5, 0x3c000000, v5
	v_and_or_b32 v5, v8, s2, v5
	v_cmp_ne_u32_e32 vcc, 0, v3
	v_cndmask_b32_e32 v3, 0, v5, vcc
	s_brev_b32 s2, 1
	v_and_or_b32 v1, v1, s2, v3
	v_cvt_f64_f32_e32 v[14:15], v1
.LBB87_1271:
	s_mov_b64 s[2:3], 0
.LBB87_1272:
	s_andn2_b64 vcc, exec, s[2:3]
	s_cbranch_vccnz .LBB87_1274
; %bb.1273:
	global_load_ubyte v1, v[12:13], off
	s_movk_i32 s2, 0x7f00
	s_brev_b32 s3, 16
	s_waitcnt vmcnt(0)
	v_lshlrev_b16_e32 v3, 8, v1
	v_lshlrev_b32_e32 v1, 25, v1
	v_lshrrev_b32_e32 v5, 4, v1
	v_and_or_b32 v8, v3, s2, 0.5
	v_or_b32_e32 v5, 0x70000000, v5
	v_add_f32_e32 v8, -0.5, v8
	v_mul_f32_e32 v5, 0x7800000, v5
	v_cmp_gt_u32_e32 vcc, s3, v1
	v_bfe_i32 v3, v3, 0, 16
	v_cndmask_b32_e32 v1, v5, v8, vcc
	s_brev_b32 s2, 1
	v_and_or_b32 v1, v3, s2, v1
	v_cvt_f64_f32_e32 v[14:15], v1
.LBB87_1274:
	s_mov_b64 s[6:7], -1
	s_mov_b64 s[4:5], 0
	s_cbranch_execnz .LBB87_1283
.LBB87_1275:
	s_cmp_gt_i32 s15, 14
	s_cbranch_scc0 .LBB87_1278
; %bb.1276:
	s_cmp_eq_u32 s15, 15
	s_cbranch_scc0 .LBB87_1279
; %bb.1277:
	global_load_ushort v1, v[12:13], off
	s_mov_b64 s[0:1], 0
	s_mov_b64 s[6:7], -1
	s_waitcnt vmcnt(0)
	v_lshlrev_b32_e32 v1, 16, v1
	v_cvt_f64_f32_e32 v[14:15], v1
	s_branch .LBB87_1280
.LBB87_1278:
	s_mov_b64 s[2:3], -1
                                        ; implicit-def: $vgpr14_vgpr15
	s_branch .LBB87_1281
.LBB87_1279:
	s_mov_b64 s[0:1], -1
                                        ; implicit-def: $vgpr14_vgpr15
.LBB87_1280:
	s_mov_b64 s[2:3], 0
.LBB87_1281:
	s_and_b64 vcc, exec, s[2:3]
	s_cbranch_vccz .LBB87_1283
; %bb.1282:
	s_cmp_lg_u32 s15, 11
	s_mov_b64 s[4:5], -1
	s_cselect_b64 s[0:1], -1, 0
.LBB87_1283:
	s_and_b64 vcc, exec, s[0:1]
	s_mov_b64 s[2:3], s[28:29]
	s_cbranch_vccnz .LBB87_1359
; %bb.1284:
	s_andn2_b64 vcc, exec, s[4:5]
	s_cbranch_vccnz .LBB87_1286
.LBB87_1285:
	global_load_ubyte v1, v[12:13], off
	s_waitcnt vmcnt(1)
	v_mov_b32_e32 v3, 0x3ff00000
	v_mov_b32_e32 v14, 0
	s_mov_b64 s[6:7], -1
	s_waitcnt vmcnt(0)
	v_cmp_ne_u16_e32 vcc, 0, v1
	v_cndmask_b32_e32 v15, 0, v3, vcc
.LBB87_1286:
	s_branch .LBB87_1216
.LBB87_1287:
	s_and_b32 s4, 0xffff, s14
	s_cmp_lt_i32 s4, 5
	s_cbranch_scc1 .LBB87_1292
; %bb.1288:
	s_cmp_lt_i32 s4, 8
	s_cbranch_scc1 .LBB87_1293
; %bb.1289:
	;; [unrolled: 3-line block ×3, first 2 shown]
	s_cmp_gt_i32 s4, 9
	s_cbranch_scc0 .LBB87_1295
; %bb.1291:
	global_load_dwordx2 v[14:15], v[12:13], off
	s_mov_b64 s[0:1], 0
	s_branch .LBB87_1296
.LBB87_1292:
                                        ; implicit-def: $vgpr14_vgpr15
	s_branch .LBB87_1313
.LBB87_1293:
                                        ; implicit-def: $vgpr14_vgpr15
	s_branch .LBB87_1302
.LBB87_1294:
	s_mov_b64 s[0:1], -1
                                        ; implicit-def: $vgpr14_vgpr15
	s_branch .LBB87_1299
.LBB87_1295:
	s_mov_b64 s[0:1], -1
                                        ; implicit-def: $vgpr14_vgpr15
.LBB87_1296:
	s_andn2_b64 vcc, exec, s[0:1]
	s_cbranch_vccnz .LBB87_1298
; %bb.1297:
	global_load_dword v1, v[12:13], off
	s_waitcnt vmcnt(0)
	v_cvt_f64_f32_e32 v[14:15], v1
.LBB87_1298:
	s_mov_b64 s[0:1], 0
.LBB87_1299:
	s_andn2_b64 vcc, exec, s[0:1]
	s_cbranch_vccnz .LBB87_1301
; %bb.1300:
	global_load_dword v1, v[12:13], off
	s_waitcnt vmcnt(0)
	v_cvt_f32_f16_e32 v1, v1
	v_cvt_f64_f32_e32 v[14:15], v1
.LBB87_1301:
	s_cbranch_execnz .LBB87_1312
.LBB87_1302:
	s_cmp_lt_i32 s4, 6
	s_cbranch_scc1 .LBB87_1305
; %bb.1303:
	s_cmp_gt_i32 s4, 6
	s_cbranch_scc0 .LBB87_1306
; %bb.1304:
	global_load_dwordx2 v[14:15], v[12:13], off
	s_mov_b64 s[0:1], 0
	s_branch .LBB87_1307
.LBB87_1305:
	s_mov_b64 s[0:1], -1
                                        ; implicit-def: $vgpr14_vgpr15
	s_branch .LBB87_1310
.LBB87_1306:
	s_mov_b64 s[0:1], -1
                                        ; implicit-def: $vgpr14_vgpr15
.LBB87_1307:
	s_andn2_b64 vcc, exec, s[0:1]
	s_cbranch_vccnz .LBB87_1309
; %bb.1308:
	global_load_dword v1, v[12:13], off
	s_waitcnt vmcnt(0)
	v_cvt_f64_f32_e32 v[14:15], v1
.LBB87_1309:
	s_mov_b64 s[0:1], 0
.LBB87_1310:
	s_andn2_b64 vcc, exec, s[0:1]
	s_cbranch_vccnz .LBB87_1312
; %bb.1311:
	global_load_ushort v1, v[12:13], off
	s_waitcnt vmcnt(0)
	v_cvt_f32_f16_e32 v1, v1
	v_cvt_f64_f32_e32 v[14:15], v1
.LBB87_1312:
	s_cbranch_execnz .LBB87_1331
.LBB87_1313:
	s_cmp_lt_i32 s4, 2
	s_cbranch_scc1 .LBB87_1317
; %bb.1314:
	s_cmp_lt_i32 s4, 3
	s_cbranch_scc1 .LBB87_1318
; %bb.1315:
	s_cmp_gt_i32 s4, 3
	s_cbranch_scc0 .LBB87_1319
; %bb.1316:
	global_load_dwordx2 v[14:15], v[12:13], off
	s_mov_b64 s[0:1], 0
	s_waitcnt vmcnt(0)
	v_cvt_f64_i32_e32 v[15:16], v15
	v_cvt_f64_u32_e32 v[17:18], v14
	v_ldexp_f64 v[15:16], v[15:16], 32
	v_add_f64 v[14:15], v[15:16], v[17:18]
	s_branch .LBB87_1320
.LBB87_1317:
                                        ; implicit-def: $vgpr14_vgpr15
	s_branch .LBB87_1326
.LBB87_1318:
	s_mov_b64 s[0:1], -1
                                        ; implicit-def: $vgpr14_vgpr15
	s_branch .LBB87_1323
.LBB87_1319:
	s_mov_b64 s[0:1], -1
                                        ; implicit-def: $vgpr14_vgpr15
.LBB87_1320:
	s_andn2_b64 vcc, exec, s[0:1]
	s_cbranch_vccnz .LBB87_1322
; %bb.1321:
	global_load_dword v1, v[12:13], off
	s_waitcnt vmcnt(0)
	v_cvt_f64_i32_e32 v[14:15], v1
.LBB87_1322:
	s_mov_b64 s[0:1], 0
.LBB87_1323:
	s_andn2_b64 vcc, exec, s[0:1]
	s_cbranch_vccnz .LBB87_1325
; %bb.1324:
	global_load_sshort v1, v[12:13], off
	s_waitcnt vmcnt(0)
	v_cvt_f64_i32_e32 v[14:15], v1
.LBB87_1325:
	s_cbranch_execnz .LBB87_1331
.LBB87_1326:
	s_cmp_gt_i32 s4, 0
	s_cbranch_scc0 .LBB87_1328
; %bb.1327:
	global_load_sbyte v1, v[12:13], off
	s_mov_b64 s[0:1], 0
	s_waitcnt vmcnt(0)
	v_cvt_f64_i32_e32 v[14:15], v1
	s_branch .LBB87_1329
.LBB87_1328:
	s_mov_b64 s[0:1], -1
                                        ; implicit-def: $vgpr14_vgpr15
.LBB87_1329:
	s_andn2_b64 vcc, exec, s[0:1]
	s_cbranch_vccnz .LBB87_1331
; %bb.1330:
	global_load_ubyte v1, v[12:13], off
	s_waitcnt vmcnt(0)
	v_cvt_f64_u32_e32 v[14:15], v1
.LBB87_1331:
.LBB87_1332:
	s_load_dword s22, s[34:35], 0x158
	s_load_dwordx2 s[0:1], s[34:35], 0x160
	s_mov_b64 s[6:7], 0
	s_waitcnt lgkmcnt(0)
	s_cmp_lt_i32 s22, 1
	s_cbranch_scc1 .LBB87_1336
; %bb.1333:
	s_cmp_gt_i32 s22, 1
	s_cbranch_scc0 .LBB87_1337
; %bb.1334:
	s_cmp_eq_u32 s22, 2
	s_cbranch_scc0 .LBB87_1338
; %bb.1335:
	s_waitcnt vmcnt(0)
	v_cmp_ge_f64_e64 s[4:5], s[0:1], v[14:15]
	s_mov_b64 s[12:13], 0
	s_branch .LBB87_1339
.LBB87_1336:
                                        ; implicit-def: $sgpr4_sgpr5
	s_mov_b64 s[12:13], 0
	s_cbranch_execnz .LBB87_1342
	s_branch .LBB87_1343
.LBB87_1337:
	s_mov_b64 s[12:13], 0
                                        ; implicit-def: $sgpr4_sgpr5
	s_cbranch_execnz .LBB87_1340
	s_branch .LBB87_1341
.LBB87_1338:
	s_mov_b64 s[12:13], -1
                                        ; implicit-def: $sgpr4_sgpr5
.LBB87_1339:
	s_branch .LBB87_1341
.LBB87_1340:
	s_waitcnt vmcnt(0)
	v_cmp_lt_f64_e32 vcc, s[0:1], v[14:15]
	s_andn2_b64 s[4:5], s[4:5], exec
	s_and_b64 s[14:15], vcc, exec
	s_or_b64 s[4:5], s[4:5], s[14:15]
.LBB87_1341:
	s_branch .LBB87_1343
.LBB87_1342:
	s_cmp_lg_u32 s22, 0
	s_mov_b64 s[6:7], -1
	s_cselect_b64 s[12:13], -1, 0
.LBB87_1343:
	s_andn2_b64 vcc, exec, s[12:13]
	s_cbranch_vccnz .LBB87_1345
; %bb.1344:
	s_waitcnt vmcnt(0)
	v_cmp_gt_f64_e32 vcc, s[0:1], v[14:15]
	s_andn2_b64 s[4:5], s[4:5], exec
	s_and_b64 s[12:13], vcc, exec
	s_or_b64 s[4:5], s[4:5], s[12:13]
	s_cbranch_execz .LBB87_1346
	s_branch .LBB87_1347
.LBB87_1345:
	s_andn2_b64 vcc, exec, s[6:7]
	s_cbranch_vccnz .LBB87_1347
.LBB87_1346:
	s_waitcnt vmcnt(0)
	v_cmp_le_f64_e32 vcc, s[0:1], v[14:15]
	s_andn2_b64 s[4:5], s[4:5], exec
	s_and_b64 s[6:7], vcc, exec
	s_or_b64 s[4:5], s[4:5], s[6:7]
.LBB87_1347:
	s_lshr_b32 s6, s16, 8
	v_mov_b32_e32 v1, s11
	s_and_b32 s23, s6, 0xff
	v_add_co_u32_e32 v10, vcc, s10, v11
	s_cmp_lt_i32 s23, 11
	v_addc_co_u32_e32 v11, vcc, 0, v1, vcc
	s_cbranch_scc1 .LBB87_1354
; %bb.1348:
	s_and_b32 s20, 0xffff, s23
	s_cmp_gt_i32 s20, 25
	s_mov_b64 s[12:13], 0
	s_cbranch_scc0 .LBB87_1356
; %bb.1349:
	s_cmp_gt_i32 s20, 28
	s_cbranch_scc0 .LBB87_1357
; %bb.1350:
	s_cmp_gt_i32 s20, 43
	;; [unrolled: 3-line block ×3, first 2 shown]
	s_cbranch_scc0 .LBB87_1360
; %bb.1352:
	s_cmp_eq_u32 s20, 46
	s_mov_b64 s[16:17], 0
	s_cbranch_scc0 .LBB87_1363
; %bb.1353:
	global_load_dword v1, v[10:11], off
	s_mov_b64 s[6:7], 0
	s_mov_b64 s[14:15], -1
	s_waitcnt vmcnt(0)
	v_lshlrev_b32_e32 v1, 16, v1
	v_cvt_f64_f32_e32 v[12:13], v1
	s_branch .LBB87_1364
.LBB87_1354:
	s_mov_b64 s[14:15], 0
                                        ; implicit-def: $vgpr12_vgpr13
	s_cbranch_execnz .LBB87_1429
.LBB87_1355:
	s_andn2_b64 vcc, exec, s[14:15]
	s_cbranch_vccnz .LBB87_1771
	s_branch .LBB87_1476
.LBB87_1356:
	s_mov_b64 s[14:15], 0
	s_mov_b64 s[6:7], 0
                                        ; implicit-def: $vgpr12_vgpr13
	s_cbranch_execnz .LBB87_1395
	s_branch .LBB87_1425
.LBB87_1357:
	s_mov_b64 s[16:17], -1
	s_mov_b64 s[14:15], 0
	s_mov_b64 s[6:7], 0
                                        ; implicit-def: $vgpr12_vgpr13
	s_branch .LBB87_1374
.LBB87_1358:
	s_mov_b64 s[16:17], -1
	s_mov_b64 s[14:15], 0
	s_mov_b64 s[6:7], 0
                                        ; implicit-def: $vgpr12_vgpr13
	s_branch .LBB87_1369
.LBB87_1359:
	s_or_b64 s[2:3], s[28:29], exec
	s_trap 2
	s_cbranch_execz .LBB87_1285
	s_branch .LBB87_1286
.LBB87_1360:
	s_mov_b64 s[16:17], -1
	s_mov_b64 s[14:15], 0
	s_mov_b64 s[6:7], 0
                                        ; implicit-def: $vgpr12_vgpr13
	s_branch .LBB87_1364
.LBB87_1361:
	s_andn2_saveexec_b64 s[18:19], s[18:19]
	s_cbranch_execz .LBB87_1075
.LBB87_1362:
	v_add_f32_e32 v0, 0x42800000, v3
	v_and_b32_e32 v0, 0xff, v0
	v_cmp_ne_u32_e32 vcc, 0, v0
	s_andn2_b64 s[16:17], s[16:17], exec
	s_and_b64 s[22:23], vcc, exec
	s_or_b64 s[16:17], s[16:17], s[22:23]
	s_or_b64 exec, exec, s[18:19]
	v_mov_b32_e32 v4, 0
	s_and_saveexec_b64 s[18:19], s[16:17]
	s_cbranch_execnz .LBB87_1076
	s_branch .LBB87_1077
.LBB87_1363:
	s_mov_b64 s[6:7], -1
                                        ; implicit-def: $vgpr12_vgpr13
	s_mov_b64 s[14:15], 0
.LBB87_1364:
	s_and_b64 vcc, exec, s[16:17]
	s_cbranch_vccz .LBB87_1368
; %bb.1365:
	s_cmp_eq_u32 s20, 44
	s_cbranch_scc0 .LBB87_1367
; %bb.1366:
	global_load_ubyte v1, v[10:11], off
	s_movk_i32 s14, 0xff
	s_waitcnt vmcnt(1)
	v_bfrev_b32_e32 v3, 4
	v_mov_b32_e32 v5, 0x7ff80000
	s_mov_b64 s[6:7], 0
	s_waitcnt vmcnt(0)
	v_lshlrev_b32_e32 v8, 23, v1
	v_cvt_f64_f32_e32 v[12:13], v8
	v_cmp_ne_u32_e32 vcc, s14, v1
	v_bfrev_b32_e32 v8, 28
	s_mov_b64 s[14:15], -1
	v_cndmask_b32_e32 v3, v3, v12, vcc
	v_cndmask_b32_e32 v5, v5, v13, vcc
	v_cmp_ne_u32_e32 vcc, 0, v1
	v_cndmask_b32_e32 v13, v8, v5, vcc
	v_cndmask_b32_e32 v12, 0, v3, vcc
	s_branch .LBB87_1368
.LBB87_1367:
	s_mov_b64 s[6:7], -1
                                        ; implicit-def: $vgpr12_vgpr13
.LBB87_1368:
	s_mov_b64 s[16:17], 0
.LBB87_1369:
	s_and_b64 vcc, exec, s[16:17]
	s_cbranch_vccz .LBB87_1373
; %bb.1370:
	s_cmp_eq_u32 s20, 29
	s_cbranch_scc0 .LBB87_1372
; %bb.1371:
	global_load_dwordx2 v[12:13], v[10:11], off
	s_mov_b64 s[6:7], 0
	s_mov_b64 s[14:15], -1
	s_mov_b64 s[16:17], 0
	s_waitcnt vmcnt(0)
	v_cvt_f64_u32_e32 v[13:14], v13
	v_cvt_f64_u32_e32 v[15:16], v12
	v_ldexp_f64 v[13:14], v[13:14], 32
	v_add_f64 v[12:13], v[13:14], v[15:16]
	s_branch .LBB87_1374
.LBB87_1372:
	s_mov_b64 s[6:7], -1
                                        ; implicit-def: $vgpr12_vgpr13
.LBB87_1373:
	s_mov_b64 s[16:17], 0
.LBB87_1374:
	s_and_b64 vcc, exec, s[16:17]
	s_cbranch_vccz .LBB87_1394
; %bb.1375:
	s_cmp_lt_i32 s20, 27
	s_cbranch_scc1 .LBB87_1378
; %bb.1376:
	s_cmp_gt_i32 s20, 27
	s_cbranch_scc0 .LBB87_1379
; %bb.1377:
	global_load_dword v1, v[10:11], off
	s_mov_b64 s[14:15], 0
	s_waitcnt vmcnt(0)
	v_cvt_f64_u32_e32 v[12:13], v1
	s_branch .LBB87_1380
.LBB87_1378:
	s_mov_b64 s[14:15], -1
                                        ; implicit-def: $vgpr12_vgpr13
	s_branch .LBB87_1383
.LBB87_1379:
	s_mov_b64 s[14:15], -1
                                        ; implicit-def: $vgpr12_vgpr13
.LBB87_1380:
	s_andn2_b64 vcc, exec, s[14:15]
	s_cbranch_vccnz .LBB87_1382
; %bb.1381:
	global_load_ushort v1, v[10:11], off
	s_waitcnt vmcnt(0)
	v_cvt_f64_u32_e32 v[12:13], v1
.LBB87_1382:
	s_mov_b64 s[14:15], 0
.LBB87_1383:
	s_andn2_b64 vcc, exec, s[14:15]
	s_cbranch_vccnz .LBB87_1393
; %bb.1384:
	global_load_ubyte v1, v[10:11], off
	s_movk_i32 s14, 0x7f
	s_waitcnt vmcnt(0)
	v_cmp_lt_i16_e32 vcc, s14, v1
	s_mov_b64 s[14:15], 0
	s_and_saveexec_b64 s[16:17], vcc
	s_xor_b64 s[16:17], exec, s[16:17]
	s_cbranch_execz .LBB87_1388
; %bb.1385:
	s_movk_i32 s14, 0x80
	v_cmp_eq_u16_e32 vcc, s14, v1
	s_mov_b64 s[14:15], -1
	s_and_saveexec_b64 s[18:19], vcc
; %bb.1386:
	s_xor_b64 s[14:15], exec, -1
; %bb.1387:
	s_or_b64 exec, exec, s[18:19]
	s_and_b64 s[14:15], s[14:15], exec
.LBB87_1388:
	s_or_saveexec_b64 s[16:17], s[16:17]
	v_bfrev_b32_e32 v12, 4
	v_mov_b32_e32 v13, 0x7ff80000
	s_xor_b64 exec, exec, s[16:17]
; %bb.1389:
	v_cmp_ne_u16_e32 vcc, 0, v1
	v_mov_b32_e32 v12, 0
	s_andn2_b64 s[14:15], s[14:15], exec
	s_and_b64 s[18:19], vcc, exec
	v_mov_b32_e32 v13, 0
	s_or_b64 s[14:15], s[14:15], s[18:19]
; %bb.1390:
	s_or_b64 exec, exec, s[16:17]
	s_and_saveexec_b64 s[16:17], s[14:15]
	s_cbranch_execz .LBB87_1392
; %bb.1391:
	v_lshlrev_b32_e32 v3, 24, v1
	v_and_b32_e32 v1, 0xffff, v1
	v_and_b32_e32 v5, 7, v1
	v_ffbh_u32_e32 v12, v5
	v_min_u32_e32 v12, 32, v12
	v_subrev_u32_e32 v13, 28, v12
	v_bfe_u32 v8, v1, 3, 4
	v_lshlrev_b32_e32 v1, v13, v1
	v_sub_u32_e32 v12, 29, v12
	v_and_b32_e32 v1, 7, v1
	v_cmp_eq_u32_e32 vcc, 0, v8
	v_cndmask_b32_e32 v8, v8, v12, vcc
	v_cndmask_b32_e32 v1, v5, v1, vcc
	v_mov_b32_e32 v5, 0x3b800000
	v_lshlrev_b32_e32 v1, 20, v1
	v_and_b32_e32 v3, 0x80000000, v3
	v_lshl_add_u32 v5, v8, 23, v5
	v_or3_b32 v1, v3, v5, v1
	v_cvt_f64_f32_e32 v[12:13], v1
.LBB87_1392:
	s_or_b64 exec, exec, s[16:17]
.LBB87_1393:
	s_mov_b64 s[14:15], -1
.LBB87_1394:
	s_branch .LBB87_1425
.LBB87_1395:
	s_cmp_gt_i32 s20, 22
	s_cbranch_scc0 .LBB87_1407
; %bb.1396:
	s_cmp_lt_i32 s20, 24
	s_cbranch_scc1 .LBB87_1408
; %bb.1397:
	s_cmp_gt_i32 s20, 24
	s_cbranch_scc0 .LBB87_1409
; %bb.1398:
	global_load_ubyte v1, v[10:11], off
	s_movk_i32 s12, 0x7f
	s_waitcnt vmcnt(0)
	v_cmp_lt_i16_e32 vcc, s12, v1
	s_mov_b64 s[12:13], 0
	s_and_saveexec_b64 s[14:15], vcc
	s_xor_b64 s[14:15], exec, s[14:15]
	s_cbranch_execz .LBB87_1402
; %bb.1399:
	s_movk_i32 s12, 0x80
	v_cmp_eq_u16_e32 vcc, s12, v1
	s_mov_b64 s[12:13], -1
	s_and_saveexec_b64 s[16:17], vcc
; %bb.1400:
	s_xor_b64 s[12:13], exec, -1
; %bb.1401:
	s_or_b64 exec, exec, s[16:17]
	s_and_b64 s[12:13], s[12:13], exec
.LBB87_1402:
	s_or_saveexec_b64 s[14:15], s[14:15]
	v_bfrev_b32_e32 v12, 4
	v_mov_b32_e32 v13, 0x7ff80000
	s_xor_b64 exec, exec, s[14:15]
; %bb.1403:
	v_cmp_ne_u16_e32 vcc, 0, v1
	v_mov_b32_e32 v12, 0
	s_andn2_b64 s[12:13], s[12:13], exec
	s_and_b64 s[16:17], vcc, exec
	v_mov_b32_e32 v13, 0
	s_or_b64 s[12:13], s[12:13], s[16:17]
; %bb.1404:
	s_or_b64 exec, exec, s[14:15]
	s_and_saveexec_b64 s[14:15], s[12:13]
	s_cbranch_execz .LBB87_1406
; %bb.1405:
	v_lshlrev_b32_e32 v3, 24, v1
	v_and_b32_e32 v1, 0xffff, v1
	v_and_b32_e32 v5, 3, v1
	v_ffbh_u32_e32 v12, v5
	v_min_u32_e32 v12, 32, v12
	v_subrev_u32_e32 v13, 29, v12
	v_bfe_u32 v8, v1, 2, 5
	v_lshlrev_b32_e32 v1, v13, v1
	v_sub_u32_e32 v12, 30, v12
	v_and_b32_e32 v1, 3, v1
	v_cmp_eq_u32_e32 vcc, 0, v8
	v_cndmask_b32_e32 v8, v8, v12, vcc
	v_cndmask_b32_e32 v1, v5, v1, vcc
	v_mov_b32_e32 v5, 0x37800000
	v_lshlrev_b32_e32 v1, 21, v1
	v_and_b32_e32 v3, 0x80000000, v3
	v_lshl_add_u32 v5, v8, 23, v5
	v_or3_b32 v1, v3, v5, v1
	v_cvt_f64_f32_e32 v[12:13], v1
.LBB87_1406:
	s_or_b64 exec, exec, s[14:15]
	s_mov_b64 s[12:13], 0
	s_branch .LBB87_1410
.LBB87_1407:
	s_mov_b64 s[12:13], -1
                                        ; implicit-def: $vgpr12_vgpr13
	s_branch .LBB87_1416
.LBB87_1408:
	s_mov_b64 s[12:13], -1
                                        ; implicit-def: $vgpr12_vgpr13
	s_branch .LBB87_1413
.LBB87_1409:
	s_mov_b64 s[12:13], -1
                                        ; implicit-def: $vgpr12_vgpr13
.LBB87_1410:
	s_and_b64 vcc, exec, s[12:13]
	s_cbranch_vccz .LBB87_1412
; %bb.1411:
	global_load_ubyte v1, v[10:11], off
	s_mov_b32 s12, 0x7f800000
	s_waitcnt vmcnt(0)
	v_lshlrev_b32_e32 v1, 24, v1
	v_and_b32_e32 v3, 0x7f000000, v1
	v_ffbh_u32_e32 v5, v3
	v_min_u32_e32 v5, 32, v5
	v_sub_u32_e64 v5, v5, 4 clamp
	v_lshlrev_b32_e32 v12, v5, v3
	v_lshlrev_b32_e32 v5, 23, v5
	v_lshrrev_b32_e32 v12, 4, v12
	v_add_u32_e32 v8, 0x1000000, v3
	v_sub_u32_e32 v5, v12, v5
	v_ashrrev_i32_e32 v8, 8, v8
	v_add_u32_e32 v5, 0x3c000000, v5
	v_and_or_b32 v5, v8, s12, v5
	v_cmp_ne_u32_e32 vcc, 0, v3
	v_cndmask_b32_e32 v3, 0, v5, vcc
	s_brev_b32 s12, 1
	v_and_or_b32 v1, v1, s12, v3
	v_cvt_f64_f32_e32 v[12:13], v1
.LBB87_1412:
	s_mov_b64 s[12:13], 0
.LBB87_1413:
	s_andn2_b64 vcc, exec, s[12:13]
	s_cbranch_vccnz .LBB87_1415
; %bb.1414:
	global_load_ubyte v1, v[10:11], off
	s_movk_i32 s12, 0x7f00
	s_brev_b32 s13, 16
	s_waitcnt vmcnt(0)
	v_lshlrev_b16_e32 v3, 8, v1
	v_lshlrev_b32_e32 v1, 25, v1
	v_lshrrev_b32_e32 v5, 4, v1
	v_and_or_b32 v8, v3, s12, 0.5
	v_or_b32_e32 v5, 0x70000000, v5
	v_add_f32_e32 v8, -0.5, v8
	v_mul_f32_e32 v5, 0x7800000, v5
	v_cmp_gt_u32_e32 vcc, s13, v1
	v_bfe_i32 v3, v3, 0, 16
	v_cndmask_b32_e32 v1, v5, v8, vcc
	s_brev_b32 s12, 1
	v_and_or_b32 v1, v3, s12, v1
	v_cvt_f64_f32_e32 v[12:13], v1
.LBB87_1415:
	s_mov_b64 s[12:13], 0
	s_mov_b64 s[14:15], -1
.LBB87_1416:
	s_andn2_b64 vcc, exec, s[12:13]
	s_mov_b64 s[12:13], 0
	s_cbranch_vccnz .LBB87_1425
; %bb.1417:
	s_cmp_gt_i32 s20, 14
	s_cbranch_scc0 .LBB87_1420
; %bb.1418:
	s_cmp_eq_u32 s20, 15
	s_cbranch_scc0 .LBB87_1421
; %bb.1419:
	global_load_ushort v1, v[10:11], off
	s_mov_b64 s[6:7], 0
	s_mov_b64 s[14:15], -1
	s_waitcnt vmcnt(0)
	v_lshlrev_b32_e32 v1, 16, v1
	v_cvt_f64_f32_e32 v[12:13], v1
	s_branch .LBB87_1422
.LBB87_1420:
	s_mov_b64 s[16:17], -1
                                        ; implicit-def: $vgpr12_vgpr13
	s_branch .LBB87_1423
.LBB87_1421:
	s_mov_b64 s[6:7], -1
                                        ; implicit-def: $vgpr12_vgpr13
.LBB87_1422:
	s_mov_b64 s[16:17], 0
.LBB87_1423:
	s_and_b64 vcc, exec, s[16:17]
	s_cbranch_vccz .LBB87_1425
; %bb.1424:
	s_cmp_lg_u32 s20, 11
	s_mov_b64 s[12:13], -1
	s_cselect_b64 s[6:7], -1, 0
.LBB87_1425:
	s_and_b64 vcc, exec, s[6:7]
	s_cbranch_vccnz .LBB87_1504
; %bb.1426:
	s_andn2_b64 vcc, exec, s[12:13]
	s_cbranch_vccnz .LBB87_1428
.LBB87_1427:
	global_load_ubyte v1, v[10:11], off
	s_waitcnt vmcnt(1)
	v_mov_b32_e32 v3, 0x3ff00000
	v_mov_b32_e32 v12, 0
	s_mov_b64 s[14:15], -1
	s_waitcnt vmcnt(0)
	v_cmp_ne_u16_e32 vcc, 0, v1
	v_cndmask_b32_e32 v13, 0, v3, vcc
.LBB87_1428:
	s_branch .LBB87_1355
.LBB87_1429:
	s_and_b32 s12, 0xffff, s23
	s_cmp_lt_i32 s12, 5
	s_cbranch_scc1 .LBB87_1434
; %bb.1430:
	s_cmp_lt_i32 s12, 8
	s_cbranch_scc1 .LBB87_1435
; %bb.1431:
	;; [unrolled: 3-line block ×3, first 2 shown]
	s_cmp_gt_i32 s12, 9
	s_cbranch_scc0 .LBB87_1437
; %bb.1433:
	global_load_dwordx2 v[12:13], v[10:11], off
	s_mov_b64 s[6:7], 0
	s_branch .LBB87_1438
.LBB87_1434:
                                        ; implicit-def: $vgpr12_vgpr13
	s_branch .LBB87_1456
.LBB87_1435:
	s_mov_b64 s[6:7], -1
                                        ; implicit-def: $vgpr12_vgpr13
	s_branch .LBB87_1444
.LBB87_1436:
	s_mov_b64 s[6:7], -1
                                        ; implicit-def: $vgpr12_vgpr13
	s_branch .LBB87_1441
.LBB87_1437:
	s_mov_b64 s[6:7], -1
                                        ; implicit-def: $vgpr12_vgpr13
.LBB87_1438:
	s_andn2_b64 vcc, exec, s[6:7]
	s_cbranch_vccnz .LBB87_1440
; %bb.1439:
	global_load_dword v1, v[10:11], off
	s_waitcnt vmcnt(0)
	v_cvt_f64_f32_e32 v[12:13], v1
.LBB87_1440:
	s_mov_b64 s[6:7], 0
.LBB87_1441:
	s_andn2_b64 vcc, exec, s[6:7]
	s_cbranch_vccnz .LBB87_1443
; %bb.1442:
	global_load_dword v1, v[10:11], off
	s_waitcnt vmcnt(0)
	v_cvt_f32_f16_e32 v1, v1
	v_cvt_f64_f32_e32 v[12:13], v1
.LBB87_1443:
	s_mov_b64 s[6:7], 0
.LBB87_1444:
	s_andn2_b64 vcc, exec, s[6:7]
	s_cbranch_vccnz .LBB87_1455
; %bb.1445:
	s_cmp_lt_i32 s12, 6
	s_cbranch_scc1 .LBB87_1448
; %bb.1446:
	s_cmp_gt_i32 s12, 6
	s_cbranch_scc0 .LBB87_1449
; %bb.1447:
	global_load_dwordx2 v[12:13], v[10:11], off
	s_mov_b64 s[6:7], 0
	s_branch .LBB87_1450
.LBB87_1448:
	s_mov_b64 s[6:7], -1
                                        ; implicit-def: $vgpr12_vgpr13
	s_branch .LBB87_1453
.LBB87_1449:
	s_mov_b64 s[6:7], -1
                                        ; implicit-def: $vgpr12_vgpr13
.LBB87_1450:
	s_andn2_b64 vcc, exec, s[6:7]
	s_cbranch_vccnz .LBB87_1452
; %bb.1451:
	global_load_dword v1, v[10:11], off
	s_waitcnt vmcnt(0)
	v_cvt_f64_f32_e32 v[12:13], v1
.LBB87_1452:
	s_mov_b64 s[6:7], 0
.LBB87_1453:
	s_andn2_b64 vcc, exec, s[6:7]
	s_cbranch_vccnz .LBB87_1455
; %bb.1454:
	global_load_ushort v1, v[10:11], off
	s_waitcnt vmcnt(0)
	v_cvt_f32_f16_e32 v1, v1
	v_cvt_f64_f32_e32 v[12:13], v1
.LBB87_1455:
	s_cbranch_execnz .LBB87_1475
.LBB87_1456:
	s_cmp_lt_i32 s12, 2
	s_cbranch_scc1 .LBB87_1460
; %bb.1457:
	s_cmp_lt_i32 s12, 3
	s_cbranch_scc1 .LBB87_1461
; %bb.1458:
	s_cmp_gt_i32 s12, 3
	s_cbranch_scc0 .LBB87_1462
; %bb.1459:
	global_load_dwordx2 v[12:13], v[10:11], off
	s_mov_b64 s[6:7], 0
	s_waitcnt vmcnt(0)
	v_cvt_f64_i32_e32 v[13:14], v13
	v_cvt_f64_u32_e32 v[15:16], v12
	v_ldexp_f64 v[13:14], v[13:14], 32
	v_add_f64 v[12:13], v[13:14], v[15:16]
	s_branch .LBB87_1463
.LBB87_1460:
	s_mov_b64 s[6:7], -1
                                        ; implicit-def: $vgpr12_vgpr13
	s_branch .LBB87_1469
.LBB87_1461:
	s_mov_b64 s[6:7], -1
                                        ; implicit-def: $vgpr12_vgpr13
	s_branch .LBB87_1466
.LBB87_1462:
	s_mov_b64 s[6:7], -1
                                        ; implicit-def: $vgpr12_vgpr13
.LBB87_1463:
	s_andn2_b64 vcc, exec, s[6:7]
	s_cbranch_vccnz .LBB87_1465
; %bb.1464:
	global_load_dword v1, v[10:11], off
	s_waitcnt vmcnt(0)
	v_cvt_f64_i32_e32 v[12:13], v1
.LBB87_1465:
	s_mov_b64 s[6:7], 0
.LBB87_1466:
	s_andn2_b64 vcc, exec, s[6:7]
	s_cbranch_vccnz .LBB87_1468
; %bb.1467:
	global_load_sshort v1, v[10:11], off
	s_waitcnt vmcnt(0)
	v_cvt_f64_i32_e32 v[12:13], v1
.LBB87_1468:
	s_mov_b64 s[6:7], 0
.LBB87_1469:
	s_andn2_b64 vcc, exec, s[6:7]
	s_cbranch_vccnz .LBB87_1475
; %bb.1470:
	s_cmp_gt_i32 s12, 0
	s_cbranch_scc0 .LBB87_1472
; %bb.1471:
	global_load_sbyte v1, v[10:11], off
	s_mov_b64 s[6:7], 0
	s_waitcnt vmcnt(0)
	v_cvt_f64_i32_e32 v[12:13], v1
	s_branch .LBB87_1473
.LBB87_1472:
	s_mov_b64 s[6:7], -1
                                        ; implicit-def: $vgpr12_vgpr13
.LBB87_1473:
	s_andn2_b64 vcc, exec, s[6:7]
	s_cbranch_vccnz .LBB87_1475
; %bb.1474:
	global_load_ubyte v1, v[10:11], off
	s_waitcnt vmcnt(0)
	v_cvt_f64_u32_e32 v[12:13], v1
.LBB87_1475:
.LBB87_1476:
	s_cmp_lt_i32 s22, 1
	s_mov_b64 s[12:13], 0
	s_cbranch_scc1 .LBB87_1480
; %bb.1477:
	s_cmp_gt_i32 s22, 1
	s_cbranch_scc0 .LBB87_1481
; %bb.1478:
	s_cmp_eq_u32 s22, 2
	s_cbranch_scc0 .LBB87_1482
; %bb.1479:
	s_waitcnt vmcnt(0)
	v_cmp_ge_f64_e64 s[6:7], s[0:1], v[12:13]
	s_mov_b64 s[14:15], 0
	s_branch .LBB87_1483
.LBB87_1480:
                                        ; implicit-def: $sgpr6_sgpr7
	s_mov_b64 s[14:15], 0
	s_cbranch_execnz .LBB87_1487
	s_branch .LBB87_1488
.LBB87_1481:
	s_mov_b64 s[16:17], -1
	s_mov_b64 s[14:15], 0
                                        ; implicit-def: $sgpr6_sgpr7
	s_branch .LBB87_1484
.LBB87_1482:
	s_mov_b64 s[14:15], -1
                                        ; implicit-def: $sgpr6_sgpr7
.LBB87_1483:
	s_mov_b64 s[16:17], 0
.LBB87_1484:
	s_and_b64 vcc, exec, s[16:17]
	s_cbranch_vccz .LBB87_1486
; %bb.1485:
	s_waitcnt vmcnt(0)
	v_cmp_lt_f64_e32 vcc, s[0:1], v[12:13]
	s_andn2_b64 s[6:7], s[6:7], exec
	s_and_b64 s[16:17], vcc, exec
	s_or_b64 s[6:7], s[6:7], s[16:17]
.LBB87_1486:
	s_branch .LBB87_1488
.LBB87_1487:
	s_cmp_lg_u32 s22, 0
	s_mov_b64 s[12:13], -1
	s_cselect_b64 s[14:15], -1, 0
.LBB87_1488:
	s_andn2_b64 vcc, exec, s[14:15]
	s_cbranch_vccnz .LBB87_1490
; %bb.1489:
	s_waitcnt vmcnt(0)
	v_cmp_gt_f64_e32 vcc, s[0:1], v[12:13]
	s_andn2_b64 s[6:7], s[6:7], exec
	s_and_b64 s[14:15], vcc, exec
	s_or_b64 s[6:7], s[6:7], s[14:15]
	s_cbranch_execz .LBB87_1491
	s_branch .LBB87_1492
.LBB87_1490:
	s_andn2_b64 vcc, exec, s[12:13]
	s_cbranch_vccnz .LBB87_1492
.LBB87_1491:
	s_waitcnt vmcnt(0)
	v_cmp_le_f64_e32 vcc, s[0:1], v[12:13]
	s_andn2_b64 s[6:7], s[6:7], exec
	s_and_b64 s[12:13], vcc, exec
	s_or_b64 s[6:7], s[6:7], s[12:13]
.LBB87_1492:
	v_mov_b32_e32 v1, s11
	v_add_co_u32_e32 v8, vcc, s10, v9
	s_cmp_lt_i32 s23, 11
	v_addc_co_u32_e32 v9, vcc, 0, v1, vcc
	s_cbranch_scc1 .LBB87_1499
; %bb.1493:
	s_and_b32 s24, 0xffff, s23
	s_cmp_gt_i32 s24, 25
	s_mov_b64 s[14:15], 0
	s_cbranch_scc0 .LBB87_1501
; %bb.1494:
	s_cmp_gt_i32 s24, 28
	s_cbranch_scc0 .LBB87_1502
; %bb.1495:
	s_cmp_gt_i32 s24, 43
	;; [unrolled: 3-line block ×3, first 2 shown]
	s_cbranch_scc0 .LBB87_1505
; %bb.1497:
	s_cmp_eq_u32 s24, 46
	s_mov_b64 s[18:19], 0
	s_cbranch_scc0 .LBB87_1506
; %bb.1498:
	global_load_dword v1, v[8:9], off
	s_mov_b64 s[12:13], 0
	s_mov_b64 s[16:17], -1
	s_waitcnt vmcnt(0)
	v_lshlrev_b32_e32 v1, 16, v1
	v_cvt_f64_f32_e32 v[10:11], v1
	s_branch .LBB87_1507
.LBB87_1499:
	s_mov_b64 s[16:17], 0
                                        ; implicit-def: $vgpr10_vgpr11
	s_cbranch_execnz .LBB87_1573
.LBB87_1500:
	s_andn2_b64 vcc, exec, s[16:17]
	s_cbranch_vccnz .LBB87_1771
	s_branch .LBB87_1621
.LBB87_1501:
	s_mov_b64 s[18:19], -1
	s_mov_b64 s[16:17], 0
	s_mov_b64 s[12:13], 0
                                        ; implicit-def: $vgpr10_vgpr11
	s_branch .LBB87_1538
.LBB87_1502:
	s_mov_b64 s[18:19], -1
	s_mov_b64 s[16:17], 0
	s_mov_b64 s[12:13], 0
                                        ; implicit-def: $vgpr10_vgpr11
	s_branch .LBB87_1517
.LBB87_1503:
	s_mov_b64 s[18:19], -1
	s_mov_b64 s[16:17], 0
	s_mov_b64 s[12:13], 0
                                        ; implicit-def: $vgpr10_vgpr11
	s_branch .LBB87_1512
.LBB87_1504:
	s_trap 2
	s_or_b64 s[2:3], s[2:3], exec
	s_cbranch_execz .LBB87_1427
	s_branch .LBB87_1428
.LBB87_1505:
	s_mov_b64 s[18:19], -1
	s_mov_b64 s[16:17], 0
	s_mov_b64 s[12:13], 0
                                        ; implicit-def: $vgpr10_vgpr11
	s_branch .LBB87_1507
.LBB87_1506:
	s_mov_b64 s[12:13], -1
                                        ; implicit-def: $vgpr10_vgpr11
	s_mov_b64 s[16:17], 0
.LBB87_1507:
	s_and_b64 vcc, exec, s[18:19]
	s_cbranch_vccz .LBB87_1511
; %bb.1508:
	s_cmp_eq_u32 s24, 44
	s_cbranch_scc0 .LBB87_1510
; %bb.1509:
	global_load_ubyte v1, v[8:9], off
	s_movk_i32 s16, 0xff
	s_waitcnt vmcnt(1)
	v_bfrev_b32_e32 v3, 4
	v_mov_b32_e32 v5, 0x7ff80000
	v_bfrev_b32_e32 v12, 28
	s_mov_b64 s[12:13], 0
	s_waitcnt vmcnt(0)
	v_lshlrev_b32_e32 v10, 23, v1
	v_cvt_f64_f32_e32 v[10:11], v10
	v_cmp_ne_u32_e32 vcc, s16, v1
	s_mov_b64 s[16:17], -1
	v_cndmask_b32_e32 v3, v3, v10, vcc
	v_cndmask_b32_e32 v5, v5, v11, vcc
	v_cmp_ne_u32_e32 vcc, 0, v1
	v_cndmask_b32_e32 v11, v12, v5, vcc
	v_cndmask_b32_e32 v10, 0, v3, vcc
	s_branch .LBB87_1511
.LBB87_1510:
	s_mov_b64 s[12:13], -1
                                        ; implicit-def: $vgpr10_vgpr11
.LBB87_1511:
	s_mov_b64 s[18:19], 0
.LBB87_1512:
	s_and_b64 vcc, exec, s[18:19]
	s_cbranch_vccz .LBB87_1516
; %bb.1513:
	s_cmp_eq_u32 s24, 29
	s_cbranch_scc0 .LBB87_1515
; %bb.1514:
	global_load_dwordx2 v[10:11], v[8:9], off
	s_mov_b64 s[12:13], 0
	s_mov_b64 s[16:17], -1
	s_mov_b64 s[18:19], 0
	s_waitcnt vmcnt(0)
	v_cvt_f64_u32_e32 v[11:12], v11
	v_cvt_f64_u32_e32 v[13:14], v10
	v_ldexp_f64 v[11:12], v[11:12], 32
	v_add_f64 v[10:11], v[11:12], v[13:14]
	s_branch .LBB87_1517
.LBB87_1515:
	s_mov_b64 s[12:13], -1
                                        ; implicit-def: $vgpr10_vgpr11
.LBB87_1516:
	s_mov_b64 s[18:19], 0
.LBB87_1517:
	s_and_b64 vcc, exec, s[18:19]
	s_cbranch_vccz .LBB87_1537
; %bb.1518:
	s_cmp_lt_i32 s24, 27
	s_cbranch_scc1 .LBB87_1521
; %bb.1519:
	s_cmp_gt_i32 s24, 27
	s_cbranch_scc0 .LBB87_1522
; %bb.1520:
	global_load_dword v1, v[8:9], off
	s_mov_b64 s[16:17], 0
	s_waitcnt vmcnt(0)
	v_cvt_f64_u32_e32 v[10:11], v1
	s_branch .LBB87_1523
.LBB87_1521:
	s_mov_b64 s[16:17], -1
                                        ; implicit-def: $vgpr10_vgpr11
	s_branch .LBB87_1526
.LBB87_1522:
	s_mov_b64 s[16:17], -1
                                        ; implicit-def: $vgpr10_vgpr11
.LBB87_1523:
	s_andn2_b64 vcc, exec, s[16:17]
	s_cbranch_vccnz .LBB87_1525
; %bb.1524:
	global_load_ushort v1, v[8:9], off
	s_waitcnt vmcnt(0)
	v_cvt_f64_u32_e32 v[10:11], v1
.LBB87_1525:
	s_mov_b64 s[16:17], 0
.LBB87_1526:
	s_andn2_b64 vcc, exec, s[16:17]
	s_cbranch_vccnz .LBB87_1536
; %bb.1527:
	global_load_ubyte v1, v[8:9], off
	s_movk_i32 s16, 0x7f
	s_waitcnt vmcnt(0)
	v_cmp_lt_i16_e32 vcc, s16, v1
	s_mov_b64 s[16:17], 0
	s_and_saveexec_b64 s[18:19], vcc
	s_xor_b64 s[18:19], exec, s[18:19]
	s_cbranch_execz .LBB87_1531
; %bb.1528:
	s_movk_i32 s16, 0x80
	v_cmp_eq_u16_e32 vcc, s16, v1
	s_mov_b64 s[16:17], -1
	s_and_saveexec_b64 s[20:21], vcc
; %bb.1529:
	s_xor_b64 s[16:17], exec, -1
; %bb.1530:
	s_or_b64 exec, exec, s[20:21]
	s_and_b64 s[16:17], s[16:17], exec
.LBB87_1531:
	s_or_saveexec_b64 s[18:19], s[18:19]
	v_bfrev_b32_e32 v10, 4
	v_mov_b32_e32 v11, 0x7ff80000
	s_xor_b64 exec, exec, s[18:19]
; %bb.1532:
	v_cmp_ne_u16_e32 vcc, 0, v1
	v_mov_b32_e32 v10, 0
	s_andn2_b64 s[16:17], s[16:17], exec
	s_and_b64 s[20:21], vcc, exec
	v_mov_b32_e32 v11, 0
	s_or_b64 s[16:17], s[16:17], s[20:21]
; %bb.1533:
	s_or_b64 exec, exec, s[18:19]
	s_and_saveexec_b64 s[18:19], s[16:17]
	s_cbranch_execz .LBB87_1535
; %bb.1534:
	v_lshlrev_b32_e32 v3, 24, v1
	v_and_b32_e32 v1, 0xffff, v1
	v_and_b32_e32 v5, 7, v1
	v_ffbh_u32_e32 v11, v5
	v_min_u32_e32 v11, 32, v11
	v_subrev_u32_e32 v12, 28, v11
	v_bfe_u32 v10, v1, 3, 4
	v_lshlrev_b32_e32 v1, v12, v1
	v_sub_u32_e32 v11, 29, v11
	v_and_b32_e32 v1, 7, v1
	v_cmp_eq_u32_e32 vcc, 0, v10
	v_cndmask_b32_e32 v10, v10, v11, vcc
	v_cndmask_b32_e32 v1, v5, v1, vcc
	v_mov_b32_e32 v5, 0x3b800000
	v_lshlrev_b32_e32 v1, 20, v1
	v_and_b32_e32 v3, 0x80000000, v3
	v_lshl_add_u32 v5, v10, 23, v5
	v_or3_b32 v1, v3, v5, v1
	v_cvt_f64_f32_e32 v[10:11], v1
.LBB87_1535:
	s_or_b64 exec, exec, s[18:19]
.LBB87_1536:
	s_mov_b64 s[16:17], -1
.LBB87_1537:
	s_mov_b64 s[18:19], 0
.LBB87_1538:
	s_and_b64 vcc, exec, s[18:19]
	s_cbranch_vccz .LBB87_1569
; %bb.1539:
	s_cmp_gt_i32 s24, 22
	s_cbranch_scc0 .LBB87_1551
; %bb.1540:
	s_cmp_lt_i32 s24, 24
	s_cbranch_scc1 .LBB87_1552
; %bb.1541:
	s_cmp_gt_i32 s24, 24
	s_cbranch_scc0 .LBB87_1553
; %bb.1542:
	global_load_ubyte v1, v[8:9], off
	s_movk_i32 s14, 0x7f
	s_waitcnt vmcnt(0)
	v_cmp_lt_i16_e32 vcc, s14, v1
	s_mov_b64 s[14:15], 0
	s_and_saveexec_b64 s[16:17], vcc
	s_xor_b64 s[16:17], exec, s[16:17]
	s_cbranch_execz .LBB87_1546
; %bb.1543:
	s_movk_i32 s14, 0x80
	v_cmp_eq_u16_e32 vcc, s14, v1
	s_mov_b64 s[14:15], -1
	s_and_saveexec_b64 s[18:19], vcc
; %bb.1544:
	s_xor_b64 s[14:15], exec, -1
; %bb.1545:
	s_or_b64 exec, exec, s[18:19]
	s_and_b64 s[14:15], s[14:15], exec
.LBB87_1546:
	s_or_saveexec_b64 s[16:17], s[16:17]
	v_bfrev_b32_e32 v10, 4
	v_mov_b32_e32 v11, 0x7ff80000
	s_xor_b64 exec, exec, s[16:17]
; %bb.1547:
	v_cmp_ne_u16_e32 vcc, 0, v1
	v_mov_b32_e32 v10, 0
	s_andn2_b64 s[14:15], s[14:15], exec
	s_and_b64 s[18:19], vcc, exec
	v_mov_b32_e32 v11, 0
	s_or_b64 s[14:15], s[14:15], s[18:19]
; %bb.1548:
	s_or_b64 exec, exec, s[16:17]
	s_and_saveexec_b64 s[16:17], s[14:15]
	s_cbranch_execz .LBB87_1550
; %bb.1549:
	v_lshlrev_b32_e32 v3, 24, v1
	v_and_b32_e32 v1, 0xffff, v1
	v_and_b32_e32 v5, 3, v1
	v_ffbh_u32_e32 v11, v5
	v_min_u32_e32 v11, 32, v11
	v_subrev_u32_e32 v12, 29, v11
	v_bfe_u32 v10, v1, 2, 5
	v_lshlrev_b32_e32 v1, v12, v1
	v_sub_u32_e32 v11, 30, v11
	v_and_b32_e32 v1, 3, v1
	v_cmp_eq_u32_e32 vcc, 0, v10
	v_cndmask_b32_e32 v10, v10, v11, vcc
	v_cndmask_b32_e32 v1, v5, v1, vcc
	v_mov_b32_e32 v5, 0x37800000
	v_lshlrev_b32_e32 v1, 21, v1
	v_and_b32_e32 v3, 0x80000000, v3
	v_lshl_add_u32 v5, v10, 23, v5
	v_or3_b32 v1, v3, v5, v1
	v_cvt_f64_f32_e32 v[10:11], v1
.LBB87_1550:
	s_or_b64 exec, exec, s[16:17]
	s_mov_b64 s[14:15], 0
	s_branch .LBB87_1554
.LBB87_1551:
	s_mov_b64 s[14:15], -1
                                        ; implicit-def: $vgpr10_vgpr11
	s_branch .LBB87_1560
.LBB87_1552:
	s_mov_b64 s[14:15], -1
                                        ; implicit-def: $vgpr10_vgpr11
	s_branch .LBB87_1557
.LBB87_1553:
	s_mov_b64 s[14:15], -1
                                        ; implicit-def: $vgpr10_vgpr11
.LBB87_1554:
	s_and_b64 vcc, exec, s[14:15]
	s_cbranch_vccz .LBB87_1556
; %bb.1555:
	global_load_ubyte v1, v[8:9], off
	s_mov_b32 s14, 0x7f800000
	s_waitcnt vmcnt(0)
	v_lshlrev_b32_e32 v1, 24, v1
	v_and_b32_e32 v3, 0x7f000000, v1
	v_ffbh_u32_e32 v5, v3
	v_min_u32_e32 v5, 32, v5
	v_sub_u32_e64 v5, v5, 4 clamp
	v_lshlrev_b32_e32 v11, v5, v3
	v_lshlrev_b32_e32 v5, 23, v5
	v_lshrrev_b32_e32 v11, 4, v11
	v_add_u32_e32 v10, 0x1000000, v3
	v_sub_u32_e32 v5, v11, v5
	v_ashrrev_i32_e32 v10, 8, v10
	v_add_u32_e32 v5, 0x3c000000, v5
	v_and_or_b32 v5, v10, s14, v5
	v_cmp_ne_u32_e32 vcc, 0, v3
	v_cndmask_b32_e32 v3, 0, v5, vcc
	s_brev_b32 s14, 1
	v_and_or_b32 v1, v1, s14, v3
	v_cvt_f64_f32_e32 v[10:11], v1
.LBB87_1556:
	s_mov_b64 s[14:15], 0
.LBB87_1557:
	s_andn2_b64 vcc, exec, s[14:15]
	s_cbranch_vccnz .LBB87_1559
; %bb.1558:
	global_load_ubyte v1, v[8:9], off
	s_movk_i32 s14, 0x7f00
	s_brev_b32 s15, 16
	s_waitcnt vmcnt(0)
	v_lshlrev_b16_e32 v3, 8, v1
	v_lshlrev_b32_e32 v1, 25, v1
	v_lshrrev_b32_e32 v5, 4, v1
	v_and_or_b32 v10, v3, s14, 0.5
	v_or_b32_e32 v5, 0x70000000, v5
	v_add_f32_e32 v10, -0.5, v10
	v_mul_f32_e32 v5, 0x7800000, v5
	v_cmp_gt_u32_e32 vcc, s15, v1
	v_bfe_i32 v3, v3, 0, 16
	v_cndmask_b32_e32 v1, v5, v10, vcc
	s_brev_b32 s14, 1
	v_and_or_b32 v1, v3, s14, v1
	v_cvt_f64_f32_e32 v[10:11], v1
.LBB87_1559:
	s_mov_b64 s[14:15], 0
	s_mov_b64 s[16:17], -1
.LBB87_1560:
	s_andn2_b64 vcc, exec, s[14:15]
	s_mov_b64 s[14:15], 0
	s_cbranch_vccnz .LBB87_1569
; %bb.1561:
	s_cmp_gt_i32 s24, 14
	s_cbranch_scc0 .LBB87_1564
; %bb.1562:
	s_cmp_eq_u32 s24, 15
	s_cbranch_scc0 .LBB87_1565
; %bb.1563:
	global_load_ushort v1, v[8:9], off
	s_mov_b64 s[12:13], 0
	s_mov_b64 s[16:17], -1
	s_waitcnt vmcnt(0)
	v_lshlrev_b32_e32 v1, 16, v1
	v_cvt_f64_f32_e32 v[10:11], v1
	s_branch .LBB87_1566
.LBB87_1564:
	s_mov_b64 s[18:19], -1
                                        ; implicit-def: $vgpr10_vgpr11
	s_branch .LBB87_1567
.LBB87_1565:
	s_mov_b64 s[12:13], -1
                                        ; implicit-def: $vgpr10_vgpr11
.LBB87_1566:
	s_mov_b64 s[18:19], 0
.LBB87_1567:
	s_and_b64 vcc, exec, s[18:19]
	s_cbranch_vccz .LBB87_1569
; %bb.1568:
	s_cmp_lg_u32 s24, 11
	s_mov_b64 s[14:15], -1
	s_cselect_b64 s[12:13], -1, 0
.LBB87_1569:
	s_and_b64 vcc, exec, s[12:13]
	s_cbranch_vccnz .LBB87_1648
; %bb.1570:
	s_andn2_b64 vcc, exec, s[14:15]
	s_cbranch_vccnz .LBB87_1572
.LBB87_1571:
	global_load_ubyte v1, v[8:9], off
	s_waitcnt vmcnt(1)
	v_mov_b32_e32 v3, 0x3ff00000
	v_mov_b32_e32 v10, 0
	s_mov_b64 s[16:17], -1
	s_waitcnt vmcnt(0)
	v_cmp_ne_u16_e32 vcc, 0, v1
	v_cndmask_b32_e32 v11, 0, v3, vcc
.LBB87_1572:
	s_branch .LBB87_1500
.LBB87_1573:
	s_and_b32 s14, 0xffff, s23
	s_cmp_lt_i32 s14, 5
	s_cbranch_scc1 .LBB87_1578
; %bb.1574:
	s_cmp_lt_i32 s14, 8
	s_cbranch_scc1 .LBB87_1579
; %bb.1575:
	;; [unrolled: 3-line block ×3, first 2 shown]
	s_cmp_gt_i32 s14, 9
	s_cbranch_scc0 .LBB87_1581
; %bb.1577:
	global_load_dwordx2 v[10:11], v[8:9], off
	s_mov_b64 s[12:13], 0
	s_branch .LBB87_1582
.LBB87_1578:
	s_mov_b64 s[12:13], -1
                                        ; implicit-def: $vgpr10_vgpr11
	s_branch .LBB87_1600
.LBB87_1579:
	s_mov_b64 s[12:13], -1
                                        ; implicit-def: $vgpr10_vgpr11
	s_branch .LBB87_1588
.LBB87_1580:
	s_mov_b64 s[12:13], -1
                                        ; implicit-def: $vgpr10_vgpr11
	s_branch .LBB87_1585
.LBB87_1581:
	s_mov_b64 s[12:13], -1
                                        ; implicit-def: $vgpr10_vgpr11
.LBB87_1582:
	s_andn2_b64 vcc, exec, s[12:13]
	s_cbranch_vccnz .LBB87_1584
; %bb.1583:
	global_load_dword v1, v[8:9], off
	s_waitcnt vmcnt(0)
	v_cvt_f64_f32_e32 v[10:11], v1
.LBB87_1584:
	s_mov_b64 s[12:13], 0
.LBB87_1585:
	s_andn2_b64 vcc, exec, s[12:13]
	s_cbranch_vccnz .LBB87_1587
; %bb.1586:
	global_load_dword v1, v[8:9], off
	s_waitcnt vmcnt(0)
	v_cvt_f32_f16_e32 v1, v1
	v_cvt_f64_f32_e32 v[10:11], v1
.LBB87_1587:
	s_mov_b64 s[12:13], 0
.LBB87_1588:
	s_andn2_b64 vcc, exec, s[12:13]
	s_cbranch_vccnz .LBB87_1599
; %bb.1589:
	s_cmp_lt_i32 s14, 6
	s_cbranch_scc1 .LBB87_1592
; %bb.1590:
	s_cmp_gt_i32 s14, 6
	s_cbranch_scc0 .LBB87_1593
; %bb.1591:
	global_load_dwordx2 v[10:11], v[8:9], off
	s_mov_b64 s[12:13], 0
	s_branch .LBB87_1594
.LBB87_1592:
	s_mov_b64 s[12:13], -1
                                        ; implicit-def: $vgpr10_vgpr11
	s_branch .LBB87_1597
.LBB87_1593:
	s_mov_b64 s[12:13], -1
                                        ; implicit-def: $vgpr10_vgpr11
.LBB87_1594:
	s_andn2_b64 vcc, exec, s[12:13]
	s_cbranch_vccnz .LBB87_1596
; %bb.1595:
	global_load_dword v1, v[8:9], off
	s_waitcnt vmcnt(0)
	v_cvt_f64_f32_e32 v[10:11], v1
.LBB87_1596:
	s_mov_b64 s[12:13], 0
.LBB87_1597:
	s_andn2_b64 vcc, exec, s[12:13]
	s_cbranch_vccnz .LBB87_1599
; %bb.1598:
	global_load_ushort v1, v[8:9], off
	s_waitcnt vmcnt(0)
	v_cvt_f32_f16_e32 v1, v1
	v_cvt_f64_f32_e32 v[10:11], v1
.LBB87_1599:
	s_mov_b64 s[12:13], 0
.LBB87_1600:
	s_andn2_b64 vcc, exec, s[12:13]
	s_cbranch_vccnz .LBB87_1620
; %bb.1601:
	s_cmp_lt_i32 s14, 2
	s_cbranch_scc1 .LBB87_1605
; %bb.1602:
	s_cmp_lt_i32 s14, 3
	s_cbranch_scc1 .LBB87_1606
; %bb.1603:
	s_cmp_gt_i32 s14, 3
	s_cbranch_scc0 .LBB87_1607
; %bb.1604:
	global_load_dwordx2 v[10:11], v[8:9], off
	s_mov_b64 s[12:13], 0
	s_waitcnt vmcnt(0)
	v_cvt_f64_i32_e32 v[11:12], v11
	v_cvt_f64_u32_e32 v[13:14], v10
	v_ldexp_f64 v[11:12], v[11:12], 32
	v_add_f64 v[10:11], v[11:12], v[13:14]
	s_branch .LBB87_1608
.LBB87_1605:
	s_mov_b64 s[12:13], -1
                                        ; implicit-def: $vgpr10_vgpr11
	s_branch .LBB87_1614
.LBB87_1606:
	s_mov_b64 s[12:13], -1
                                        ; implicit-def: $vgpr10_vgpr11
	s_branch .LBB87_1611
.LBB87_1607:
	s_mov_b64 s[12:13], -1
                                        ; implicit-def: $vgpr10_vgpr11
.LBB87_1608:
	s_andn2_b64 vcc, exec, s[12:13]
	s_cbranch_vccnz .LBB87_1610
; %bb.1609:
	global_load_dword v1, v[8:9], off
	s_waitcnt vmcnt(0)
	v_cvt_f64_i32_e32 v[10:11], v1
.LBB87_1610:
	s_mov_b64 s[12:13], 0
.LBB87_1611:
	s_andn2_b64 vcc, exec, s[12:13]
	s_cbranch_vccnz .LBB87_1613
; %bb.1612:
	global_load_sshort v1, v[8:9], off
	s_waitcnt vmcnt(0)
	v_cvt_f64_i32_e32 v[10:11], v1
.LBB87_1613:
	s_mov_b64 s[12:13], 0
.LBB87_1614:
	s_andn2_b64 vcc, exec, s[12:13]
	s_cbranch_vccnz .LBB87_1620
; %bb.1615:
	s_cmp_gt_i32 s14, 0
	s_cbranch_scc0 .LBB87_1617
; %bb.1616:
	global_load_sbyte v1, v[8:9], off
	s_mov_b64 s[12:13], 0
	s_waitcnt vmcnt(0)
	v_cvt_f64_i32_e32 v[10:11], v1
	s_branch .LBB87_1618
.LBB87_1617:
	s_mov_b64 s[12:13], -1
                                        ; implicit-def: $vgpr10_vgpr11
.LBB87_1618:
	s_andn2_b64 vcc, exec, s[12:13]
	s_cbranch_vccnz .LBB87_1620
; %bb.1619:
	global_load_ubyte v1, v[8:9], off
	s_waitcnt vmcnt(0)
	v_cvt_f64_u32_e32 v[10:11], v1
.LBB87_1620:
.LBB87_1621:
	s_cmp_lt_i32 s22, 1
	s_mov_b64 s[14:15], 0
	s_cbranch_scc1 .LBB87_1625
; %bb.1622:
	s_cmp_gt_i32 s22, 1
	s_cbranch_scc0 .LBB87_1628
; %bb.1623:
	s_cmp_eq_u32 s22, 2
	s_cbranch_scc0 .LBB87_1629
; %bb.1624:
	s_waitcnt vmcnt(0)
	v_cmp_ge_f64_e64 s[12:13], s[0:1], v[10:11]
	s_mov_b64 s[16:17], 0
	s_branch .LBB87_1630
.LBB87_1625:
                                        ; implicit-def: $sgpr12_sgpr13
	s_mov_b64 s[16:17], 0
	s_cbranch_execnz .LBB87_1634
.LBB87_1626:
	s_andn2_b64 vcc, exec, s[16:17]
	s_cbranch_vccnz .LBB87_1635
.LBB87_1627:
	s_waitcnt vmcnt(0)
	v_cmp_gt_f64_e32 vcc, s[0:1], v[10:11]
	s_andn2_b64 s[12:13], s[12:13], exec
	s_and_b64 s[16:17], vcc, exec
	s_or_b64 s[12:13], s[12:13], s[16:17]
	s_cbranch_execz .LBB87_1636
	s_branch .LBB87_1637
.LBB87_1628:
	s_mov_b64 s[18:19], -1
	s_mov_b64 s[16:17], 0
                                        ; implicit-def: $sgpr12_sgpr13
	s_branch .LBB87_1631
.LBB87_1629:
	s_mov_b64 s[16:17], -1
                                        ; implicit-def: $sgpr12_sgpr13
.LBB87_1630:
	s_mov_b64 s[18:19], 0
.LBB87_1631:
	s_and_b64 vcc, exec, s[18:19]
	s_cbranch_vccz .LBB87_1633
; %bb.1632:
	s_waitcnt vmcnt(0)
	v_cmp_lt_f64_e32 vcc, s[0:1], v[10:11]
	s_andn2_b64 s[12:13], s[12:13], exec
	s_and_b64 s[18:19], vcc, exec
	s_or_b64 s[12:13], s[12:13], s[18:19]
.LBB87_1633:
	s_branch .LBB87_1626
.LBB87_1634:
	s_cmp_lg_u32 s22, 0
	s_mov_b64 s[14:15], -1
	s_cselect_b64 s[16:17], -1, 0
	s_andn2_b64 vcc, exec, s[16:17]
	s_cbranch_vccz .LBB87_1627
.LBB87_1635:
	s_andn2_b64 vcc, exec, s[14:15]
	s_cbranch_vccnz .LBB87_1637
.LBB87_1636:
	s_waitcnt vmcnt(0)
	v_cmp_le_f64_e32 vcc, s[0:1], v[10:11]
	s_andn2_b64 s[12:13], s[12:13], exec
	s_and_b64 s[14:15], vcc, exec
	s_or_b64 s[12:13], s[12:13], s[14:15]
.LBB87_1637:
	v_mov_b32_e32 v1, s11
	v_add_co_u32_e32 v7, vcc, s10, v7
	s_cmp_lt_i32 s23, 11
	v_addc_co_u32_e32 v8, vcc, 0, v1, vcc
	s_cbranch_scc1 .LBB87_1644
; %bb.1638:
	s_and_b32 s24, 0xffff, s23
	s_cmp_gt_i32 s24, 25
	s_mov_b64 s[14:15], 0
	s_cbranch_scc0 .LBB87_1645
; %bb.1639:
	s_cmp_gt_i32 s24, 28
	s_cbranch_scc0 .LBB87_1646
; %bb.1640:
	s_cmp_gt_i32 s24, 43
	;; [unrolled: 3-line block ×3, first 2 shown]
	s_cbranch_scc0 .LBB87_1649
; %bb.1642:
	s_cmp_eq_u32 s24, 46
	s_mov_b64 s[18:19], 0
	s_cbranch_scc0 .LBB87_1650
; %bb.1643:
	global_load_dword v1, v[7:8], off
	s_mov_b64 s[10:11], 0
	s_mov_b64 s[16:17], -1
	s_waitcnt vmcnt(0)
	v_lshlrev_b32_e32 v1, 16, v1
	v_cvt_f64_f32_e32 v[9:10], v1
	s_branch .LBB87_1651
.LBB87_1644:
	s_mov_b64 s[10:11], -1
	s_mov_b64 s[16:17], 0
                                        ; implicit-def: $vgpr9_vgpr10
	s_branch .LBB87_1717
.LBB87_1645:
	s_mov_b64 s[18:19], -1
	s_mov_b64 s[16:17], 0
	s_mov_b64 s[10:11], 0
                                        ; implicit-def: $vgpr9_vgpr10
	s_branch .LBB87_1682
.LBB87_1646:
	s_mov_b64 s[18:19], -1
	s_mov_b64 s[16:17], 0
	s_mov_b64 s[10:11], 0
                                        ; implicit-def: $vgpr9_vgpr10
	s_branch .LBB87_1661
.LBB87_1647:
	s_mov_b64 s[18:19], -1
	s_mov_b64 s[16:17], 0
	s_mov_b64 s[10:11], 0
                                        ; implicit-def: $vgpr9_vgpr10
	s_branch .LBB87_1656
.LBB87_1648:
	s_trap 2
	s_or_b64 s[2:3], s[2:3], exec
	s_cbranch_execz .LBB87_1571
	s_branch .LBB87_1572
.LBB87_1649:
	s_mov_b64 s[18:19], -1
	s_mov_b64 s[16:17], 0
	s_mov_b64 s[10:11], 0
                                        ; implicit-def: $vgpr9_vgpr10
	s_branch .LBB87_1651
.LBB87_1650:
	s_mov_b64 s[10:11], -1
                                        ; implicit-def: $vgpr9_vgpr10
	s_mov_b64 s[16:17], 0
.LBB87_1651:
	s_and_b64 vcc, exec, s[18:19]
	s_cbranch_vccz .LBB87_1655
; %bb.1652:
	s_cmp_eq_u32 s24, 44
	s_cbranch_scc0 .LBB87_1654
; %bb.1653:
	global_load_ubyte v1, v[7:8], off
	s_movk_i32 s16, 0xff
	s_waitcnt vmcnt(1)
	v_bfrev_b32_e32 v3, 4
	v_mov_b32_e32 v5, 0x7ff80000
	v_bfrev_b32_e32 v11, 28
	s_mov_b64 s[10:11], 0
	s_waitcnt vmcnt(0)
	v_lshlrev_b32_e32 v9, 23, v1
	v_cvt_f64_f32_e32 v[9:10], v9
	v_cmp_ne_u32_e32 vcc, s16, v1
	s_mov_b64 s[16:17], -1
	v_cndmask_b32_e32 v3, v3, v9, vcc
	v_cndmask_b32_e32 v5, v5, v10, vcc
	v_cmp_ne_u32_e32 vcc, 0, v1
	v_cndmask_b32_e32 v10, v11, v5, vcc
	v_cndmask_b32_e32 v9, 0, v3, vcc
	s_branch .LBB87_1655
.LBB87_1654:
	s_mov_b64 s[10:11], -1
                                        ; implicit-def: $vgpr9_vgpr10
.LBB87_1655:
	s_mov_b64 s[18:19], 0
.LBB87_1656:
	s_and_b64 vcc, exec, s[18:19]
	s_cbranch_vccz .LBB87_1660
; %bb.1657:
	s_cmp_eq_u32 s24, 29
	s_cbranch_scc0 .LBB87_1659
; %bb.1658:
	global_load_dwordx2 v[9:10], v[7:8], off
	s_mov_b64 s[10:11], 0
	s_mov_b64 s[16:17], -1
	s_mov_b64 s[18:19], 0
	s_waitcnt vmcnt(0)
	v_cvt_f64_u32_e32 v[10:11], v10
	v_cvt_f64_u32_e32 v[12:13], v9
	v_ldexp_f64 v[10:11], v[10:11], 32
	v_add_f64 v[9:10], v[10:11], v[12:13]
	s_branch .LBB87_1661
.LBB87_1659:
	s_mov_b64 s[10:11], -1
                                        ; implicit-def: $vgpr9_vgpr10
.LBB87_1660:
	s_mov_b64 s[18:19], 0
.LBB87_1661:
	s_and_b64 vcc, exec, s[18:19]
	s_cbranch_vccz .LBB87_1681
; %bb.1662:
	s_cmp_lt_i32 s24, 27
	s_cbranch_scc1 .LBB87_1665
; %bb.1663:
	s_cmp_gt_i32 s24, 27
	s_cbranch_scc0 .LBB87_1666
; %bb.1664:
	global_load_dword v1, v[7:8], off
	s_mov_b64 s[16:17], 0
	s_waitcnt vmcnt(0)
	v_cvt_f64_u32_e32 v[9:10], v1
	s_branch .LBB87_1667
.LBB87_1665:
	s_mov_b64 s[16:17], -1
                                        ; implicit-def: $vgpr9_vgpr10
	s_branch .LBB87_1670
.LBB87_1666:
	s_mov_b64 s[16:17], -1
                                        ; implicit-def: $vgpr9_vgpr10
.LBB87_1667:
	s_andn2_b64 vcc, exec, s[16:17]
	s_cbranch_vccnz .LBB87_1669
; %bb.1668:
	global_load_ushort v1, v[7:8], off
	s_waitcnt vmcnt(0)
	v_cvt_f64_u32_e32 v[9:10], v1
.LBB87_1669:
	s_mov_b64 s[16:17], 0
.LBB87_1670:
	s_andn2_b64 vcc, exec, s[16:17]
	s_cbranch_vccnz .LBB87_1680
; %bb.1671:
	global_load_ubyte v1, v[7:8], off
	s_movk_i32 s16, 0x7f
	s_waitcnt vmcnt(0)
	v_cmp_lt_i16_e32 vcc, s16, v1
	s_mov_b64 s[16:17], 0
	s_and_saveexec_b64 s[18:19], vcc
	s_xor_b64 s[18:19], exec, s[18:19]
	s_cbranch_execz .LBB87_1675
; %bb.1672:
	s_movk_i32 s16, 0x80
	v_cmp_eq_u16_e32 vcc, s16, v1
	s_mov_b64 s[16:17], -1
	s_and_saveexec_b64 s[20:21], vcc
; %bb.1673:
	s_xor_b64 s[16:17], exec, -1
; %bb.1674:
	s_or_b64 exec, exec, s[20:21]
	s_and_b64 s[16:17], s[16:17], exec
.LBB87_1675:
	s_or_saveexec_b64 s[18:19], s[18:19]
	v_bfrev_b32_e32 v9, 4
	v_mov_b32_e32 v10, 0x7ff80000
	s_xor_b64 exec, exec, s[18:19]
; %bb.1676:
	v_cmp_ne_u16_e32 vcc, 0, v1
	v_mov_b32_e32 v9, 0
	s_andn2_b64 s[16:17], s[16:17], exec
	s_and_b64 s[20:21], vcc, exec
	v_mov_b32_e32 v10, 0
	s_or_b64 s[16:17], s[16:17], s[20:21]
; %bb.1677:
	s_or_b64 exec, exec, s[18:19]
	s_and_saveexec_b64 s[18:19], s[16:17]
	s_cbranch_execz .LBB87_1679
; %bb.1678:
	v_lshlrev_b32_e32 v3, 24, v1
	v_and_b32_e32 v1, 0xffff, v1
	v_and_b32_e32 v5, 7, v1
	v_ffbh_u32_e32 v10, v5
	v_min_u32_e32 v10, 32, v10
	v_subrev_u32_e32 v11, 28, v10
	v_bfe_u32 v9, v1, 3, 4
	v_lshlrev_b32_e32 v1, v11, v1
	v_sub_u32_e32 v10, 29, v10
	v_and_b32_e32 v1, 7, v1
	v_cmp_eq_u32_e32 vcc, 0, v9
	v_cndmask_b32_e32 v9, v9, v10, vcc
	v_cndmask_b32_e32 v1, v5, v1, vcc
	v_mov_b32_e32 v5, 0x3b800000
	v_lshlrev_b32_e32 v1, 20, v1
	v_and_b32_e32 v3, 0x80000000, v3
	v_lshl_add_u32 v5, v9, 23, v5
	v_or3_b32 v1, v3, v5, v1
	v_cvt_f64_f32_e32 v[9:10], v1
.LBB87_1679:
	s_or_b64 exec, exec, s[18:19]
.LBB87_1680:
	s_mov_b64 s[16:17], -1
.LBB87_1681:
	s_mov_b64 s[18:19], 0
.LBB87_1682:
	s_and_b64 vcc, exec, s[18:19]
	s_cbranch_vccz .LBB87_1713
; %bb.1683:
	s_cmp_gt_i32 s24, 22
	s_cbranch_scc0 .LBB87_1695
; %bb.1684:
	s_cmp_lt_i32 s24, 24
	s_cbranch_scc1 .LBB87_1696
; %bb.1685:
	s_cmp_gt_i32 s24, 24
	s_cbranch_scc0 .LBB87_1697
; %bb.1686:
	global_load_ubyte v1, v[7:8], off
	s_movk_i32 s14, 0x7f
	s_waitcnt vmcnt(0)
	v_cmp_lt_i16_e32 vcc, s14, v1
	s_mov_b64 s[14:15], 0
	s_and_saveexec_b64 s[16:17], vcc
	s_xor_b64 s[16:17], exec, s[16:17]
	s_cbranch_execz .LBB87_1690
; %bb.1687:
	s_movk_i32 s14, 0x80
	v_cmp_eq_u16_e32 vcc, s14, v1
	s_mov_b64 s[14:15], -1
	s_and_saveexec_b64 s[18:19], vcc
; %bb.1688:
	s_xor_b64 s[14:15], exec, -1
; %bb.1689:
	s_or_b64 exec, exec, s[18:19]
	s_and_b64 s[14:15], s[14:15], exec
.LBB87_1690:
	s_or_saveexec_b64 s[16:17], s[16:17]
	v_bfrev_b32_e32 v9, 4
	v_mov_b32_e32 v10, 0x7ff80000
	s_xor_b64 exec, exec, s[16:17]
; %bb.1691:
	v_cmp_ne_u16_e32 vcc, 0, v1
	v_mov_b32_e32 v9, 0
	s_andn2_b64 s[14:15], s[14:15], exec
	s_and_b64 s[18:19], vcc, exec
	v_mov_b32_e32 v10, 0
	s_or_b64 s[14:15], s[14:15], s[18:19]
; %bb.1692:
	s_or_b64 exec, exec, s[16:17]
	s_and_saveexec_b64 s[16:17], s[14:15]
	s_cbranch_execz .LBB87_1694
; %bb.1693:
	v_lshlrev_b32_e32 v3, 24, v1
	v_and_b32_e32 v1, 0xffff, v1
	v_and_b32_e32 v5, 3, v1
	v_ffbh_u32_e32 v10, v5
	v_min_u32_e32 v10, 32, v10
	v_subrev_u32_e32 v11, 29, v10
	v_bfe_u32 v9, v1, 2, 5
	v_lshlrev_b32_e32 v1, v11, v1
	v_sub_u32_e32 v10, 30, v10
	v_and_b32_e32 v1, 3, v1
	v_cmp_eq_u32_e32 vcc, 0, v9
	v_cndmask_b32_e32 v9, v9, v10, vcc
	v_cndmask_b32_e32 v1, v5, v1, vcc
	v_mov_b32_e32 v5, 0x37800000
	v_lshlrev_b32_e32 v1, 21, v1
	v_and_b32_e32 v3, 0x80000000, v3
	v_lshl_add_u32 v5, v9, 23, v5
	v_or3_b32 v1, v3, v5, v1
	v_cvt_f64_f32_e32 v[9:10], v1
.LBB87_1694:
	s_or_b64 exec, exec, s[16:17]
	s_mov_b64 s[14:15], 0
	s_branch .LBB87_1698
.LBB87_1695:
	s_mov_b64 s[14:15], -1
                                        ; implicit-def: $vgpr9_vgpr10
	s_branch .LBB87_1704
.LBB87_1696:
	s_mov_b64 s[14:15], -1
                                        ; implicit-def: $vgpr9_vgpr10
	s_branch .LBB87_1701
.LBB87_1697:
	s_mov_b64 s[14:15], -1
                                        ; implicit-def: $vgpr9_vgpr10
.LBB87_1698:
	s_and_b64 vcc, exec, s[14:15]
	s_cbranch_vccz .LBB87_1700
; %bb.1699:
	global_load_ubyte v1, v[7:8], off
	s_mov_b32 s14, 0x7f800000
	s_waitcnt vmcnt(0)
	v_lshlrev_b32_e32 v1, 24, v1
	v_and_b32_e32 v3, 0x7f000000, v1
	v_ffbh_u32_e32 v5, v3
	v_min_u32_e32 v5, 32, v5
	v_sub_u32_e64 v5, v5, 4 clamp
	v_lshlrev_b32_e32 v10, v5, v3
	v_lshlrev_b32_e32 v5, 23, v5
	v_lshrrev_b32_e32 v10, 4, v10
	v_add_u32_e32 v9, 0x1000000, v3
	v_sub_u32_e32 v5, v10, v5
	v_ashrrev_i32_e32 v9, 8, v9
	v_add_u32_e32 v5, 0x3c000000, v5
	v_and_or_b32 v5, v9, s14, v5
	v_cmp_ne_u32_e32 vcc, 0, v3
	v_cndmask_b32_e32 v3, 0, v5, vcc
	s_brev_b32 s14, 1
	v_and_or_b32 v1, v1, s14, v3
	v_cvt_f64_f32_e32 v[9:10], v1
.LBB87_1700:
	s_mov_b64 s[14:15], 0
.LBB87_1701:
	s_andn2_b64 vcc, exec, s[14:15]
	s_cbranch_vccnz .LBB87_1703
; %bb.1702:
	global_load_ubyte v1, v[7:8], off
	s_movk_i32 s14, 0x7f00
	s_brev_b32 s15, 16
	s_waitcnt vmcnt(0)
	v_lshlrev_b16_e32 v3, 8, v1
	v_lshlrev_b32_e32 v1, 25, v1
	v_lshrrev_b32_e32 v5, 4, v1
	v_and_or_b32 v9, v3, s14, 0.5
	v_or_b32_e32 v5, 0x70000000, v5
	v_add_f32_e32 v9, -0.5, v9
	v_mul_f32_e32 v5, 0x7800000, v5
	v_cmp_gt_u32_e32 vcc, s15, v1
	v_bfe_i32 v3, v3, 0, 16
	v_cndmask_b32_e32 v1, v5, v9, vcc
	s_brev_b32 s14, 1
	v_and_or_b32 v1, v3, s14, v1
	v_cvt_f64_f32_e32 v[9:10], v1
.LBB87_1703:
	s_mov_b64 s[14:15], 0
	s_mov_b64 s[16:17], -1
.LBB87_1704:
	s_andn2_b64 vcc, exec, s[14:15]
	s_mov_b64 s[14:15], 0
	s_cbranch_vccnz .LBB87_1713
; %bb.1705:
	s_cmp_gt_i32 s24, 14
	s_cbranch_scc0 .LBB87_1708
; %bb.1706:
	s_cmp_eq_u32 s24, 15
	s_cbranch_scc0 .LBB87_1709
; %bb.1707:
	global_load_ushort v1, v[7:8], off
	s_mov_b64 s[10:11], 0
	s_mov_b64 s[16:17], -1
	s_waitcnt vmcnt(0)
	v_lshlrev_b32_e32 v1, 16, v1
	v_cvt_f64_f32_e32 v[9:10], v1
	s_branch .LBB87_1710
.LBB87_1708:
	s_mov_b64 s[18:19], -1
                                        ; implicit-def: $vgpr9_vgpr10
	s_branch .LBB87_1711
.LBB87_1709:
	s_mov_b64 s[10:11], -1
                                        ; implicit-def: $vgpr9_vgpr10
.LBB87_1710:
	s_mov_b64 s[18:19], 0
.LBB87_1711:
	s_and_b64 vcc, exec, s[18:19]
	s_cbranch_vccz .LBB87_1713
; %bb.1712:
	s_cmp_lg_u32 s24, 11
	s_mov_b64 s[14:15], -1
	s_cselect_b64 s[10:11], -1, 0
.LBB87_1713:
	s_and_b64 vcc, exec, s[10:11]
	s_cbranch_vccnz .LBB87_2265
; %bb.1714:
	s_andn2_b64 vcc, exec, s[14:15]
	s_cbranch_vccnz .LBB87_1716
.LBB87_1715:
	global_load_ubyte v1, v[7:8], off
	s_waitcnt vmcnt(1)
	v_mov_b32_e32 v3, 0x3ff00000
	v_mov_b32_e32 v9, 0
	s_mov_b64 s[16:17], -1
	s_waitcnt vmcnt(0)
	v_cmp_ne_u16_e32 vcc, 0, v1
	v_cndmask_b32_e32 v10, 0, v3, vcc
.LBB87_1716:
	s_mov_b64 s[10:11], 0
.LBB87_1717:
	s_and_b64 vcc, exec, s[10:11]
	s_cbranch_vccz .LBB87_1766
; %bb.1718:
	s_and_b32 s14, 0xffff, s23
	s_cmp_lt_i32 s14, 5
	s_cbranch_scc1 .LBB87_1723
; %bb.1719:
	s_cmp_lt_i32 s14, 8
	s_cbranch_scc1 .LBB87_1724
; %bb.1720:
	;; [unrolled: 3-line block ×3, first 2 shown]
	s_cmp_gt_i32 s14, 9
	s_cbranch_scc0 .LBB87_1726
; %bb.1722:
	global_load_dwordx2 v[9:10], v[7:8], off
	s_mov_b64 s[10:11], 0
	s_branch .LBB87_1727
.LBB87_1723:
	s_mov_b64 s[10:11], -1
                                        ; implicit-def: $vgpr9_vgpr10
	s_branch .LBB87_1745
.LBB87_1724:
	s_mov_b64 s[10:11], -1
                                        ; implicit-def: $vgpr9_vgpr10
	s_branch .LBB87_1733
.LBB87_1725:
	s_mov_b64 s[10:11], -1
                                        ; implicit-def: $vgpr9_vgpr10
	s_branch .LBB87_1730
.LBB87_1726:
	s_mov_b64 s[10:11], -1
                                        ; implicit-def: $vgpr9_vgpr10
.LBB87_1727:
	s_andn2_b64 vcc, exec, s[10:11]
	s_cbranch_vccnz .LBB87_1729
; %bb.1728:
	global_load_dword v1, v[7:8], off
	s_waitcnt vmcnt(0)
	v_cvt_f64_f32_e32 v[9:10], v1
.LBB87_1729:
	s_mov_b64 s[10:11], 0
.LBB87_1730:
	s_andn2_b64 vcc, exec, s[10:11]
	s_cbranch_vccnz .LBB87_1732
; %bb.1731:
	global_load_dword v1, v[7:8], off
	s_waitcnt vmcnt(0)
	v_cvt_f32_f16_e32 v1, v1
	v_cvt_f64_f32_e32 v[9:10], v1
.LBB87_1732:
	s_mov_b64 s[10:11], 0
.LBB87_1733:
	s_andn2_b64 vcc, exec, s[10:11]
	s_cbranch_vccnz .LBB87_1744
; %bb.1734:
	s_cmp_lt_i32 s14, 6
	s_cbranch_scc1 .LBB87_1737
; %bb.1735:
	s_cmp_gt_i32 s14, 6
	s_cbranch_scc0 .LBB87_1738
; %bb.1736:
	global_load_dwordx2 v[9:10], v[7:8], off
	s_mov_b64 s[10:11], 0
	s_branch .LBB87_1739
.LBB87_1737:
	s_mov_b64 s[10:11], -1
                                        ; implicit-def: $vgpr9_vgpr10
	s_branch .LBB87_1742
.LBB87_1738:
	s_mov_b64 s[10:11], -1
                                        ; implicit-def: $vgpr9_vgpr10
.LBB87_1739:
	s_andn2_b64 vcc, exec, s[10:11]
	s_cbranch_vccnz .LBB87_1741
; %bb.1740:
	global_load_dword v1, v[7:8], off
	s_waitcnt vmcnt(0)
	v_cvt_f64_f32_e32 v[9:10], v1
.LBB87_1741:
	s_mov_b64 s[10:11], 0
.LBB87_1742:
	s_andn2_b64 vcc, exec, s[10:11]
	s_cbranch_vccnz .LBB87_1744
; %bb.1743:
	global_load_ushort v1, v[7:8], off
	s_waitcnt vmcnt(0)
	v_cvt_f32_f16_e32 v1, v1
	v_cvt_f64_f32_e32 v[9:10], v1
.LBB87_1744:
	s_mov_b64 s[10:11], 0
.LBB87_1745:
	s_andn2_b64 vcc, exec, s[10:11]
	s_cbranch_vccnz .LBB87_1765
; %bb.1746:
	s_cmp_lt_i32 s14, 2
	s_cbranch_scc1 .LBB87_1750
; %bb.1747:
	s_cmp_lt_i32 s14, 3
	s_cbranch_scc1 .LBB87_1751
; %bb.1748:
	s_cmp_gt_i32 s14, 3
	s_cbranch_scc0 .LBB87_1752
; %bb.1749:
	global_load_dwordx2 v[9:10], v[7:8], off
	s_mov_b64 s[10:11], 0
	s_waitcnt vmcnt(0)
	v_cvt_f64_i32_e32 v[10:11], v10
	v_cvt_f64_u32_e32 v[12:13], v9
	v_ldexp_f64 v[10:11], v[10:11], 32
	v_add_f64 v[9:10], v[10:11], v[12:13]
	s_branch .LBB87_1753
.LBB87_1750:
	s_mov_b64 s[10:11], -1
                                        ; implicit-def: $vgpr9_vgpr10
	s_branch .LBB87_1759
.LBB87_1751:
	s_mov_b64 s[10:11], -1
                                        ; implicit-def: $vgpr9_vgpr10
	s_branch .LBB87_1756
.LBB87_1752:
	s_mov_b64 s[10:11], -1
                                        ; implicit-def: $vgpr9_vgpr10
.LBB87_1753:
	s_andn2_b64 vcc, exec, s[10:11]
	s_cbranch_vccnz .LBB87_1755
; %bb.1754:
	global_load_dword v1, v[7:8], off
	s_waitcnt vmcnt(0)
	v_cvt_f64_i32_e32 v[9:10], v1
.LBB87_1755:
	s_mov_b64 s[10:11], 0
.LBB87_1756:
	s_andn2_b64 vcc, exec, s[10:11]
	s_cbranch_vccnz .LBB87_1758
; %bb.1757:
	global_load_sshort v1, v[7:8], off
	s_waitcnt vmcnt(0)
	v_cvt_f64_i32_e32 v[9:10], v1
.LBB87_1758:
	s_mov_b64 s[10:11], 0
.LBB87_1759:
	s_andn2_b64 vcc, exec, s[10:11]
	s_cbranch_vccnz .LBB87_1765
; %bb.1760:
	s_cmp_gt_i32 s14, 0
	s_cbranch_scc0 .LBB87_1762
; %bb.1761:
	global_load_sbyte v1, v[7:8], off
	s_mov_b64 s[10:11], 0
	s_waitcnt vmcnt(0)
	v_cvt_f64_i32_e32 v[9:10], v1
	s_branch .LBB87_1763
.LBB87_1762:
	s_mov_b64 s[10:11], -1
                                        ; implicit-def: $vgpr9_vgpr10
.LBB87_1763:
	s_andn2_b64 vcc, exec, s[10:11]
	s_cbranch_vccnz .LBB87_1765
; %bb.1764:
	global_load_ubyte v1, v[7:8], off
	s_waitcnt vmcnt(0)
	v_cvt_f64_u32_e32 v[9:10], v1
.LBB87_1765:
	s_mov_b64 s[16:17], -1
.LBB87_1766:
	s_andn2_b64 vcc, exec, s[16:17]
	s_cbranch_vccnz .LBB87_1771
; %bb.1767:
	s_cmp_lt_i32 s22, 1
	s_mov_b64 s[14:15], 0
	s_cbranch_scc1 .LBB87_1817
; %bb.1768:
	s_cmp_gt_i32 s22, 1
	s_cbranch_scc0 .LBB87_1818
; %bb.1769:
	s_cmp_eq_u32 s22, 2
	s_cbranch_scc0 .LBB87_1819
; %bb.1770:
	s_waitcnt vmcnt(0)
	v_cmp_ge_f64_e64 s[10:11], s[0:1], v[9:10]
	s_mov_b64 s[16:17], 0
	s_branch .LBB87_1820
.LBB87_1771:
	s_mov_b64 s[0:1], 0
                                        ; implicit-def: $sgpr10_sgpr11
.LBB87_1772:
	s_mov_b64 s[4:5], 0
                                        ; implicit-def: $vgpr0_vgpr1
                                        ; implicit-def: $sgpr22
.LBB87_1773:
	s_and_b64 s[6:7], s[4:5], exec
	s_andn2_b64 s[4:5], s[28:29], exec
	s_and_b64 s[2:3], s[2:3], exec
	s_and_b64 s[0:1], s[0:1], exec
	s_or_b64 s[28:29], s[4:5], s[2:3]
.LBB87_1774:
	s_or_b64 exec, exec, s[30:31]
	s_and_saveexec_b64 s[2:3], s[28:29]
	s_cbranch_execz .LBB87_1777
; %bb.1775:
	; divergent unreachable
	s_or_b64 exec, exec, s[2:3]
	s_and_saveexec_b64 s[2:3], s[6:7]
	s_xor_b64 s[2:3], exec, s[2:3]
	s_cbranch_execnz .LBB87_1778
.LBB87_1776:
	s_or_b64 exec, exec, s[2:3]
	s_and_saveexec_b64 s[2:3], s[0:1]
	s_cbranch_execnz .LBB87_1779
	s_branch .LBB87_1816
.LBB87_1777:
	s_or_b64 exec, exec, s[2:3]
	s_and_saveexec_b64 s[2:3], s[6:7]
	s_xor_b64 s[2:3], exec, s[2:3]
	s_cbranch_execz .LBB87_1776
.LBB87_1778:
	v_cndmask_b32_e64 v2, 0, 1, s[10:11]
	global_store_byte v[0:1], v2, off
	s_or_b64 exec, exec, s[2:3]
	s_and_saveexec_b64 s[2:3], s[0:1]
	s_cbranch_execz .LBB87_1816
.LBB87_1779:
	s_sext_i32_i16 s2, s22
	s_cmp_lt_i32 s2, 5
	s_mov_b64 s[0:1], -1
	s_cbranch_scc1 .LBB87_1800
; %bb.1780:
	s_cmp_lt_i32 s2, 8
	s_cbranch_scc1 .LBB87_1790
; %bb.1781:
	s_cmp_lt_i32 s2, 9
	s_cbranch_scc1 .LBB87_1787
; %bb.1782:
	s_cmp_gt_i32 s2, 9
	s_cbranch_scc0 .LBB87_1784
; %bb.1783:
	v_cndmask_b32_e64 v2, 0, 1, s[10:11]
	s_waitcnt vmcnt(0)
	v_cvt_f64_u32_e32 v[2:3], v2
	v_mov_b32_e32 v4, 0
	v_mov_b32_e32 v5, v4
	s_mov_b64 s[0:1], 0
	global_store_dwordx4 v[0:1], v[2:5], off
.LBB87_1784:
	s_andn2_b64 vcc, exec, s[0:1]
	s_cbranch_vccnz .LBB87_1786
; %bb.1785:
	v_cndmask_b32_e64 v2, 0, 1.0, s[10:11]
	s_waitcnt vmcnt(0)
	v_mov_b32_e32 v3, 0
	global_store_dwordx2 v[0:1], v[2:3], off
.LBB87_1786:
	s_mov_b64 s[0:1], 0
.LBB87_1787:
	s_andn2_b64 vcc, exec, s[0:1]
	s_cbranch_vccnz .LBB87_1789
; %bb.1788:
	v_cndmask_b32_e64 v2, 0, 1.0, s[10:11]
	v_cvt_f16_f32_e32 v2, v2
	global_store_dword v[0:1], v2, off
.LBB87_1789:
	s_mov_b64 s[0:1], 0
.LBB87_1790:
	s_andn2_b64 vcc, exec, s[0:1]
	s_cbranch_vccnz .LBB87_1799
; %bb.1791:
	s_sext_i32_i16 s2, s22
	s_cmp_lt_i32 s2, 6
	s_mov_b64 s[0:1], -1
	s_cbranch_scc1 .LBB87_1797
; %bb.1792:
	s_cmp_gt_i32 s2, 6
	s_cbranch_scc0 .LBB87_1794
; %bb.1793:
	v_cndmask_b32_e64 v2, 0, 1, s[10:11]
	s_waitcnt vmcnt(0)
	v_cvt_f64_u32_e32 v[2:3], v2
	s_mov_b64 s[0:1], 0
	global_store_dwordx2 v[0:1], v[2:3], off
.LBB87_1794:
	s_andn2_b64 vcc, exec, s[0:1]
	s_cbranch_vccnz .LBB87_1796
; %bb.1795:
	v_cndmask_b32_e64 v2, 0, 1.0, s[10:11]
	global_store_dword v[0:1], v2, off
.LBB87_1796:
	s_mov_b64 s[0:1], 0
.LBB87_1797:
	s_andn2_b64 vcc, exec, s[0:1]
	s_cbranch_vccnz .LBB87_1799
; %bb.1798:
	v_cndmask_b32_e64 v2, 0, 1.0, s[10:11]
	v_cvt_f16_f32_e32 v2, v2
	global_store_short v[0:1], v2, off
.LBB87_1799:
	s_mov_b64 s[0:1], 0
.LBB87_1800:
	s_andn2_b64 vcc, exec, s[0:1]
	s_cbranch_vccnz .LBB87_1816
; %bb.1801:
	s_sext_i32_i16 s2, s22
	s_cmp_lt_i32 s2, 2
	s_mov_b64 s[0:1], -1
	s_cbranch_scc1 .LBB87_1811
; %bb.1802:
	s_cmp_lt_i32 s2, 3
	s_cbranch_scc1 .LBB87_1808
; %bb.1803:
	s_cmp_gt_i32 s2, 3
	s_cbranch_scc0 .LBB87_1805
; %bb.1804:
	s_mov_b32 s0, 0
	v_cndmask_b32_e64 v2, 0, 1, s[10:11]
	s_waitcnt vmcnt(0)
	v_mov_b32_e32 v3, s0
	global_store_dwordx2 v[0:1], v[2:3], off
	s_mov_b64 s[0:1], 0
.LBB87_1805:
	s_andn2_b64 vcc, exec, s[0:1]
	s_cbranch_vccnz .LBB87_1807
; %bb.1806:
	v_cndmask_b32_e64 v2, 0, 1, s[10:11]
	global_store_dword v[0:1], v2, off
.LBB87_1807:
	s_mov_b64 s[0:1], 0
.LBB87_1808:
	s_andn2_b64 vcc, exec, s[0:1]
	s_cbranch_vccnz .LBB87_1810
; %bb.1809:
	v_cndmask_b32_e64 v2, 0, 1, s[10:11]
	global_store_short v[0:1], v2, off
.LBB87_1810:
	s_mov_b64 s[0:1], 0
.LBB87_1811:
	s_andn2_b64 vcc, exec, s[0:1]
	s_cbranch_vccnz .LBB87_1816
; %bb.1812:
	s_sext_i32_i16 s0, s22
	s_cmp_gt_i32 s0, 0
	s_mov_b64 s[0:1], -1
	s_cbranch_scc0 .LBB87_1814
; %bb.1813:
	v_cndmask_b32_e64 v2, 0, 1, s[10:11]
	global_store_byte v[0:1], v2, off
	s_mov_b64 s[0:1], 0
.LBB87_1814:
	s_andn2_b64 vcc, exec, s[0:1]
	s_cbranch_vccnz .LBB87_1816
; %bb.1815:
	v_cndmask_b32_e64 v2, 0, 1, s[10:11]
	global_store_byte v[0:1], v2, off
	s_endpgm
.LBB87_1816:
	s_endpgm
.LBB87_1817:
	s_mov_b64 s[18:19], -1
                                        ; implicit-def: $sgpr10_sgpr11
	s_mov_b64 s[16:17], 0
	s_branch .LBB87_1824
.LBB87_1818:
	s_mov_b64 s[18:19], -1
	s_mov_b64 s[16:17], 0
                                        ; implicit-def: $sgpr10_sgpr11
	s_branch .LBB87_1821
.LBB87_1819:
	s_mov_b64 s[16:17], -1
                                        ; implicit-def: $sgpr10_sgpr11
.LBB87_1820:
	s_mov_b64 s[18:19], 0
.LBB87_1821:
	s_and_b64 vcc, exec, s[18:19]
	s_cbranch_vccz .LBB87_1823
; %bb.1822:
	s_waitcnt vmcnt(0)
	v_cmp_lt_f64_e32 vcc, s[0:1], v[9:10]
	s_andn2_b64 s[10:11], s[10:11], exec
	s_and_b64 s[18:19], vcc, exec
	s_or_b64 s[10:11], s[10:11], s[18:19]
.LBB87_1823:
	s_mov_b64 s[18:19], 0
.LBB87_1824:
	s_and_b64 vcc, exec, s[18:19]
	s_cbranch_vccz .LBB87_1906
; %bb.1825:
	s_cmp_lg_u32 s22, 0
	s_mov_b64 s[14:15], -1
	s_cselect_b64 s[16:17], -1, 0
	s_andn2_b64 vcc, exec, s[16:17]
	s_cbranch_vccz .LBB87_1907
.LBB87_1826:
	s_andn2_b64 vcc, exec, s[14:15]
	s_cbranch_vccnz .LBB87_1828
.LBB87_1827:
	s_waitcnt vmcnt(0)
	v_cmp_le_f64_e32 vcc, s[0:1], v[9:10]
	s_andn2_b64 s[0:1], s[10:11], exec
	s_and_b64 s[10:11], vcc, exec
	s_or_b64 s[10:11], s[0:1], s[10:11]
.LBB87_1828:
	s_load_dword s0, s[34:35], 0x168
	v_mov_b32_e32 v1, s9
	v_add_co_u32_e32 v5, vcc, s8, v6
	v_addc_co_u32_e32 v6, vcc, 0, v1, vcc
	s_waitcnt lgkmcnt(0)
	s_and_b32 s22, s0, 0xff
	s_cmp_lt_i32 s22, 11
	s_cbranch_scc1 .LBB87_1908
; %bb.1829:
	s_and_b32 s23, 0xffff, s22
	s_mov_b64 s[18:19], -1
	s_mov_b64 s[14:15], 0
	s_cmp_gt_i32 s23, 25
	s_mov_b64 s[16:17], 0
	s_mov_b64 s[0:1], 0
	s_cbranch_scc0 .LBB87_1862
; %bb.1830:
	s_cmp_gt_i32 s23, 28
	s_cbranch_scc0 .LBB87_1845
; %bb.1831:
	s_cmp_gt_i32 s23, 43
	;; [unrolled: 3-line block ×3, first 2 shown]
	s_cbranch_scc0 .LBB87_1835
; %bb.1833:
	s_mov_b64 s[0:1], -1
	s_mov_b64 s[18:19], 0
	s_cmp_eq_u32 s23, 46
	s_cbranch_scc0 .LBB87_1835
; %bb.1834:
	v_cndmask_b32_e64 v1, 0, 1.0, s[4:5]
	s_waitcnt vmcnt(0)
	v_bfe_u32 v3, v1, 16, 1
	s_movk_i32 s0, 0x7fff
	v_add3_u32 v1, v1, v3, s0
	v_lshrrev_b32_e32 v1, 16, v1
	global_store_dword v[5:6], v1, off
	s_mov_b64 s[0:1], 0
	s_mov_b64 s[16:17], -1
.LBB87_1835:
	s_and_b64 vcc, exec, s[18:19]
	s_cbranch_vccz .LBB87_1840
; %bb.1836:
	s_cmp_eq_u32 s23, 44
	s_mov_b64 s[0:1], -1
	s_cbranch_scc0 .LBB87_1840
; %bb.1837:
	s_waitcnt vmcnt(0)
	v_cndmask_b32_e64 v3, 0, 1.0, s[4:5]
	v_lshrrev_b32_e32 v1, 23, v3
	s_movk_i32 s0, 0xff
	v_cmp_ne_u32_e32 vcc, s0, v1
	v_mov_b32_e32 v7, 0xff
	s_and_saveexec_b64 s[16:17], vcc
; %bb.1838:
	s_mov_b32 s0, 0x3fffff
	v_and_b32_e32 v7, 0x400000, v3
	v_and_or_b32 v3, v3, s0, v1
	v_cmp_ne_u32_e32 vcc, 0, v7
	v_cmp_ne_u32_e64 s[0:1], 0, v3
	s_and_b64 s[0:1], vcc, s[0:1]
	v_cndmask_b32_e64 v3, 0, 1, s[0:1]
	v_add_u32_e32 v7, v1, v3
; %bb.1839:
	s_or_b64 exec, exec, s[16:17]
	s_mov_b64 s[0:1], 0
	s_mov_b64 s[16:17], -1
	global_store_byte v[5:6], v7, off
.LBB87_1840:
	s_mov_b64 s[18:19], 0
.LBB87_1841:
	s_and_b64 vcc, exec, s[18:19]
	s_cbranch_vccz .LBB87_1844
; %bb.1842:
	s_cmp_eq_u32 s23, 29
	s_mov_b64 s[0:1], -1
	s_cbranch_scc0 .LBB87_1844
; %bb.1843:
	s_mov_b32 s0, 0
	v_cndmask_b32_e64 v7, 0, 1, s[4:5]
	v_mov_b32_e32 v8, s0
	global_store_dwordx2 v[5:6], v[7:8], off
	s_mov_b64 s[0:1], 0
	s_mov_b64 s[16:17], -1
.LBB87_1844:
	s_mov_b64 s[18:19], 0
.LBB87_1845:
	s_and_b64 vcc, exec, s[18:19]
	s_cbranch_vccz .LBB87_1861
; %bb.1846:
	s_cmp_lt_i32 s23, 27
	s_mov_b64 s[16:17], -1
	s_cbranch_scc1 .LBB87_1852
; %bb.1847:
	s_cmp_gt_i32 s23, 27
	s_cbranch_scc0 .LBB87_1849
; %bb.1848:
	v_cndmask_b32_e64 v1, 0, 1, s[4:5]
	s_mov_b64 s[16:17], 0
	global_store_dword v[5:6], v1, off
.LBB87_1849:
	s_andn2_b64 vcc, exec, s[16:17]
	s_cbranch_vccnz .LBB87_1851
; %bb.1850:
	v_cndmask_b32_e64 v1, 0, 1, s[4:5]
	global_store_short v[5:6], v1, off
.LBB87_1851:
	s_mov_b64 s[16:17], 0
.LBB87_1852:
	s_andn2_b64 vcc, exec, s[16:17]
	s_cbranch_vccnz .LBB87_1860
; %bb.1853:
	s_waitcnt vmcnt(0)
	v_cndmask_b32_e64 v3, 0, 1.0, s[4:5]
	s_mov_b32 s16, 0x43800000
	v_cmp_gt_u32_e32 vcc, s16, v3
	v_mov_b32_e32 v7, 0x80
	s_and_saveexec_b64 s[16:17], vcc
	s_cbranch_execz .LBB87_1859
; %bb.1854:
	s_mov_b32 s18, 0x3bffffff
	v_cmp_lt_u32_e32 vcc, s18, v3
	s_mov_b64 s[18:19], 0
                                        ; implicit-def: $vgpr1
	s_and_saveexec_b64 s[20:21], vcc
	s_xor_b64 s[20:21], exec, s[20:21]
	s_cbranch_execz .LBB87_2266
; %bb.1855:
	v_bfe_u32 v1, v3, 20, 1
	s_mov_b32 s24, 0x487ffff
	v_add3_u32 v1, v3, v1, s24
	s_mov_b64 s[18:19], exec
	v_lshrrev_b32_e32 v1, 20, v1
                                        ; implicit-def: $vgpr3
	s_andn2_saveexec_b64 s[20:21], s[20:21]
	s_cbranch_execnz .LBB87_2267
.LBB87_1856:
	s_or_b64 exec, exec, s[20:21]
	v_mov_b32_e32 v7, 0
	s_and_saveexec_b64 s[20:21], s[18:19]
.LBB87_1857:
	v_mov_b32_e32 v7, v1
.LBB87_1858:
	s_or_b64 exec, exec, s[20:21]
.LBB87_1859:
	s_or_b64 exec, exec, s[16:17]
	global_store_byte v[5:6], v7, off
.LBB87_1860:
	s_mov_b64 s[16:17], -1
.LBB87_1861:
	s_mov_b64 s[18:19], 0
.LBB87_1862:
	s_and_b64 vcc, exec, s[18:19]
	s_cbranch_vccz .LBB87_1902
; %bb.1863:
	s_cmp_gt_i32 s23, 22
	s_mov_b64 s[14:15], -1
	s_cbranch_scc0 .LBB87_1895
; %bb.1864:
	s_cmp_lt_i32 s23, 24
	s_cbranch_scc1 .LBB87_1884
; %bb.1865:
	s_cmp_gt_i32 s23, 24
	s_cbranch_scc0 .LBB87_1873
; %bb.1866:
	s_waitcnt vmcnt(0)
	v_cndmask_b32_e64 v3, 0, 1.0, s[4:5]
	s_mov_b32 s14, 0x47800000
	v_cmp_gt_u32_e32 vcc, s14, v3
	v_mov_b32_e32 v7, 0x80
	s_and_saveexec_b64 s[14:15], vcc
	s_cbranch_execz .LBB87_1872
; %bb.1867:
	s_mov_b32 s16, 0x37ffffff
	v_cmp_lt_u32_e32 vcc, s16, v3
	s_mov_b64 s[16:17], 0
                                        ; implicit-def: $vgpr1
	s_and_saveexec_b64 s[18:19], vcc
	s_xor_b64 s[18:19], exec, s[18:19]
	s_cbranch_execz .LBB87_2269
; %bb.1868:
	v_bfe_u32 v1, v3, 21, 1
	s_mov_b32 s20, 0x88fffff
	v_add3_u32 v1, v3, v1, s20
	s_mov_b64 s[16:17], exec
	v_lshrrev_b32_e32 v1, 21, v1
                                        ; implicit-def: $vgpr3
	s_andn2_saveexec_b64 s[18:19], s[18:19]
	s_cbranch_execnz .LBB87_2270
.LBB87_1869:
	s_or_b64 exec, exec, s[18:19]
	v_mov_b32_e32 v7, 0
	s_and_saveexec_b64 s[18:19], s[16:17]
.LBB87_1870:
	v_mov_b32_e32 v7, v1
.LBB87_1871:
	s_or_b64 exec, exec, s[18:19]
.LBB87_1872:
	s_or_b64 exec, exec, s[14:15]
	s_mov_b64 s[14:15], 0
	global_store_byte v[5:6], v7, off
.LBB87_1873:
	s_and_b64 vcc, exec, s[14:15]
	s_cbranch_vccz .LBB87_1883
; %bb.1874:
	v_cndmask_b32_e64 v1, 0, 1.0, s[4:5]
	s_mov_b32 s14, 0x43f00000
	v_cmp_gt_u32_e32 vcc, s14, v1
                                        ; implicit-def: $vgpr3
	s_and_saveexec_b64 s[14:15], vcc
	s_xor_b64 s[14:15], exec, s[14:15]
	s_cbranch_execz .LBB87_1880
; %bb.1875:
	s_mov_b32 s16, 0x3c7fffff
	v_cmp_lt_u32_e32 vcc, s16, v1
                                        ; implicit-def: $vgpr3
	s_and_saveexec_b64 s[16:17], vcc
	s_xor_b64 s[16:17], exec, s[16:17]
	s_cbranch_execz .LBB87_1877
; %bb.1876:
	s_waitcnt vmcnt(0)
	v_bfe_u32 v3, v1, 20, 1
	s_mov_b32 s18, 0x407ffff
	v_add3_u32 v1, v1, v3, s18
	v_lshrrev_b32_e32 v3, 20, v1
	v_and_b32_e32 v1, 0xff00000, v1
	s_mov_b32 s18, 0x7f00000
	v_mov_b32_e32 v7, 0x7e
	v_cmp_ne_u32_e32 vcc, s18, v1
	v_cndmask_b32_e32 v3, v7, v3, vcc
                                        ; implicit-def: $vgpr1
.LBB87_1877:
	s_andn2_saveexec_b64 s[16:17], s[16:17]
	s_cbranch_execz .LBB87_1879
; %bb.1878:
	s_waitcnt vmcnt(0)
	v_add_f32_e32 v3, 0x46800000, v1
.LBB87_1879:
	s_or_b64 exec, exec, s[16:17]
                                        ; implicit-def: $vgpr1
.LBB87_1880:
	s_andn2_saveexec_b64 s[14:15], s[14:15]
	s_cbranch_execz .LBB87_1882
; %bb.1881:
	s_mov_b32 s16, 0x7f800000
	s_waitcnt vmcnt(0)
	v_mov_b32_e32 v3, 0x7e
	v_mov_b32_e32 v7, 0x7f
	v_cmp_lt_u32_e32 vcc, s16, v1
	v_cndmask_b32_e32 v3, v3, v7, vcc
.LBB87_1882:
	s_or_b64 exec, exec, s[14:15]
	s_waitcnt vmcnt(0)
	global_store_byte v[5:6], v3, off
.LBB87_1883:
	s_mov_b64 s[14:15], 0
.LBB87_1884:
	s_andn2_b64 vcc, exec, s[14:15]
	s_cbranch_vccnz .LBB87_1894
; %bb.1885:
	v_cndmask_b32_e64 v1, 0, 1.0, s[4:5]
	s_mov_b32 s14, 0x47800000
	v_cmp_gt_u32_e32 vcc, s14, v1
                                        ; implicit-def: $vgpr3
	s_and_saveexec_b64 s[14:15], vcc
	s_xor_b64 s[14:15], exec, s[14:15]
	s_cbranch_execz .LBB87_1891
; %bb.1886:
	s_mov_b32 s16, 0x387fffff
	v_cmp_lt_u32_e32 vcc, s16, v1
                                        ; implicit-def: $vgpr3
	s_and_saveexec_b64 s[16:17], vcc
	s_xor_b64 s[16:17], exec, s[16:17]
	s_cbranch_execz .LBB87_1888
; %bb.1887:
	s_waitcnt vmcnt(0)
	v_bfe_u32 v3, v1, 21, 1
	s_mov_b32 s18, 0x80fffff
	v_add3_u32 v1, v1, v3, s18
	v_lshrrev_b32_e32 v3, 21, v1
                                        ; implicit-def: $vgpr1
.LBB87_1888:
	s_andn2_saveexec_b64 s[16:17], s[16:17]
	s_cbranch_execz .LBB87_1890
; %bb.1889:
	s_waitcnt vmcnt(0)
	v_add_f32_e32 v3, 0x43000000, v1
.LBB87_1890:
	s_or_b64 exec, exec, s[16:17]
                                        ; implicit-def: $vgpr1
.LBB87_1891:
	s_andn2_saveexec_b64 s[14:15], s[14:15]
	s_cbranch_execz .LBB87_1893
; %bb.1892:
	s_mov_b32 s16, 0x7f800000
	s_waitcnt vmcnt(0)
	v_mov_b32_e32 v3, 0x7c
	v_mov_b32_e32 v7, 0x7f
	v_cmp_lt_u32_e32 vcc, s16, v1
	v_cndmask_b32_e32 v3, v3, v7, vcc
.LBB87_1893:
	s_or_b64 exec, exec, s[14:15]
	s_waitcnt vmcnt(0)
	global_store_byte v[5:6], v3, off
.LBB87_1894:
	s_mov_b64 s[14:15], 0
	s_mov_b64 s[16:17], -1
.LBB87_1895:
	s_andn2_b64 vcc, exec, s[14:15]
	s_mov_b64 s[14:15], 0
	s_cbranch_vccnz .LBB87_1902
; %bb.1896:
	s_cmp_gt_i32 s23, 14
	s_mov_b64 s[18:19], -1
	s_cbranch_scc0 .LBB87_1900
; %bb.1897:
	s_cmp_eq_u32 s23, 15
	s_mov_b64 s[0:1], -1
	s_cbranch_scc0 .LBB87_1899
; %bb.1898:
	v_cndmask_b32_e64 v1, 0, 1.0, s[4:5]
	s_waitcnt vmcnt(0)
	v_bfe_u32 v3, v1, 16, 1
	s_movk_i32 s0, 0x7fff
	v_add3_u32 v1, v1, v3, s0
	global_store_short_d16_hi v[5:6], v1, off
	s_mov_b64 s[0:1], 0
	s_mov_b64 s[16:17], -1
.LBB87_1899:
	s_mov_b64 s[18:19], 0
.LBB87_1900:
	s_and_b64 vcc, exec, s[18:19]
	s_cbranch_vccz .LBB87_1902
; %bb.1901:
	s_cmp_lg_u32 s23, 11
	s_mov_b64 s[14:15], -1
	s_cselect_b64 s[0:1], -1, 0
.LBB87_1902:
	s_and_b64 vcc, exec, s[0:1]
	s_cbranch_vccnz .LBB87_2268
; %bb.1903:
	s_andn2_b64 vcc, exec, s[14:15]
	s_cbranch_vccnz .LBB87_1905
.LBB87_1904:
	v_cndmask_b32_e64 v1, 0, 1, s[4:5]
	s_mov_b64 s[16:17], -1
	global_store_byte v[5:6], v1, off
.LBB87_1905:
	s_mov_b64 s[0:1], 0
	s_branch .LBB87_1909
.LBB87_1906:
	s_andn2_b64 vcc, exec, s[16:17]
	s_cbranch_vccnz .LBB87_1826
.LBB87_1907:
	s_waitcnt vmcnt(0)
	v_cmp_gt_f64_e32 vcc, s[0:1], v[9:10]
	s_andn2_b64 s[10:11], s[10:11], exec
	s_and_b64 s[16:17], vcc, exec
	s_or_b64 s[10:11], s[10:11], s[16:17]
	s_cbranch_execz .LBB87_1827
	s_branch .LBB87_1828
.LBB87_1908:
	s_mov_b64 s[0:1], -1
	s_mov_b64 s[16:17], 0
.LBB87_1909:
	s_and_b64 vcc, exec, s[0:1]
	s_cbranch_vccz .LBB87_1948
; %bb.1910:
	s_and_b32 s14, 0xffff, s22
	s_cmp_lt_i32 s14, 5
	s_mov_b64 s[0:1], -1
	s_cbranch_scc1 .LBB87_1931
; %bb.1911:
	s_cmp_lt_i32 s14, 8
	s_cbranch_scc1 .LBB87_1921
; %bb.1912:
	s_cmp_lt_i32 s14, 9
	s_cbranch_scc1 .LBB87_1918
; %bb.1913:
	s_cmp_gt_i32 s14, 9
	s_cbranch_scc0 .LBB87_1915
; %bb.1914:
	v_cndmask_b32_e64 v1, 0, 1, s[4:5]
	v_cvt_f64_u32_e32 v[7:8], v1
	s_waitcnt vmcnt(0)
	v_mov_b32_e32 v9, 0
	v_mov_b32_e32 v10, v9
	s_mov_b64 s[0:1], 0
	global_store_dwordx4 v[5:6], v[7:10], off
.LBB87_1915:
	s_andn2_b64 vcc, exec, s[0:1]
	s_cbranch_vccnz .LBB87_1917
; %bb.1916:
	v_cndmask_b32_e64 v7, 0, 1.0, s[4:5]
	v_mov_b32_e32 v8, 0
	global_store_dwordx2 v[5:6], v[7:8], off
.LBB87_1917:
	s_mov_b64 s[0:1], 0
.LBB87_1918:
	s_andn2_b64 vcc, exec, s[0:1]
	s_cbranch_vccnz .LBB87_1920
; %bb.1919:
	v_cndmask_b32_e64 v1, 0, 1.0, s[4:5]
	v_cvt_f16_f32_e32 v1, v1
	global_store_dword v[5:6], v1, off
.LBB87_1920:
	s_mov_b64 s[0:1], 0
.LBB87_1921:
	s_andn2_b64 vcc, exec, s[0:1]
	s_cbranch_vccnz .LBB87_1930
; %bb.1922:
	s_cmp_lt_i32 s14, 6
	s_mov_b64 s[0:1], -1
	s_cbranch_scc1 .LBB87_1928
; %bb.1923:
	s_cmp_gt_i32 s14, 6
	s_cbranch_scc0 .LBB87_1925
; %bb.1924:
	v_cndmask_b32_e64 v1, 0, 1, s[4:5]
	v_cvt_f64_u32_e32 v[7:8], v1
	s_mov_b64 s[0:1], 0
	global_store_dwordx2 v[5:6], v[7:8], off
.LBB87_1925:
	s_andn2_b64 vcc, exec, s[0:1]
	s_cbranch_vccnz .LBB87_1927
; %bb.1926:
	v_cndmask_b32_e64 v1, 0, 1.0, s[4:5]
	global_store_dword v[5:6], v1, off
.LBB87_1927:
	s_mov_b64 s[0:1], 0
.LBB87_1928:
	s_andn2_b64 vcc, exec, s[0:1]
	s_cbranch_vccnz .LBB87_1930
; %bb.1929:
	v_cndmask_b32_e64 v1, 0, 1.0, s[4:5]
	v_cvt_f16_f32_e32 v1, v1
	global_store_short v[5:6], v1, off
.LBB87_1930:
	s_mov_b64 s[0:1], 0
.LBB87_1931:
	s_andn2_b64 vcc, exec, s[0:1]
	s_cbranch_vccnz .LBB87_1947
; %bb.1932:
	s_cmp_lt_i32 s14, 2
	s_mov_b64 s[0:1], -1
	s_cbranch_scc1 .LBB87_1942
; %bb.1933:
	s_cmp_lt_i32 s14, 3
	s_cbranch_scc1 .LBB87_1939
; %bb.1934:
	s_cmp_gt_i32 s14, 3
	s_cbranch_scc0 .LBB87_1936
; %bb.1935:
	s_mov_b32 s0, 0
	v_cndmask_b32_e64 v7, 0, 1, s[4:5]
	v_mov_b32_e32 v8, s0
	global_store_dwordx2 v[5:6], v[7:8], off
	s_mov_b64 s[0:1], 0
.LBB87_1936:
	s_andn2_b64 vcc, exec, s[0:1]
	s_cbranch_vccnz .LBB87_1938
; %bb.1937:
	v_cndmask_b32_e64 v1, 0, 1, s[4:5]
	global_store_dword v[5:6], v1, off
.LBB87_1938:
	s_mov_b64 s[0:1], 0
.LBB87_1939:
	s_andn2_b64 vcc, exec, s[0:1]
	s_cbranch_vccnz .LBB87_1941
; %bb.1940:
	v_cndmask_b32_e64 v1, 0, 1, s[4:5]
	global_store_short v[5:6], v1, off
.LBB87_1941:
	s_mov_b64 s[0:1], 0
.LBB87_1942:
	s_andn2_b64 vcc, exec, s[0:1]
	s_cbranch_vccnz .LBB87_1947
; %bb.1943:
	s_mov_b64 s[0:1], -1
	s_cmp_gt_i32 s14, 0
	v_cndmask_b32_e64 v1, 0, 1, s[4:5]
	s_cbranch_scc0 .LBB87_1945
; %bb.1944:
	global_store_byte v[5:6], v1, off
	s_mov_b64 s[0:1], 0
.LBB87_1945:
	s_andn2_b64 vcc, exec, s[0:1]
	s_cbranch_vccnz .LBB87_1947
; %bb.1946:
	global_store_byte v[5:6], v1, off
.LBB87_1947:
	s_mov_b64 s[16:17], -1
.LBB87_1948:
	s_andn2_b64 vcc, exec, s[16:17]
	s_cbranch_vccnz .LBB87_2263
; %bb.1949:
	v_mov_b32_e32 v1, s9
	s_and_b32 s20, 0xffff, s22
	s_waitcnt vmcnt(0)
	v_add_co_u32_e32 v3, vcc, s8, v4
	s_cmp_lt_i32 s20, 11
	v_addc_co_u32_e32 v4, vcc, 0, v1, vcc
	s_cbranch_scc1 .LBB87_2027
; %bb.1950:
	s_mov_b64 s[16:17], -1
	s_mov_b64 s[4:5], 0
	s_cmp_gt_i32 s20, 25
	s_mov_b64 s[14:15], 0
	s_mov_b64 s[0:1], 0
	s_cbranch_scc0 .LBB87_1983
; %bb.1951:
	s_cmp_gt_i32 s20, 28
	s_cbranch_scc0 .LBB87_1966
; %bb.1952:
	s_cmp_gt_i32 s20, 43
	;; [unrolled: 3-line block ×3, first 2 shown]
	s_cbranch_scc0 .LBB87_1956
; %bb.1954:
	s_mov_b64 s[0:1], -1
	s_mov_b64 s[16:17], 0
	s_cmp_eq_u32 s20, 46
	s_cbranch_scc0 .LBB87_1956
; %bb.1955:
	v_cndmask_b32_e64 v1, 0, 1.0, s[6:7]
	v_bfe_u32 v5, v1, 16, 1
	s_movk_i32 s0, 0x7fff
	v_add3_u32 v1, v1, v5, s0
	v_lshrrev_b32_e32 v1, 16, v1
	global_store_dword v[3:4], v1, off
	s_mov_b64 s[0:1], 0
	s_mov_b64 s[14:15], -1
.LBB87_1956:
	s_and_b64 vcc, exec, s[16:17]
	s_cbranch_vccz .LBB87_1961
; %bb.1957:
	s_cmp_eq_u32 s20, 44
	s_mov_b64 s[0:1], -1
	s_cbranch_scc0 .LBB87_1961
; %bb.1958:
	v_cndmask_b32_e64 v5, 0, 1.0, s[6:7]
	v_lshrrev_b32_e32 v1, 23, v5
	s_movk_i32 s0, 0xff
	v_cmp_ne_u32_e32 vcc, s0, v1
	v_mov_b32_e32 v6, 0xff
	s_and_saveexec_b64 s[14:15], vcc
; %bb.1959:
	s_mov_b32 s0, 0x3fffff
	v_and_b32_e32 v6, 0x400000, v5
	v_and_or_b32 v5, v5, s0, v1
	v_cmp_ne_u32_e32 vcc, 0, v6
	v_cmp_ne_u32_e64 s[0:1], 0, v5
	s_and_b64 s[0:1], vcc, s[0:1]
	v_cndmask_b32_e64 v5, 0, 1, s[0:1]
	v_add_u32_e32 v6, v1, v5
; %bb.1960:
	s_or_b64 exec, exec, s[14:15]
	s_mov_b64 s[0:1], 0
	s_mov_b64 s[14:15], -1
	global_store_byte v[3:4], v6, off
.LBB87_1961:
	s_mov_b64 s[16:17], 0
.LBB87_1962:
	s_and_b64 vcc, exec, s[16:17]
	s_cbranch_vccz .LBB87_1965
; %bb.1963:
	s_cmp_eq_u32 s20, 29
	s_mov_b64 s[0:1], -1
	s_cbranch_scc0 .LBB87_1965
; %bb.1964:
	s_mov_b32 s0, 0
	v_cndmask_b32_e64 v5, 0, 1, s[6:7]
	v_mov_b32_e32 v6, s0
	global_store_dwordx2 v[3:4], v[5:6], off
	s_mov_b64 s[0:1], 0
	s_mov_b64 s[14:15], -1
.LBB87_1965:
	s_mov_b64 s[16:17], 0
.LBB87_1966:
	s_and_b64 vcc, exec, s[16:17]
	s_cbranch_vccz .LBB87_1982
; %bb.1967:
	s_cmp_lt_i32 s20, 27
	s_mov_b64 s[14:15], -1
	s_cbranch_scc1 .LBB87_1973
; %bb.1968:
	s_cmp_gt_i32 s20, 27
	s_cbranch_scc0 .LBB87_1970
; %bb.1969:
	v_cndmask_b32_e64 v1, 0, 1, s[6:7]
	s_mov_b64 s[14:15], 0
	global_store_dword v[3:4], v1, off
.LBB87_1970:
	s_andn2_b64 vcc, exec, s[14:15]
	s_cbranch_vccnz .LBB87_1972
; %bb.1971:
	v_cndmask_b32_e64 v1, 0, 1, s[6:7]
	global_store_short v[3:4], v1, off
.LBB87_1972:
	s_mov_b64 s[14:15], 0
.LBB87_1973:
	s_andn2_b64 vcc, exec, s[14:15]
	s_cbranch_vccnz .LBB87_1981
; %bb.1974:
	v_cndmask_b32_e64 v5, 0, 1.0, s[6:7]
	s_mov_b32 s14, 0x43800000
	v_cmp_gt_u32_e32 vcc, s14, v5
	v_mov_b32_e32 v6, 0x80
	s_and_saveexec_b64 s[14:15], vcc
	s_cbranch_execz .LBB87_1980
; %bb.1975:
	s_mov_b32 s16, 0x3bffffff
	v_cmp_lt_u32_e32 vcc, s16, v5
	s_mov_b64 s[16:17], 0
                                        ; implicit-def: $vgpr1
	s_and_saveexec_b64 s[18:19], vcc
	s_xor_b64 s[18:19], exec, s[18:19]
	s_cbranch_execz .LBB87_2271
; %bb.1976:
	v_bfe_u32 v1, v5, 20, 1
	s_mov_b32 s21, 0x487ffff
	v_add3_u32 v1, v5, v1, s21
	s_mov_b64 s[16:17], exec
	v_lshrrev_b32_e32 v1, 20, v1
                                        ; implicit-def: $vgpr5
	s_andn2_saveexec_b64 s[18:19], s[18:19]
	s_cbranch_execnz .LBB87_2272
.LBB87_1977:
	s_or_b64 exec, exec, s[18:19]
	v_mov_b32_e32 v6, 0
	s_and_saveexec_b64 s[18:19], s[16:17]
.LBB87_1978:
	v_mov_b32_e32 v6, v1
.LBB87_1979:
	s_or_b64 exec, exec, s[18:19]
.LBB87_1980:
	s_or_b64 exec, exec, s[14:15]
	global_store_byte v[3:4], v6, off
.LBB87_1981:
	s_mov_b64 s[14:15], -1
.LBB87_1982:
	s_mov_b64 s[16:17], 0
.LBB87_1983:
	s_and_b64 vcc, exec, s[16:17]
	s_cbranch_vccz .LBB87_2023
; %bb.1984:
	s_cmp_gt_i32 s20, 22
	s_mov_b64 s[4:5], -1
	s_cbranch_scc0 .LBB87_2016
; %bb.1985:
	s_cmp_lt_i32 s20, 24
	s_cbranch_scc1 .LBB87_2005
; %bb.1986:
	s_cmp_gt_i32 s20, 24
	s_cbranch_scc0 .LBB87_1994
; %bb.1987:
	v_cndmask_b32_e64 v5, 0, 1.0, s[6:7]
	s_mov_b32 s4, 0x47800000
	v_cmp_gt_u32_e32 vcc, s4, v5
	v_mov_b32_e32 v6, 0x80
	s_and_saveexec_b64 s[4:5], vcc
	s_cbranch_execz .LBB87_1993
; %bb.1988:
	s_mov_b32 s14, 0x37ffffff
	v_cmp_lt_u32_e32 vcc, s14, v5
	s_mov_b64 s[14:15], 0
                                        ; implicit-def: $vgpr1
	s_and_saveexec_b64 s[16:17], vcc
	s_xor_b64 s[16:17], exec, s[16:17]
	s_cbranch_execz .LBB87_2274
; %bb.1989:
	v_bfe_u32 v1, v5, 21, 1
	s_mov_b32 s18, 0x88fffff
	v_add3_u32 v1, v5, v1, s18
	s_mov_b64 s[14:15], exec
	v_lshrrev_b32_e32 v1, 21, v1
                                        ; implicit-def: $vgpr5
	s_andn2_saveexec_b64 s[16:17], s[16:17]
	s_cbranch_execnz .LBB87_2275
.LBB87_1990:
	s_or_b64 exec, exec, s[16:17]
	v_mov_b32_e32 v6, 0
	s_and_saveexec_b64 s[16:17], s[14:15]
.LBB87_1991:
	v_mov_b32_e32 v6, v1
.LBB87_1992:
	s_or_b64 exec, exec, s[16:17]
.LBB87_1993:
	s_or_b64 exec, exec, s[4:5]
	s_mov_b64 s[4:5], 0
	global_store_byte v[3:4], v6, off
.LBB87_1994:
	s_and_b64 vcc, exec, s[4:5]
	s_cbranch_vccz .LBB87_2004
; %bb.1995:
	v_cndmask_b32_e64 v1, 0, 1.0, s[6:7]
	s_mov_b32 s4, 0x43f00000
	v_cmp_gt_u32_e32 vcc, s4, v1
                                        ; implicit-def: $vgpr5
	s_and_saveexec_b64 s[4:5], vcc
	s_xor_b64 s[4:5], exec, s[4:5]
	s_cbranch_execz .LBB87_2001
; %bb.1996:
	s_mov_b32 s14, 0x3c7fffff
	v_cmp_lt_u32_e32 vcc, s14, v1
                                        ; implicit-def: $vgpr5
	s_and_saveexec_b64 s[14:15], vcc
	s_xor_b64 s[14:15], exec, s[14:15]
; %bb.1997:
	v_bfe_u32 v5, v1, 20, 1
	s_mov_b32 s16, 0x407ffff
	v_add3_u32 v1, v1, v5, s16
	v_lshrrev_b32_e32 v5, 20, v1
	v_and_b32_e32 v1, 0xff00000, v1
	s_mov_b32 s16, 0x7f00000
	v_mov_b32_e32 v6, 0x7e
	v_cmp_ne_u32_e32 vcc, s16, v1
	v_cndmask_b32_e32 v5, v6, v5, vcc
                                        ; implicit-def: $vgpr1
; %bb.1998:
	s_andn2_saveexec_b64 s[14:15], s[14:15]
; %bb.1999:
	v_add_f32_e32 v5, 0x46800000, v1
; %bb.2000:
	s_or_b64 exec, exec, s[14:15]
                                        ; implicit-def: $vgpr1
.LBB87_2001:
	s_andn2_saveexec_b64 s[4:5], s[4:5]
; %bb.2002:
	s_mov_b32 s14, 0x7f800000
	v_mov_b32_e32 v5, 0x7e
	v_mov_b32_e32 v6, 0x7f
	v_cmp_lt_u32_e32 vcc, s14, v1
	v_cndmask_b32_e32 v5, v5, v6, vcc
; %bb.2003:
	s_or_b64 exec, exec, s[4:5]
	global_store_byte v[3:4], v5, off
.LBB87_2004:
	s_mov_b64 s[4:5], 0
.LBB87_2005:
	s_andn2_b64 vcc, exec, s[4:5]
	s_cbranch_vccnz .LBB87_2015
; %bb.2006:
	v_cndmask_b32_e64 v1, 0, 1.0, s[6:7]
	s_mov_b32 s4, 0x47800000
	v_cmp_gt_u32_e32 vcc, s4, v1
                                        ; implicit-def: $vgpr5
	s_and_saveexec_b64 s[4:5], vcc
	s_xor_b64 s[4:5], exec, s[4:5]
	s_cbranch_execz .LBB87_2012
; %bb.2007:
	s_mov_b32 s14, 0x387fffff
	v_cmp_lt_u32_e32 vcc, s14, v1
                                        ; implicit-def: $vgpr5
	s_and_saveexec_b64 s[14:15], vcc
	s_xor_b64 s[14:15], exec, s[14:15]
; %bb.2008:
	v_bfe_u32 v5, v1, 21, 1
	s_mov_b32 s16, 0x80fffff
	v_add3_u32 v1, v1, v5, s16
	v_lshrrev_b32_e32 v5, 21, v1
                                        ; implicit-def: $vgpr1
; %bb.2009:
	s_andn2_saveexec_b64 s[14:15], s[14:15]
; %bb.2010:
	v_add_f32_e32 v5, 0x43000000, v1
; %bb.2011:
	s_or_b64 exec, exec, s[14:15]
                                        ; implicit-def: $vgpr1
.LBB87_2012:
	s_andn2_saveexec_b64 s[4:5], s[4:5]
; %bb.2013:
	s_mov_b32 s14, 0x7f800000
	v_mov_b32_e32 v5, 0x7c
	v_mov_b32_e32 v6, 0x7f
	v_cmp_lt_u32_e32 vcc, s14, v1
	v_cndmask_b32_e32 v5, v5, v6, vcc
; %bb.2014:
	s_or_b64 exec, exec, s[4:5]
	global_store_byte v[3:4], v5, off
.LBB87_2015:
	s_mov_b64 s[4:5], 0
	s_mov_b64 s[14:15], -1
.LBB87_2016:
	s_andn2_b64 vcc, exec, s[4:5]
	s_mov_b64 s[4:5], 0
	s_cbranch_vccnz .LBB87_2023
; %bb.2017:
	s_cmp_gt_i32 s20, 14
	s_mov_b64 s[16:17], -1
	s_cbranch_scc0 .LBB87_2021
; %bb.2018:
	s_cmp_eq_u32 s20, 15
	s_mov_b64 s[0:1], -1
	s_cbranch_scc0 .LBB87_2020
; %bb.2019:
	v_cndmask_b32_e64 v1, 0, 1.0, s[6:7]
	v_bfe_u32 v5, v1, 16, 1
	s_movk_i32 s0, 0x7fff
	v_add3_u32 v1, v1, v5, s0
	global_store_short_d16_hi v[3:4], v1, off
	s_mov_b64 s[0:1], 0
	s_mov_b64 s[14:15], -1
.LBB87_2020:
	s_mov_b64 s[16:17], 0
.LBB87_2021:
	s_and_b64 vcc, exec, s[16:17]
	s_cbranch_vccz .LBB87_2023
; %bb.2022:
	s_cmp_lg_u32 s20, 11
	s_mov_b64 s[4:5], -1
	s_cselect_b64 s[0:1], -1, 0
.LBB87_2023:
	s_and_b64 vcc, exec, s[0:1]
	s_cbranch_vccnz .LBB87_2273
; %bb.2024:
	s_andn2_b64 vcc, exec, s[4:5]
	s_cbranch_vccnz .LBB87_2026
.LBB87_2025:
	v_cndmask_b32_e64 v1, 0, 1, s[6:7]
	s_mov_b64 s[14:15], -1
	global_store_byte v[3:4], v1, off
.LBB87_2026:
	s_mov_b64 s[0:1], 0
	s_branch .LBB87_2028
.LBB87_2027:
	s_mov_b64 s[0:1], -1
	s_mov_b64 s[14:15], 0
.LBB87_2028:
	s_and_b64 vcc, exec, s[0:1]
	s_cbranch_vccz .LBB87_2067
; %bb.2029:
	s_cmp_lt_i32 s20, 5
	s_mov_b64 s[0:1], -1
	s_cbranch_scc1 .LBB87_2050
; %bb.2030:
	s_cmp_lt_i32 s20, 8
	s_cbranch_scc1 .LBB87_2040
; %bb.2031:
	s_cmp_lt_i32 s20, 9
	s_cbranch_scc1 .LBB87_2037
; %bb.2032:
	s_cmp_gt_i32 s20, 9
	s_cbranch_scc0 .LBB87_2034
; %bb.2033:
	v_cndmask_b32_e64 v1, 0, 1, s[6:7]
	v_cvt_f64_u32_e32 v[5:6], v1
	v_mov_b32_e32 v7, 0
	v_mov_b32_e32 v8, v7
	s_mov_b64 s[0:1], 0
	global_store_dwordx4 v[3:4], v[5:8], off
.LBB87_2034:
	s_andn2_b64 vcc, exec, s[0:1]
	s_cbranch_vccnz .LBB87_2036
; %bb.2035:
	v_cndmask_b32_e64 v5, 0, 1.0, s[6:7]
	v_mov_b32_e32 v6, 0
	global_store_dwordx2 v[3:4], v[5:6], off
.LBB87_2036:
	s_mov_b64 s[0:1], 0
.LBB87_2037:
	s_andn2_b64 vcc, exec, s[0:1]
	s_cbranch_vccnz .LBB87_2039
; %bb.2038:
	v_cndmask_b32_e64 v1, 0, 1.0, s[6:7]
	v_cvt_f16_f32_e32 v1, v1
	global_store_dword v[3:4], v1, off
.LBB87_2039:
	s_mov_b64 s[0:1], 0
.LBB87_2040:
	s_andn2_b64 vcc, exec, s[0:1]
	s_cbranch_vccnz .LBB87_2049
; %bb.2041:
	s_cmp_lt_i32 s20, 6
	s_mov_b64 s[0:1], -1
	s_cbranch_scc1 .LBB87_2047
; %bb.2042:
	s_cmp_gt_i32 s20, 6
	s_cbranch_scc0 .LBB87_2044
; %bb.2043:
	v_cndmask_b32_e64 v1, 0, 1, s[6:7]
	v_cvt_f64_u32_e32 v[5:6], v1
	s_mov_b64 s[0:1], 0
	global_store_dwordx2 v[3:4], v[5:6], off
.LBB87_2044:
	s_andn2_b64 vcc, exec, s[0:1]
	s_cbranch_vccnz .LBB87_2046
; %bb.2045:
	v_cndmask_b32_e64 v1, 0, 1.0, s[6:7]
	global_store_dword v[3:4], v1, off
.LBB87_2046:
	s_mov_b64 s[0:1], 0
.LBB87_2047:
	s_andn2_b64 vcc, exec, s[0:1]
	s_cbranch_vccnz .LBB87_2049
; %bb.2048:
	v_cndmask_b32_e64 v1, 0, 1.0, s[6:7]
	v_cvt_f16_f32_e32 v1, v1
	global_store_short v[3:4], v1, off
.LBB87_2049:
	s_mov_b64 s[0:1], 0
.LBB87_2050:
	s_andn2_b64 vcc, exec, s[0:1]
	s_cbranch_vccnz .LBB87_2066
; %bb.2051:
	s_cmp_lt_i32 s20, 2
	s_mov_b64 s[0:1], -1
	s_cbranch_scc1 .LBB87_2061
; %bb.2052:
	s_cmp_lt_i32 s20, 3
	s_cbranch_scc1 .LBB87_2058
; %bb.2053:
	s_cmp_gt_i32 s20, 3
	s_cbranch_scc0 .LBB87_2055
; %bb.2054:
	s_mov_b32 s0, 0
	v_cndmask_b32_e64 v5, 0, 1, s[6:7]
	v_mov_b32_e32 v6, s0
	global_store_dwordx2 v[3:4], v[5:6], off
	s_mov_b64 s[0:1], 0
.LBB87_2055:
	s_andn2_b64 vcc, exec, s[0:1]
	s_cbranch_vccnz .LBB87_2057
; %bb.2056:
	v_cndmask_b32_e64 v1, 0, 1, s[6:7]
	global_store_dword v[3:4], v1, off
.LBB87_2057:
	s_mov_b64 s[0:1], 0
.LBB87_2058:
	s_andn2_b64 vcc, exec, s[0:1]
	s_cbranch_vccnz .LBB87_2060
; %bb.2059:
	v_cndmask_b32_e64 v1, 0, 1, s[6:7]
	global_store_short v[3:4], v1, off
.LBB87_2060:
	s_mov_b64 s[0:1], 0
.LBB87_2061:
	s_andn2_b64 vcc, exec, s[0:1]
	s_cbranch_vccnz .LBB87_2066
; %bb.2062:
	s_mov_b64 s[0:1], -1
	s_cmp_gt_i32 s20, 0
	v_cndmask_b32_e64 v1, 0, 1, s[6:7]
	s_cbranch_scc0 .LBB87_2064
; %bb.2063:
	global_store_byte v[3:4], v1, off
	s_mov_b64 s[0:1], 0
.LBB87_2064:
	s_andn2_b64 vcc, exec, s[0:1]
	s_cbranch_vccnz .LBB87_2066
; %bb.2065:
	global_store_byte v[3:4], v1, off
.LBB87_2066:
	s_mov_b64 s[14:15], -1
.LBB87_2067:
	s_andn2_b64 vcc, exec, s[14:15]
	s_cbranch_vccnz .LBB87_2263
; %bb.2068:
	v_mov_b32_e32 v3, s9
	v_add_co_u32_e32 v1, vcc, s8, v2
	s_cmp_lt_i32 s20, 11
	v_addc_co_u32_e32 v2, vcc, 0, v3, vcc
	s_cbranch_scc1 .LBB87_2146
; %bb.2069:
	s_mov_b64 s[14:15], -1
	s_mov_b64 s[4:5], 0
	s_cmp_gt_i32 s20, 25
	s_mov_b64 s[6:7], 0
	s_mov_b64 s[0:1], 0
	s_cbranch_scc0 .LBB87_2102
; %bb.2070:
	s_cmp_gt_i32 s20, 28
	s_cbranch_scc0 .LBB87_2085
; %bb.2071:
	s_cmp_gt_i32 s20, 43
	;; [unrolled: 3-line block ×3, first 2 shown]
	s_cbranch_scc0 .LBB87_2075
; %bb.2073:
	s_mov_b64 s[0:1], -1
	s_mov_b64 s[14:15], 0
	s_cmp_eq_u32 s20, 46
	s_cbranch_scc0 .LBB87_2075
; %bb.2074:
	v_cndmask_b32_e64 v3, 0, 1.0, s[12:13]
	v_bfe_u32 v4, v3, 16, 1
	s_movk_i32 s0, 0x7fff
	v_add3_u32 v3, v3, v4, s0
	v_lshrrev_b32_e32 v3, 16, v3
	global_store_dword v[1:2], v3, off
	s_mov_b64 s[0:1], 0
	s_mov_b64 s[6:7], -1
.LBB87_2075:
	s_and_b64 vcc, exec, s[14:15]
	s_cbranch_vccz .LBB87_2080
; %bb.2076:
	s_cmp_eq_u32 s20, 44
	s_mov_b64 s[0:1], -1
	s_cbranch_scc0 .LBB87_2080
; %bb.2077:
	v_cndmask_b32_e64 v4, 0, 1.0, s[12:13]
	v_lshrrev_b32_e32 v3, 23, v4
	s_movk_i32 s0, 0xff
	v_cmp_ne_u32_e32 vcc, s0, v3
	v_mov_b32_e32 v5, 0xff
	s_and_saveexec_b64 s[6:7], vcc
; %bb.2078:
	s_mov_b32 s0, 0x3fffff
	v_and_b32_e32 v5, 0x400000, v4
	v_and_or_b32 v4, v4, s0, v3
	v_cmp_ne_u32_e32 vcc, 0, v5
	v_cmp_ne_u32_e64 s[0:1], 0, v4
	s_and_b64 s[0:1], vcc, s[0:1]
	v_cndmask_b32_e64 v4, 0, 1, s[0:1]
	v_add_u32_e32 v5, v3, v4
; %bb.2079:
	s_or_b64 exec, exec, s[6:7]
	s_mov_b64 s[0:1], 0
	s_mov_b64 s[6:7], -1
	global_store_byte v[1:2], v5, off
.LBB87_2080:
	s_mov_b64 s[14:15], 0
.LBB87_2081:
	s_and_b64 vcc, exec, s[14:15]
	s_cbranch_vccz .LBB87_2084
; %bb.2082:
	s_cmp_eq_u32 s20, 29
	s_mov_b64 s[0:1], -1
	s_cbranch_scc0 .LBB87_2084
; %bb.2083:
	s_mov_b32 s0, 0
	v_cndmask_b32_e64 v3, 0, 1, s[12:13]
	v_mov_b32_e32 v4, s0
	global_store_dwordx2 v[1:2], v[3:4], off
	s_mov_b64 s[0:1], 0
	s_mov_b64 s[6:7], -1
.LBB87_2084:
	s_mov_b64 s[14:15], 0
.LBB87_2085:
	s_and_b64 vcc, exec, s[14:15]
	s_cbranch_vccz .LBB87_2101
; %bb.2086:
	s_cmp_lt_i32 s20, 27
	s_mov_b64 s[6:7], -1
	s_cbranch_scc1 .LBB87_2092
; %bb.2087:
	s_cmp_gt_i32 s20, 27
	s_cbranch_scc0 .LBB87_2089
; %bb.2088:
	v_cndmask_b32_e64 v3, 0, 1, s[12:13]
	s_mov_b64 s[6:7], 0
	global_store_dword v[1:2], v3, off
.LBB87_2089:
	s_andn2_b64 vcc, exec, s[6:7]
	s_cbranch_vccnz .LBB87_2091
; %bb.2090:
	v_cndmask_b32_e64 v3, 0, 1, s[12:13]
	global_store_short v[1:2], v3, off
.LBB87_2091:
	s_mov_b64 s[6:7], 0
.LBB87_2092:
	s_andn2_b64 vcc, exec, s[6:7]
	s_cbranch_vccnz .LBB87_2100
; %bb.2093:
	v_cndmask_b32_e64 v4, 0, 1.0, s[12:13]
	s_mov_b32 s6, 0x43800000
	v_cmp_gt_u32_e32 vcc, s6, v4
	v_mov_b32_e32 v5, 0x80
	s_and_saveexec_b64 s[6:7], vcc
	s_cbranch_execz .LBB87_2099
; %bb.2094:
	s_mov_b32 s14, 0x3bffffff
	v_cmp_lt_u32_e32 vcc, s14, v4
	s_mov_b64 s[14:15], 0
                                        ; implicit-def: $vgpr3
	s_and_saveexec_b64 s[16:17], vcc
	s_xor_b64 s[16:17], exec, s[16:17]
	s_cbranch_execz .LBB87_2276
; %bb.2095:
	v_bfe_u32 v3, v4, 20, 1
	s_mov_b32 s18, 0x487ffff
	v_add3_u32 v3, v4, v3, s18
	s_mov_b64 s[14:15], exec
	v_lshrrev_b32_e32 v3, 20, v3
                                        ; implicit-def: $vgpr4
	s_andn2_saveexec_b64 s[16:17], s[16:17]
	s_cbranch_execnz .LBB87_2277
.LBB87_2096:
	s_or_b64 exec, exec, s[16:17]
	v_mov_b32_e32 v5, 0
	s_and_saveexec_b64 s[16:17], s[14:15]
.LBB87_2097:
	v_mov_b32_e32 v5, v3
.LBB87_2098:
	s_or_b64 exec, exec, s[16:17]
.LBB87_2099:
	s_or_b64 exec, exec, s[6:7]
	global_store_byte v[1:2], v5, off
.LBB87_2100:
	s_mov_b64 s[6:7], -1
.LBB87_2101:
	s_mov_b64 s[14:15], 0
.LBB87_2102:
	s_and_b64 vcc, exec, s[14:15]
	s_cbranch_vccz .LBB87_2142
; %bb.2103:
	s_cmp_gt_i32 s20, 22
	s_mov_b64 s[4:5], -1
	s_cbranch_scc0 .LBB87_2135
; %bb.2104:
	s_cmp_lt_i32 s20, 24
	s_cbranch_scc1 .LBB87_2124
; %bb.2105:
	s_cmp_gt_i32 s20, 24
	s_cbranch_scc0 .LBB87_2113
; %bb.2106:
	v_cndmask_b32_e64 v4, 0, 1.0, s[12:13]
	s_mov_b32 s4, 0x47800000
	v_cmp_gt_u32_e32 vcc, s4, v4
	v_mov_b32_e32 v5, 0x80
	s_and_saveexec_b64 s[4:5], vcc
	s_cbranch_execz .LBB87_2112
; %bb.2107:
	s_mov_b32 s6, 0x37ffffff
	v_cmp_lt_u32_e32 vcc, s6, v4
	s_mov_b64 s[6:7], 0
                                        ; implicit-def: $vgpr3
	s_and_saveexec_b64 s[14:15], vcc
	s_xor_b64 s[14:15], exec, s[14:15]
	s_cbranch_execz .LBB87_2279
; %bb.2108:
	v_bfe_u32 v3, v4, 21, 1
	s_mov_b32 s16, 0x88fffff
	v_add3_u32 v3, v4, v3, s16
	s_mov_b64 s[6:7], exec
	v_lshrrev_b32_e32 v3, 21, v3
                                        ; implicit-def: $vgpr4
	s_andn2_saveexec_b64 s[14:15], s[14:15]
	s_cbranch_execnz .LBB87_2280
.LBB87_2109:
	s_or_b64 exec, exec, s[14:15]
	v_mov_b32_e32 v5, 0
	s_and_saveexec_b64 s[14:15], s[6:7]
.LBB87_2110:
	v_mov_b32_e32 v5, v3
.LBB87_2111:
	s_or_b64 exec, exec, s[14:15]
.LBB87_2112:
	s_or_b64 exec, exec, s[4:5]
	s_mov_b64 s[4:5], 0
	global_store_byte v[1:2], v5, off
.LBB87_2113:
	s_and_b64 vcc, exec, s[4:5]
	s_cbranch_vccz .LBB87_2123
; %bb.2114:
	v_cndmask_b32_e64 v3, 0, 1.0, s[12:13]
	s_mov_b32 s4, 0x43f00000
	v_cmp_gt_u32_e32 vcc, s4, v3
                                        ; implicit-def: $vgpr4
	s_and_saveexec_b64 s[4:5], vcc
	s_xor_b64 s[4:5], exec, s[4:5]
	s_cbranch_execz .LBB87_2120
; %bb.2115:
	s_mov_b32 s6, 0x3c7fffff
	v_cmp_lt_u32_e32 vcc, s6, v3
                                        ; implicit-def: $vgpr4
	s_and_saveexec_b64 s[6:7], vcc
	s_xor_b64 s[6:7], exec, s[6:7]
; %bb.2116:
	v_bfe_u32 v4, v3, 20, 1
	s_mov_b32 s14, 0x407ffff
	v_add3_u32 v3, v3, v4, s14
	v_lshrrev_b32_e32 v4, 20, v3
	v_and_b32_e32 v3, 0xff00000, v3
	s_mov_b32 s14, 0x7f00000
	v_mov_b32_e32 v5, 0x7e
	v_cmp_ne_u32_e32 vcc, s14, v3
	v_cndmask_b32_e32 v4, v5, v4, vcc
                                        ; implicit-def: $vgpr3
; %bb.2117:
	s_andn2_saveexec_b64 s[6:7], s[6:7]
; %bb.2118:
	v_add_f32_e32 v4, 0x46800000, v3
; %bb.2119:
	s_or_b64 exec, exec, s[6:7]
                                        ; implicit-def: $vgpr3
.LBB87_2120:
	s_andn2_saveexec_b64 s[4:5], s[4:5]
; %bb.2121:
	s_mov_b32 s6, 0x7f800000
	v_mov_b32_e32 v4, 0x7e
	v_mov_b32_e32 v5, 0x7f
	v_cmp_lt_u32_e32 vcc, s6, v3
	v_cndmask_b32_e32 v4, v4, v5, vcc
; %bb.2122:
	s_or_b64 exec, exec, s[4:5]
	global_store_byte v[1:2], v4, off
.LBB87_2123:
	s_mov_b64 s[4:5], 0
.LBB87_2124:
	s_andn2_b64 vcc, exec, s[4:5]
	s_cbranch_vccnz .LBB87_2134
; %bb.2125:
	v_cndmask_b32_e64 v3, 0, 1.0, s[12:13]
	s_mov_b32 s4, 0x47800000
	v_cmp_gt_u32_e32 vcc, s4, v3
                                        ; implicit-def: $vgpr4
	s_and_saveexec_b64 s[4:5], vcc
	s_xor_b64 s[4:5], exec, s[4:5]
	s_cbranch_execz .LBB87_2131
; %bb.2126:
	s_mov_b32 s6, 0x387fffff
	v_cmp_lt_u32_e32 vcc, s6, v3
                                        ; implicit-def: $vgpr4
	s_and_saveexec_b64 s[6:7], vcc
	s_xor_b64 s[6:7], exec, s[6:7]
; %bb.2127:
	v_bfe_u32 v4, v3, 21, 1
	s_mov_b32 s14, 0x80fffff
	v_add3_u32 v3, v3, v4, s14
	v_lshrrev_b32_e32 v4, 21, v3
                                        ; implicit-def: $vgpr3
; %bb.2128:
	s_andn2_saveexec_b64 s[6:7], s[6:7]
; %bb.2129:
	v_add_f32_e32 v4, 0x43000000, v3
; %bb.2130:
	s_or_b64 exec, exec, s[6:7]
                                        ; implicit-def: $vgpr3
.LBB87_2131:
	s_andn2_saveexec_b64 s[4:5], s[4:5]
; %bb.2132:
	s_mov_b32 s6, 0x7f800000
	v_mov_b32_e32 v4, 0x7c
	v_mov_b32_e32 v5, 0x7f
	v_cmp_lt_u32_e32 vcc, s6, v3
	v_cndmask_b32_e32 v4, v4, v5, vcc
; %bb.2133:
	s_or_b64 exec, exec, s[4:5]
	global_store_byte v[1:2], v4, off
.LBB87_2134:
	s_mov_b64 s[4:5], 0
	s_mov_b64 s[6:7], -1
.LBB87_2135:
	s_andn2_b64 vcc, exec, s[4:5]
	s_mov_b64 s[4:5], 0
	s_cbranch_vccnz .LBB87_2142
; %bb.2136:
	s_cmp_gt_i32 s20, 14
	s_mov_b64 s[14:15], -1
	s_cbranch_scc0 .LBB87_2140
; %bb.2137:
	s_cmp_eq_u32 s20, 15
	s_mov_b64 s[0:1], -1
	s_cbranch_scc0 .LBB87_2139
; %bb.2138:
	v_cndmask_b32_e64 v3, 0, 1.0, s[12:13]
	v_bfe_u32 v4, v3, 16, 1
	s_movk_i32 s0, 0x7fff
	v_add3_u32 v3, v3, v4, s0
	global_store_short_d16_hi v[1:2], v3, off
	s_mov_b64 s[0:1], 0
	s_mov_b64 s[6:7], -1
.LBB87_2139:
	s_mov_b64 s[14:15], 0
.LBB87_2140:
	s_and_b64 vcc, exec, s[14:15]
	s_cbranch_vccz .LBB87_2142
; %bb.2141:
	s_cmp_lg_u32 s20, 11
	s_mov_b64 s[4:5], -1
	s_cselect_b64 s[0:1], -1, 0
.LBB87_2142:
	s_and_b64 vcc, exec, s[0:1]
	s_cbranch_vccnz .LBB87_2278
; %bb.2143:
	s_andn2_b64 vcc, exec, s[4:5]
	s_cbranch_vccnz .LBB87_2145
.LBB87_2144:
	v_cndmask_b32_e64 v3, 0, 1, s[12:13]
	s_mov_b64 s[6:7], -1
	global_store_byte v[1:2], v3, off
.LBB87_2145:
	s_mov_b64 s[0:1], 0
	s_branch .LBB87_2147
.LBB87_2146:
	s_mov_b64 s[0:1], -1
	s_mov_b64 s[6:7], 0
.LBB87_2147:
	s_and_b64 vcc, exec, s[0:1]
	s_cbranch_vccz .LBB87_2186
; %bb.2148:
	s_cmp_lt_i32 s20, 5
	s_mov_b64 s[0:1], -1
	s_cbranch_scc1 .LBB87_2169
; %bb.2149:
	s_cmp_lt_i32 s20, 8
	s_cbranch_scc1 .LBB87_2159
; %bb.2150:
	s_cmp_lt_i32 s20, 9
	s_cbranch_scc1 .LBB87_2156
; %bb.2151:
	s_cmp_gt_i32 s20, 9
	s_cbranch_scc0 .LBB87_2153
; %bb.2152:
	v_cndmask_b32_e64 v3, 0, 1, s[12:13]
	v_cvt_f64_u32_e32 v[3:4], v3
	v_mov_b32_e32 v5, 0
	v_mov_b32_e32 v6, v5
	s_mov_b64 s[0:1], 0
	global_store_dwordx4 v[1:2], v[3:6], off
.LBB87_2153:
	s_andn2_b64 vcc, exec, s[0:1]
	s_cbranch_vccnz .LBB87_2155
; %bb.2154:
	v_cndmask_b32_e64 v3, 0, 1.0, s[12:13]
	v_mov_b32_e32 v4, 0
	global_store_dwordx2 v[1:2], v[3:4], off
.LBB87_2155:
	s_mov_b64 s[0:1], 0
.LBB87_2156:
	s_andn2_b64 vcc, exec, s[0:1]
	s_cbranch_vccnz .LBB87_2158
; %bb.2157:
	v_cndmask_b32_e64 v3, 0, 1.0, s[12:13]
	v_cvt_f16_f32_e32 v3, v3
	global_store_dword v[1:2], v3, off
.LBB87_2158:
	s_mov_b64 s[0:1], 0
.LBB87_2159:
	s_andn2_b64 vcc, exec, s[0:1]
	s_cbranch_vccnz .LBB87_2168
; %bb.2160:
	s_cmp_lt_i32 s20, 6
	s_mov_b64 s[0:1], -1
	s_cbranch_scc1 .LBB87_2166
; %bb.2161:
	s_cmp_gt_i32 s20, 6
	s_cbranch_scc0 .LBB87_2163
; %bb.2162:
	v_cndmask_b32_e64 v3, 0, 1, s[12:13]
	v_cvt_f64_u32_e32 v[3:4], v3
	s_mov_b64 s[0:1], 0
	global_store_dwordx2 v[1:2], v[3:4], off
.LBB87_2163:
	s_andn2_b64 vcc, exec, s[0:1]
	s_cbranch_vccnz .LBB87_2165
; %bb.2164:
	v_cndmask_b32_e64 v3, 0, 1.0, s[12:13]
	global_store_dword v[1:2], v3, off
.LBB87_2165:
	s_mov_b64 s[0:1], 0
.LBB87_2166:
	s_andn2_b64 vcc, exec, s[0:1]
	s_cbranch_vccnz .LBB87_2168
; %bb.2167:
	v_cndmask_b32_e64 v3, 0, 1.0, s[12:13]
	v_cvt_f16_f32_e32 v3, v3
	global_store_short v[1:2], v3, off
.LBB87_2168:
	s_mov_b64 s[0:1], 0
.LBB87_2169:
	s_andn2_b64 vcc, exec, s[0:1]
	s_cbranch_vccnz .LBB87_2185
; %bb.2170:
	s_cmp_lt_i32 s20, 2
	s_mov_b64 s[0:1], -1
	s_cbranch_scc1 .LBB87_2180
; %bb.2171:
	s_cmp_lt_i32 s20, 3
	s_cbranch_scc1 .LBB87_2177
; %bb.2172:
	s_cmp_gt_i32 s20, 3
	s_cbranch_scc0 .LBB87_2174
; %bb.2173:
	s_mov_b32 s0, 0
	v_cndmask_b32_e64 v3, 0, 1, s[12:13]
	v_mov_b32_e32 v4, s0
	global_store_dwordx2 v[1:2], v[3:4], off
	s_mov_b64 s[0:1], 0
.LBB87_2174:
	s_andn2_b64 vcc, exec, s[0:1]
	s_cbranch_vccnz .LBB87_2176
; %bb.2175:
	v_cndmask_b32_e64 v3, 0, 1, s[12:13]
	global_store_dword v[1:2], v3, off
.LBB87_2176:
	s_mov_b64 s[0:1], 0
.LBB87_2177:
	s_andn2_b64 vcc, exec, s[0:1]
	s_cbranch_vccnz .LBB87_2179
; %bb.2178:
	v_cndmask_b32_e64 v3, 0, 1, s[12:13]
	global_store_short v[1:2], v3, off
.LBB87_2179:
	s_mov_b64 s[0:1], 0
.LBB87_2180:
	s_andn2_b64 vcc, exec, s[0:1]
	s_cbranch_vccnz .LBB87_2185
; %bb.2181:
	s_cmp_gt_i32 s20, 0
	s_mov_b64 s[0:1], -1
	s_cbranch_scc0 .LBB87_2183
; %bb.2182:
	v_cndmask_b32_e64 v3, 0, 1, s[12:13]
	global_store_byte v[1:2], v3, off
	s_mov_b64 s[0:1], 0
.LBB87_2183:
	s_andn2_b64 vcc, exec, s[0:1]
	s_cbranch_vccnz .LBB87_2185
; %bb.2184:
	v_cndmask_b32_e64 v3, 0, 1, s[12:13]
	global_store_byte v[1:2], v3, off
.LBB87_2185:
	s_mov_b64 s[6:7], -1
.LBB87_2186:
	s_andn2_b64 vcc, exec, s[6:7]
	s_cbranch_vccnz .LBB87_2263
; %bb.2187:
	v_mov_b32_e32 v1, s9
	v_add_co_u32_e32 v0, vcc, s8, v0
	s_cmp_lt_i32 s20, 11
	v_addc_co_u32_e32 v1, vcc, 0, v1, vcc
	s_cbranch_scc1 .LBB87_2264
; %bb.2188:
	s_mov_b64 s[6:7], -1
	s_mov_b64 s[4:5], 0
	s_cmp_gt_i32 s20, 25
	s_mov_b64 s[0:1], 0
	s_cbranch_scc0 .LBB87_2221
; %bb.2189:
	s_cmp_gt_i32 s20, 28
	s_cbranch_scc0 .LBB87_2205
; %bb.2190:
	s_cmp_gt_i32 s20, 43
	s_cbranch_scc0 .LBB87_2201
; %bb.2191:
	s_cmp_gt_i32 s20, 45
	s_cbranch_scc0 .LBB87_2195
; %bb.2192:
	s_cmp_eq_u32 s20, 46
	s_mov_b64 s[0:1], -1
	s_cbranch_scc0 .LBB87_2194
; %bb.2193:
	v_cndmask_b32_e64 v2, 0, 1.0, s[10:11]
	v_bfe_u32 v3, v2, 16, 1
	s_movk_i32 s0, 0x7fff
	v_add3_u32 v2, v2, v3, s0
	v_lshrrev_b32_e32 v2, 16, v2
	global_store_dword v[0:1], v2, off
	s_mov_b64 s[0:1], 0
.LBB87_2194:
	s_mov_b64 s[6:7], 0
.LBB87_2195:
	s_and_b64 vcc, exec, s[6:7]
	s_cbranch_vccz .LBB87_2200
; %bb.2196:
	s_cmp_eq_u32 s20, 44
	s_mov_b64 s[0:1], -1
	s_cbranch_scc0 .LBB87_2200
; %bb.2197:
	v_cndmask_b32_e64 v3, 0, 1.0, s[10:11]
	v_lshrrev_b32_e32 v2, 23, v3
	s_movk_i32 s0, 0xff
	v_cmp_ne_u32_e32 vcc, s0, v2
	v_mov_b32_e32 v4, 0xff
	s_and_saveexec_b64 s[6:7], vcc
; %bb.2198:
	s_mov_b32 s0, 0x3fffff
	v_and_b32_e32 v4, 0x400000, v3
	v_and_or_b32 v3, v3, s0, v2
	v_cmp_ne_u32_e32 vcc, 0, v4
	v_cmp_ne_u32_e64 s[0:1], 0, v3
	s_and_b64 s[0:1], vcc, s[0:1]
	v_cndmask_b32_e64 v3, 0, 1, s[0:1]
	v_add_u32_e32 v4, v2, v3
; %bb.2199:
	s_or_b64 exec, exec, s[6:7]
	s_mov_b64 s[0:1], 0
	global_store_byte v[0:1], v4, off
.LBB87_2200:
	s_mov_b64 s[6:7], 0
.LBB87_2201:
	s_and_b64 vcc, exec, s[6:7]
	s_cbranch_vccz .LBB87_2204
; %bb.2202:
	s_cmp_eq_u32 s20, 29
	s_mov_b64 s[0:1], -1
	s_cbranch_scc0 .LBB87_2204
; %bb.2203:
	s_mov_b32 s0, 0
	v_cndmask_b32_e64 v2, 0, 1, s[10:11]
	v_mov_b32_e32 v3, s0
	global_store_dwordx2 v[0:1], v[2:3], off
	s_mov_b64 s[0:1], 0
.LBB87_2204:
	s_mov_b64 s[6:7], 0
.LBB87_2205:
	s_and_b64 vcc, exec, s[6:7]
	s_cbranch_vccz .LBB87_2220
; %bb.2206:
	s_cmp_lt_i32 s20, 27
	s_mov_b64 s[6:7], -1
	s_cbranch_scc1 .LBB87_2212
; %bb.2207:
	s_cmp_gt_i32 s20, 27
	s_cbranch_scc0 .LBB87_2209
; %bb.2208:
	v_cndmask_b32_e64 v2, 0, 1, s[10:11]
	global_store_dword v[0:1], v2, off
	s_mov_b64 s[6:7], 0
.LBB87_2209:
	s_andn2_b64 vcc, exec, s[6:7]
	s_cbranch_vccnz .LBB87_2211
; %bb.2210:
	v_cndmask_b32_e64 v2, 0, 1, s[10:11]
	global_store_short v[0:1], v2, off
.LBB87_2211:
	s_mov_b64 s[6:7], 0
.LBB87_2212:
	s_andn2_b64 vcc, exec, s[6:7]
	s_cbranch_vccnz .LBB87_2220
; %bb.2213:
	v_cndmask_b32_e64 v3, 0, 1.0, s[10:11]
	s_mov_b32 s6, 0x43800000
	v_cmp_gt_u32_e32 vcc, s6, v3
	v_mov_b32_e32 v4, 0x80
	s_and_saveexec_b64 s[6:7], vcc
	s_cbranch_execz .LBB87_2219
; %bb.2214:
	s_mov_b32 s8, 0x3bffffff
	v_cmp_lt_u32_e32 vcc, s8, v3
	s_mov_b64 s[8:9], 0
                                        ; implicit-def: $vgpr2
	s_and_saveexec_b64 s[12:13], vcc
	s_xor_b64 s[12:13], exec, s[12:13]
	s_cbranch_execz .LBB87_2281
; %bb.2215:
	v_bfe_u32 v2, v3, 20, 1
	s_mov_b32 s14, 0x487ffff
	v_add3_u32 v2, v3, v2, s14
	s_mov_b64 s[8:9], exec
	v_lshrrev_b32_e32 v2, 20, v2
                                        ; implicit-def: $vgpr3
	s_andn2_saveexec_b64 s[12:13], s[12:13]
	s_cbranch_execnz .LBB87_2282
.LBB87_2216:
	s_or_b64 exec, exec, s[12:13]
	v_mov_b32_e32 v4, 0
	s_and_saveexec_b64 s[12:13], s[8:9]
.LBB87_2217:
	v_mov_b32_e32 v4, v2
.LBB87_2218:
	s_or_b64 exec, exec, s[12:13]
.LBB87_2219:
	s_or_b64 exec, exec, s[6:7]
	global_store_byte v[0:1], v4, off
.LBB87_2220:
	s_mov_b64 s[6:7], 0
.LBB87_2221:
	s_and_b64 vcc, exec, s[6:7]
	s_cbranch_vccz .LBB87_2261
; %bb.2222:
	s_cmp_gt_i32 s20, 22
	s_mov_b64 s[4:5], -1
	s_cbranch_scc0 .LBB87_2254
; %bb.2223:
	s_cmp_lt_i32 s20, 24
	s_cbranch_scc1 .LBB87_2243
; %bb.2224:
	s_cmp_gt_i32 s20, 24
	s_cbranch_scc0 .LBB87_2232
; %bb.2225:
	v_cndmask_b32_e64 v3, 0, 1.0, s[10:11]
	s_mov_b32 s4, 0x47800000
	v_cmp_gt_u32_e32 vcc, s4, v3
	v_mov_b32_e32 v4, 0x80
	s_and_saveexec_b64 s[4:5], vcc
	s_cbranch_execz .LBB87_2231
; %bb.2226:
	s_mov_b32 s6, 0x37ffffff
	v_cmp_lt_u32_e32 vcc, s6, v3
	s_mov_b64 s[6:7], 0
                                        ; implicit-def: $vgpr2
	s_and_saveexec_b64 s[8:9], vcc
	s_xor_b64 s[8:9], exec, s[8:9]
	s_cbranch_execz .LBB87_2284
; %bb.2227:
	v_bfe_u32 v2, v3, 21, 1
	s_mov_b32 s12, 0x88fffff
	v_add3_u32 v2, v3, v2, s12
	s_mov_b64 s[6:7], exec
	v_lshrrev_b32_e32 v2, 21, v2
                                        ; implicit-def: $vgpr3
	s_andn2_saveexec_b64 s[8:9], s[8:9]
	s_cbranch_execnz .LBB87_2285
.LBB87_2228:
	s_or_b64 exec, exec, s[8:9]
	v_mov_b32_e32 v4, 0
	s_and_saveexec_b64 s[8:9], s[6:7]
.LBB87_2229:
	v_mov_b32_e32 v4, v2
.LBB87_2230:
	s_or_b64 exec, exec, s[8:9]
.LBB87_2231:
	s_or_b64 exec, exec, s[4:5]
	s_mov_b64 s[4:5], 0
	global_store_byte v[0:1], v4, off
.LBB87_2232:
	s_and_b64 vcc, exec, s[4:5]
	s_cbranch_vccz .LBB87_2242
; %bb.2233:
	v_cndmask_b32_e64 v2, 0, 1.0, s[10:11]
	s_mov_b32 s4, 0x43f00000
	v_cmp_gt_u32_e32 vcc, s4, v2
                                        ; implicit-def: $vgpr3
	s_and_saveexec_b64 s[4:5], vcc
	s_xor_b64 s[4:5], exec, s[4:5]
	s_cbranch_execz .LBB87_2239
; %bb.2234:
	s_mov_b32 s6, 0x3c7fffff
	v_cmp_lt_u32_e32 vcc, s6, v2
                                        ; implicit-def: $vgpr3
	s_and_saveexec_b64 s[6:7], vcc
	s_xor_b64 s[6:7], exec, s[6:7]
; %bb.2235:
	v_bfe_u32 v3, v2, 20, 1
	s_mov_b32 s8, 0x407ffff
	v_add3_u32 v2, v2, v3, s8
	v_lshrrev_b32_e32 v3, 20, v2
	v_and_b32_e32 v2, 0xff00000, v2
	s_mov_b32 s8, 0x7f00000
	v_mov_b32_e32 v4, 0x7e
	v_cmp_ne_u32_e32 vcc, s8, v2
	v_cndmask_b32_e32 v3, v4, v3, vcc
                                        ; implicit-def: $vgpr2
; %bb.2236:
	s_andn2_saveexec_b64 s[6:7], s[6:7]
; %bb.2237:
	v_add_f32_e32 v3, 0x46800000, v2
; %bb.2238:
	s_or_b64 exec, exec, s[6:7]
                                        ; implicit-def: $vgpr2
.LBB87_2239:
	s_andn2_saveexec_b64 s[4:5], s[4:5]
; %bb.2240:
	s_mov_b32 s6, 0x7f800000
	v_mov_b32_e32 v3, 0x7e
	v_mov_b32_e32 v4, 0x7f
	v_cmp_lt_u32_e32 vcc, s6, v2
	v_cndmask_b32_e32 v3, v3, v4, vcc
; %bb.2241:
	s_or_b64 exec, exec, s[4:5]
	global_store_byte v[0:1], v3, off
.LBB87_2242:
	s_mov_b64 s[4:5], 0
.LBB87_2243:
	s_andn2_b64 vcc, exec, s[4:5]
	s_cbranch_vccnz .LBB87_2253
; %bb.2244:
	v_cndmask_b32_e64 v2, 0, 1.0, s[10:11]
	s_mov_b32 s4, 0x47800000
	v_cmp_gt_u32_e32 vcc, s4, v2
                                        ; implicit-def: $vgpr3
	s_and_saveexec_b64 s[4:5], vcc
	s_xor_b64 s[4:5], exec, s[4:5]
	s_cbranch_execz .LBB87_2250
; %bb.2245:
	s_mov_b32 s6, 0x387fffff
	v_cmp_lt_u32_e32 vcc, s6, v2
                                        ; implicit-def: $vgpr3
	s_and_saveexec_b64 s[6:7], vcc
	s_xor_b64 s[6:7], exec, s[6:7]
; %bb.2246:
	v_bfe_u32 v3, v2, 21, 1
	s_mov_b32 s8, 0x80fffff
	v_add3_u32 v2, v2, v3, s8
	v_lshrrev_b32_e32 v3, 21, v2
                                        ; implicit-def: $vgpr2
; %bb.2247:
	s_andn2_saveexec_b64 s[6:7], s[6:7]
; %bb.2248:
	v_add_f32_e32 v3, 0x43000000, v2
; %bb.2249:
	s_or_b64 exec, exec, s[6:7]
                                        ; implicit-def: $vgpr2
.LBB87_2250:
	s_andn2_saveexec_b64 s[4:5], s[4:5]
; %bb.2251:
	s_mov_b32 s6, 0x7f800000
	v_mov_b32_e32 v3, 0x7c
	v_mov_b32_e32 v4, 0x7f
	v_cmp_lt_u32_e32 vcc, s6, v2
	v_cndmask_b32_e32 v3, v3, v4, vcc
; %bb.2252:
	s_or_b64 exec, exec, s[4:5]
	global_store_byte v[0:1], v3, off
.LBB87_2253:
	s_mov_b64 s[4:5], 0
.LBB87_2254:
	s_andn2_b64 vcc, exec, s[4:5]
	s_mov_b64 s[4:5], 0
	s_cbranch_vccnz .LBB87_2261
; %bb.2255:
	s_cmp_gt_i32 s20, 14
	s_mov_b64 s[6:7], -1
	s_cbranch_scc0 .LBB87_2259
; %bb.2256:
	s_cmp_eq_u32 s20, 15
	s_mov_b64 s[0:1], -1
	s_cbranch_scc0 .LBB87_2258
; %bb.2257:
	v_cndmask_b32_e64 v2, 0, 1.0, s[10:11]
	v_bfe_u32 v3, v2, 16, 1
	s_movk_i32 s0, 0x7fff
	v_add3_u32 v2, v2, v3, s0
	global_store_short_d16_hi v[0:1], v2, off
	s_mov_b64 s[0:1], 0
.LBB87_2258:
	s_mov_b64 s[6:7], 0
.LBB87_2259:
	s_and_b64 vcc, exec, s[6:7]
	s_cbranch_vccz .LBB87_2261
; %bb.2260:
	s_cmp_lg_u32 s20, 11
	s_mov_b64 s[4:5], -1
	s_cselect_b64 s[0:1], -1, 0
.LBB87_2261:
	s_and_b64 vcc, exec, s[0:1]
	s_cbranch_vccnz .LBB87_2283
.LBB87_2262:
	s_mov_b64 s[0:1], 0
	s_branch .LBB87_1773
.LBB87_2263:
	s_mov_b64 s[0:1], 0
	s_branch .LBB87_1772
.LBB87_2264:
	s_mov_b64 s[4:5], 0
	s_mov_b64 s[0:1], -1
	s_branch .LBB87_1773
.LBB87_2265:
	s_trap 2
	s_or_b64 s[2:3], s[2:3], exec
	s_cbranch_execz .LBB87_1715
	s_branch .LBB87_1716
.LBB87_2266:
	s_andn2_saveexec_b64 s[20:21], s[20:21]
	s_cbranch_execz .LBB87_1856
.LBB87_2267:
	v_add_f32_e32 v1, 0x46000000, v3
	v_and_b32_e32 v1, 0xff, v1
	v_cmp_ne_u32_e32 vcc, 0, v1
	s_andn2_b64 s[18:19], s[18:19], exec
	s_and_b64 s[24:25], vcc, exec
	s_or_b64 s[18:19], s[18:19], s[24:25]
	s_or_b64 exec, exec, s[20:21]
	v_mov_b32_e32 v7, 0
	s_and_saveexec_b64 s[20:21], s[18:19]
	s_cbranch_execnz .LBB87_1857
	s_branch .LBB87_1858
.LBB87_2268:
	s_trap 2
	s_or_b64 s[2:3], s[2:3], exec
	s_cbranch_execz .LBB87_1904
	s_branch .LBB87_1905
.LBB87_2269:
	s_andn2_saveexec_b64 s[18:19], s[18:19]
	s_cbranch_execz .LBB87_1869
.LBB87_2270:
	v_add_f32_e32 v1, 0x42800000, v3
	v_and_b32_e32 v1, 0xff, v1
	v_cmp_ne_u32_e32 vcc, 0, v1
	s_andn2_b64 s[16:17], s[16:17], exec
	s_and_b64 s[20:21], vcc, exec
	s_or_b64 s[16:17], s[16:17], s[20:21]
	s_or_b64 exec, exec, s[18:19]
	v_mov_b32_e32 v7, 0
	s_and_saveexec_b64 s[18:19], s[16:17]
	s_cbranch_execnz .LBB87_1870
	s_branch .LBB87_1871
.LBB87_2271:
	s_andn2_saveexec_b64 s[18:19], s[18:19]
	s_cbranch_execz .LBB87_1977
.LBB87_2272:
	v_add_f32_e32 v1, 0x46000000, v5
	v_and_b32_e32 v1, 0xff, v1
	v_cmp_ne_u32_e32 vcc, 0, v1
	s_andn2_b64 s[16:17], s[16:17], exec
	s_and_b64 s[24:25], vcc, exec
	s_or_b64 s[16:17], s[16:17], s[24:25]
	s_or_b64 exec, exec, s[18:19]
	v_mov_b32_e32 v6, 0
	s_and_saveexec_b64 s[18:19], s[16:17]
	s_cbranch_execnz .LBB87_1978
	s_branch .LBB87_1979
.LBB87_2273:
	s_trap 2
	s_or_b64 s[2:3], s[2:3], exec
	s_cbranch_execz .LBB87_2025
	s_branch .LBB87_2026
.LBB87_2274:
	s_andn2_saveexec_b64 s[16:17], s[16:17]
	s_cbranch_execz .LBB87_1990
.LBB87_2275:
	v_add_f32_e32 v1, 0x42800000, v5
	v_and_b32_e32 v1, 0xff, v1
	v_cmp_ne_u32_e32 vcc, 0, v1
	s_andn2_b64 s[14:15], s[14:15], exec
	s_and_b64 s[18:19], vcc, exec
	s_or_b64 s[14:15], s[14:15], s[18:19]
	s_or_b64 exec, exec, s[16:17]
	v_mov_b32_e32 v6, 0
	s_and_saveexec_b64 s[16:17], s[14:15]
	s_cbranch_execnz .LBB87_1991
	s_branch .LBB87_1992
.LBB87_2276:
	s_andn2_saveexec_b64 s[16:17], s[16:17]
	s_cbranch_execz .LBB87_2096
.LBB87_2277:
	v_add_f32_e32 v3, 0x46000000, v4
	v_and_b32_e32 v3, 0xff, v3
	v_cmp_ne_u32_e32 vcc, 0, v3
	s_andn2_b64 s[14:15], s[14:15], exec
	s_and_b64 s[18:19], vcc, exec
	s_or_b64 s[14:15], s[14:15], s[18:19]
	s_or_b64 exec, exec, s[16:17]
	v_mov_b32_e32 v5, 0
	s_and_saveexec_b64 s[16:17], s[14:15]
	s_cbranch_execnz .LBB87_2097
	s_branch .LBB87_2098
.LBB87_2278:
	s_trap 2
	s_or_b64 s[2:3], s[2:3], exec
	s_cbranch_execz .LBB87_2144
	s_branch .LBB87_2145
.LBB87_2279:
	s_andn2_saveexec_b64 s[14:15], s[14:15]
	s_cbranch_execz .LBB87_2109
.LBB87_2280:
	v_add_f32_e32 v3, 0x42800000, v4
	v_and_b32_e32 v3, 0xff, v3
	v_cmp_ne_u32_e32 vcc, 0, v3
	s_andn2_b64 s[6:7], s[6:7], exec
	s_and_b64 s[16:17], vcc, exec
	s_or_b64 s[6:7], s[6:7], s[16:17]
	s_or_b64 exec, exec, s[14:15]
	v_mov_b32_e32 v5, 0
	s_and_saveexec_b64 s[14:15], s[6:7]
	s_cbranch_execnz .LBB87_2110
	s_branch .LBB87_2111
.LBB87_2281:
	s_andn2_saveexec_b64 s[12:13], s[12:13]
	s_cbranch_execz .LBB87_2216
.LBB87_2282:
	v_add_f32_e32 v2, 0x46000000, v3
	v_and_b32_e32 v2, 0xff, v2
	v_cmp_ne_u32_e32 vcc, 0, v2
	s_andn2_b64 s[8:9], s[8:9], exec
	s_and_b64 s[14:15], vcc, exec
	s_or_b64 s[8:9], s[8:9], s[14:15]
	s_or_b64 exec, exec, s[12:13]
	v_mov_b32_e32 v4, 0
	s_and_saveexec_b64 s[12:13], s[8:9]
	s_cbranch_execnz .LBB87_2217
	s_branch .LBB87_2218
.LBB87_2283:
	s_mov_b64 s[4:5], 0
	s_or_b64 s[2:3], s[2:3], exec
	s_trap 2
	s_branch .LBB87_2262
.LBB87_2284:
	s_andn2_saveexec_b64 s[8:9], s[8:9]
	s_cbranch_execz .LBB87_2228
.LBB87_2285:
	v_add_f32_e32 v2, 0x42800000, v3
	v_and_b32_e32 v2, 0xff, v2
	v_cmp_ne_u32_e32 vcc, 0, v2
	s_andn2_b64 s[6:7], s[6:7], exec
	s_and_b64 s[12:13], vcc, exec
	s_or_b64 s[6:7], s[6:7], s[12:13]
	s_or_b64 exec, exec, s[8:9]
	v_mov_b32_e32 v4, 0
	s_and_saveexec_b64 s[8:9], s[6:7]
	s_cbranch_execnz .LBB87_2229
	s_branch .LBB87_2230
	.section	.rodata,"a",@progbits
	.p2align	6, 0x0
	.amdhsa_kernel _ZN2at6native32elementwise_kernel_manual_unrollILi128ELi4EZNS0_15gpu_kernel_implIZNS0_21compare_scalar_kernelIdEEvRNS_18TensorIteratorBaseENS0_12_GLOBAL__N_16OpTypeET_EUldE_EEvS5_RKS8_EUlibE0_EEviT1_
		.amdhsa_group_segment_fixed_size 0
		.amdhsa_private_segment_fixed_size 0
		.amdhsa_kernarg_size 376
		.amdhsa_user_sgpr_count 6
		.amdhsa_user_sgpr_private_segment_buffer 1
		.amdhsa_user_sgpr_dispatch_ptr 0
		.amdhsa_user_sgpr_queue_ptr 0
		.amdhsa_user_sgpr_kernarg_segment_ptr 1
		.amdhsa_user_sgpr_dispatch_id 0
		.amdhsa_user_sgpr_flat_scratch_init 0
		.amdhsa_user_sgpr_private_segment_size 0
		.amdhsa_uses_dynamic_stack 0
		.amdhsa_system_sgpr_private_segment_wavefront_offset 0
		.amdhsa_system_sgpr_workgroup_id_x 1
		.amdhsa_system_sgpr_workgroup_id_y 0
		.amdhsa_system_sgpr_workgroup_id_z 0
		.amdhsa_system_sgpr_workgroup_info 0
		.amdhsa_system_vgpr_workitem_id 0
		.amdhsa_next_free_vgpr 19
		.amdhsa_next_free_sgpr 81
		.amdhsa_reserve_vcc 1
		.amdhsa_reserve_flat_scratch 0
		.amdhsa_float_round_mode_32 0
		.amdhsa_float_round_mode_16_64 0
		.amdhsa_float_denorm_mode_32 3
		.amdhsa_float_denorm_mode_16_64 3
		.amdhsa_dx10_clamp 1
		.amdhsa_ieee_mode 1
		.amdhsa_fp16_overflow 0
		.amdhsa_exception_fp_ieee_invalid_op 0
		.amdhsa_exception_fp_denorm_src 0
		.amdhsa_exception_fp_ieee_div_zero 0
		.amdhsa_exception_fp_ieee_overflow 0
		.amdhsa_exception_fp_ieee_underflow 0
		.amdhsa_exception_fp_ieee_inexact 0
		.amdhsa_exception_int_div_zero 0
	.end_amdhsa_kernel
	.section	.text._ZN2at6native32elementwise_kernel_manual_unrollILi128ELi4EZNS0_15gpu_kernel_implIZNS0_21compare_scalar_kernelIdEEvRNS_18TensorIteratorBaseENS0_12_GLOBAL__N_16OpTypeET_EUldE_EEvS5_RKS8_EUlibE0_EEviT1_,"axG",@progbits,_ZN2at6native32elementwise_kernel_manual_unrollILi128ELi4EZNS0_15gpu_kernel_implIZNS0_21compare_scalar_kernelIdEEvRNS_18TensorIteratorBaseENS0_12_GLOBAL__N_16OpTypeET_EUldE_EEvS5_RKS8_EUlibE0_EEviT1_,comdat
.Lfunc_end87:
	.size	_ZN2at6native32elementwise_kernel_manual_unrollILi128ELi4EZNS0_15gpu_kernel_implIZNS0_21compare_scalar_kernelIdEEvRNS_18TensorIteratorBaseENS0_12_GLOBAL__N_16OpTypeET_EUldE_EEvS5_RKS8_EUlibE0_EEviT1_, .Lfunc_end87-_ZN2at6native32elementwise_kernel_manual_unrollILi128ELi4EZNS0_15gpu_kernel_implIZNS0_21compare_scalar_kernelIdEEvRNS_18TensorIteratorBaseENS0_12_GLOBAL__N_16OpTypeET_EUldE_EEvS5_RKS8_EUlibE0_EEviT1_
                                        ; -- End function
	.set _ZN2at6native32elementwise_kernel_manual_unrollILi128ELi4EZNS0_15gpu_kernel_implIZNS0_21compare_scalar_kernelIdEEvRNS_18TensorIteratorBaseENS0_12_GLOBAL__N_16OpTypeET_EUldE_EEvS5_RKS8_EUlibE0_EEviT1_.num_vgpr, 19
	.set _ZN2at6native32elementwise_kernel_manual_unrollILi128ELi4EZNS0_15gpu_kernel_implIZNS0_21compare_scalar_kernelIdEEvRNS_18TensorIteratorBaseENS0_12_GLOBAL__N_16OpTypeET_EUldE_EEvS5_RKS8_EUlibE0_EEviT1_.num_agpr, 0
	.set _ZN2at6native32elementwise_kernel_manual_unrollILi128ELi4EZNS0_15gpu_kernel_implIZNS0_21compare_scalar_kernelIdEEvRNS_18TensorIteratorBaseENS0_12_GLOBAL__N_16OpTypeET_EUldE_EEvS5_RKS8_EUlibE0_EEviT1_.numbered_sgpr, 81
	.set _ZN2at6native32elementwise_kernel_manual_unrollILi128ELi4EZNS0_15gpu_kernel_implIZNS0_21compare_scalar_kernelIdEEvRNS_18TensorIteratorBaseENS0_12_GLOBAL__N_16OpTypeET_EUldE_EEvS5_RKS8_EUlibE0_EEviT1_.num_named_barrier, 0
	.set _ZN2at6native32elementwise_kernel_manual_unrollILi128ELi4EZNS0_15gpu_kernel_implIZNS0_21compare_scalar_kernelIdEEvRNS_18TensorIteratorBaseENS0_12_GLOBAL__N_16OpTypeET_EUldE_EEvS5_RKS8_EUlibE0_EEviT1_.private_seg_size, 0
	.set _ZN2at6native32elementwise_kernel_manual_unrollILi128ELi4EZNS0_15gpu_kernel_implIZNS0_21compare_scalar_kernelIdEEvRNS_18TensorIteratorBaseENS0_12_GLOBAL__N_16OpTypeET_EUldE_EEvS5_RKS8_EUlibE0_EEviT1_.uses_vcc, 1
	.set _ZN2at6native32elementwise_kernel_manual_unrollILi128ELi4EZNS0_15gpu_kernel_implIZNS0_21compare_scalar_kernelIdEEvRNS_18TensorIteratorBaseENS0_12_GLOBAL__N_16OpTypeET_EUldE_EEvS5_RKS8_EUlibE0_EEviT1_.uses_flat_scratch, 0
	.set _ZN2at6native32elementwise_kernel_manual_unrollILi128ELi4EZNS0_15gpu_kernel_implIZNS0_21compare_scalar_kernelIdEEvRNS_18TensorIteratorBaseENS0_12_GLOBAL__N_16OpTypeET_EUldE_EEvS5_RKS8_EUlibE0_EEviT1_.has_dyn_sized_stack, 0
	.set _ZN2at6native32elementwise_kernel_manual_unrollILi128ELi4EZNS0_15gpu_kernel_implIZNS0_21compare_scalar_kernelIdEEvRNS_18TensorIteratorBaseENS0_12_GLOBAL__N_16OpTypeET_EUldE_EEvS5_RKS8_EUlibE0_EEviT1_.has_recursion, 0
	.set _ZN2at6native32elementwise_kernel_manual_unrollILi128ELi4EZNS0_15gpu_kernel_implIZNS0_21compare_scalar_kernelIdEEvRNS_18TensorIteratorBaseENS0_12_GLOBAL__N_16OpTypeET_EUldE_EEvS5_RKS8_EUlibE0_EEviT1_.has_indirect_call, 0
	.section	.AMDGPU.csdata,"",@progbits
; Kernel info:
; codeLenInByte = 37636
; TotalNumSgprs: 85
; NumVgprs: 19
; ScratchSize: 0
; MemoryBound: 1
; FloatMode: 240
; IeeeMode: 1
; LDSByteSize: 0 bytes/workgroup (compile time only)
; SGPRBlocks: 10
; VGPRBlocks: 4
; NumSGPRsForWavesPerEU: 85
; NumVGPRsForWavesPerEU: 19
; Occupancy: 9
; WaveLimiterHint : 1
; COMPUTE_PGM_RSRC2:SCRATCH_EN: 0
; COMPUTE_PGM_RSRC2:USER_SGPR: 6
; COMPUTE_PGM_RSRC2:TRAP_HANDLER: 0
; COMPUTE_PGM_RSRC2:TGID_X_EN: 1
; COMPUTE_PGM_RSRC2:TGID_Y_EN: 0
; COMPUTE_PGM_RSRC2:TGID_Z_EN: 0
; COMPUTE_PGM_RSRC2:TIDIG_COMP_CNT: 0
	.section	.text._ZN2at6native29vectorized_elementwise_kernelILi16ENS0_12_GLOBAL__N_114CompareFunctorIdEESt5arrayIPcLm3EEEEviT0_T1_,"axG",@progbits,_ZN2at6native29vectorized_elementwise_kernelILi16ENS0_12_GLOBAL__N_114CompareFunctorIdEESt5arrayIPcLm3EEEEviT0_T1_,comdat
	.globl	_ZN2at6native29vectorized_elementwise_kernelILi16ENS0_12_GLOBAL__N_114CompareFunctorIdEESt5arrayIPcLm3EEEEviT0_T1_ ; -- Begin function _ZN2at6native29vectorized_elementwise_kernelILi16ENS0_12_GLOBAL__N_114CompareFunctorIdEESt5arrayIPcLm3EEEEviT0_T1_
	.p2align	8
	.type	_ZN2at6native29vectorized_elementwise_kernelILi16ENS0_12_GLOBAL__N_114CompareFunctorIdEESt5arrayIPcLm3EEEEviT0_T1_,@function
_ZN2at6native29vectorized_elementwise_kernelILi16ENS0_12_GLOBAL__N_114CompareFunctorIdEESt5arrayIPcLm3EEEEviT0_T1_: ; @_ZN2at6native29vectorized_elementwise_kernelILi16ENS0_12_GLOBAL__N_114CompareFunctorIdEESt5arrayIPcLm3EEEEviT0_T1_
; %bb.0:
	s_load_dwordx2 s[12:13], s[4:5], 0x0
	s_load_dwordx4 s[8:11], s[4:5], 0x8
	s_load_dwordx2 s[14:15], s[4:5], 0x18
	s_lshl_b32 s2, s6, 12
	s_mov_b64 s[0:1], -1
	s_waitcnt lgkmcnt(0)
	s_sub_i32 s12, s12, s2
	s_cmpk_gt_i32 s12, 0xfff
	s_cbranch_scc0 .LBB88_211
; %bb.1:
	s_ashr_i32 s3, s2, 31
	s_lshl_b64 s[0:1], s[2:3], 3
	s_add_u32 s4, s10, s0
	s_addc_u32 s5, s11, s1
	s_add_u32 s0, s14, s0
	v_lshlrev_b32_e32 v65, 7, v0
	s_addc_u32 s1, s15, s1
	global_load_dwordx4 v[33:36], v65, s[4:5] offset:48
	global_load_dwordx4 v[41:44], v65, s[4:5] offset:32
	;; [unrolled: 1-line block ×3, first 2 shown]
	global_load_dwordx4 v[57:60], v65, s[4:5]
	global_load_dwordx4 v[1:4], v65, s[4:5] offset:112
	global_load_dwordx4 v[9:12], v65, s[4:5] offset:96
	;; [unrolled: 1-line block ×7, first 2 shown]
	global_load_dwordx4 v[61:64], v65, s[0:1]
	global_load_dwordx4 v[5:8], v65, s[0:1] offset:112
	global_load_dwordx4 v[13:16], v65, s[0:1] offset:96
	;; [unrolled: 1-line block ×4, first 2 shown]
	s_cmp_lt_i32 s13, 1
	s_mov_b64 s[4:5], 0
	s_cbranch_scc1 .LBB88_5
; %bb.2:
	s_cmp_gt_i32 s13, 1
	s_cbranch_scc0 .LBB88_6
; %bb.3:
	s_cmp_eq_u32 s13, 2
	s_cbranch_scc0 .LBB88_7
; %bb.4:
	s_waitcnt vmcnt(4)
	v_cmp_le_f64_e64 s[0:1], v[57:58], v[61:62]
	s_mov_b64 s[6:7], 0
	s_branch .LBB88_8
.LBB88_5:
                                        ; implicit-def: $sgpr0_sgpr1
	s_mov_b64 s[6:7], 0
	s_cbranch_execnz .LBB88_11
	s_branch .LBB88_12
.LBB88_6:
	s_mov_b64 s[6:7], 0
                                        ; implicit-def: $sgpr0_sgpr1
	s_cbranch_execnz .LBB88_9
	s_branch .LBB88_10
.LBB88_7:
	s_mov_b64 s[6:7], -1
                                        ; implicit-def: $sgpr0_sgpr1
.LBB88_8:
	s_branch .LBB88_10
.LBB88_9:
	s_waitcnt vmcnt(4)
	v_cmp_gt_f64_e32 vcc, v[57:58], v[61:62]
	s_andn2_b64 s[0:1], s[0:1], exec
	s_and_b64 s[16:17], vcc, exec
	s_or_b64 s[0:1], s[0:1], s[16:17]
.LBB88_10:
	s_branch .LBB88_12
.LBB88_11:
	s_cmp_lg_u32 s13, 0
	s_mov_b64 s[4:5], -1
	s_cselect_b64 s[6:7], -1, 0
.LBB88_12:
	s_andn2_b64 vcc, exec, s[6:7]
	s_cbranch_vccz .LBB88_18
; %bb.13:
	s_andn2_b64 vcc, exec, s[4:5]
	s_cbranch_vccz .LBB88_19
.LBB88_14:
	s_cmp_lt_i32 s13, 1
	s_mov_b64 s[6:7], 0
	s_cbranch_scc1 .LBB88_20
.LBB88_15:
	s_cmp_gt_i32 s13, 1
	s_cbranch_scc0 .LBB88_21
; %bb.16:
	s_cmp_eq_u32 s13, 2
	s_cbranch_scc0 .LBB88_251
; %bb.17:
	s_waitcnt vmcnt(4)
	v_cmp_le_f64_e64 s[4:5], v[59:60], v[63:64]
	s_mov_b64 s[16:17], 0
	s_branch .LBB88_23
.LBB88_18:
	s_waitcnt vmcnt(4)
	v_cmp_lt_f64_e32 vcc, v[57:58], v[61:62]
	s_andn2_b64 s[0:1], s[0:1], exec
	s_and_b64 s[6:7], vcc, exec
	s_or_b64 s[0:1], s[0:1], s[6:7]
	s_cbranch_execnz .LBB88_14
.LBB88_19:
	s_waitcnt vmcnt(4)
	v_cmp_ge_f64_e32 vcc, v[57:58], v[61:62]
	s_andn2_b64 s[0:1], s[0:1], exec
	s_and_b64 s[4:5], vcc, exec
	s_or_b64 s[0:1], s[0:1], s[4:5]
	s_cmp_lt_i32 s13, 1
	s_mov_b64 s[6:7], 0
	s_cbranch_scc0 .LBB88_15
.LBB88_20:
                                        ; implicit-def: $sgpr4_sgpr5
	s_mov_b64 s[16:17], 0
	s_cbranch_execnz .LBB88_24
	s_branch .LBB88_25
.LBB88_21:
	s_mov_b64 s[16:17], 0
                                        ; implicit-def: $sgpr4_sgpr5
	s_cbranch_execz .LBB88_23
; %bb.22:
	s_waitcnt vmcnt(4)
	v_cmp_gt_f64_e32 vcc, v[59:60], v[63:64]
	s_andn2_b64 s[4:5], s[4:5], exec
	s_and_b64 s[18:19], vcc, exec
	s_or_b64 s[4:5], s[4:5], s[18:19]
.LBB88_23:
	s_branch .LBB88_25
.LBB88_24:
	s_cmp_lg_u32 s13, 0
	s_mov_b64 s[6:7], -1
	s_cselect_b64 s[16:17], -1, 0
.LBB88_25:
	s_andn2_b64 vcc, exec, s[16:17]
	s_cbranch_vccz .LBB88_31
; %bb.26:
	s_andn2_b64 vcc, exec, s[6:7]
	s_cbranch_vccz .LBB88_32
.LBB88_27:
	s_cmp_lt_i32 s13, 1
	s_mov_b64 s[16:17], 0
	s_cbranch_scc1 .LBB88_33
.LBB88_28:
	s_cmp_gt_i32 s13, 1
	s_cbranch_scc0 .LBB88_34
; %bb.29:
	s_cmp_eq_u32 s13, 2
	s_cbranch_scc0 .LBB88_252
; %bb.30:
	s_waitcnt vmcnt(5)
	v_cmp_le_f64_e64 s[6:7], v[49:50], v[53:54]
	s_mov_b64 s[18:19], 0
	s_branch .LBB88_36
.LBB88_31:
	s_waitcnt vmcnt(4)
	v_cmp_lt_f64_e32 vcc, v[59:60], v[63:64]
	s_andn2_b64 s[4:5], s[4:5], exec
	s_and_b64 s[16:17], vcc, exec
	s_or_b64 s[4:5], s[4:5], s[16:17]
	s_cbranch_execnz .LBB88_27
.LBB88_32:
	s_waitcnt vmcnt(4)
	v_cmp_ge_f64_e32 vcc, v[59:60], v[63:64]
	s_andn2_b64 s[4:5], s[4:5], exec
	s_and_b64 s[6:7], vcc, exec
	s_or_b64 s[4:5], s[4:5], s[6:7]
	s_cmp_lt_i32 s13, 1
	s_mov_b64 s[16:17], 0
	s_cbranch_scc0 .LBB88_28
.LBB88_33:
                                        ; implicit-def: $sgpr6_sgpr7
	s_mov_b64 s[18:19], 0
	s_cbranch_execnz .LBB88_37
	s_branch .LBB88_38
.LBB88_34:
	s_mov_b64 s[18:19], 0
                                        ; implicit-def: $sgpr6_sgpr7
	s_cbranch_execz .LBB88_36
; %bb.35:
	s_waitcnt vmcnt(5)
	v_cmp_gt_f64_e32 vcc, v[49:50], v[53:54]
	s_andn2_b64 s[6:7], s[6:7], exec
	s_and_b64 s[20:21], vcc, exec
	s_or_b64 s[6:7], s[6:7], s[20:21]
.LBB88_36:
	s_branch .LBB88_38
.LBB88_37:
	s_cmp_lg_u32 s13, 0
	s_mov_b64 s[16:17], -1
	s_cselect_b64 s[18:19], -1, 0
.LBB88_38:
	s_andn2_b64 vcc, exec, s[18:19]
	s_cbranch_vccz .LBB88_44
; %bb.39:
	s_andn2_b64 vcc, exec, s[16:17]
	s_cbranch_vccz .LBB88_45
.LBB88_40:
	s_cmp_lt_i32 s13, 1
	s_mov_b64 s[18:19], 0
	s_cbranch_scc1 .LBB88_46
.LBB88_41:
	s_cmp_gt_i32 s13, 1
	s_cbranch_scc0 .LBB88_47
; %bb.42:
	s_cmp_eq_u32 s13, 2
	s_cbranch_scc0 .LBB88_253
; %bb.43:
	s_waitcnt vmcnt(5)
	v_cmp_le_f64_e64 s[16:17], v[51:52], v[55:56]
	s_mov_b64 s[20:21], 0
	s_branch .LBB88_49
.LBB88_44:
	s_waitcnt vmcnt(5)
	v_cmp_lt_f64_e32 vcc, v[49:50], v[53:54]
	s_andn2_b64 s[6:7], s[6:7], exec
	s_and_b64 s[18:19], vcc, exec
	s_or_b64 s[6:7], s[6:7], s[18:19]
	s_cbranch_execnz .LBB88_40
.LBB88_45:
	s_waitcnt vmcnt(5)
	v_cmp_ge_f64_e32 vcc, v[49:50], v[53:54]
	s_andn2_b64 s[6:7], s[6:7], exec
	s_and_b64 s[16:17], vcc, exec
	s_or_b64 s[6:7], s[6:7], s[16:17]
	s_cmp_lt_i32 s13, 1
	s_mov_b64 s[18:19], 0
	s_cbranch_scc0 .LBB88_41
.LBB88_46:
                                        ; implicit-def: $sgpr16_sgpr17
	s_mov_b64 s[20:21], 0
	s_cbranch_execnz .LBB88_50
	s_branch .LBB88_51
.LBB88_47:
	s_mov_b64 s[20:21], 0
                                        ; implicit-def: $sgpr16_sgpr17
	s_cbranch_execz .LBB88_49
; %bb.48:
	s_waitcnt vmcnt(5)
	v_cmp_gt_f64_e32 vcc, v[51:52], v[55:56]
	s_andn2_b64 s[16:17], s[16:17], exec
	s_and_b64 s[22:23], vcc, exec
	s_or_b64 s[16:17], s[16:17], s[22:23]
.LBB88_49:
	s_branch .LBB88_51
.LBB88_50:
	s_cmp_lg_u32 s13, 0
	s_mov_b64 s[18:19], -1
	s_cselect_b64 s[20:21], -1, 0
.LBB88_51:
	s_andn2_b64 vcc, exec, s[20:21]
	s_cbranch_vccz .LBB88_57
; %bb.52:
	s_andn2_b64 vcc, exec, s[18:19]
	s_cbranch_vccz .LBB88_58
.LBB88_53:
	s_cmp_lt_i32 s13, 1
	s_mov_b64 s[20:21], 0
	s_cbranch_scc1 .LBB88_59
.LBB88_54:
	s_cmp_gt_i32 s13, 1
	s_cbranch_scc0 .LBB88_60
; %bb.55:
	s_cmp_eq_u32 s13, 2
	s_cbranch_scc0 .LBB88_254
; %bb.56:
	s_waitcnt vmcnt(6)
	v_cmp_le_f64_e64 s[18:19], v[41:42], v[45:46]
	s_mov_b64 s[22:23], 0
	s_branch .LBB88_62
.LBB88_57:
	s_waitcnt vmcnt(5)
	v_cmp_lt_f64_e32 vcc, v[51:52], v[55:56]
	s_andn2_b64 s[16:17], s[16:17], exec
	s_and_b64 s[20:21], vcc, exec
	s_or_b64 s[16:17], s[16:17], s[20:21]
	s_cbranch_execnz .LBB88_53
.LBB88_58:
	s_waitcnt vmcnt(5)
	v_cmp_ge_f64_e32 vcc, v[51:52], v[55:56]
	s_andn2_b64 s[16:17], s[16:17], exec
	s_and_b64 s[18:19], vcc, exec
	s_or_b64 s[16:17], s[16:17], s[18:19]
	s_cmp_lt_i32 s13, 1
	s_mov_b64 s[20:21], 0
	s_cbranch_scc0 .LBB88_54
.LBB88_59:
                                        ; implicit-def: $sgpr18_sgpr19
	s_mov_b64 s[22:23], 0
	s_cbranch_execnz .LBB88_63
	s_branch .LBB88_64
.LBB88_60:
	s_mov_b64 s[22:23], 0
                                        ; implicit-def: $sgpr18_sgpr19
	s_cbranch_execz .LBB88_62
; %bb.61:
	s_waitcnt vmcnt(6)
	v_cmp_gt_f64_e32 vcc, v[41:42], v[45:46]
	s_andn2_b64 s[18:19], s[18:19], exec
	s_and_b64 s[24:25], vcc, exec
	s_or_b64 s[18:19], s[18:19], s[24:25]
.LBB88_62:
	s_branch .LBB88_64
.LBB88_63:
	s_cmp_lg_u32 s13, 0
	s_mov_b64 s[20:21], -1
	s_cselect_b64 s[22:23], -1, 0
.LBB88_64:
	s_andn2_b64 vcc, exec, s[22:23]
	s_cbranch_vccz .LBB88_70
; %bb.65:
	s_andn2_b64 vcc, exec, s[20:21]
	s_cbranch_vccz .LBB88_71
.LBB88_66:
	s_cmp_lt_i32 s13, 1
	s_mov_b64 s[22:23], 0
	s_cbranch_scc1 .LBB88_72
.LBB88_67:
	s_cmp_gt_i32 s13, 1
	s_cbranch_scc0 .LBB88_73
; %bb.68:
	s_cmp_eq_u32 s13, 2
	s_cbranch_scc0 .LBB88_255
; %bb.69:
	s_waitcnt vmcnt(6)
	v_cmp_le_f64_e64 s[20:21], v[43:44], v[47:48]
	s_mov_b64 s[24:25], 0
	s_branch .LBB88_75
.LBB88_70:
	s_waitcnt vmcnt(6)
	v_cmp_lt_f64_e32 vcc, v[41:42], v[45:46]
	s_andn2_b64 s[18:19], s[18:19], exec
	s_and_b64 s[22:23], vcc, exec
	s_or_b64 s[18:19], s[18:19], s[22:23]
	s_cbranch_execnz .LBB88_66
.LBB88_71:
	s_waitcnt vmcnt(6)
	v_cmp_ge_f64_e32 vcc, v[41:42], v[45:46]
	s_andn2_b64 s[18:19], s[18:19], exec
	s_and_b64 s[20:21], vcc, exec
	s_or_b64 s[18:19], s[18:19], s[20:21]
	s_cmp_lt_i32 s13, 1
	s_mov_b64 s[22:23], 0
	s_cbranch_scc0 .LBB88_67
.LBB88_72:
                                        ; implicit-def: $sgpr20_sgpr21
	s_mov_b64 s[24:25], 0
	s_cbranch_execnz .LBB88_76
	s_branch .LBB88_77
.LBB88_73:
	s_mov_b64 s[24:25], 0
                                        ; implicit-def: $sgpr20_sgpr21
	s_cbranch_execz .LBB88_75
; %bb.74:
	s_waitcnt vmcnt(6)
	v_cmp_gt_f64_e32 vcc, v[43:44], v[47:48]
	s_andn2_b64 s[20:21], s[20:21], exec
	s_and_b64 s[26:27], vcc, exec
	s_or_b64 s[20:21], s[20:21], s[26:27]
.LBB88_75:
	s_branch .LBB88_77
.LBB88_76:
	s_cmp_lg_u32 s13, 0
	s_mov_b64 s[22:23], -1
	s_cselect_b64 s[24:25], -1, 0
.LBB88_77:
	s_andn2_b64 vcc, exec, s[24:25]
	s_cbranch_vccz .LBB88_83
; %bb.78:
	s_andn2_b64 vcc, exec, s[22:23]
	s_cbranch_vccz .LBB88_84
.LBB88_79:
	s_cmp_lt_i32 s13, 1
	s_mov_b64 s[24:25], 0
	s_cbranch_scc1 .LBB88_85
.LBB88_80:
	s_cmp_gt_i32 s13, 1
	s_cbranch_scc0 .LBB88_86
; %bb.81:
	s_cmp_eq_u32 s13, 2
	s_cbranch_scc0 .LBB88_256
; %bb.82:
	s_waitcnt vmcnt(7)
	v_cmp_le_f64_e64 s[22:23], v[33:34], v[37:38]
	s_mov_b64 s[26:27], 0
	s_branch .LBB88_88
.LBB88_83:
	s_waitcnt vmcnt(6)
	v_cmp_lt_f64_e32 vcc, v[43:44], v[47:48]
	s_andn2_b64 s[20:21], s[20:21], exec
	s_and_b64 s[24:25], vcc, exec
	s_or_b64 s[20:21], s[20:21], s[24:25]
	s_cbranch_execnz .LBB88_79
.LBB88_84:
	s_waitcnt vmcnt(6)
	v_cmp_ge_f64_e32 vcc, v[43:44], v[47:48]
	s_andn2_b64 s[20:21], s[20:21], exec
	s_and_b64 s[22:23], vcc, exec
	s_or_b64 s[20:21], s[20:21], s[22:23]
	s_cmp_lt_i32 s13, 1
	s_mov_b64 s[24:25], 0
	s_cbranch_scc0 .LBB88_80
.LBB88_85:
                                        ; implicit-def: $sgpr22_sgpr23
	s_mov_b64 s[26:27], 0
	s_cbranch_execnz .LBB88_89
	s_branch .LBB88_90
.LBB88_86:
	s_mov_b64 s[26:27], 0
                                        ; implicit-def: $sgpr22_sgpr23
	s_cbranch_execz .LBB88_88
; %bb.87:
	s_waitcnt vmcnt(7)
	v_cmp_gt_f64_e32 vcc, v[33:34], v[37:38]
	s_andn2_b64 s[22:23], s[22:23], exec
	s_and_b64 s[28:29], vcc, exec
	s_or_b64 s[22:23], s[22:23], s[28:29]
.LBB88_88:
	s_branch .LBB88_90
.LBB88_89:
	s_cmp_lg_u32 s13, 0
	s_mov_b64 s[24:25], -1
	s_cselect_b64 s[26:27], -1, 0
.LBB88_90:
	s_andn2_b64 vcc, exec, s[26:27]
	s_cbranch_vccz .LBB88_96
; %bb.91:
	s_andn2_b64 vcc, exec, s[24:25]
	s_cbranch_vccz .LBB88_97
.LBB88_92:
	s_cmp_lt_i32 s13, 1
	s_mov_b64 s[26:27], 0
	s_cbranch_scc1 .LBB88_98
.LBB88_93:
	s_cmp_gt_i32 s13, 1
	s_cbranch_scc0 .LBB88_99
; %bb.94:
	s_cmp_eq_u32 s13, 2
	s_cbranch_scc0 .LBB88_257
; %bb.95:
	s_waitcnt vmcnt(7)
	v_cmp_le_f64_e64 s[24:25], v[35:36], v[39:40]
	s_mov_b64 s[28:29], 0
	s_branch .LBB88_101
.LBB88_96:
	s_waitcnt vmcnt(7)
	v_cmp_lt_f64_e32 vcc, v[33:34], v[37:38]
	s_andn2_b64 s[22:23], s[22:23], exec
	s_and_b64 s[26:27], vcc, exec
	s_or_b64 s[22:23], s[22:23], s[26:27]
	s_cbranch_execnz .LBB88_92
.LBB88_97:
	s_waitcnt vmcnt(7)
	v_cmp_ge_f64_e32 vcc, v[33:34], v[37:38]
	s_andn2_b64 s[22:23], s[22:23], exec
	s_and_b64 s[24:25], vcc, exec
	s_or_b64 s[22:23], s[22:23], s[24:25]
	s_cmp_lt_i32 s13, 1
	s_mov_b64 s[26:27], 0
	s_cbranch_scc0 .LBB88_93
.LBB88_98:
                                        ; implicit-def: $sgpr24_sgpr25
	s_mov_b64 s[28:29], 0
	s_cbranch_execnz .LBB88_102
	s_branch .LBB88_103
.LBB88_99:
	s_mov_b64 s[28:29], 0
                                        ; implicit-def: $sgpr24_sgpr25
	s_cbranch_execz .LBB88_101
; %bb.100:
	s_waitcnt vmcnt(7)
	v_cmp_gt_f64_e32 vcc, v[35:36], v[39:40]
	s_andn2_b64 s[24:25], s[24:25], exec
	s_and_b64 s[30:31], vcc, exec
	s_or_b64 s[24:25], s[24:25], s[30:31]
.LBB88_101:
	s_branch .LBB88_103
.LBB88_102:
	s_cmp_lg_u32 s13, 0
	s_mov_b64 s[26:27], -1
	s_cselect_b64 s[28:29], -1, 0
.LBB88_103:
	s_andn2_b64 vcc, exec, s[28:29]
	s_cbranch_vccz .LBB88_109
; %bb.104:
	s_andn2_b64 vcc, exec, s[26:27]
	s_cbranch_vccz .LBB88_110
.LBB88_105:
	s_cmp_lt_i32 s13, 1
	s_mov_b64 s[28:29], 0
	s_cbranch_scc1 .LBB88_111
.LBB88_106:
	s_cmp_gt_i32 s13, 1
	s_cbranch_scc0 .LBB88_112
; %bb.107:
	s_cmp_eq_u32 s13, 2
	s_cbranch_scc0 .LBB88_258
; %bb.108:
	s_waitcnt vmcnt(0)
	v_cmp_le_f64_e64 s[26:27], v[25:26], v[29:30]
	s_mov_b64 s[30:31], 0
	s_branch .LBB88_114
.LBB88_109:
	s_waitcnt vmcnt(7)
	v_cmp_lt_f64_e32 vcc, v[35:36], v[39:40]
	s_andn2_b64 s[24:25], s[24:25], exec
	s_and_b64 s[28:29], vcc, exec
	s_or_b64 s[24:25], s[24:25], s[28:29]
	s_cbranch_execnz .LBB88_105
.LBB88_110:
	s_waitcnt vmcnt(7)
	v_cmp_ge_f64_e32 vcc, v[35:36], v[39:40]
	s_andn2_b64 s[24:25], s[24:25], exec
	s_and_b64 s[26:27], vcc, exec
	s_or_b64 s[24:25], s[24:25], s[26:27]
	s_cmp_lt_i32 s13, 1
	s_mov_b64 s[28:29], 0
	s_cbranch_scc0 .LBB88_106
.LBB88_111:
                                        ; implicit-def: $sgpr26_sgpr27
	s_mov_b64 s[30:31], 0
	s_cbranch_execnz .LBB88_115
	s_branch .LBB88_116
.LBB88_112:
	s_mov_b64 s[30:31], 0
                                        ; implicit-def: $sgpr26_sgpr27
	s_cbranch_execz .LBB88_114
; %bb.113:
	s_waitcnt vmcnt(0)
	v_cmp_gt_f64_e32 vcc, v[25:26], v[29:30]
	s_andn2_b64 s[26:27], s[26:27], exec
	s_and_b64 s[34:35], vcc, exec
	s_or_b64 s[26:27], s[26:27], s[34:35]
.LBB88_114:
	s_branch .LBB88_116
.LBB88_115:
	s_cmp_lg_u32 s13, 0
	s_mov_b64 s[28:29], -1
	s_cselect_b64 s[30:31], -1, 0
.LBB88_116:
	s_andn2_b64 vcc, exec, s[30:31]
	s_cbranch_vccz .LBB88_122
; %bb.117:
	s_andn2_b64 vcc, exec, s[28:29]
	s_cbranch_vccz .LBB88_123
.LBB88_118:
	s_cmp_lt_i32 s13, 1
	s_mov_b64 s[30:31], 0
	s_cbranch_scc1 .LBB88_124
.LBB88_119:
	s_cmp_gt_i32 s13, 1
	s_cbranch_scc0 .LBB88_125
; %bb.120:
	s_cmp_eq_u32 s13, 2
	s_cbranch_scc0 .LBB88_259
; %bb.121:
	s_waitcnt vmcnt(0)
	v_cmp_le_f64_e64 s[28:29], v[27:28], v[31:32]
	s_mov_b64 s[34:35], 0
	s_branch .LBB88_127
.LBB88_122:
	s_waitcnt vmcnt(0)
	v_cmp_lt_f64_e32 vcc, v[25:26], v[29:30]
	s_andn2_b64 s[26:27], s[26:27], exec
	s_and_b64 s[30:31], vcc, exec
	s_or_b64 s[26:27], s[26:27], s[30:31]
	s_cbranch_execnz .LBB88_118
.LBB88_123:
	s_waitcnt vmcnt(0)
	v_cmp_ge_f64_e32 vcc, v[25:26], v[29:30]
	s_andn2_b64 s[26:27], s[26:27], exec
	s_and_b64 s[28:29], vcc, exec
	s_or_b64 s[26:27], s[26:27], s[28:29]
	s_cmp_lt_i32 s13, 1
	s_mov_b64 s[30:31], 0
	s_cbranch_scc0 .LBB88_119
.LBB88_124:
                                        ; implicit-def: $sgpr28_sgpr29
	s_mov_b64 s[34:35], 0
	s_cbranch_execnz .LBB88_128
	s_branch .LBB88_129
.LBB88_125:
	s_mov_b64 s[34:35], 0
                                        ; implicit-def: $sgpr28_sgpr29
	s_cbranch_execz .LBB88_127
; %bb.126:
	s_waitcnt vmcnt(0)
	v_cmp_gt_f64_e32 vcc, v[27:28], v[31:32]
	s_andn2_b64 s[28:29], s[28:29], exec
	s_and_b64 s[36:37], vcc, exec
	s_or_b64 s[28:29], s[28:29], s[36:37]
.LBB88_127:
	s_branch .LBB88_129
.LBB88_128:
	s_cmp_lg_u32 s13, 0
	s_mov_b64 s[30:31], -1
	s_cselect_b64 s[34:35], -1, 0
.LBB88_129:
	s_andn2_b64 vcc, exec, s[34:35]
	s_cbranch_vccz .LBB88_135
; %bb.130:
	s_andn2_b64 vcc, exec, s[30:31]
	s_cbranch_vccz .LBB88_136
.LBB88_131:
	s_cmp_lt_i32 s13, 1
	s_mov_b64 s[34:35], 0
	s_cbranch_scc1 .LBB88_137
.LBB88_132:
	s_cmp_gt_i32 s13, 1
	s_cbranch_scc0 .LBB88_138
; %bb.133:
	s_cmp_eq_u32 s13, 2
	s_cbranch_scc0 .LBB88_260
; %bb.134:
	s_waitcnt vmcnt(1)
	v_cmp_le_f64_e64 s[30:31], v[17:18], v[21:22]
	s_mov_b64 s[36:37], 0
	s_branch .LBB88_140
.LBB88_135:
	s_waitcnt vmcnt(0)
	v_cmp_lt_f64_e32 vcc, v[27:28], v[31:32]
	s_andn2_b64 s[28:29], s[28:29], exec
	s_and_b64 s[34:35], vcc, exec
	s_or_b64 s[28:29], s[28:29], s[34:35]
	s_cbranch_execnz .LBB88_131
.LBB88_136:
	s_waitcnt vmcnt(0)
	v_cmp_ge_f64_e32 vcc, v[27:28], v[31:32]
	s_andn2_b64 s[28:29], s[28:29], exec
	s_and_b64 s[30:31], vcc, exec
	s_or_b64 s[28:29], s[28:29], s[30:31]
	s_cmp_lt_i32 s13, 1
	s_mov_b64 s[34:35], 0
	s_cbranch_scc0 .LBB88_132
.LBB88_137:
                                        ; implicit-def: $sgpr30_sgpr31
	s_mov_b64 s[36:37], 0
	s_cbranch_execnz .LBB88_141
	s_branch .LBB88_142
.LBB88_138:
	s_mov_b64 s[36:37], 0
                                        ; implicit-def: $sgpr30_sgpr31
	s_cbranch_execz .LBB88_140
; %bb.139:
	s_waitcnt vmcnt(1)
	v_cmp_gt_f64_e32 vcc, v[17:18], v[21:22]
	s_andn2_b64 s[30:31], s[30:31], exec
	s_and_b64 s[38:39], vcc, exec
	s_or_b64 s[30:31], s[30:31], s[38:39]
.LBB88_140:
	s_branch .LBB88_142
.LBB88_141:
	s_cmp_lg_u32 s13, 0
	s_mov_b64 s[34:35], -1
	s_cselect_b64 s[36:37], -1, 0
.LBB88_142:
	s_andn2_b64 vcc, exec, s[36:37]
	s_cbranch_vccz .LBB88_148
; %bb.143:
	s_andn2_b64 vcc, exec, s[34:35]
	s_cbranch_vccz .LBB88_149
.LBB88_144:
	s_cmp_lt_i32 s13, 1
	s_mov_b64 s[36:37], 0
	s_cbranch_scc1 .LBB88_150
.LBB88_145:
	s_cmp_gt_i32 s13, 1
	s_cbranch_scc0 .LBB88_151
; %bb.146:
	s_cmp_eq_u32 s13, 2
	s_cbranch_scc0 .LBB88_261
; %bb.147:
	s_waitcnt vmcnt(1)
	v_cmp_le_f64_e64 s[34:35], v[19:20], v[23:24]
	s_mov_b64 s[38:39], 0
	s_branch .LBB88_153
.LBB88_148:
	s_waitcnt vmcnt(1)
	v_cmp_lt_f64_e32 vcc, v[17:18], v[21:22]
	s_andn2_b64 s[30:31], s[30:31], exec
	s_and_b64 s[36:37], vcc, exec
	s_or_b64 s[30:31], s[30:31], s[36:37]
	s_cbranch_execnz .LBB88_144
.LBB88_149:
	s_waitcnt vmcnt(1)
	v_cmp_ge_f64_e32 vcc, v[17:18], v[21:22]
	s_andn2_b64 s[30:31], s[30:31], exec
	s_and_b64 s[34:35], vcc, exec
	s_or_b64 s[30:31], s[30:31], s[34:35]
	s_cmp_lt_i32 s13, 1
	s_mov_b64 s[36:37], 0
	s_cbranch_scc0 .LBB88_145
.LBB88_150:
                                        ; implicit-def: $sgpr34_sgpr35
	s_mov_b64 s[38:39], 0
	s_cbranch_execnz .LBB88_154
	s_branch .LBB88_155
.LBB88_151:
	s_mov_b64 s[38:39], 0
                                        ; implicit-def: $sgpr34_sgpr35
	s_cbranch_execz .LBB88_153
; %bb.152:
	s_waitcnt vmcnt(1)
	v_cmp_gt_f64_e32 vcc, v[19:20], v[23:24]
	s_andn2_b64 s[34:35], s[34:35], exec
	s_and_b64 s[40:41], vcc, exec
	s_or_b64 s[34:35], s[34:35], s[40:41]
.LBB88_153:
	s_branch .LBB88_155
.LBB88_154:
	s_cmp_lg_u32 s13, 0
	s_mov_b64 s[36:37], -1
	s_cselect_b64 s[38:39], -1, 0
.LBB88_155:
	s_andn2_b64 vcc, exec, s[38:39]
	s_cbranch_vccz .LBB88_161
; %bb.156:
	s_andn2_b64 vcc, exec, s[36:37]
	s_cbranch_vccz .LBB88_162
.LBB88_157:
	s_cmp_lt_i32 s13, 1
	s_mov_b64 s[38:39], 0
	s_cbranch_scc1 .LBB88_163
.LBB88_158:
	s_cmp_gt_i32 s13, 1
	s_cbranch_scc0 .LBB88_164
; %bb.159:
	s_cmp_eq_u32 s13, 2
	s_cbranch_scc0 .LBB88_262
; %bb.160:
	s_waitcnt vmcnt(2)
	v_cmp_le_f64_e64 s[36:37], v[9:10], v[13:14]
	s_mov_b64 s[40:41], 0
	s_branch .LBB88_166
.LBB88_161:
	s_waitcnt vmcnt(1)
	v_cmp_lt_f64_e32 vcc, v[19:20], v[23:24]
	s_andn2_b64 s[34:35], s[34:35], exec
	s_and_b64 s[38:39], vcc, exec
	s_or_b64 s[34:35], s[34:35], s[38:39]
	s_cbranch_execnz .LBB88_157
.LBB88_162:
	s_waitcnt vmcnt(1)
	v_cmp_ge_f64_e32 vcc, v[19:20], v[23:24]
	s_andn2_b64 s[34:35], s[34:35], exec
	s_and_b64 s[36:37], vcc, exec
	s_or_b64 s[34:35], s[34:35], s[36:37]
	s_cmp_lt_i32 s13, 1
	s_mov_b64 s[38:39], 0
	s_cbranch_scc0 .LBB88_158
.LBB88_163:
                                        ; implicit-def: $sgpr36_sgpr37
	s_mov_b64 s[40:41], 0
	s_cbranch_execnz .LBB88_167
	s_branch .LBB88_168
.LBB88_164:
	s_mov_b64 s[40:41], 0
                                        ; implicit-def: $sgpr36_sgpr37
	s_cbranch_execz .LBB88_166
; %bb.165:
	s_waitcnt vmcnt(2)
	v_cmp_gt_f64_e32 vcc, v[9:10], v[13:14]
	s_andn2_b64 s[36:37], s[36:37], exec
	s_and_b64 s[42:43], vcc, exec
	s_or_b64 s[36:37], s[36:37], s[42:43]
.LBB88_166:
	s_branch .LBB88_168
.LBB88_167:
	s_cmp_lg_u32 s13, 0
	s_mov_b64 s[38:39], -1
	s_cselect_b64 s[40:41], -1, 0
.LBB88_168:
	s_andn2_b64 vcc, exec, s[40:41]
	s_cbranch_vccz .LBB88_174
; %bb.169:
	s_andn2_b64 vcc, exec, s[38:39]
	s_cbranch_vccz .LBB88_175
.LBB88_170:
	s_cmp_lt_i32 s13, 1
	s_mov_b64 s[40:41], 0
	s_cbranch_scc1 .LBB88_176
.LBB88_171:
	s_cmp_gt_i32 s13, 1
	s_cbranch_scc0 .LBB88_177
; %bb.172:
	s_cmp_eq_u32 s13, 2
	s_cbranch_scc0 .LBB88_263
; %bb.173:
	s_waitcnt vmcnt(2)
	v_cmp_le_f64_e64 s[38:39], v[11:12], v[15:16]
	s_mov_b64 s[42:43], 0
	s_branch .LBB88_179
.LBB88_174:
	s_waitcnt vmcnt(2)
	v_cmp_lt_f64_e32 vcc, v[9:10], v[13:14]
	s_andn2_b64 s[36:37], s[36:37], exec
	s_and_b64 s[40:41], vcc, exec
	s_or_b64 s[36:37], s[36:37], s[40:41]
	s_cbranch_execnz .LBB88_170
.LBB88_175:
	s_waitcnt vmcnt(2)
	v_cmp_ge_f64_e32 vcc, v[9:10], v[13:14]
	s_andn2_b64 s[36:37], s[36:37], exec
	s_and_b64 s[38:39], vcc, exec
	s_or_b64 s[36:37], s[36:37], s[38:39]
	s_cmp_lt_i32 s13, 1
	s_mov_b64 s[40:41], 0
	s_cbranch_scc0 .LBB88_171
.LBB88_176:
                                        ; implicit-def: $sgpr38_sgpr39
	s_mov_b64 s[42:43], 0
	s_cbranch_execnz .LBB88_180
	s_branch .LBB88_181
.LBB88_177:
	s_mov_b64 s[42:43], 0
                                        ; implicit-def: $sgpr38_sgpr39
	s_cbranch_execz .LBB88_179
; %bb.178:
	s_waitcnt vmcnt(2)
	v_cmp_gt_f64_e32 vcc, v[11:12], v[15:16]
	s_andn2_b64 s[38:39], s[38:39], exec
	s_and_b64 s[44:45], vcc, exec
	s_or_b64 s[38:39], s[38:39], s[44:45]
.LBB88_179:
	s_branch .LBB88_181
.LBB88_180:
	s_cmp_lg_u32 s13, 0
	s_mov_b64 s[40:41], -1
	s_cselect_b64 s[42:43], -1, 0
.LBB88_181:
	s_andn2_b64 vcc, exec, s[42:43]
	s_cbranch_vccz .LBB88_187
; %bb.182:
	s_andn2_b64 vcc, exec, s[40:41]
	s_cbranch_vccz .LBB88_188
.LBB88_183:
	s_cmp_lt_i32 s13, 1
	s_mov_b64 s[42:43], 0
	s_cbranch_scc1 .LBB88_189
.LBB88_184:
	s_cmp_gt_i32 s13, 1
	s_cbranch_scc0 .LBB88_190
; %bb.185:
	s_cmp_eq_u32 s13, 2
	s_cbranch_scc0 .LBB88_264
; %bb.186:
	s_waitcnt vmcnt(3)
	v_cmp_le_f64_e64 s[40:41], v[1:2], v[5:6]
	s_mov_b64 s[44:45], 0
	s_branch .LBB88_192
.LBB88_187:
	s_waitcnt vmcnt(2)
	v_cmp_lt_f64_e32 vcc, v[11:12], v[15:16]
	s_andn2_b64 s[38:39], s[38:39], exec
	s_and_b64 s[42:43], vcc, exec
	s_or_b64 s[38:39], s[38:39], s[42:43]
	s_cbranch_execnz .LBB88_183
.LBB88_188:
	s_waitcnt vmcnt(2)
	v_cmp_ge_f64_e32 vcc, v[11:12], v[15:16]
	s_andn2_b64 s[38:39], s[38:39], exec
	s_and_b64 s[40:41], vcc, exec
	s_or_b64 s[38:39], s[38:39], s[40:41]
	s_cmp_lt_i32 s13, 1
	s_mov_b64 s[42:43], 0
	s_cbranch_scc0 .LBB88_184
.LBB88_189:
                                        ; implicit-def: $sgpr40_sgpr41
	s_mov_b64 s[44:45], 0
	s_cbranch_execnz .LBB88_193
	s_branch .LBB88_194
.LBB88_190:
	s_mov_b64 s[44:45], 0
                                        ; implicit-def: $sgpr40_sgpr41
	s_cbranch_execz .LBB88_192
; %bb.191:
	s_waitcnt vmcnt(3)
	v_cmp_gt_f64_e32 vcc, v[1:2], v[5:6]
	s_andn2_b64 s[40:41], s[40:41], exec
	s_and_b64 s[46:47], vcc, exec
	s_or_b64 s[40:41], s[40:41], s[46:47]
.LBB88_192:
	s_branch .LBB88_194
.LBB88_193:
	s_cmp_lg_u32 s13, 0
	s_mov_b64 s[42:43], -1
	s_cselect_b64 s[44:45], -1, 0
.LBB88_194:
	s_andn2_b64 vcc, exec, s[44:45]
	s_cbranch_vccz .LBB88_200
; %bb.195:
	s_andn2_b64 vcc, exec, s[42:43]
	s_cbranch_vccz .LBB88_201
.LBB88_196:
	s_cmp_lt_i32 s13, 1
	s_mov_b64 s[44:45], 0
	s_cbranch_scc1 .LBB88_202
.LBB88_197:
	s_cmp_gt_i32 s13, 1
	s_cbranch_scc0 .LBB88_203
; %bb.198:
	s_cmp_eq_u32 s13, 2
	s_cbranch_scc0 .LBB88_265
; %bb.199:
	s_waitcnt vmcnt(3)
	v_cmp_le_f64_e64 s[42:43], v[3:4], v[7:8]
	s_mov_b64 s[46:47], 0
	s_branch .LBB88_205
.LBB88_200:
	s_waitcnt vmcnt(3)
	v_cmp_lt_f64_e32 vcc, v[1:2], v[5:6]
	s_andn2_b64 s[40:41], s[40:41], exec
	s_and_b64 s[44:45], vcc, exec
	s_or_b64 s[40:41], s[40:41], s[44:45]
	s_cbranch_execnz .LBB88_196
.LBB88_201:
	s_waitcnt vmcnt(3)
	v_cmp_ge_f64_e32 vcc, v[1:2], v[5:6]
	s_andn2_b64 s[40:41], s[40:41], exec
	s_and_b64 s[42:43], vcc, exec
	s_or_b64 s[40:41], s[40:41], s[42:43]
	s_cmp_lt_i32 s13, 1
	s_mov_b64 s[44:45], 0
	s_cbranch_scc0 .LBB88_197
.LBB88_202:
                                        ; implicit-def: $sgpr42_sgpr43
	s_mov_b64 s[46:47], 0
	s_cbranch_execnz .LBB88_206
	s_branch .LBB88_207
.LBB88_203:
	s_mov_b64 s[46:47], 0
                                        ; implicit-def: $sgpr42_sgpr43
	s_cbranch_execz .LBB88_205
; %bb.204:
	s_waitcnt vmcnt(3)
	v_cmp_gt_f64_e32 vcc, v[3:4], v[7:8]
	s_andn2_b64 s[42:43], s[42:43], exec
	s_and_b64 s[48:49], vcc, exec
	s_or_b64 s[42:43], s[42:43], s[48:49]
.LBB88_205:
	s_branch .LBB88_207
.LBB88_206:
	s_cmp_lg_u32 s13, 0
	s_mov_b64 s[44:45], -1
	s_cselect_b64 s[46:47], -1, 0
.LBB88_207:
	s_andn2_b64 vcc, exec, s[46:47]
	s_cbranch_vccz .LBB88_249
; %bb.208:
	s_andn2_b64 vcc, exec, s[44:45]
	s_cbranch_vccnz .LBB88_210
.LBB88_209:
	s_waitcnt vmcnt(3)
	v_cmp_ge_f64_e32 vcc, v[3:4], v[7:8]
	s_andn2_b64 s[42:43], s[42:43], exec
	s_and_b64 s[44:45], vcc, exec
	s_or_b64 s[42:43], s[42:43], s[44:45]
.LBB88_210:
	s_waitcnt vmcnt(11)
	v_cndmask_b32_e64 v1, 0, 1, s[4:5]
	v_lshlrev_b16_e32 v1, 8, v1
	v_cndmask_b32_e64 v2, 0, 1, s[0:1]
	v_or_b32_e32 v1, v2, v1
	v_cndmask_b32_e64 v2, 0, 1, s[16:17]
	v_lshlrev_b16_e32 v2, 8, v2
	v_cndmask_b32_e64 v3, 0, 1, s[6:7]
	v_or_b32_sdwa v2, v3, v2 dst_sel:WORD_1 dst_unused:UNUSED_PAD src0_sel:DWORD src1_sel:DWORD
	v_or_b32_sdwa v1, v1, v2 dst_sel:DWORD dst_unused:UNUSED_PAD src0_sel:WORD_0 src1_sel:DWORD
	v_cndmask_b32_e64 v2, 0, 1, s[20:21]
	v_lshlrev_b16_e32 v2, 8, v2
	v_cndmask_b32_e64 v3, 0, 1, s[18:19]
	v_or_b32_e32 v2, v3, v2
	v_cndmask_b32_e64 v3, 0, 1, s[24:25]
	v_lshlrev_b16_e32 v3, 8, v3
	v_cndmask_b32_e64 v4, 0, 1, s[22:23]
	v_or_b32_sdwa v3, v4, v3 dst_sel:WORD_1 dst_unused:UNUSED_PAD src0_sel:DWORD src1_sel:DWORD
	v_or_b32_sdwa v2, v2, v3 dst_sel:DWORD dst_unused:UNUSED_PAD src0_sel:WORD_0 src1_sel:DWORD
	v_cndmask_b32_e64 v3, 0, 1, s[28:29]
	v_lshlrev_b16_e32 v3, 8, v3
	v_cndmask_b32_e64 v4, 0, 1, s[26:27]
	v_or_b32_e32 v3, v4, v3
	v_cndmask_b32_e64 v4, 0, 1, s[34:35]
	v_lshlrev_b16_e32 v4, 8, v4
	s_waitcnt vmcnt(3)
	v_cndmask_b32_e64 v6, 0, 1, s[30:31]
	v_or_b32_sdwa v4, v6, v4 dst_sel:WORD_1 dst_unused:UNUSED_PAD src0_sel:DWORD src1_sel:DWORD
	v_or_b32_sdwa v3, v3, v4 dst_sel:DWORD dst_unused:UNUSED_PAD src0_sel:WORD_0 src1_sel:DWORD
	v_cndmask_b32_e64 v4, 0, 1, s[38:39]
	v_lshlrev_b16_e32 v4, 8, v4
	v_cndmask_b32_e64 v6, 0, 1, s[36:37]
	v_or_b32_e32 v4, v6, v4
	v_cndmask_b32_e64 v6, 0, 1, s[42:43]
	v_lshlrev_b16_e32 v6, 8, v6
	v_cndmask_b32_e64 v7, 0, 1, s[40:41]
	s_add_u32 s44, s8, s2
	v_or_b32_sdwa v6, v7, v6 dst_sel:WORD_1 dst_unused:UNUSED_PAD src0_sel:DWORD src1_sel:DWORD
	s_addc_u32 s45, s9, s3
	v_lshlrev_b32_e32 v5, 4, v0
	v_or_b32_sdwa v4, v4, v6 dst_sel:DWORD dst_unused:UNUSED_PAD src0_sel:WORD_0 src1_sel:DWORD
	global_store_dwordx4 v5, v[1:4], s[44:45]
	s_mov_b64 s[0:1], 0
.LBB88_211:
	s_and_b64 vcc, exec, s[0:1]
	s_cbranch_vccz .LBB88_519
; %bb.212:
	v_mov_b32_e32 v58, 0
	v_mov_b32_e32 v62, 0
	;; [unrolled: 1-line block ×3, first 2 shown]
	v_cmp_gt_i32_e64 s[0:1], s12, v0
	v_mov_b32_e32 v59, 0
	v_or_b32_e32 v1, s2, v0
	v_mov_b32_e32 v63, 0
	v_mov_b32_e32 v65, 0
	;; [unrolled: 1-line block ×3, first 2 shown]
	s_and_saveexec_b64 s[4:5], s[0:1]
	s_cbranch_execz .LBB88_214
; %bb.213:
	v_mov_b32_e32 v2, 0
	v_lshlrev_b64 v[2:3], 3, v[1:2]
	v_mov_b32_e32 v5, s15
	v_add_co_u32_e32 v4, vcc, s14, v2
	v_addc_co_u32_e32 v5, vcc, v5, v3, vcc
	v_mov_b32_e32 v6, s11
	v_add_co_u32_e32 v2, vcc, s10, v2
	v_addc_co_u32_e32 v3, vcc, v6, v3, vcc
	global_load_dwordx2 v[62:63], v[2:3], off
	global_load_dwordx2 v[64:65], v[4:5], off
	v_or_b32_e32 v66, 0x100, v0
.LBB88_214:
	s_or_b64 exec, exec, s[4:5]
	v_mov_b32_e32 v60, 0
	v_mov_b32_e32 v61, 0
	v_cmp_gt_i32_e32 vcc, s12, v66
	s_and_saveexec_b64 s[4:5], vcc
	s_cbranch_execz .LBB88_216
; %bb.215:
	v_add_u32_e32 v2, s2, v66
	v_mov_b32_e32 v3, 0
	v_lshlrev_b64 v[2:3], 3, v[2:3]
	v_mov_b32_e32 v5, s15
	v_add_co_u32_e32 v4, vcc, s14, v2
	v_addc_co_u32_e32 v5, vcc, v5, v3, vcc
	v_mov_b32_e32 v6, s11
	v_add_co_u32_e32 v2, vcc, s10, v2
	v_addc_co_u32_e32 v3, vcc, v6, v3, vcc
	global_load_dwordx2 v[58:59], v[2:3], off
	global_load_dwordx2 v[60:61], v[4:5], off
	v_add_u32_e32 v66, 0x100, v66
.LBB88_216:
	s_or_b64 exec, exec, s[4:5]
	v_mov_b32_e32 v50, 0
	v_mov_b32_e32 v54, 0
	v_mov_b32_e32 v56, 0
	v_mov_b32_e32 v51, 0
	v_mov_b32_e32 v55, 0
	v_mov_b32_e32 v57, 0
	v_cmp_gt_i32_e32 vcc, s12, v66
	s_and_saveexec_b64 s[4:5], vcc
	s_cbranch_execz .LBB88_218
; %bb.217:
	v_add_u32_e32 v2, s2, v66
	v_mov_b32_e32 v3, 0
	v_lshlrev_b64 v[2:3], 3, v[2:3]
	v_mov_b32_e32 v5, s15
	v_add_co_u32_e32 v4, vcc, s14, v2
	v_addc_co_u32_e32 v5, vcc, v5, v3, vcc
	v_mov_b32_e32 v6, s11
	v_add_co_u32_e32 v2, vcc, s10, v2
	v_addc_co_u32_e32 v3, vcc, v6, v3, vcc
	global_load_dwordx2 v[54:55], v[2:3], off
	global_load_dwordx2 v[56:57], v[4:5], off
	v_add_u32_e32 v66, 0x100, v66
.LBB88_218:
	s_or_b64 exec, exec, s[4:5]
	v_mov_b32_e32 v52, 0
	v_mov_b32_e32 v53, 0
	v_cmp_gt_i32_e32 vcc, s12, v66
	s_and_saveexec_b64 s[4:5], vcc
	s_cbranch_execz .LBB88_220
; %bb.219:
	v_add_u32_e32 v2, s2, v66
	v_mov_b32_e32 v3, 0
	v_lshlrev_b64 v[2:3], 3, v[2:3]
	v_mov_b32_e32 v5, s15
	v_add_co_u32_e32 v4, vcc, s14, v2
	v_addc_co_u32_e32 v5, vcc, v5, v3, vcc
	v_mov_b32_e32 v6, s11
	v_add_co_u32_e32 v2, vcc, s10, v2
	v_addc_co_u32_e32 v3, vcc, v6, v3, vcc
	global_load_dwordx2 v[50:51], v[2:3], off
	global_load_dwordx2 v[52:53], v[4:5], off
	v_add_u32_e32 v66, 0x100, v66
.LBB88_220:
	s_or_b64 exec, exec, s[4:5]
	v_mov_b32_e32 v42, 0
	v_mov_b32_e32 v46, 0
	v_mov_b32_e32 v48, 0
	v_mov_b32_e32 v43, 0
	v_mov_b32_e32 v47, 0
	v_mov_b32_e32 v49, 0
	v_cmp_gt_i32_e32 vcc, s12, v66
	s_and_saveexec_b64 s[4:5], vcc
	s_cbranch_execz .LBB88_222
; %bb.221:
	v_add_u32_e32 v2, s2, v66
	v_mov_b32_e32 v3, 0
	v_lshlrev_b64 v[2:3], 3, v[2:3]
	v_mov_b32_e32 v5, s15
	v_add_co_u32_e32 v4, vcc, s14, v2
	v_addc_co_u32_e32 v5, vcc, v5, v3, vcc
	v_mov_b32_e32 v6, s11
	v_add_co_u32_e32 v2, vcc, s10, v2
	v_addc_co_u32_e32 v3, vcc, v6, v3, vcc
	global_load_dwordx2 v[46:47], v[2:3], off
	global_load_dwordx2 v[48:49], v[4:5], off
	v_add_u32_e32 v66, 0x100, v66
.LBB88_222:
	;; [unrolled: 44-line block ×3, first 2 shown]
	s_or_b64 exec, exec, s[4:5]
	v_mov_b32_e32 v36, 0
	v_mov_b32_e32 v37, 0
	v_cmp_gt_i32_e32 vcc, s12, v66
	s_and_saveexec_b64 s[4:5], vcc
	s_cbranch_execz .LBB88_228
; %bb.227:
	v_add_u32_e32 v2, s2, v66
	v_mov_b32_e32 v3, 0
	v_lshlrev_b64 v[2:3], 3, v[2:3]
	v_mov_b32_e32 v5, s15
	v_add_co_u32_e32 v4, vcc, s14, v2
	v_addc_co_u32_e32 v5, vcc, v5, v3, vcc
	v_mov_b32_e32 v6, s11
	v_add_co_u32_e32 v2, vcc, s10, v2
	v_addc_co_u32_e32 v3, vcc, v6, v3, vcc
	global_load_dwordx2 v[34:35], v[2:3], off
	global_load_dwordx2 v[36:37], v[4:5], off
	v_add_u32_e32 v66, 0x100, v66
.LBB88_228:
	s_or_b64 exec, exec, s[4:5]
	v_mov_b32_e32 v26, 0
	s_waitcnt vmcnt(1)
	v_mov_b32_e32 v30, 0
	v_mov_b32_e32 v32, 0
	v_mov_b32_e32 v27, 0
	v_mov_b32_e32 v31, 0
	v_mov_b32_e32 v33, 0
	v_cmp_gt_i32_e32 vcc, s12, v66
	s_and_saveexec_b64 s[4:5], vcc
	s_cbranch_execz .LBB88_230
; %bb.229:
	v_add_u32_e32 v2, s2, v66
	v_mov_b32_e32 v3, 0
	v_lshlrev_b64 v[2:3], 3, v[2:3]
	v_mov_b32_e32 v5, s15
	v_add_co_u32_e32 v4, vcc, s14, v2
	v_addc_co_u32_e32 v5, vcc, v5, v3, vcc
	v_mov_b32_e32 v6, s11
	v_add_co_u32_e32 v2, vcc, s10, v2
	v_addc_co_u32_e32 v3, vcc, v6, v3, vcc
	global_load_dwordx2 v[30:31], v[2:3], off
	global_load_dwordx2 v[32:33], v[4:5], off
	v_add_u32_e32 v66, 0x100, v66
.LBB88_230:
	s_or_b64 exec, exec, s[4:5]
	v_mov_b32_e32 v28, 0
	v_mov_b32_e32 v29, 0
	v_cmp_gt_i32_e32 vcc, s12, v66
	s_and_saveexec_b64 s[4:5], vcc
	s_cbranch_execz .LBB88_232
; %bb.231:
	v_add_u32_e32 v2, s2, v66
	v_mov_b32_e32 v3, 0
	v_lshlrev_b64 v[2:3], 3, v[2:3]
	v_mov_b32_e32 v5, s15
	v_add_co_u32_e32 v4, vcc, s14, v2
	v_addc_co_u32_e32 v5, vcc, v5, v3, vcc
	v_mov_b32_e32 v6, s11
	v_add_co_u32_e32 v2, vcc, s10, v2
	v_addc_co_u32_e32 v3, vcc, v6, v3, vcc
	global_load_dwordx2 v[26:27], v[2:3], off
	global_load_dwordx2 v[28:29], v[4:5], off
	v_add_u32_e32 v66, 0x100, v66
.LBB88_232:
	s_or_b64 exec, exec, s[4:5]
	v_mov_b32_e32 v18, 0
	v_mov_b32_e32 v22, 0
	v_mov_b32_e32 v24, 0
	v_mov_b32_e32 v19, 0
	v_mov_b32_e32 v23, 0
	v_mov_b32_e32 v25, 0
	v_cmp_gt_i32_e32 vcc, s12, v66
	s_and_saveexec_b64 s[4:5], vcc
	s_cbranch_execz .LBB88_234
; %bb.233:
	v_add_u32_e32 v2, s2, v66
	v_mov_b32_e32 v3, 0
	v_lshlrev_b64 v[2:3], 3, v[2:3]
	v_mov_b32_e32 v5, s15
	v_add_co_u32_e32 v4, vcc, s14, v2
	v_addc_co_u32_e32 v5, vcc, v5, v3, vcc
	v_mov_b32_e32 v6, s11
	v_add_co_u32_e32 v2, vcc, s10, v2
	v_addc_co_u32_e32 v3, vcc, v6, v3, vcc
	global_load_dwordx2 v[22:23], v[2:3], off
	global_load_dwordx2 v[24:25], v[4:5], off
	v_add_u32_e32 v66, 0x100, v66
.LBB88_234:
	s_or_b64 exec, exec, s[4:5]
	v_mov_b32_e32 v20, 0
	v_mov_b32_e32 v21, 0
	v_cmp_gt_i32_e32 vcc, s12, v66
	s_and_saveexec_b64 s[4:5], vcc
	s_cbranch_execz .LBB88_236
; %bb.235:
	v_add_u32_e32 v2, s2, v66
	v_mov_b32_e32 v3, 0
	v_lshlrev_b64 v[2:3], 3, v[2:3]
	v_mov_b32_e32 v5, s15
	v_add_co_u32_e32 v4, vcc, s14, v2
	v_addc_co_u32_e32 v5, vcc, v5, v3, vcc
	v_mov_b32_e32 v6, s11
	v_add_co_u32_e32 v2, vcc, s10, v2
	v_addc_co_u32_e32 v3, vcc, v6, v3, vcc
	global_load_dwordx2 v[18:19], v[2:3], off
	global_load_dwordx2 v[20:21], v[4:5], off
	v_add_u32_e32 v66, 0x100, v66
.LBB88_236:
	s_or_b64 exec, exec, s[4:5]
	v_mov_b32_e32 v10, 0
	;; [unrolled: 44-line block ×3, first 2 shown]
	v_mov_b32_e32 v6, 0
	v_mov_b32_e32 v8, 0
	;; [unrolled: 1-line block ×5, first 2 shown]
	v_cmp_gt_i32_e32 vcc, s12, v66
	s_and_saveexec_b64 s[4:5], vcc
	s_cbranch_execz .LBB88_242
; %bb.241:
	v_add_u32_e32 v4, s2, v66
	v_mov_b32_e32 v5, 0
	v_lshlrev_b64 v[4:5], 3, v[4:5]
	v_mov_b32_e32 v6, s15
	v_add_co_u32_e32 v67, vcc, s14, v4
	v_addc_co_u32_e32 v68, vcc, v6, v5, vcc
	v_mov_b32_e32 v6, s11
	v_add_co_u32_e32 v4, vcc, s10, v4
	v_addc_co_u32_e32 v5, vcc, v6, v5, vcc
	global_load_dwordx2 v[6:7], v[4:5], off
	global_load_dwordx2 v[8:9], v[67:68], off
	v_add_u32_e32 v66, 0x100, v66
.LBB88_242:
	s_or_b64 exec, exec, s[4:5]
	v_mov_b32_e32 v4, 0
	v_mov_b32_e32 v5, 0
	v_cmp_gt_i32_e32 vcc, s12, v66
	s_and_saveexec_b64 s[4:5], vcc
	s_cbranch_execz .LBB88_244
; %bb.243:
	v_add_u32_e32 v2, s2, v66
	v_mov_b32_e32 v3, 0
	v_lshlrev_b64 v[2:3], 3, v[2:3]
	v_mov_b32_e32 v4, s15
	v_add_co_u32_e32 v66, vcc, s14, v2
	v_addc_co_u32_e32 v67, vcc, v4, v3, vcc
	v_mov_b32_e32 v4, s11
	v_add_co_u32_e32 v68, vcc, s10, v2
	v_addc_co_u32_e32 v69, vcc, v4, v3, vcc
	global_load_dwordx2 v[2:3], v[68:69], off
	global_load_dwordx2 v[4:5], v[66:67], off
.LBB88_244:
	s_or_b64 exec, exec, s[4:5]
                                        ; implicit-def: $vgpr66
	s_and_saveexec_b64 s[4:5], s[0:1]
	s_cbranch_execz .LBB88_276
; %bb.245:
	s_cmp_lt_i32 s13, 1
	s_mov_b64 s[6:7], 0
	s_cbranch_scc1 .LBB88_250
; %bb.246:
	s_cmp_gt_i32 s13, 1
	s_cbranch_scc0 .LBB88_266
; %bb.247:
	s_cmp_eq_u32 s13, 2
	s_cbranch_scc0 .LBB88_267
; %bb.248:
	s_waitcnt vmcnt(0)
	v_cmp_le_f64_e64 s[10:11], v[62:63], v[64:65]
	s_mov_b64 s[14:15], 0
	s_branch .LBB88_268
.LBB88_249:
	s_waitcnt vmcnt(3)
	v_cmp_lt_f64_e32 vcc, v[3:4], v[7:8]
	s_andn2_b64 s[42:43], s[42:43], exec
	s_and_b64 s[46:47], vcc, exec
	s_or_b64 s[42:43], s[42:43], s[46:47]
	s_cbranch_execz .LBB88_209
	s_branch .LBB88_210
.LBB88_250:
                                        ; implicit-def: $sgpr10_sgpr11
	s_mov_b64 s[14:15], 0
	s_cbranch_execnz .LBB88_271
	s_branch .LBB88_272
.LBB88_251:
	s_mov_b64 s[16:17], -1
                                        ; implicit-def: $sgpr4_sgpr5
	s_branch .LBB88_23
.LBB88_252:
	s_mov_b64 s[18:19], -1
                                        ; implicit-def: $sgpr6_sgpr7
	s_branch .LBB88_36
.LBB88_253:
	s_mov_b64 s[20:21], -1
                                        ; implicit-def: $sgpr16_sgpr17
	s_branch .LBB88_49
.LBB88_254:
	s_mov_b64 s[22:23], -1
                                        ; implicit-def: $sgpr18_sgpr19
	s_branch .LBB88_62
.LBB88_255:
	s_mov_b64 s[24:25], -1
                                        ; implicit-def: $sgpr20_sgpr21
	s_branch .LBB88_75
.LBB88_256:
	s_mov_b64 s[26:27], -1
                                        ; implicit-def: $sgpr22_sgpr23
	s_branch .LBB88_88
.LBB88_257:
	s_mov_b64 s[28:29], -1
                                        ; implicit-def: $sgpr24_sgpr25
	s_branch .LBB88_101
.LBB88_258:
	s_mov_b64 s[30:31], -1
                                        ; implicit-def: $sgpr26_sgpr27
	s_branch .LBB88_114
.LBB88_259:
	s_mov_b64 s[34:35], -1
                                        ; implicit-def: $sgpr28_sgpr29
	s_branch .LBB88_127
.LBB88_260:
	s_mov_b64 s[36:37], -1
                                        ; implicit-def: $sgpr30_sgpr31
	s_branch .LBB88_140
.LBB88_261:
	s_mov_b64 s[38:39], -1
                                        ; implicit-def: $sgpr34_sgpr35
	s_branch .LBB88_153
.LBB88_262:
	s_mov_b64 s[40:41], -1
                                        ; implicit-def: $sgpr36_sgpr37
	s_branch .LBB88_166
.LBB88_263:
	s_mov_b64 s[42:43], -1
                                        ; implicit-def: $sgpr38_sgpr39
	s_branch .LBB88_179
.LBB88_264:
	s_mov_b64 s[44:45], -1
                                        ; implicit-def: $sgpr40_sgpr41
	s_branch .LBB88_192
.LBB88_265:
	s_mov_b64 s[46:47], -1
                                        ; implicit-def: $sgpr42_sgpr43
	s_branch .LBB88_205
.LBB88_266:
	s_mov_b64 s[14:15], 0
                                        ; implicit-def: $sgpr10_sgpr11
	s_cbranch_execnz .LBB88_269
	s_branch .LBB88_270
.LBB88_267:
	s_mov_b64 s[14:15], -1
                                        ; implicit-def: $sgpr10_sgpr11
.LBB88_268:
	s_branch .LBB88_270
.LBB88_269:
	s_waitcnt vmcnt(0)
	v_cmp_gt_f64_e32 vcc, v[62:63], v[64:65]
	s_andn2_b64 s[10:11], s[10:11], exec
	s_and_b64 s[16:17], vcc, exec
	s_or_b64 s[10:11], s[10:11], s[16:17]
.LBB88_270:
	s_branch .LBB88_272
.LBB88_271:
	s_cmp_lg_u32 s13, 0
	s_mov_b64 s[6:7], -1
	s_cselect_b64 s[14:15], -1, 0
.LBB88_272:
	s_andn2_b64 vcc, exec, s[14:15]
	s_cbranch_vccz .LBB88_281
; %bb.273:
	s_andn2_b64 vcc, exec, s[6:7]
	s_cbranch_vccnz .LBB88_275
.LBB88_274:
	s_waitcnt vmcnt(0)
	v_cmp_ge_f64_e32 vcc, v[62:63], v[64:65]
	s_andn2_b64 s[6:7], s[10:11], exec
	s_and_b64 s[10:11], vcc, exec
	s_or_b64 s[10:11], s[6:7], s[10:11]
.LBB88_275:
	v_cndmask_b32_e64 v66, 0, 1, s[10:11]
.LBB88_276:
	s_or_b64 exec, exec, s[4:5]
	v_or_b32_e32 v62, 0x100, v0
	v_cmp_gt_i32_e32 vcc, s12, v62
                                        ; implicit-def: $vgpr63
	s_and_saveexec_b64 s[4:5], vcc
	s_cbranch_execz .LBB88_291
; %bb.277:
	s_cmp_lt_i32 s13, 1
	s_mov_b64 s[6:7], 0
	s_cbranch_scc1 .LBB88_282
; %bb.278:
	s_cmp_gt_i32 s13, 1
	s_cbranch_scc0 .LBB88_283
; %bb.279:
	s_cmp_eq_u32 s13, 2
	s_cbranch_scc0 .LBB88_535
; %bb.280:
	s_waitcnt vmcnt(0)
	v_cmp_le_f64_e64 s[10:11], v[58:59], v[60:61]
	s_mov_b64 s[14:15], 0
	s_branch .LBB88_285
.LBB88_281:
	s_waitcnt vmcnt(0)
	v_cmp_lt_f64_e32 vcc, v[62:63], v[64:65]
	s_andn2_b64 s[10:11], s[10:11], exec
	s_and_b64 s[14:15], vcc, exec
	s_or_b64 s[10:11], s[10:11], s[14:15]
	s_cbranch_execz .LBB88_274
	s_branch .LBB88_275
.LBB88_282:
                                        ; implicit-def: $sgpr10_sgpr11
	s_mov_b64 s[14:15], 0
	s_cbranch_execnz .LBB88_286
	s_branch .LBB88_287
.LBB88_283:
	s_mov_b64 s[14:15], 0
                                        ; implicit-def: $sgpr10_sgpr11
	s_cbranch_execz .LBB88_285
; %bb.284:
	s_waitcnt vmcnt(0)
	v_cmp_gt_f64_e32 vcc, v[58:59], v[60:61]
	s_andn2_b64 s[10:11], s[10:11], exec
	s_and_b64 s[16:17], vcc, exec
	s_or_b64 s[10:11], s[10:11], s[16:17]
.LBB88_285:
	s_branch .LBB88_287
.LBB88_286:
	s_cmp_lg_u32 s13, 0
	s_mov_b64 s[6:7], -1
	s_cselect_b64 s[14:15], -1, 0
.LBB88_287:
	s_andn2_b64 vcc, exec, s[14:15]
	s_cbranch_vccz .LBB88_296
; %bb.288:
	s_andn2_b64 vcc, exec, s[6:7]
	s_cbranch_vccnz .LBB88_290
.LBB88_289:
	s_waitcnt vmcnt(0)
	v_cmp_ge_f64_e32 vcc, v[58:59], v[60:61]
	s_andn2_b64 s[6:7], s[10:11], exec
	s_and_b64 s[10:11], vcc, exec
	s_or_b64 s[10:11], s[6:7], s[10:11]
.LBB88_290:
	v_cndmask_b32_e64 v63, 0, 1, s[10:11]
.LBB88_291:
	s_or_b64 exec, exec, s[4:5]
	v_or_b32_e32 v58, 0x200, v0
	v_cmp_gt_i32_e32 vcc, s12, v58
                                        ; implicit-def: $vgpr58
	s_and_saveexec_b64 s[4:5], vcc
	s_cbranch_execz .LBB88_306
; %bb.292:
	s_cmp_lt_i32 s13, 1
	s_mov_b64 s[6:7], 0
	s_cbranch_scc1 .LBB88_297
; %bb.293:
	s_cmp_gt_i32 s13, 1
	s_cbranch_scc0 .LBB88_298
; %bb.294:
	s_cmp_eq_u32 s13, 2
	s_cbranch_scc0 .LBB88_536
; %bb.295:
	s_waitcnt vmcnt(0)
	v_cmp_le_f64_e64 s[10:11], v[54:55], v[56:57]
	s_mov_b64 s[14:15], 0
	s_branch .LBB88_300
.LBB88_296:
	s_waitcnt vmcnt(0)
	v_cmp_lt_f64_e32 vcc, v[58:59], v[60:61]
	s_andn2_b64 s[10:11], s[10:11], exec
	s_and_b64 s[14:15], vcc, exec
	s_or_b64 s[10:11], s[10:11], s[14:15]
	s_cbranch_execz .LBB88_289
	s_branch .LBB88_290
.LBB88_297:
                                        ; implicit-def: $sgpr10_sgpr11
	s_mov_b64 s[14:15], 0
	s_cbranch_execnz .LBB88_301
	s_branch .LBB88_302
.LBB88_298:
	s_mov_b64 s[14:15], 0
                                        ; implicit-def: $sgpr10_sgpr11
	s_cbranch_execz .LBB88_300
; %bb.299:
	s_waitcnt vmcnt(0)
	v_cmp_gt_f64_e32 vcc, v[54:55], v[56:57]
	s_andn2_b64 s[10:11], s[10:11], exec
	s_and_b64 s[16:17], vcc, exec
	s_or_b64 s[10:11], s[10:11], s[16:17]
.LBB88_300:
	s_branch .LBB88_302
.LBB88_301:
	s_cmp_lg_u32 s13, 0
	s_mov_b64 s[6:7], -1
	s_cselect_b64 s[14:15], -1, 0
.LBB88_302:
	s_andn2_b64 vcc, exec, s[14:15]
	s_cbranch_vccz .LBB88_311
; %bb.303:
	s_andn2_b64 vcc, exec, s[6:7]
	s_cbranch_vccnz .LBB88_305
.LBB88_304:
	s_waitcnt vmcnt(0)
	v_cmp_ge_f64_e32 vcc, v[54:55], v[56:57]
	s_andn2_b64 s[6:7], s[10:11], exec
	s_and_b64 s[10:11], vcc, exec
	s_or_b64 s[10:11], s[6:7], s[10:11]
.LBB88_305:
	v_cndmask_b32_e64 v58, 0, 1, s[10:11]
.LBB88_306:
	s_or_b64 exec, exec, s[4:5]
	v_or_b32_e32 v54, 0x300, v0
	v_cmp_gt_i32_e32 vcc, s12, v54
                                        ; implicit-def: $vgpr54
	s_and_saveexec_b64 s[4:5], vcc
	s_cbranch_execz .LBB88_321
; %bb.307:
	s_cmp_lt_i32 s13, 1
	s_mov_b64 s[6:7], 0
	s_cbranch_scc1 .LBB88_312
; %bb.308:
	s_cmp_gt_i32 s13, 1
	s_cbranch_scc0 .LBB88_313
; %bb.309:
	s_cmp_eq_u32 s13, 2
	s_cbranch_scc0 .LBB88_537
; %bb.310:
	s_waitcnt vmcnt(0)
	v_cmp_le_f64_e64 s[10:11], v[50:51], v[52:53]
	s_mov_b64 s[14:15], 0
	s_branch .LBB88_315
.LBB88_311:
	s_waitcnt vmcnt(0)
	v_cmp_lt_f64_e32 vcc, v[54:55], v[56:57]
	s_andn2_b64 s[10:11], s[10:11], exec
	s_and_b64 s[14:15], vcc, exec
	s_or_b64 s[10:11], s[10:11], s[14:15]
	s_cbranch_execz .LBB88_304
	s_branch .LBB88_305
.LBB88_312:
                                        ; implicit-def: $sgpr10_sgpr11
	s_mov_b64 s[14:15], 0
	s_cbranch_execnz .LBB88_316
	s_branch .LBB88_317
.LBB88_313:
	s_mov_b64 s[14:15], 0
                                        ; implicit-def: $sgpr10_sgpr11
	s_cbranch_execz .LBB88_315
; %bb.314:
	s_waitcnt vmcnt(0)
	v_cmp_gt_f64_e32 vcc, v[50:51], v[52:53]
	s_andn2_b64 s[10:11], s[10:11], exec
	s_and_b64 s[16:17], vcc, exec
	s_or_b64 s[10:11], s[10:11], s[16:17]
.LBB88_315:
	s_branch .LBB88_317
.LBB88_316:
	s_cmp_lg_u32 s13, 0
	s_mov_b64 s[6:7], -1
	s_cselect_b64 s[14:15], -1, 0
.LBB88_317:
	s_andn2_b64 vcc, exec, s[14:15]
	s_cbranch_vccz .LBB88_326
; %bb.318:
	s_andn2_b64 vcc, exec, s[6:7]
	s_cbranch_vccnz .LBB88_320
.LBB88_319:
	s_waitcnt vmcnt(0)
	v_cmp_ge_f64_e32 vcc, v[50:51], v[52:53]
	s_andn2_b64 s[6:7], s[10:11], exec
	s_and_b64 s[10:11], vcc, exec
	s_or_b64 s[10:11], s[6:7], s[10:11]
.LBB88_320:
	v_cndmask_b32_e64 v54, 0, 1, s[10:11]
.LBB88_321:
	s_or_b64 exec, exec, s[4:5]
	v_or_b32_e32 v50, 0x400, v0
	v_cmp_gt_i32_e32 vcc, s12, v50
                                        ; implicit-def: $vgpr50
	s_and_saveexec_b64 s[4:5], vcc
	s_cbranch_execz .LBB88_336
; %bb.322:
	s_cmp_lt_i32 s13, 1
	s_mov_b64 s[6:7], 0
	s_cbranch_scc1 .LBB88_327
; %bb.323:
	s_cmp_gt_i32 s13, 1
	s_cbranch_scc0 .LBB88_328
; %bb.324:
	s_cmp_eq_u32 s13, 2
	s_cbranch_scc0 .LBB88_538
; %bb.325:
	s_waitcnt vmcnt(0)
	v_cmp_le_f64_e64 s[10:11], v[46:47], v[48:49]
	s_mov_b64 s[14:15], 0
	s_branch .LBB88_330
.LBB88_326:
	s_waitcnt vmcnt(0)
	v_cmp_lt_f64_e32 vcc, v[50:51], v[52:53]
	s_andn2_b64 s[10:11], s[10:11], exec
	s_and_b64 s[14:15], vcc, exec
	s_or_b64 s[10:11], s[10:11], s[14:15]
	s_cbranch_execz .LBB88_319
	s_branch .LBB88_320
.LBB88_327:
                                        ; implicit-def: $sgpr10_sgpr11
	s_mov_b64 s[14:15], 0
	s_cbranch_execnz .LBB88_331
	s_branch .LBB88_332
.LBB88_328:
	s_mov_b64 s[14:15], 0
                                        ; implicit-def: $sgpr10_sgpr11
	s_cbranch_execz .LBB88_330
; %bb.329:
	s_waitcnt vmcnt(0)
	v_cmp_gt_f64_e32 vcc, v[46:47], v[48:49]
	s_andn2_b64 s[10:11], s[10:11], exec
	s_and_b64 s[16:17], vcc, exec
	s_or_b64 s[10:11], s[10:11], s[16:17]
.LBB88_330:
	s_branch .LBB88_332
.LBB88_331:
	s_cmp_lg_u32 s13, 0
	s_mov_b64 s[6:7], -1
	s_cselect_b64 s[14:15], -1, 0
.LBB88_332:
	s_andn2_b64 vcc, exec, s[14:15]
	s_cbranch_vccz .LBB88_341
; %bb.333:
	s_andn2_b64 vcc, exec, s[6:7]
	s_cbranch_vccnz .LBB88_335
.LBB88_334:
	s_waitcnt vmcnt(0)
	v_cmp_ge_f64_e32 vcc, v[46:47], v[48:49]
	s_andn2_b64 s[6:7], s[10:11], exec
	s_and_b64 s[10:11], vcc, exec
	s_or_b64 s[10:11], s[6:7], s[10:11]
.LBB88_335:
	v_cndmask_b32_e64 v50, 0, 1, s[10:11]
.LBB88_336:
	s_or_b64 exec, exec, s[4:5]
	v_or_b32_e32 v46, 0x500, v0
	v_cmp_gt_i32_e32 vcc, s12, v46
                                        ; implicit-def: $vgpr46
	s_and_saveexec_b64 s[4:5], vcc
	s_cbranch_execz .LBB88_351
; %bb.337:
	s_cmp_lt_i32 s13, 1
	s_mov_b64 s[6:7], 0
	s_cbranch_scc1 .LBB88_342
; %bb.338:
	s_cmp_gt_i32 s13, 1
	s_cbranch_scc0 .LBB88_343
; %bb.339:
	s_cmp_eq_u32 s13, 2
	s_cbranch_scc0 .LBB88_539
; %bb.340:
	s_waitcnt vmcnt(0)
	v_cmp_le_f64_e64 s[10:11], v[42:43], v[44:45]
	s_mov_b64 s[14:15], 0
	s_branch .LBB88_345
.LBB88_341:
	s_waitcnt vmcnt(0)
	v_cmp_lt_f64_e32 vcc, v[46:47], v[48:49]
	s_andn2_b64 s[10:11], s[10:11], exec
	s_and_b64 s[14:15], vcc, exec
	s_or_b64 s[10:11], s[10:11], s[14:15]
	s_cbranch_execz .LBB88_334
	s_branch .LBB88_335
.LBB88_342:
                                        ; implicit-def: $sgpr10_sgpr11
	s_mov_b64 s[14:15], 0
	s_cbranch_execnz .LBB88_346
	s_branch .LBB88_347
.LBB88_343:
	s_mov_b64 s[14:15], 0
                                        ; implicit-def: $sgpr10_sgpr11
	s_cbranch_execz .LBB88_345
; %bb.344:
	s_waitcnt vmcnt(0)
	v_cmp_gt_f64_e32 vcc, v[42:43], v[44:45]
	s_andn2_b64 s[10:11], s[10:11], exec
	s_and_b64 s[16:17], vcc, exec
	s_or_b64 s[10:11], s[10:11], s[16:17]
.LBB88_345:
	s_branch .LBB88_347
.LBB88_346:
	s_cmp_lg_u32 s13, 0
	s_mov_b64 s[6:7], -1
	s_cselect_b64 s[14:15], -1, 0
.LBB88_347:
	s_andn2_b64 vcc, exec, s[14:15]
	s_cbranch_vccz .LBB88_356
; %bb.348:
	s_andn2_b64 vcc, exec, s[6:7]
	s_cbranch_vccnz .LBB88_350
.LBB88_349:
	s_waitcnt vmcnt(0)
	v_cmp_ge_f64_e32 vcc, v[42:43], v[44:45]
	s_andn2_b64 s[6:7], s[10:11], exec
	s_and_b64 s[10:11], vcc, exec
	s_or_b64 s[10:11], s[6:7], s[10:11]
.LBB88_350:
	v_cndmask_b32_e64 v46, 0, 1, s[10:11]
.LBB88_351:
	s_or_b64 exec, exec, s[4:5]
	v_or_b32_e32 v42, 0x600, v0
	v_cmp_gt_i32_e32 vcc, s12, v42
                                        ; implicit-def: $vgpr42
	s_and_saveexec_b64 s[4:5], vcc
	s_cbranch_execz .LBB88_366
; %bb.352:
	s_cmp_lt_i32 s13, 1
	s_mov_b64 s[6:7], 0
	s_cbranch_scc1 .LBB88_357
; %bb.353:
	s_cmp_gt_i32 s13, 1
	s_cbranch_scc0 .LBB88_358
; %bb.354:
	s_cmp_eq_u32 s13, 2
	s_cbranch_scc0 .LBB88_540
; %bb.355:
	s_waitcnt vmcnt(0)
	v_cmp_le_f64_e64 s[10:11], v[38:39], v[40:41]
	s_mov_b64 s[14:15], 0
	s_branch .LBB88_360
.LBB88_356:
	s_waitcnt vmcnt(0)
	v_cmp_lt_f64_e32 vcc, v[42:43], v[44:45]
	s_andn2_b64 s[10:11], s[10:11], exec
	s_and_b64 s[14:15], vcc, exec
	s_or_b64 s[10:11], s[10:11], s[14:15]
	s_cbranch_execz .LBB88_349
	s_branch .LBB88_350
.LBB88_357:
                                        ; implicit-def: $sgpr10_sgpr11
	s_mov_b64 s[14:15], 0
	s_cbranch_execnz .LBB88_361
	s_branch .LBB88_362
.LBB88_358:
	s_mov_b64 s[14:15], 0
                                        ; implicit-def: $sgpr10_sgpr11
	s_cbranch_execz .LBB88_360
; %bb.359:
	s_waitcnt vmcnt(0)
	v_cmp_gt_f64_e32 vcc, v[38:39], v[40:41]
	s_andn2_b64 s[10:11], s[10:11], exec
	s_and_b64 s[16:17], vcc, exec
	s_or_b64 s[10:11], s[10:11], s[16:17]
.LBB88_360:
	s_branch .LBB88_362
.LBB88_361:
	s_cmp_lg_u32 s13, 0
	s_mov_b64 s[6:7], -1
	s_cselect_b64 s[14:15], -1, 0
.LBB88_362:
	s_andn2_b64 vcc, exec, s[14:15]
	s_cbranch_vccz .LBB88_371
; %bb.363:
	s_andn2_b64 vcc, exec, s[6:7]
	s_cbranch_vccnz .LBB88_365
.LBB88_364:
	s_waitcnt vmcnt(0)
	v_cmp_ge_f64_e32 vcc, v[38:39], v[40:41]
	s_andn2_b64 s[6:7], s[10:11], exec
	s_and_b64 s[10:11], vcc, exec
	s_or_b64 s[10:11], s[6:7], s[10:11]
.LBB88_365:
	v_cndmask_b32_e64 v42, 0, 1, s[10:11]
.LBB88_366:
	s_or_b64 exec, exec, s[4:5]
	v_or_b32_e32 v38, 0x700, v0
	v_cmp_gt_i32_e32 vcc, s12, v38
                                        ; implicit-def: $vgpr38
	s_and_saveexec_b64 s[4:5], vcc
	s_cbranch_execz .LBB88_381
; %bb.367:
	s_cmp_lt_i32 s13, 1
	s_mov_b64 s[6:7], 0
	s_cbranch_scc1 .LBB88_372
; %bb.368:
	s_cmp_gt_i32 s13, 1
	s_cbranch_scc0 .LBB88_373
; %bb.369:
	s_cmp_eq_u32 s13, 2
	s_cbranch_scc0 .LBB88_541
; %bb.370:
	s_waitcnt vmcnt(0)
	v_cmp_le_f64_e64 s[10:11], v[34:35], v[36:37]
	s_mov_b64 s[14:15], 0
	s_branch .LBB88_375
.LBB88_371:
	s_waitcnt vmcnt(0)
	v_cmp_lt_f64_e32 vcc, v[38:39], v[40:41]
	s_andn2_b64 s[10:11], s[10:11], exec
	s_and_b64 s[14:15], vcc, exec
	s_or_b64 s[10:11], s[10:11], s[14:15]
	s_cbranch_execz .LBB88_364
	s_branch .LBB88_365
.LBB88_372:
                                        ; implicit-def: $sgpr10_sgpr11
	s_mov_b64 s[14:15], 0
	s_cbranch_execnz .LBB88_376
	s_branch .LBB88_377
.LBB88_373:
	s_mov_b64 s[14:15], 0
                                        ; implicit-def: $sgpr10_sgpr11
	s_cbranch_execz .LBB88_375
; %bb.374:
	s_waitcnt vmcnt(0)
	v_cmp_gt_f64_e32 vcc, v[34:35], v[36:37]
	s_andn2_b64 s[10:11], s[10:11], exec
	s_and_b64 s[16:17], vcc, exec
	s_or_b64 s[10:11], s[10:11], s[16:17]
.LBB88_375:
	s_branch .LBB88_377
.LBB88_376:
	s_cmp_lg_u32 s13, 0
	s_mov_b64 s[6:7], -1
	s_cselect_b64 s[14:15], -1, 0
.LBB88_377:
	s_andn2_b64 vcc, exec, s[14:15]
	s_cbranch_vccz .LBB88_386
; %bb.378:
	s_andn2_b64 vcc, exec, s[6:7]
	s_cbranch_vccnz .LBB88_380
.LBB88_379:
	s_waitcnt vmcnt(0)
	v_cmp_ge_f64_e32 vcc, v[34:35], v[36:37]
	s_andn2_b64 s[6:7], s[10:11], exec
	s_and_b64 s[10:11], vcc, exec
	s_or_b64 s[10:11], s[6:7], s[10:11]
.LBB88_380:
	v_cndmask_b32_e64 v38, 0, 1, s[10:11]
.LBB88_381:
	s_or_b64 exec, exec, s[4:5]
	v_or_b32_e32 v34, 0x800, v0
	v_cmp_gt_i32_e32 vcc, s12, v34
                                        ; implicit-def: $vgpr34
	s_and_saveexec_b64 s[4:5], vcc
	s_cbranch_execz .LBB88_396
; %bb.382:
	s_cmp_lt_i32 s13, 1
	s_mov_b64 s[6:7], 0
	s_cbranch_scc1 .LBB88_387
; %bb.383:
	s_cmp_gt_i32 s13, 1
	s_cbranch_scc0 .LBB88_388
; %bb.384:
	s_cmp_eq_u32 s13, 2
	s_cbranch_scc0 .LBB88_542
; %bb.385:
	s_waitcnt vmcnt(0)
	v_cmp_le_f64_e64 s[10:11], v[30:31], v[32:33]
	s_mov_b64 s[14:15], 0
	s_branch .LBB88_390
.LBB88_386:
	s_waitcnt vmcnt(0)
	v_cmp_lt_f64_e32 vcc, v[34:35], v[36:37]
	s_andn2_b64 s[10:11], s[10:11], exec
	s_and_b64 s[14:15], vcc, exec
	s_or_b64 s[10:11], s[10:11], s[14:15]
	s_cbranch_execz .LBB88_379
	s_branch .LBB88_380
.LBB88_387:
                                        ; implicit-def: $sgpr10_sgpr11
	s_mov_b64 s[14:15], 0
	s_cbranch_execnz .LBB88_391
	s_branch .LBB88_392
.LBB88_388:
	s_mov_b64 s[14:15], 0
                                        ; implicit-def: $sgpr10_sgpr11
	s_cbranch_execz .LBB88_390
; %bb.389:
	s_waitcnt vmcnt(0)
	v_cmp_gt_f64_e32 vcc, v[30:31], v[32:33]
	s_andn2_b64 s[10:11], s[10:11], exec
	s_and_b64 s[16:17], vcc, exec
	s_or_b64 s[10:11], s[10:11], s[16:17]
.LBB88_390:
	s_branch .LBB88_392
.LBB88_391:
	s_cmp_lg_u32 s13, 0
	s_mov_b64 s[6:7], -1
	s_cselect_b64 s[14:15], -1, 0
.LBB88_392:
	s_andn2_b64 vcc, exec, s[14:15]
	s_cbranch_vccz .LBB88_401
; %bb.393:
	s_andn2_b64 vcc, exec, s[6:7]
	s_cbranch_vccnz .LBB88_395
.LBB88_394:
	s_waitcnt vmcnt(0)
	v_cmp_ge_f64_e32 vcc, v[30:31], v[32:33]
	s_andn2_b64 s[6:7], s[10:11], exec
	s_and_b64 s[10:11], vcc, exec
	s_or_b64 s[10:11], s[6:7], s[10:11]
.LBB88_395:
	v_cndmask_b32_e64 v34, 0, 1, s[10:11]
.LBB88_396:
	s_or_b64 exec, exec, s[4:5]
	s_waitcnt vmcnt(1)
	v_or_b32_e32 v30, 0x900, v0
	v_cmp_gt_i32_e32 vcc, s12, v30
                                        ; implicit-def: $vgpr30
	s_and_saveexec_b64 s[4:5], vcc
	s_cbranch_execz .LBB88_411
; %bb.397:
	s_cmp_lt_i32 s13, 1
	s_mov_b64 s[6:7], 0
	s_cbranch_scc1 .LBB88_402
; %bb.398:
	s_cmp_gt_i32 s13, 1
	s_cbranch_scc0 .LBB88_403
; %bb.399:
	s_cmp_eq_u32 s13, 2
	s_cbranch_scc0 .LBB88_543
; %bb.400:
	s_waitcnt vmcnt(0)
	v_cmp_le_f64_e64 s[10:11], v[26:27], v[28:29]
	s_mov_b64 s[14:15], 0
	s_branch .LBB88_405
.LBB88_401:
	s_waitcnt vmcnt(0)
	v_cmp_lt_f64_e32 vcc, v[30:31], v[32:33]
	s_andn2_b64 s[10:11], s[10:11], exec
	s_and_b64 s[14:15], vcc, exec
	s_or_b64 s[10:11], s[10:11], s[14:15]
	s_cbranch_execz .LBB88_394
	s_branch .LBB88_395
.LBB88_402:
                                        ; implicit-def: $sgpr10_sgpr11
	s_mov_b64 s[14:15], 0
	s_cbranch_execnz .LBB88_406
	s_branch .LBB88_407
.LBB88_403:
	s_mov_b64 s[14:15], 0
                                        ; implicit-def: $sgpr10_sgpr11
	s_cbranch_execz .LBB88_405
; %bb.404:
	s_waitcnt vmcnt(0)
	v_cmp_gt_f64_e32 vcc, v[26:27], v[28:29]
	s_andn2_b64 s[10:11], s[10:11], exec
	s_and_b64 s[16:17], vcc, exec
	s_or_b64 s[10:11], s[10:11], s[16:17]
.LBB88_405:
	s_branch .LBB88_407
.LBB88_406:
	s_cmp_lg_u32 s13, 0
	s_mov_b64 s[6:7], -1
	s_cselect_b64 s[14:15], -1, 0
.LBB88_407:
	s_andn2_b64 vcc, exec, s[14:15]
	s_cbranch_vccz .LBB88_416
; %bb.408:
	s_andn2_b64 vcc, exec, s[6:7]
	s_cbranch_vccnz .LBB88_410
.LBB88_409:
	s_waitcnt vmcnt(0)
	v_cmp_ge_f64_e32 vcc, v[26:27], v[28:29]
	s_andn2_b64 s[6:7], s[10:11], exec
	s_and_b64 s[10:11], vcc, exec
	s_or_b64 s[10:11], s[6:7], s[10:11]
.LBB88_410:
	v_cndmask_b32_e64 v30, 0, 1, s[10:11]
.LBB88_411:
	s_or_b64 exec, exec, s[4:5]
	v_or_b32_e32 v26, 0xa00, v0
	v_cmp_gt_i32_e32 vcc, s12, v26
                                        ; implicit-def: $vgpr26
	s_and_saveexec_b64 s[4:5], vcc
	s_cbranch_execz .LBB88_426
; %bb.412:
	s_cmp_lt_i32 s13, 1
	s_mov_b64 s[6:7], 0
	s_cbranch_scc1 .LBB88_417
; %bb.413:
	s_cmp_gt_i32 s13, 1
	s_cbranch_scc0 .LBB88_418
; %bb.414:
	s_cmp_eq_u32 s13, 2
	s_cbranch_scc0 .LBB88_544
; %bb.415:
	s_waitcnt vmcnt(0)
	v_cmp_le_f64_e64 s[10:11], v[22:23], v[24:25]
	s_mov_b64 s[14:15], 0
	s_branch .LBB88_420
.LBB88_416:
	s_waitcnt vmcnt(0)
	v_cmp_lt_f64_e32 vcc, v[26:27], v[28:29]
	s_andn2_b64 s[10:11], s[10:11], exec
	s_and_b64 s[14:15], vcc, exec
	s_or_b64 s[10:11], s[10:11], s[14:15]
	s_cbranch_execz .LBB88_409
	s_branch .LBB88_410
.LBB88_417:
                                        ; implicit-def: $sgpr10_sgpr11
	s_mov_b64 s[14:15], 0
	s_cbranch_execnz .LBB88_421
	s_branch .LBB88_422
.LBB88_418:
	s_mov_b64 s[14:15], 0
                                        ; implicit-def: $sgpr10_sgpr11
	s_cbranch_execz .LBB88_420
; %bb.419:
	s_waitcnt vmcnt(0)
	v_cmp_gt_f64_e32 vcc, v[22:23], v[24:25]
	s_andn2_b64 s[10:11], s[10:11], exec
	s_and_b64 s[16:17], vcc, exec
	s_or_b64 s[10:11], s[10:11], s[16:17]
.LBB88_420:
	s_branch .LBB88_422
.LBB88_421:
	s_cmp_lg_u32 s13, 0
	s_mov_b64 s[6:7], -1
	s_cselect_b64 s[14:15], -1, 0
.LBB88_422:
	s_andn2_b64 vcc, exec, s[14:15]
	s_cbranch_vccz .LBB88_431
; %bb.423:
	s_andn2_b64 vcc, exec, s[6:7]
	s_cbranch_vccnz .LBB88_425
.LBB88_424:
	s_waitcnt vmcnt(0)
	v_cmp_ge_f64_e32 vcc, v[22:23], v[24:25]
	s_andn2_b64 s[6:7], s[10:11], exec
	s_and_b64 s[10:11], vcc, exec
	s_or_b64 s[10:11], s[6:7], s[10:11]
.LBB88_425:
	v_cndmask_b32_e64 v26, 0, 1, s[10:11]
.LBB88_426:
	s_or_b64 exec, exec, s[4:5]
	v_or_b32_e32 v22, 0xb00, v0
	v_cmp_gt_i32_e32 vcc, s12, v22
                                        ; implicit-def: $vgpr22
	s_and_saveexec_b64 s[4:5], vcc
	s_cbranch_execz .LBB88_441
; %bb.427:
	s_cmp_lt_i32 s13, 1
	s_mov_b64 s[6:7], 0
	s_cbranch_scc1 .LBB88_432
; %bb.428:
	s_cmp_gt_i32 s13, 1
	s_cbranch_scc0 .LBB88_433
; %bb.429:
	s_cmp_eq_u32 s13, 2
	s_cbranch_scc0 .LBB88_545
; %bb.430:
	s_waitcnt vmcnt(0)
	v_cmp_le_f64_e64 s[10:11], v[18:19], v[20:21]
	s_mov_b64 s[14:15], 0
	s_branch .LBB88_435
.LBB88_431:
	s_waitcnt vmcnt(0)
	v_cmp_lt_f64_e32 vcc, v[22:23], v[24:25]
	s_andn2_b64 s[10:11], s[10:11], exec
	s_and_b64 s[14:15], vcc, exec
	s_or_b64 s[10:11], s[10:11], s[14:15]
	s_cbranch_execz .LBB88_424
	s_branch .LBB88_425
.LBB88_432:
                                        ; implicit-def: $sgpr10_sgpr11
	s_mov_b64 s[14:15], 0
	s_cbranch_execnz .LBB88_436
	s_branch .LBB88_437
.LBB88_433:
	s_mov_b64 s[14:15], 0
                                        ; implicit-def: $sgpr10_sgpr11
	s_cbranch_execz .LBB88_435
; %bb.434:
	s_waitcnt vmcnt(0)
	v_cmp_gt_f64_e32 vcc, v[18:19], v[20:21]
	s_andn2_b64 s[10:11], s[10:11], exec
	s_and_b64 s[16:17], vcc, exec
	s_or_b64 s[10:11], s[10:11], s[16:17]
.LBB88_435:
	s_branch .LBB88_437
.LBB88_436:
	s_cmp_lg_u32 s13, 0
	s_mov_b64 s[6:7], -1
	s_cselect_b64 s[14:15], -1, 0
.LBB88_437:
	s_andn2_b64 vcc, exec, s[14:15]
	s_cbranch_vccz .LBB88_446
; %bb.438:
	s_andn2_b64 vcc, exec, s[6:7]
	s_cbranch_vccnz .LBB88_440
.LBB88_439:
	s_waitcnt vmcnt(0)
	v_cmp_ge_f64_e32 vcc, v[18:19], v[20:21]
	s_andn2_b64 s[6:7], s[10:11], exec
	s_and_b64 s[10:11], vcc, exec
	s_or_b64 s[10:11], s[6:7], s[10:11]
.LBB88_440:
	v_cndmask_b32_e64 v22, 0, 1, s[10:11]
.LBB88_441:
	s_or_b64 exec, exec, s[4:5]
	v_or_b32_e32 v18, 0xc00, v0
	v_cmp_gt_i32_e32 vcc, s12, v18
                                        ; implicit-def: $vgpr18
	s_and_saveexec_b64 s[4:5], vcc
	s_cbranch_execz .LBB88_456
; %bb.442:
	s_cmp_lt_i32 s13, 1
	s_mov_b64 s[6:7], 0
	s_cbranch_scc1 .LBB88_447
; %bb.443:
	s_cmp_gt_i32 s13, 1
	s_cbranch_scc0 .LBB88_448
; %bb.444:
	s_cmp_eq_u32 s13, 2
	s_cbranch_scc0 .LBB88_546
; %bb.445:
	s_waitcnt vmcnt(0)
	v_cmp_le_f64_e64 s[10:11], v[14:15], v[16:17]
	s_mov_b64 s[14:15], 0
	s_branch .LBB88_450
.LBB88_446:
	s_waitcnt vmcnt(0)
	v_cmp_lt_f64_e32 vcc, v[18:19], v[20:21]
	s_andn2_b64 s[10:11], s[10:11], exec
	s_and_b64 s[14:15], vcc, exec
	s_or_b64 s[10:11], s[10:11], s[14:15]
	s_cbranch_execz .LBB88_439
	s_branch .LBB88_440
.LBB88_447:
                                        ; implicit-def: $sgpr10_sgpr11
	s_mov_b64 s[14:15], 0
	s_cbranch_execnz .LBB88_451
	s_branch .LBB88_452
.LBB88_448:
	s_mov_b64 s[14:15], 0
                                        ; implicit-def: $sgpr10_sgpr11
	s_cbranch_execz .LBB88_450
; %bb.449:
	s_waitcnt vmcnt(0)
	v_cmp_gt_f64_e32 vcc, v[14:15], v[16:17]
	s_andn2_b64 s[10:11], s[10:11], exec
	s_and_b64 s[16:17], vcc, exec
	s_or_b64 s[10:11], s[10:11], s[16:17]
.LBB88_450:
	s_branch .LBB88_452
.LBB88_451:
	s_cmp_lg_u32 s13, 0
	s_mov_b64 s[6:7], -1
	s_cselect_b64 s[14:15], -1, 0
.LBB88_452:
	s_andn2_b64 vcc, exec, s[14:15]
	s_cbranch_vccz .LBB88_461
; %bb.453:
	s_andn2_b64 vcc, exec, s[6:7]
	s_cbranch_vccnz .LBB88_455
.LBB88_454:
	s_waitcnt vmcnt(0)
	v_cmp_ge_f64_e32 vcc, v[14:15], v[16:17]
	s_andn2_b64 s[6:7], s[10:11], exec
	s_and_b64 s[10:11], vcc, exec
	s_or_b64 s[10:11], s[6:7], s[10:11]
.LBB88_455:
	v_cndmask_b32_e64 v18, 0, 1, s[10:11]
.LBB88_456:
	s_or_b64 exec, exec, s[4:5]
	v_or_b32_e32 v14, 0xd00, v0
	v_cmp_gt_i32_e32 vcc, s12, v14
                                        ; implicit-def: $vgpr14
	s_and_saveexec_b64 s[4:5], vcc
	s_cbranch_execz .LBB88_471
; %bb.457:
	s_cmp_lt_i32 s13, 1
	s_mov_b64 s[6:7], 0
	s_cbranch_scc1 .LBB88_462
; %bb.458:
	s_cmp_gt_i32 s13, 1
	s_cbranch_scc0 .LBB88_463
; %bb.459:
	s_cmp_eq_u32 s13, 2
	s_cbranch_scc0 .LBB88_547
; %bb.460:
	s_waitcnt vmcnt(0)
	v_cmp_le_f64_e64 s[10:11], v[10:11], v[12:13]
	s_mov_b64 s[14:15], 0
	s_branch .LBB88_465
.LBB88_461:
	s_waitcnt vmcnt(0)
	v_cmp_lt_f64_e32 vcc, v[14:15], v[16:17]
	s_andn2_b64 s[10:11], s[10:11], exec
	s_and_b64 s[14:15], vcc, exec
	s_or_b64 s[10:11], s[10:11], s[14:15]
	s_cbranch_execz .LBB88_454
	s_branch .LBB88_455
.LBB88_462:
                                        ; implicit-def: $sgpr10_sgpr11
	s_mov_b64 s[14:15], 0
	s_cbranch_execnz .LBB88_466
	s_branch .LBB88_467
.LBB88_463:
	s_mov_b64 s[14:15], 0
                                        ; implicit-def: $sgpr10_sgpr11
	s_cbranch_execz .LBB88_465
; %bb.464:
	s_waitcnt vmcnt(0)
	v_cmp_gt_f64_e32 vcc, v[10:11], v[12:13]
	s_andn2_b64 s[10:11], s[10:11], exec
	s_and_b64 s[16:17], vcc, exec
	s_or_b64 s[10:11], s[10:11], s[16:17]
.LBB88_465:
	s_branch .LBB88_467
.LBB88_466:
	s_cmp_lg_u32 s13, 0
	s_mov_b64 s[6:7], -1
	s_cselect_b64 s[14:15], -1, 0
.LBB88_467:
	s_andn2_b64 vcc, exec, s[14:15]
	s_cbranch_vccz .LBB88_476
; %bb.468:
	s_andn2_b64 vcc, exec, s[6:7]
	s_cbranch_vccnz .LBB88_470
.LBB88_469:
	s_waitcnt vmcnt(0)
	v_cmp_ge_f64_e32 vcc, v[10:11], v[12:13]
	s_andn2_b64 s[6:7], s[10:11], exec
	s_and_b64 s[10:11], vcc, exec
	s_or_b64 s[10:11], s[6:7], s[10:11]
.LBB88_470:
	v_cndmask_b32_e64 v14, 0, 1, s[10:11]
.LBB88_471:
	s_or_b64 exec, exec, s[4:5]
	v_or_b32_e32 v10, 0xe00, v0
	v_cmp_gt_i32_e32 vcc, s12, v10
                                        ; implicit-def: $vgpr10
	s_and_saveexec_b64 s[4:5], vcc
	s_cbranch_execz .LBB88_486
; %bb.472:
	s_cmp_lt_i32 s13, 1
	s_mov_b64 s[6:7], 0
	s_cbranch_scc1 .LBB88_477
; %bb.473:
	s_cmp_gt_i32 s13, 1
	s_cbranch_scc0 .LBB88_478
; %bb.474:
	s_cmp_eq_u32 s13, 2
	s_cbranch_scc0 .LBB88_548
; %bb.475:
	s_waitcnt vmcnt(0)
	v_cmp_le_f64_e64 s[10:11], v[6:7], v[8:9]
	s_mov_b64 s[14:15], 0
	s_branch .LBB88_480
.LBB88_476:
	s_waitcnt vmcnt(0)
	v_cmp_lt_f64_e32 vcc, v[10:11], v[12:13]
	s_andn2_b64 s[10:11], s[10:11], exec
	s_and_b64 s[14:15], vcc, exec
	s_or_b64 s[10:11], s[10:11], s[14:15]
	s_cbranch_execz .LBB88_469
	s_branch .LBB88_470
.LBB88_477:
                                        ; implicit-def: $sgpr10_sgpr11
	s_mov_b64 s[14:15], 0
	s_cbranch_execnz .LBB88_481
	s_branch .LBB88_482
.LBB88_478:
	s_mov_b64 s[14:15], 0
                                        ; implicit-def: $sgpr10_sgpr11
	s_cbranch_execz .LBB88_480
; %bb.479:
	s_waitcnt vmcnt(0)
	v_cmp_gt_f64_e32 vcc, v[6:7], v[8:9]
	s_andn2_b64 s[10:11], s[10:11], exec
	s_and_b64 s[16:17], vcc, exec
	s_or_b64 s[10:11], s[10:11], s[16:17]
.LBB88_480:
	s_branch .LBB88_482
.LBB88_481:
	s_cmp_lg_u32 s13, 0
	s_mov_b64 s[6:7], -1
	s_cselect_b64 s[14:15], -1, 0
.LBB88_482:
	s_andn2_b64 vcc, exec, s[14:15]
	s_cbranch_vccz .LBB88_491
; %bb.483:
	s_andn2_b64 vcc, exec, s[6:7]
	s_cbranch_vccnz .LBB88_485
.LBB88_484:
	s_waitcnt vmcnt(0)
	v_cmp_ge_f64_e32 vcc, v[6:7], v[8:9]
	s_andn2_b64 s[6:7], s[10:11], exec
	s_and_b64 s[10:11], vcc, exec
	s_or_b64 s[10:11], s[6:7], s[10:11]
.LBB88_485:
	v_cndmask_b32_e64 v10, 0, 1, s[10:11]
.LBB88_486:
	s_or_b64 exec, exec, s[4:5]
	v_or_b32_e32 v6, 0xf00, v0
	v_cmp_gt_i32_e32 vcc, s12, v6
                                        ; implicit-def: $vgpr6
	s_and_saveexec_b64 s[4:5], vcc
	s_cbranch_execz .LBB88_501
; %bb.487:
	s_cmp_lt_i32 s13, 1
	s_mov_b64 s[6:7], 0
	s_cbranch_scc1 .LBB88_492
; %bb.488:
	s_cmp_gt_i32 s13, 1
	s_cbranch_scc0 .LBB88_493
; %bb.489:
	s_cmp_eq_u32 s13, 2
	s_cbranch_scc0 .LBB88_549
; %bb.490:
	s_waitcnt vmcnt(0)
	v_cmp_le_f64_e64 s[10:11], v[2:3], v[4:5]
	s_mov_b64 s[14:15], 0
	s_branch .LBB88_495
.LBB88_491:
	s_waitcnt vmcnt(0)
	v_cmp_lt_f64_e32 vcc, v[6:7], v[8:9]
	s_andn2_b64 s[10:11], s[10:11], exec
	s_and_b64 s[14:15], vcc, exec
	s_or_b64 s[10:11], s[10:11], s[14:15]
	s_cbranch_execz .LBB88_484
	s_branch .LBB88_485
.LBB88_492:
                                        ; implicit-def: $sgpr10_sgpr11
	s_mov_b64 s[14:15], 0
	s_cbranch_execnz .LBB88_496
	s_branch .LBB88_497
.LBB88_493:
	s_mov_b64 s[14:15], 0
                                        ; implicit-def: $sgpr10_sgpr11
	s_cbranch_execz .LBB88_495
; %bb.494:
	s_waitcnt vmcnt(0)
	v_cmp_gt_f64_e32 vcc, v[2:3], v[4:5]
	s_andn2_b64 s[10:11], s[10:11], exec
	s_and_b64 s[16:17], vcc, exec
	s_or_b64 s[10:11], s[10:11], s[16:17]
.LBB88_495:
	s_branch .LBB88_497
.LBB88_496:
	s_cmp_lg_u32 s13, 0
	s_mov_b64 s[6:7], -1
	s_cselect_b64 s[14:15], -1, 0
.LBB88_497:
	s_andn2_b64 vcc, exec, s[14:15]
	s_cbranch_vccz .LBB88_534
; %bb.498:
	s_andn2_b64 vcc, exec, s[6:7]
	s_cbranch_vccnz .LBB88_500
.LBB88_499:
	s_waitcnt vmcnt(0)
	v_cmp_ge_f64_e32 vcc, v[2:3], v[4:5]
	s_andn2_b64 s[6:7], s[10:11], exec
	s_and_b64 s[10:11], vcc, exec
	s_or_b64 s[10:11], s[6:7], s[10:11]
.LBB88_500:
	v_cndmask_b32_e64 v6, 0, 1, s[10:11]
.LBB88_501:
	s_or_b64 exec, exec, s[4:5]
	s_and_saveexec_b64 s[4:5], s[0:1]
	s_xor_b64 s[0:1], exec, s[4:5]
	s_cbranch_execz .LBB88_503
; %bb.502:
	v_mov_b32_e32 v0, v62
	global_store_byte v1, v66, s[8:9]
.LBB88_503:
	s_or_b64 exec, exec, s[0:1]
	v_cmp_gt_i32_e32 vcc, s12, v0
	s_and_saveexec_b64 s[0:1], vcc
	s_cbranch_execnz .LBB88_520
; %bb.504:
	s_or_b64 exec, exec, s[0:1]
	v_cmp_gt_i32_e32 vcc, s12, v0
	s_and_saveexec_b64 s[0:1], vcc
	s_cbranch_execnz .LBB88_521
.LBB88_505:
	s_or_b64 exec, exec, s[0:1]
	v_cmp_gt_i32_e32 vcc, s12, v0
	s_and_saveexec_b64 s[0:1], vcc
	s_cbranch_execnz .LBB88_522
.LBB88_506:
	s_or_b64 exec, exec, s[0:1]
	v_cmp_gt_i32_e32 vcc, s12, v0
	s_and_saveexec_b64 s[0:1], vcc
	s_cbranch_execnz .LBB88_523
.LBB88_507:
	s_or_b64 exec, exec, s[0:1]
	v_cmp_gt_i32_e32 vcc, s12, v0
	s_and_saveexec_b64 s[0:1], vcc
	s_cbranch_execnz .LBB88_524
.LBB88_508:
	s_or_b64 exec, exec, s[0:1]
	v_cmp_gt_i32_e32 vcc, s12, v0
	s_and_saveexec_b64 s[0:1], vcc
	s_cbranch_execnz .LBB88_525
.LBB88_509:
	s_or_b64 exec, exec, s[0:1]
	v_cmp_gt_i32_e32 vcc, s12, v0
	s_and_saveexec_b64 s[0:1], vcc
	s_cbranch_execnz .LBB88_526
.LBB88_510:
	s_or_b64 exec, exec, s[0:1]
	v_cmp_gt_i32_e32 vcc, s12, v0
	s_and_saveexec_b64 s[0:1], vcc
	s_cbranch_execnz .LBB88_527
.LBB88_511:
	s_or_b64 exec, exec, s[0:1]
	v_cmp_gt_i32_e32 vcc, s12, v0
	s_and_saveexec_b64 s[0:1], vcc
	s_cbranch_execnz .LBB88_528
.LBB88_512:
	s_or_b64 exec, exec, s[0:1]
	v_cmp_gt_i32_e32 vcc, s12, v0
	s_and_saveexec_b64 s[0:1], vcc
	s_cbranch_execnz .LBB88_529
.LBB88_513:
	s_or_b64 exec, exec, s[0:1]
	v_cmp_gt_i32_e32 vcc, s12, v0
	s_and_saveexec_b64 s[0:1], vcc
	s_cbranch_execnz .LBB88_530
.LBB88_514:
	s_or_b64 exec, exec, s[0:1]
	v_cmp_gt_i32_e32 vcc, s12, v0
	s_and_saveexec_b64 s[0:1], vcc
	s_cbranch_execnz .LBB88_531
.LBB88_515:
	s_or_b64 exec, exec, s[0:1]
	v_cmp_gt_i32_e32 vcc, s12, v0
	s_and_saveexec_b64 s[0:1], vcc
	s_cbranch_execnz .LBB88_532
.LBB88_516:
	s_or_b64 exec, exec, s[0:1]
	v_cmp_gt_i32_e32 vcc, s12, v0
	s_and_saveexec_b64 s[0:1], vcc
	s_cbranch_execnz .LBB88_533
.LBB88_517:
	s_or_b64 exec, exec, s[0:1]
	v_cmp_gt_i32_e32 vcc, s12, v0
	s_and_saveexec_b64 s[0:1], vcc
	s_cbranch_execz .LBB88_519
.LBB88_518:
	v_add_u32_e32 v0, s2, v0
	global_store_byte v0, v6, s[8:9]
.LBB88_519:
	s_endpgm
.LBB88_520:
	v_add_u32_e32 v1, s2, v0
	v_add_u32_e32 v0, 0x100, v0
	global_store_byte v1, v63, s[8:9]
	s_or_b64 exec, exec, s[0:1]
	v_cmp_gt_i32_e32 vcc, s12, v0
	s_and_saveexec_b64 s[0:1], vcc
	s_cbranch_execz .LBB88_505
.LBB88_521:
	v_add_u32_e32 v1, s2, v0
	v_add_u32_e32 v0, 0x100, v0
	global_store_byte v1, v58, s[8:9]
	s_or_b64 exec, exec, s[0:1]
	v_cmp_gt_i32_e32 vcc, s12, v0
	s_and_saveexec_b64 s[0:1], vcc
	s_cbranch_execz .LBB88_506
.LBB88_522:
	v_add_u32_e32 v1, s2, v0
	v_add_u32_e32 v0, 0x100, v0
	global_store_byte v1, v54, s[8:9]
	s_or_b64 exec, exec, s[0:1]
	v_cmp_gt_i32_e32 vcc, s12, v0
	s_and_saveexec_b64 s[0:1], vcc
	s_cbranch_execz .LBB88_507
.LBB88_523:
	v_add_u32_e32 v1, s2, v0
	v_add_u32_e32 v0, 0x100, v0
	global_store_byte v1, v50, s[8:9]
	s_or_b64 exec, exec, s[0:1]
	v_cmp_gt_i32_e32 vcc, s12, v0
	s_and_saveexec_b64 s[0:1], vcc
	s_cbranch_execz .LBB88_508
.LBB88_524:
	v_add_u32_e32 v1, s2, v0
	v_add_u32_e32 v0, 0x100, v0
	global_store_byte v1, v46, s[8:9]
	s_or_b64 exec, exec, s[0:1]
	v_cmp_gt_i32_e32 vcc, s12, v0
	s_and_saveexec_b64 s[0:1], vcc
	s_cbranch_execz .LBB88_509
.LBB88_525:
	v_add_u32_e32 v1, s2, v0
	v_add_u32_e32 v0, 0x100, v0
	global_store_byte v1, v42, s[8:9]
	s_or_b64 exec, exec, s[0:1]
	v_cmp_gt_i32_e32 vcc, s12, v0
	s_and_saveexec_b64 s[0:1], vcc
	s_cbranch_execz .LBB88_510
.LBB88_526:
	v_add_u32_e32 v1, s2, v0
	v_add_u32_e32 v0, 0x100, v0
	global_store_byte v1, v38, s[8:9]
	s_or_b64 exec, exec, s[0:1]
	v_cmp_gt_i32_e32 vcc, s12, v0
	s_and_saveexec_b64 s[0:1], vcc
	s_cbranch_execz .LBB88_511
.LBB88_527:
	v_add_u32_e32 v1, s2, v0
	v_add_u32_e32 v0, 0x100, v0
	global_store_byte v1, v34, s[8:9]
	s_or_b64 exec, exec, s[0:1]
	v_cmp_gt_i32_e32 vcc, s12, v0
	s_and_saveexec_b64 s[0:1], vcc
	s_cbranch_execz .LBB88_512
.LBB88_528:
	v_add_u32_e32 v1, s2, v0
	v_add_u32_e32 v0, 0x100, v0
	global_store_byte v1, v30, s[8:9]
	s_or_b64 exec, exec, s[0:1]
	v_cmp_gt_i32_e32 vcc, s12, v0
	s_and_saveexec_b64 s[0:1], vcc
	s_cbranch_execz .LBB88_513
.LBB88_529:
	v_add_u32_e32 v1, s2, v0
	v_add_u32_e32 v0, 0x100, v0
	global_store_byte v1, v26, s[8:9]
	s_or_b64 exec, exec, s[0:1]
	v_cmp_gt_i32_e32 vcc, s12, v0
	s_and_saveexec_b64 s[0:1], vcc
	s_cbranch_execz .LBB88_514
.LBB88_530:
	v_add_u32_e32 v1, s2, v0
	v_add_u32_e32 v0, 0x100, v0
	global_store_byte v1, v22, s[8:9]
	s_or_b64 exec, exec, s[0:1]
	v_cmp_gt_i32_e32 vcc, s12, v0
	s_and_saveexec_b64 s[0:1], vcc
	s_cbranch_execz .LBB88_515
.LBB88_531:
	v_add_u32_e32 v1, s2, v0
	v_add_u32_e32 v0, 0x100, v0
	global_store_byte v1, v18, s[8:9]
	s_or_b64 exec, exec, s[0:1]
	v_cmp_gt_i32_e32 vcc, s12, v0
	s_and_saveexec_b64 s[0:1], vcc
	s_cbranch_execz .LBB88_516
.LBB88_532:
	v_add_u32_e32 v1, s2, v0
	v_add_u32_e32 v0, 0x100, v0
	global_store_byte v1, v14, s[8:9]
	s_or_b64 exec, exec, s[0:1]
	v_cmp_gt_i32_e32 vcc, s12, v0
	s_and_saveexec_b64 s[0:1], vcc
	s_cbranch_execz .LBB88_517
.LBB88_533:
	v_add_u32_e32 v1, s2, v0
	v_add_u32_e32 v0, 0x100, v0
	global_store_byte v1, v10, s[8:9]
	s_or_b64 exec, exec, s[0:1]
	v_cmp_gt_i32_e32 vcc, s12, v0
	s_and_saveexec_b64 s[0:1], vcc
	s_cbranch_execnz .LBB88_518
	s_branch .LBB88_519
.LBB88_534:
	s_waitcnt vmcnt(0)
	v_cmp_lt_f64_e32 vcc, v[2:3], v[4:5]
	s_andn2_b64 s[10:11], s[10:11], exec
	s_and_b64 s[14:15], vcc, exec
	s_or_b64 s[10:11], s[10:11], s[14:15]
	s_cbranch_execz .LBB88_499
	s_branch .LBB88_500
.LBB88_535:
	s_mov_b64 s[14:15], -1
                                        ; implicit-def: $sgpr10_sgpr11
	s_branch .LBB88_285
.LBB88_536:
	s_mov_b64 s[14:15], -1
                                        ; implicit-def: $sgpr10_sgpr11
	s_branch .LBB88_300
.LBB88_537:
	s_mov_b64 s[14:15], -1
                                        ; implicit-def: $sgpr10_sgpr11
	s_branch .LBB88_315
.LBB88_538:
	s_mov_b64 s[14:15], -1
                                        ; implicit-def: $sgpr10_sgpr11
	s_branch .LBB88_330
.LBB88_539:
	s_mov_b64 s[14:15], -1
                                        ; implicit-def: $sgpr10_sgpr11
	s_branch .LBB88_345
.LBB88_540:
	s_mov_b64 s[14:15], -1
                                        ; implicit-def: $sgpr10_sgpr11
	s_branch .LBB88_360
.LBB88_541:
	s_mov_b64 s[14:15], -1
                                        ; implicit-def: $sgpr10_sgpr11
	s_branch .LBB88_375
.LBB88_542:
	s_mov_b64 s[14:15], -1
                                        ; implicit-def: $sgpr10_sgpr11
	s_branch .LBB88_390
.LBB88_543:
	s_mov_b64 s[14:15], -1
                                        ; implicit-def: $sgpr10_sgpr11
	s_branch .LBB88_405
.LBB88_544:
	s_mov_b64 s[14:15], -1
                                        ; implicit-def: $sgpr10_sgpr11
	s_branch .LBB88_420
.LBB88_545:
	s_mov_b64 s[14:15], -1
                                        ; implicit-def: $sgpr10_sgpr11
	s_branch .LBB88_435
.LBB88_546:
	s_mov_b64 s[14:15], -1
                                        ; implicit-def: $sgpr10_sgpr11
	s_branch .LBB88_450
.LBB88_547:
	s_mov_b64 s[14:15], -1
                                        ; implicit-def: $sgpr10_sgpr11
	s_branch .LBB88_465
.LBB88_548:
	s_mov_b64 s[14:15], -1
                                        ; implicit-def: $sgpr10_sgpr11
	s_branch .LBB88_480
.LBB88_549:
	s_mov_b64 s[14:15], -1
                                        ; implicit-def: $sgpr10_sgpr11
	s_branch .LBB88_495
	.section	.rodata,"a",@progbits
	.p2align	6, 0x0
	.amdhsa_kernel _ZN2at6native29vectorized_elementwise_kernelILi16ENS0_12_GLOBAL__N_114CompareFunctorIdEESt5arrayIPcLm3EEEEviT0_T1_
		.amdhsa_group_segment_fixed_size 0
		.amdhsa_private_segment_fixed_size 0
		.amdhsa_kernarg_size 32
		.amdhsa_user_sgpr_count 6
		.amdhsa_user_sgpr_private_segment_buffer 1
		.amdhsa_user_sgpr_dispatch_ptr 0
		.amdhsa_user_sgpr_queue_ptr 0
		.amdhsa_user_sgpr_kernarg_segment_ptr 1
		.amdhsa_user_sgpr_dispatch_id 0
		.amdhsa_user_sgpr_flat_scratch_init 0
		.amdhsa_user_sgpr_private_segment_size 0
		.amdhsa_uses_dynamic_stack 0
		.amdhsa_system_sgpr_private_segment_wavefront_offset 0
		.amdhsa_system_sgpr_workgroup_id_x 1
		.amdhsa_system_sgpr_workgroup_id_y 0
		.amdhsa_system_sgpr_workgroup_id_z 0
		.amdhsa_system_sgpr_workgroup_info 0
		.amdhsa_system_vgpr_workitem_id 0
		.amdhsa_next_free_vgpr 70
		.amdhsa_next_free_sgpr 50
		.amdhsa_reserve_vcc 1
		.amdhsa_reserve_flat_scratch 0
		.amdhsa_float_round_mode_32 0
		.amdhsa_float_round_mode_16_64 0
		.amdhsa_float_denorm_mode_32 3
		.amdhsa_float_denorm_mode_16_64 3
		.amdhsa_dx10_clamp 1
		.amdhsa_ieee_mode 1
		.amdhsa_fp16_overflow 0
		.amdhsa_exception_fp_ieee_invalid_op 0
		.amdhsa_exception_fp_denorm_src 0
		.amdhsa_exception_fp_ieee_div_zero 0
		.amdhsa_exception_fp_ieee_overflow 0
		.amdhsa_exception_fp_ieee_underflow 0
		.amdhsa_exception_fp_ieee_inexact 0
		.amdhsa_exception_int_div_zero 0
	.end_amdhsa_kernel
	.section	.text._ZN2at6native29vectorized_elementwise_kernelILi16ENS0_12_GLOBAL__N_114CompareFunctorIdEESt5arrayIPcLm3EEEEviT0_T1_,"axG",@progbits,_ZN2at6native29vectorized_elementwise_kernelILi16ENS0_12_GLOBAL__N_114CompareFunctorIdEESt5arrayIPcLm3EEEEviT0_T1_,comdat
.Lfunc_end88:
	.size	_ZN2at6native29vectorized_elementwise_kernelILi16ENS0_12_GLOBAL__N_114CompareFunctorIdEESt5arrayIPcLm3EEEEviT0_T1_, .Lfunc_end88-_ZN2at6native29vectorized_elementwise_kernelILi16ENS0_12_GLOBAL__N_114CompareFunctorIdEESt5arrayIPcLm3EEEEviT0_T1_
                                        ; -- End function
	.set _ZN2at6native29vectorized_elementwise_kernelILi16ENS0_12_GLOBAL__N_114CompareFunctorIdEESt5arrayIPcLm3EEEEviT0_T1_.num_vgpr, 70
	.set _ZN2at6native29vectorized_elementwise_kernelILi16ENS0_12_GLOBAL__N_114CompareFunctorIdEESt5arrayIPcLm3EEEEviT0_T1_.num_agpr, 0
	.set _ZN2at6native29vectorized_elementwise_kernelILi16ENS0_12_GLOBAL__N_114CompareFunctorIdEESt5arrayIPcLm3EEEEviT0_T1_.numbered_sgpr, 50
	.set _ZN2at6native29vectorized_elementwise_kernelILi16ENS0_12_GLOBAL__N_114CompareFunctorIdEESt5arrayIPcLm3EEEEviT0_T1_.num_named_barrier, 0
	.set _ZN2at6native29vectorized_elementwise_kernelILi16ENS0_12_GLOBAL__N_114CompareFunctorIdEESt5arrayIPcLm3EEEEviT0_T1_.private_seg_size, 0
	.set _ZN2at6native29vectorized_elementwise_kernelILi16ENS0_12_GLOBAL__N_114CompareFunctorIdEESt5arrayIPcLm3EEEEviT0_T1_.uses_vcc, 1
	.set _ZN2at6native29vectorized_elementwise_kernelILi16ENS0_12_GLOBAL__N_114CompareFunctorIdEESt5arrayIPcLm3EEEEviT0_T1_.uses_flat_scratch, 0
	.set _ZN2at6native29vectorized_elementwise_kernelILi16ENS0_12_GLOBAL__N_114CompareFunctorIdEESt5arrayIPcLm3EEEEviT0_T1_.has_dyn_sized_stack, 0
	.set _ZN2at6native29vectorized_elementwise_kernelILi16ENS0_12_GLOBAL__N_114CompareFunctorIdEESt5arrayIPcLm3EEEEviT0_T1_.has_recursion, 0
	.set _ZN2at6native29vectorized_elementwise_kernelILi16ENS0_12_GLOBAL__N_114CompareFunctorIdEESt5arrayIPcLm3EEEEviT0_T1_.has_indirect_call, 0
	.section	.AMDGPU.csdata,"",@progbits
; Kernel info:
; codeLenInByte = 9076
; TotalNumSgprs: 54
; NumVgprs: 70
; ScratchSize: 0
; MemoryBound: 1
; FloatMode: 240
; IeeeMode: 1
; LDSByteSize: 0 bytes/workgroup (compile time only)
; SGPRBlocks: 6
; VGPRBlocks: 17
; NumSGPRsForWavesPerEU: 54
; NumVGPRsForWavesPerEU: 70
; Occupancy: 3
; WaveLimiterHint : 0
; COMPUTE_PGM_RSRC2:SCRATCH_EN: 0
; COMPUTE_PGM_RSRC2:USER_SGPR: 6
; COMPUTE_PGM_RSRC2:TRAP_HANDLER: 0
; COMPUTE_PGM_RSRC2:TGID_X_EN: 1
; COMPUTE_PGM_RSRC2:TGID_Y_EN: 0
; COMPUTE_PGM_RSRC2:TGID_Z_EN: 0
; COMPUTE_PGM_RSRC2:TIDIG_COMP_CNT: 0
	.section	.text._ZN2at6native29vectorized_elementwise_kernelILi8ENS0_12_GLOBAL__N_114CompareFunctorIdEESt5arrayIPcLm3EEEEviT0_T1_,"axG",@progbits,_ZN2at6native29vectorized_elementwise_kernelILi8ENS0_12_GLOBAL__N_114CompareFunctorIdEESt5arrayIPcLm3EEEEviT0_T1_,comdat
	.globl	_ZN2at6native29vectorized_elementwise_kernelILi8ENS0_12_GLOBAL__N_114CompareFunctorIdEESt5arrayIPcLm3EEEEviT0_T1_ ; -- Begin function _ZN2at6native29vectorized_elementwise_kernelILi8ENS0_12_GLOBAL__N_114CompareFunctorIdEESt5arrayIPcLm3EEEEviT0_T1_
	.p2align	8
	.type	_ZN2at6native29vectorized_elementwise_kernelILi8ENS0_12_GLOBAL__N_114CompareFunctorIdEESt5arrayIPcLm3EEEEviT0_T1_,@function
_ZN2at6native29vectorized_elementwise_kernelILi8ENS0_12_GLOBAL__N_114CompareFunctorIdEESt5arrayIPcLm3EEEEviT0_T1_: ; @_ZN2at6native29vectorized_elementwise_kernelILi8ENS0_12_GLOBAL__N_114CompareFunctorIdEESt5arrayIPcLm3EEEEviT0_T1_
; %bb.0:
	s_load_dwordx2 s[12:13], s[4:5], 0x0
	s_load_dwordx4 s[8:11], s[4:5], 0x8
	s_load_dwordx2 s[14:15], s[4:5], 0x18
	s_lshl_b32 s2, s6, 12
	s_mov_b64 s[0:1], -1
	s_waitcnt lgkmcnt(0)
	s_sub_i32 s12, s12, s2
	s_cmpk_gt_i32 s12, 0xfff
	s_cbranch_scc0 .LBB89_211
; %bb.1:
	s_ashr_i32 s3, s2, 31
	s_lshl_b64 s[0:1], s[2:3], 3
	s_add_u32 s4, s10, s0
	s_addc_u32 s5, s11, s1
	v_lshlrev_b32_e32 v7, 6, v0
	v_mov_b32_e32 v1, s5
	v_add_co_u32_e32 v2, vcc, s4, v7
	v_addc_co_u32_e32 v1, vcc, 0, v1, vcc
	global_load_dwordx4 v[33:36], v7, s[4:5] offset:48
	global_load_dwordx4 v[41:44], v7, s[4:5] offset:32
	;; [unrolled: 1-line block ×3, first 2 shown]
	global_load_dwordx4 v[57:60], v7, s[4:5]
	s_movk_i32 s4, 0x4000
	v_add_co_u32_e32 v5, vcc, s4, v2
	s_add_u32 s0, s14, s0
	v_addc_co_u32_e32 v6, vcc, 0, v1, vcc
	s_addc_u32 s1, s15, s1
	global_load_dwordx4 v[1:4], v[5:6], off offset:48
	global_load_dwordx4 v[9:12], v[5:6], off offset:32
	global_load_dwordx4 v[25:28], v[5:6], off
	global_load_dwordx4 v[17:20], v[5:6], off offset:16
	v_mov_b32_e32 v5, s1
	v_add_co_u32_e32 v6, vcc, s0, v7
	v_addc_co_u32_e32 v5, vcc, 0, v5, vcc
	v_add_co_u32_e32 v65, vcc, s4, v6
	v_addc_co_u32_e32 v66, vcc, 0, v5, vcc
	;; [unrolled: 2-line block ×3, first 2 shown]
	global_load_dwordx4 v[37:40], v7, s[0:1] offset:48
	global_load_dwordx4 v[45:48], v7, s[0:1] offset:32
	;; [unrolled: 1-line block ×3, first 2 shown]
	global_load_dwordx4 v[61:64], v7, s[0:1]
	global_load_dwordx4 v[29:32], v[67:68], off
	s_nop 0
	global_load_dwordx4 v[5:8], v[65:66], off offset:48
	global_load_dwordx4 v[13:16], v[65:66], off offset:32
	;; [unrolled: 1-line block ×3, first 2 shown]
	s_cmp_lt_i32 s13, 1
	s_mov_b64 s[4:5], 0
	s_cbranch_scc1 .LBB89_5
; %bb.2:
	s_cmp_gt_i32 s13, 1
	s_cbranch_scc0 .LBB89_6
; %bb.3:
	s_cmp_eq_u32 s13, 2
	s_cbranch_scc0 .LBB89_7
; %bb.4:
	s_waitcnt vmcnt(4)
	v_cmp_le_f64_e64 s[0:1], v[57:58], v[61:62]
	s_mov_b64 s[6:7], 0
	s_branch .LBB89_8
.LBB89_5:
                                        ; implicit-def: $sgpr0_sgpr1
	s_mov_b64 s[6:7], 0
	s_cbranch_execnz .LBB89_11
	s_branch .LBB89_12
.LBB89_6:
	s_mov_b64 s[6:7], 0
                                        ; implicit-def: $sgpr0_sgpr1
	s_cbranch_execnz .LBB89_9
	s_branch .LBB89_10
.LBB89_7:
	s_mov_b64 s[6:7], -1
                                        ; implicit-def: $sgpr0_sgpr1
.LBB89_8:
	s_branch .LBB89_10
.LBB89_9:
	s_waitcnt vmcnt(4)
	v_cmp_gt_f64_e32 vcc, v[57:58], v[61:62]
	s_andn2_b64 s[0:1], s[0:1], exec
	s_and_b64 s[16:17], vcc, exec
	s_or_b64 s[0:1], s[0:1], s[16:17]
.LBB89_10:
	s_branch .LBB89_12
.LBB89_11:
	s_cmp_lg_u32 s13, 0
	s_mov_b64 s[4:5], -1
	s_cselect_b64 s[6:7], -1, 0
.LBB89_12:
	s_andn2_b64 vcc, exec, s[6:7]
	s_cbranch_vccz .LBB89_18
; %bb.13:
	s_andn2_b64 vcc, exec, s[4:5]
	s_cbranch_vccz .LBB89_19
.LBB89_14:
	s_cmp_lt_i32 s13, 1
	s_mov_b64 s[6:7], 0
	s_cbranch_scc1 .LBB89_20
.LBB89_15:
	s_cmp_gt_i32 s13, 1
	s_cbranch_scc0 .LBB89_21
; %bb.16:
	s_cmp_eq_u32 s13, 2
	s_cbranch_scc0 .LBB89_251
; %bb.17:
	s_waitcnt vmcnt(4)
	v_cmp_le_f64_e64 s[4:5], v[59:60], v[63:64]
	s_mov_b64 s[16:17], 0
	s_branch .LBB89_23
.LBB89_18:
	s_waitcnt vmcnt(4)
	v_cmp_lt_f64_e32 vcc, v[57:58], v[61:62]
	s_andn2_b64 s[0:1], s[0:1], exec
	s_and_b64 s[6:7], vcc, exec
	s_or_b64 s[0:1], s[0:1], s[6:7]
	s_cbranch_execnz .LBB89_14
.LBB89_19:
	s_waitcnt vmcnt(4)
	v_cmp_ge_f64_e32 vcc, v[57:58], v[61:62]
	s_andn2_b64 s[0:1], s[0:1], exec
	s_and_b64 s[4:5], vcc, exec
	s_or_b64 s[0:1], s[0:1], s[4:5]
	s_cmp_lt_i32 s13, 1
	s_mov_b64 s[6:7], 0
	s_cbranch_scc0 .LBB89_15
.LBB89_20:
                                        ; implicit-def: $sgpr4_sgpr5
	s_mov_b64 s[16:17], 0
	s_cbranch_execnz .LBB89_24
	s_branch .LBB89_25
.LBB89_21:
	s_mov_b64 s[16:17], 0
                                        ; implicit-def: $sgpr4_sgpr5
	s_cbranch_execz .LBB89_23
; %bb.22:
	s_waitcnt vmcnt(4)
	v_cmp_gt_f64_e32 vcc, v[59:60], v[63:64]
	s_andn2_b64 s[4:5], s[4:5], exec
	s_and_b64 s[18:19], vcc, exec
	s_or_b64 s[4:5], s[4:5], s[18:19]
.LBB89_23:
	s_branch .LBB89_25
.LBB89_24:
	s_cmp_lg_u32 s13, 0
	s_mov_b64 s[6:7], -1
	s_cselect_b64 s[16:17], -1, 0
.LBB89_25:
	s_andn2_b64 vcc, exec, s[16:17]
	s_cbranch_vccz .LBB89_31
; %bb.26:
	s_andn2_b64 vcc, exec, s[6:7]
	s_cbranch_vccz .LBB89_32
.LBB89_27:
	s_cmp_lt_i32 s13, 1
	s_mov_b64 s[16:17], 0
	s_cbranch_scc1 .LBB89_33
.LBB89_28:
	s_cmp_gt_i32 s13, 1
	s_cbranch_scc0 .LBB89_34
; %bb.29:
	s_cmp_eq_u32 s13, 2
	s_cbranch_scc0 .LBB89_252
; %bb.30:
	s_waitcnt vmcnt(5)
	v_cmp_le_f64_e64 s[6:7], v[49:50], v[53:54]
	s_mov_b64 s[18:19], 0
	s_branch .LBB89_36
.LBB89_31:
	s_waitcnt vmcnt(4)
	v_cmp_lt_f64_e32 vcc, v[59:60], v[63:64]
	s_andn2_b64 s[4:5], s[4:5], exec
	s_and_b64 s[16:17], vcc, exec
	s_or_b64 s[4:5], s[4:5], s[16:17]
	s_cbranch_execnz .LBB89_27
.LBB89_32:
	s_waitcnt vmcnt(4)
	v_cmp_ge_f64_e32 vcc, v[59:60], v[63:64]
	s_andn2_b64 s[4:5], s[4:5], exec
	s_and_b64 s[6:7], vcc, exec
	s_or_b64 s[4:5], s[4:5], s[6:7]
	s_cmp_lt_i32 s13, 1
	s_mov_b64 s[16:17], 0
	s_cbranch_scc0 .LBB89_28
.LBB89_33:
                                        ; implicit-def: $sgpr6_sgpr7
	s_mov_b64 s[18:19], 0
	s_cbranch_execnz .LBB89_37
	s_branch .LBB89_38
.LBB89_34:
	s_mov_b64 s[18:19], 0
                                        ; implicit-def: $sgpr6_sgpr7
	s_cbranch_execz .LBB89_36
; %bb.35:
	s_waitcnt vmcnt(5)
	v_cmp_gt_f64_e32 vcc, v[49:50], v[53:54]
	s_andn2_b64 s[6:7], s[6:7], exec
	s_and_b64 s[20:21], vcc, exec
	s_or_b64 s[6:7], s[6:7], s[20:21]
.LBB89_36:
	s_branch .LBB89_38
.LBB89_37:
	s_cmp_lg_u32 s13, 0
	s_mov_b64 s[16:17], -1
	s_cselect_b64 s[18:19], -1, 0
.LBB89_38:
	s_andn2_b64 vcc, exec, s[18:19]
	s_cbranch_vccz .LBB89_44
; %bb.39:
	s_andn2_b64 vcc, exec, s[16:17]
	s_cbranch_vccz .LBB89_45
.LBB89_40:
	s_cmp_lt_i32 s13, 1
	s_mov_b64 s[18:19], 0
	s_cbranch_scc1 .LBB89_46
.LBB89_41:
	s_cmp_gt_i32 s13, 1
	s_cbranch_scc0 .LBB89_47
; %bb.42:
	s_cmp_eq_u32 s13, 2
	s_cbranch_scc0 .LBB89_253
; %bb.43:
	s_waitcnt vmcnt(5)
	v_cmp_le_f64_e64 s[16:17], v[51:52], v[55:56]
	s_mov_b64 s[20:21], 0
	s_branch .LBB89_49
.LBB89_44:
	s_waitcnt vmcnt(5)
	v_cmp_lt_f64_e32 vcc, v[49:50], v[53:54]
	s_andn2_b64 s[6:7], s[6:7], exec
	s_and_b64 s[18:19], vcc, exec
	s_or_b64 s[6:7], s[6:7], s[18:19]
	s_cbranch_execnz .LBB89_40
.LBB89_45:
	s_waitcnt vmcnt(5)
	v_cmp_ge_f64_e32 vcc, v[49:50], v[53:54]
	s_andn2_b64 s[6:7], s[6:7], exec
	s_and_b64 s[16:17], vcc, exec
	s_or_b64 s[6:7], s[6:7], s[16:17]
	s_cmp_lt_i32 s13, 1
	s_mov_b64 s[18:19], 0
	s_cbranch_scc0 .LBB89_41
.LBB89_46:
                                        ; implicit-def: $sgpr16_sgpr17
	s_mov_b64 s[20:21], 0
	s_cbranch_execnz .LBB89_50
	s_branch .LBB89_51
.LBB89_47:
	s_mov_b64 s[20:21], 0
                                        ; implicit-def: $sgpr16_sgpr17
	s_cbranch_execz .LBB89_49
; %bb.48:
	s_waitcnt vmcnt(5)
	v_cmp_gt_f64_e32 vcc, v[51:52], v[55:56]
	s_andn2_b64 s[16:17], s[16:17], exec
	s_and_b64 s[22:23], vcc, exec
	s_or_b64 s[16:17], s[16:17], s[22:23]
.LBB89_49:
	s_branch .LBB89_51
.LBB89_50:
	s_cmp_lg_u32 s13, 0
	s_mov_b64 s[18:19], -1
	s_cselect_b64 s[20:21], -1, 0
.LBB89_51:
	s_andn2_b64 vcc, exec, s[20:21]
	s_cbranch_vccz .LBB89_57
; %bb.52:
	s_andn2_b64 vcc, exec, s[18:19]
	s_cbranch_vccz .LBB89_58
.LBB89_53:
	s_cmp_lt_i32 s13, 1
	s_mov_b64 s[20:21], 0
	s_cbranch_scc1 .LBB89_59
.LBB89_54:
	s_cmp_gt_i32 s13, 1
	s_cbranch_scc0 .LBB89_60
; %bb.55:
	s_cmp_eq_u32 s13, 2
	s_cbranch_scc0 .LBB89_254
; %bb.56:
	s_waitcnt vmcnt(6)
	v_cmp_le_f64_e64 s[18:19], v[41:42], v[45:46]
	s_mov_b64 s[22:23], 0
	s_branch .LBB89_62
.LBB89_57:
	s_waitcnt vmcnt(5)
	v_cmp_lt_f64_e32 vcc, v[51:52], v[55:56]
	s_andn2_b64 s[16:17], s[16:17], exec
	s_and_b64 s[20:21], vcc, exec
	s_or_b64 s[16:17], s[16:17], s[20:21]
	s_cbranch_execnz .LBB89_53
.LBB89_58:
	s_waitcnt vmcnt(5)
	v_cmp_ge_f64_e32 vcc, v[51:52], v[55:56]
	s_andn2_b64 s[16:17], s[16:17], exec
	s_and_b64 s[18:19], vcc, exec
	s_or_b64 s[16:17], s[16:17], s[18:19]
	s_cmp_lt_i32 s13, 1
	s_mov_b64 s[20:21], 0
	s_cbranch_scc0 .LBB89_54
.LBB89_59:
                                        ; implicit-def: $sgpr18_sgpr19
	s_mov_b64 s[22:23], 0
	s_cbranch_execnz .LBB89_63
	s_branch .LBB89_64
.LBB89_60:
	s_mov_b64 s[22:23], 0
                                        ; implicit-def: $sgpr18_sgpr19
	s_cbranch_execz .LBB89_62
; %bb.61:
	s_waitcnt vmcnt(6)
	v_cmp_gt_f64_e32 vcc, v[41:42], v[45:46]
	s_andn2_b64 s[18:19], s[18:19], exec
	s_and_b64 s[24:25], vcc, exec
	s_or_b64 s[18:19], s[18:19], s[24:25]
.LBB89_62:
	s_branch .LBB89_64
.LBB89_63:
	s_cmp_lg_u32 s13, 0
	s_mov_b64 s[20:21], -1
	s_cselect_b64 s[22:23], -1, 0
.LBB89_64:
	s_andn2_b64 vcc, exec, s[22:23]
	s_cbranch_vccz .LBB89_70
; %bb.65:
	s_andn2_b64 vcc, exec, s[20:21]
	s_cbranch_vccz .LBB89_71
.LBB89_66:
	s_cmp_lt_i32 s13, 1
	s_mov_b64 s[22:23], 0
	s_cbranch_scc1 .LBB89_72
.LBB89_67:
	s_cmp_gt_i32 s13, 1
	s_cbranch_scc0 .LBB89_73
; %bb.68:
	s_cmp_eq_u32 s13, 2
	s_cbranch_scc0 .LBB89_255
; %bb.69:
	s_waitcnt vmcnt(6)
	v_cmp_le_f64_e64 s[20:21], v[43:44], v[47:48]
	s_mov_b64 s[24:25], 0
	s_branch .LBB89_75
.LBB89_70:
	s_waitcnt vmcnt(6)
	v_cmp_lt_f64_e32 vcc, v[41:42], v[45:46]
	s_andn2_b64 s[18:19], s[18:19], exec
	s_and_b64 s[22:23], vcc, exec
	s_or_b64 s[18:19], s[18:19], s[22:23]
	s_cbranch_execnz .LBB89_66
.LBB89_71:
	s_waitcnt vmcnt(6)
	v_cmp_ge_f64_e32 vcc, v[41:42], v[45:46]
	s_andn2_b64 s[18:19], s[18:19], exec
	s_and_b64 s[20:21], vcc, exec
	s_or_b64 s[18:19], s[18:19], s[20:21]
	s_cmp_lt_i32 s13, 1
	s_mov_b64 s[22:23], 0
	s_cbranch_scc0 .LBB89_67
.LBB89_72:
                                        ; implicit-def: $sgpr20_sgpr21
	s_mov_b64 s[24:25], 0
	s_cbranch_execnz .LBB89_76
	s_branch .LBB89_77
.LBB89_73:
	s_mov_b64 s[24:25], 0
                                        ; implicit-def: $sgpr20_sgpr21
	s_cbranch_execz .LBB89_75
; %bb.74:
	s_waitcnt vmcnt(6)
	v_cmp_gt_f64_e32 vcc, v[43:44], v[47:48]
	s_andn2_b64 s[20:21], s[20:21], exec
	s_and_b64 s[26:27], vcc, exec
	s_or_b64 s[20:21], s[20:21], s[26:27]
.LBB89_75:
	s_branch .LBB89_77
.LBB89_76:
	s_cmp_lg_u32 s13, 0
	s_mov_b64 s[22:23], -1
	s_cselect_b64 s[24:25], -1, 0
.LBB89_77:
	s_andn2_b64 vcc, exec, s[24:25]
	s_cbranch_vccz .LBB89_83
; %bb.78:
	s_andn2_b64 vcc, exec, s[22:23]
	s_cbranch_vccz .LBB89_84
.LBB89_79:
	s_cmp_lt_i32 s13, 1
	s_mov_b64 s[24:25], 0
	s_cbranch_scc1 .LBB89_85
.LBB89_80:
	s_cmp_gt_i32 s13, 1
	s_cbranch_scc0 .LBB89_86
; %bb.81:
	s_cmp_eq_u32 s13, 2
	s_cbranch_scc0 .LBB89_256
; %bb.82:
	s_waitcnt vmcnt(7)
	v_cmp_le_f64_e64 s[22:23], v[33:34], v[37:38]
	s_mov_b64 s[26:27], 0
	s_branch .LBB89_88
.LBB89_83:
	s_waitcnt vmcnt(6)
	v_cmp_lt_f64_e32 vcc, v[43:44], v[47:48]
	s_andn2_b64 s[20:21], s[20:21], exec
	s_and_b64 s[24:25], vcc, exec
	s_or_b64 s[20:21], s[20:21], s[24:25]
	s_cbranch_execnz .LBB89_79
.LBB89_84:
	s_waitcnt vmcnt(6)
	v_cmp_ge_f64_e32 vcc, v[43:44], v[47:48]
	s_andn2_b64 s[20:21], s[20:21], exec
	s_and_b64 s[22:23], vcc, exec
	s_or_b64 s[20:21], s[20:21], s[22:23]
	s_cmp_lt_i32 s13, 1
	s_mov_b64 s[24:25], 0
	s_cbranch_scc0 .LBB89_80
.LBB89_85:
                                        ; implicit-def: $sgpr22_sgpr23
	s_mov_b64 s[26:27], 0
	s_cbranch_execnz .LBB89_89
	s_branch .LBB89_90
.LBB89_86:
	s_mov_b64 s[26:27], 0
                                        ; implicit-def: $sgpr22_sgpr23
	s_cbranch_execz .LBB89_88
; %bb.87:
	s_waitcnt vmcnt(7)
	v_cmp_gt_f64_e32 vcc, v[33:34], v[37:38]
	s_andn2_b64 s[22:23], s[22:23], exec
	s_and_b64 s[28:29], vcc, exec
	s_or_b64 s[22:23], s[22:23], s[28:29]
.LBB89_88:
	s_branch .LBB89_90
.LBB89_89:
	s_cmp_lg_u32 s13, 0
	s_mov_b64 s[24:25], -1
	s_cselect_b64 s[26:27], -1, 0
.LBB89_90:
	s_andn2_b64 vcc, exec, s[26:27]
	s_cbranch_vccz .LBB89_96
; %bb.91:
	s_andn2_b64 vcc, exec, s[24:25]
	s_cbranch_vccz .LBB89_97
.LBB89_92:
	s_cmp_lt_i32 s13, 1
	s_mov_b64 s[26:27], 0
	s_cbranch_scc1 .LBB89_98
.LBB89_93:
	s_cmp_gt_i32 s13, 1
	s_cbranch_scc0 .LBB89_99
; %bb.94:
	s_cmp_eq_u32 s13, 2
	s_cbranch_scc0 .LBB89_257
; %bb.95:
	s_waitcnt vmcnt(7)
	v_cmp_le_f64_e64 s[24:25], v[35:36], v[39:40]
	s_mov_b64 s[28:29], 0
	s_branch .LBB89_101
.LBB89_96:
	s_waitcnt vmcnt(7)
	v_cmp_lt_f64_e32 vcc, v[33:34], v[37:38]
	s_andn2_b64 s[22:23], s[22:23], exec
	s_and_b64 s[26:27], vcc, exec
	s_or_b64 s[22:23], s[22:23], s[26:27]
	s_cbranch_execnz .LBB89_92
.LBB89_97:
	s_waitcnt vmcnt(7)
	v_cmp_ge_f64_e32 vcc, v[33:34], v[37:38]
	s_andn2_b64 s[22:23], s[22:23], exec
	s_and_b64 s[24:25], vcc, exec
	s_or_b64 s[22:23], s[22:23], s[24:25]
	s_cmp_lt_i32 s13, 1
	s_mov_b64 s[26:27], 0
	s_cbranch_scc0 .LBB89_93
.LBB89_98:
                                        ; implicit-def: $sgpr24_sgpr25
	s_mov_b64 s[28:29], 0
	s_cbranch_execnz .LBB89_102
	s_branch .LBB89_103
.LBB89_99:
	s_mov_b64 s[28:29], 0
                                        ; implicit-def: $sgpr24_sgpr25
	s_cbranch_execz .LBB89_101
; %bb.100:
	s_waitcnt vmcnt(7)
	v_cmp_gt_f64_e32 vcc, v[35:36], v[39:40]
	s_andn2_b64 s[24:25], s[24:25], exec
	s_and_b64 s[30:31], vcc, exec
	s_or_b64 s[24:25], s[24:25], s[30:31]
.LBB89_101:
	s_branch .LBB89_103
.LBB89_102:
	s_cmp_lg_u32 s13, 0
	s_mov_b64 s[26:27], -1
	s_cselect_b64 s[28:29], -1, 0
.LBB89_103:
	s_andn2_b64 vcc, exec, s[28:29]
	s_cbranch_vccz .LBB89_109
; %bb.104:
	s_andn2_b64 vcc, exec, s[26:27]
	s_cbranch_vccz .LBB89_110
.LBB89_105:
	s_cmp_lt_i32 s13, 1
	s_mov_b64 s[28:29], 0
	s_cbranch_scc1 .LBB89_111
.LBB89_106:
	s_cmp_gt_i32 s13, 1
	s_cbranch_scc0 .LBB89_112
; %bb.107:
	s_cmp_eq_u32 s13, 2
	s_cbranch_scc0 .LBB89_258
; %bb.108:
	s_waitcnt vmcnt(3)
	v_cmp_le_f64_e64 s[26:27], v[25:26], v[29:30]
	s_mov_b64 s[30:31], 0
	s_branch .LBB89_114
.LBB89_109:
	s_waitcnt vmcnt(7)
	v_cmp_lt_f64_e32 vcc, v[35:36], v[39:40]
	s_andn2_b64 s[24:25], s[24:25], exec
	s_and_b64 s[28:29], vcc, exec
	s_or_b64 s[24:25], s[24:25], s[28:29]
	s_cbranch_execnz .LBB89_105
.LBB89_110:
	s_waitcnt vmcnt(7)
	v_cmp_ge_f64_e32 vcc, v[35:36], v[39:40]
	s_andn2_b64 s[24:25], s[24:25], exec
	s_and_b64 s[26:27], vcc, exec
	s_or_b64 s[24:25], s[24:25], s[26:27]
	s_cmp_lt_i32 s13, 1
	s_mov_b64 s[28:29], 0
	s_cbranch_scc0 .LBB89_106
.LBB89_111:
                                        ; implicit-def: $sgpr26_sgpr27
	s_mov_b64 s[30:31], 0
	s_cbranch_execnz .LBB89_115
	s_branch .LBB89_116
.LBB89_112:
	s_mov_b64 s[30:31], 0
                                        ; implicit-def: $sgpr26_sgpr27
	s_cbranch_execz .LBB89_114
; %bb.113:
	s_waitcnt vmcnt(3)
	v_cmp_gt_f64_e32 vcc, v[25:26], v[29:30]
	s_andn2_b64 s[26:27], s[26:27], exec
	s_and_b64 s[34:35], vcc, exec
	s_or_b64 s[26:27], s[26:27], s[34:35]
.LBB89_114:
	s_branch .LBB89_116
.LBB89_115:
	s_cmp_lg_u32 s13, 0
	s_mov_b64 s[28:29], -1
	s_cselect_b64 s[30:31], -1, 0
.LBB89_116:
	s_andn2_b64 vcc, exec, s[30:31]
	s_cbranch_vccz .LBB89_122
; %bb.117:
	s_andn2_b64 vcc, exec, s[28:29]
	s_cbranch_vccz .LBB89_123
.LBB89_118:
	s_cmp_lt_i32 s13, 1
	s_mov_b64 s[30:31], 0
	s_cbranch_scc1 .LBB89_124
.LBB89_119:
	s_cmp_gt_i32 s13, 1
	s_cbranch_scc0 .LBB89_125
; %bb.120:
	s_cmp_eq_u32 s13, 2
	s_cbranch_scc0 .LBB89_259
; %bb.121:
	s_waitcnt vmcnt(3)
	v_cmp_le_f64_e64 s[28:29], v[27:28], v[31:32]
	s_mov_b64 s[34:35], 0
	s_branch .LBB89_127
.LBB89_122:
	s_waitcnt vmcnt(3)
	v_cmp_lt_f64_e32 vcc, v[25:26], v[29:30]
	s_andn2_b64 s[26:27], s[26:27], exec
	s_and_b64 s[30:31], vcc, exec
	s_or_b64 s[26:27], s[26:27], s[30:31]
	s_cbranch_execnz .LBB89_118
.LBB89_123:
	s_waitcnt vmcnt(3)
	v_cmp_ge_f64_e32 vcc, v[25:26], v[29:30]
	s_andn2_b64 s[26:27], s[26:27], exec
	s_and_b64 s[28:29], vcc, exec
	s_or_b64 s[26:27], s[26:27], s[28:29]
	s_cmp_lt_i32 s13, 1
	s_mov_b64 s[30:31], 0
	s_cbranch_scc0 .LBB89_119
.LBB89_124:
                                        ; implicit-def: $sgpr28_sgpr29
	s_mov_b64 s[34:35], 0
	s_cbranch_execnz .LBB89_128
	s_branch .LBB89_129
.LBB89_125:
	s_mov_b64 s[34:35], 0
                                        ; implicit-def: $sgpr28_sgpr29
	s_cbranch_execz .LBB89_127
; %bb.126:
	s_waitcnt vmcnt(3)
	v_cmp_gt_f64_e32 vcc, v[27:28], v[31:32]
	s_andn2_b64 s[28:29], s[28:29], exec
	s_and_b64 s[36:37], vcc, exec
	s_or_b64 s[28:29], s[28:29], s[36:37]
.LBB89_127:
	s_branch .LBB89_129
.LBB89_128:
	s_cmp_lg_u32 s13, 0
	s_mov_b64 s[30:31], -1
	s_cselect_b64 s[34:35], -1, 0
.LBB89_129:
	s_andn2_b64 vcc, exec, s[34:35]
	s_cbranch_vccz .LBB89_135
; %bb.130:
	s_andn2_b64 vcc, exec, s[30:31]
	s_cbranch_vccz .LBB89_136
.LBB89_131:
	s_cmp_lt_i32 s13, 1
	s_mov_b64 s[34:35], 0
	s_cbranch_scc1 .LBB89_137
.LBB89_132:
	s_cmp_gt_i32 s13, 1
	s_cbranch_scc0 .LBB89_138
; %bb.133:
	s_cmp_eq_u32 s13, 2
	s_cbranch_scc0 .LBB89_260
; %bb.134:
	s_waitcnt vmcnt(0)
	v_cmp_le_f64_e64 s[30:31], v[17:18], v[21:22]
	s_mov_b64 s[36:37], 0
	s_branch .LBB89_140
.LBB89_135:
	s_waitcnt vmcnt(3)
	v_cmp_lt_f64_e32 vcc, v[27:28], v[31:32]
	s_andn2_b64 s[28:29], s[28:29], exec
	s_and_b64 s[34:35], vcc, exec
	s_or_b64 s[28:29], s[28:29], s[34:35]
	s_cbranch_execnz .LBB89_131
.LBB89_136:
	s_waitcnt vmcnt(3)
	v_cmp_ge_f64_e32 vcc, v[27:28], v[31:32]
	s_andn2_b64 s[28:29], s[28:29], exec
	s_and_b64 s[30:31], vcc, exec
	s_or_b64 s[28:29], s[28:29], s[30:31]
	s_cmp_lt_i32 s13, 1
	s_mov_b64 s[34:35], 0
	s_cbranch_scc0 .LBB89_132
.LBB89_137:
                                        ; implicit-def: $sgpr30_sgpr31
	s_mov_b64 s[36:37], 0
	s_cbranch_execnz .LBB89_141
	s_branch .LBB89_142
.LBB89_138:
	s_mov_b64 s[36:37], 0
                                        ; implicit-def: $sgpr30_sgpr31
	s_cbranch_execz .LBB89_140
; %bb.139:
	s_waitcnt vmcnt(0)
	v_cmp_gt_f64_e32 vcc, v[17:18], v[21:22]
	s_andn2_b64 s[30:31], s[30:31], exec
	s_and_b64 s[38:39], vcc, exec
	s_or_b64 s[30:31], s[30:31], s[38:39]
.LBB89_140:
	s_branch .LBB89_142
.LBB89_141:
	s_cmp_lg_u32 s13, 0
	s_mov_b64 s[34:35], -1
	s_cselect_b64 s[36:37], -1, 0
.LBB89_142:
	s_andn2_b64 vcc, exec, s[36:37]
	s_cbranch_vccz .LBB89_148
; %bb.143:
	s_andn2_b64 vcc, exec, s[34:35]
	s_cbranch_vccz .LBB89_149
.LBB89_144:
	s_cmp_lt_i32 s13, 1
	s_mov_b64 s[36:37], 0
	s_cbranch_scc1 .LBB89_150
.LBB89_145:
	s_cmp_gt_i32 s13, 1
	s_cbranch_scc0 .LBB89_151
; %bb.146:
	s_cmp_eq_u32 s13, 2
	s_cbranch_scc0 .LBB89_261
; %bb.147:
	s_waitcnt vmcnt(0)
	v_cmp_le_f64_e64 s[34:35], v[19:20], v[23:24]
	s_mov_b64 s[38:39], 0
	s_branch .LBB89_153
.LBB89_148:
	s_waitcnt vmcnt(0)
	v_cmp_lt_f64_e32 vcc, v[17:18], v[21:22]
	s_andn2_b64 s[30:31], s[30:31], exec
	s_and_b64 s[36:37], vcc, exec
	s_or_b64 s[30:31], s[30:31], s[36:37]
	s_cbranch_execnz .LBB89_144
.LBB89_149:
	s_waitcnt vmcnt(0)
	v_cmp_ge_f64_e32 vcc, v[17:18], v[21:22]
	s_andn2_b64 s[30:31], s[30:31], exec
	s_and_b64 s[34:35], vcc, exec
	s_or_b64 s[30:31], s[30:31], s[34:35]
	s_cmp_lt_i32 s13, 1
	s_mov_b64 s[36:37], 0
	s_cbranch_scc0 .LBB89_145
.LBB89_150:
                                        ; implicit-def: $sgpr34_sgpr35
	s_mov_b64 s[38:39], 0
	s_cbranch_execnz .LBB89_154
	s_branch .LBB89_155
.LBB89_151:
	s_mov_b64 s[38:39], 0
                                        ; implicit-def: $sgpr34_sgpr35
	s_cbranch_execz .LBB89_153
; %bb.152:
	s_waitcnt vmcnt(0)
	v_cmp_gt_f64_e32 vcc, v[19:20], v[23:24]
	s_andn2_b64 s[34:35], s[34:35], exec
	s_and_b64 s[40:41], vcc, exec
	s_or_b64 s[34:35], s[34:35], s[40:41]
.LBB89_153:
	s_branch .LBB89_155
.LBB89_154:
	s_cmp_lg_u32 s13, 0
	s_mov_b64 s[36:37], -1
	s_cselect_b64 s[38:39], -1, 0
.LBB89_155:
	s_andn2_b64 vcc, exec, s[38:39]
	s_cbranch_vccz .LBB89_161
; %bb.156:
	s_andn2_b64 vcc, exec, s[36:37]
	s_cbranch_vccz .LBB89_162
.LBB89_157:
	s_cmp_lt_i32 s13, 1
	s_mov_b64 s[38:39], 0
	s_cbranch_scc1 .LBB89_163
.LBB89_158:
	s_cmp_gt_i32 s13, 1
	s_cbranch_scc0 .LBB89_164
; %bb.159:
	s_cmp_eq_u32 s13, 2
	s_cbranch_scc0 .LBB89_262
; %bb.160:
	s_waitcnt vmcnt(1)
	v_cmp_le_f64_e64 s[36:37], v[9:10], v[13:14]
	s_mov_b64 s[40:41], 0
	s_branch .LBB89_166
.LBB89_161:
	s_waitcnt vmcnt(0)
	v_cmp_lt_f64_e32 vcc, v[19:20], v[23:24]
	s_andn2_b64 s[34:35], s[34:35], exec
	s_and_b64 s[38:39], vcc, exec
	s_or_b64 s[34:35], s[34:35], s[38:39]
	s_cbranch_execnz .LBB89_157
.LBB89_162:
	s_waitcnt vmcnt(0)
	v_cmp_ge_f64_e32 vcc, v[19:20], v[23:24]
	s_andn2_b64 s[34:35], s[34:35], exec
	s_and_b64 s[36:37], vcc, exec
	s_or_b64 s[34:35], s[34:35], s[36:37]
	s_cmp_lt_i32 s13, 1
	s_mov_b64 s[38:39], 0
	s_cbranch_scc0 .LBB89_158
.LBB89_163:
                                        ; implicit-def: $sgpr36_sgpr37
	s_mov_b64 s[40:41], 0
	s_cbranch_execnz .LBB89_167
	s_branch .LBB89_168
.LBB89_164:
	s_mov_b64 s[40:41], 0
                                        ; implicit-def: $sgpr36_sgpr37
	s_cbranch_execz .LBB89_166
; %bb.165:
	s_waitcnt vmcnt(1)
	v_cmp_gt_f64_e32 vcc, v[9:10], v[13:14]
	s_andn2_b64 s[36:37], s[36:37], exec
	s_and_b64 s[42:43], vcc, exec
	s_or_b64 s[36:37], s[36:37], s[42:43]
.LBB89_166:
	s_branch .LBB89_168
.LBB89_167:
	s_cmp_lg_u32 s13, 0
	s_mov_b64 s[38:39], -1
	s_cselect_b64 s[40:41], -1, 0
.LBB89_168:
	s_andn2_b64 vcc, exec, s[40:41]
	s_cbranch_vccz .LBB89_174
; %bb.169:
	s_andn2_b64 vcc, exec, s[38:39]
	s_cbranch_vccz .LBB89_175
.LBB89_170:
	s_cmp_lt_i32 s13, 1
	s_mov_b64 s[40:41], 0
	s_cbranch_scc1 .LBB89_176
.LBB89_171:
	s_cmp_gt_i32 s13, 1
	s_cbranch_scc0 .LBB89_177
; %bb.172:
	s_cmp_eq_u32 s13, 2
	s_cbranch_scc0 .LBB89_263
; %bb.173:
	s_waitcnt vmcnt(1)
	v_cmp_le_f64_e64 s[38:39], v[11:12], v[15:16]
	s_mov_b64 s[42:43], 0
	s_branch .LBB89_179
.LBB89_174:
	s_waitcnt vmcnt(1)
	v_cmp_lt_f64_e32 vcc, v[9:10], v[13:14]
	s_andn2_b64 s[36:37], s[36:37], exec
	s_and_b64 s[40:41], vcc, exec
	s_or_b64 s[36:37], s[36:37], s[40:41]
	s_cbranch_execnz .LBB89_170
.LBB89_175:
	s_waitcnt vmcnt(1)
	v_cmp_ge_f64_e32 vcc, v[9:10], v[13:14]
	s_andn2_b64 s[36:37], s[36:37], exec
	s_and_b64 s[38:39], vcc, exec
	s_or_b64 s[36:37], s[36:37], s[38:39]
	s_cmp_lt_i32 s13, 1
	s_mov_b64 s[40:41], 0
	s_cbranch_scc0 .LBB89_171
.LBB89_176:
                                        ; implicit-def: $sgpr38_sgpr39
	s_mov_b64 s[42:43], 0
	s_cbranch_execnz .LBB89_180
	s_branch .LBB89_181
.LBB89_177:
	s_mov_b64 s[42:43], 0
                                        ; implicit-def: $sgpr38_sgpr39
	s_cbranch_execz .LBB89_179
; %bb.178:
	s_waitcnt vmcnt(1)
	v_cmp_gt_f64_e32 vcc, v[11:12], v[15:16]
	s_andn2_b64 s[38:39], s[38:39], exec
	s_and_b64 s[44:45], vcc, exec
	s_or_b64 s[38:39], s[38:39], s[44:45]
.LBB89_179:
	s_branch .LBB89_181
.LBB89_180:
	s_cmp_lg_u32 s13, 0
	s_mov_b64 s[40:41], -1
	s_cselect_b64 s[42:43], -1, 0
.LBB89_181:
	s_andn2_b64 vcc, exec, s[42:43]
	s_cbranch_vccz .LBB89_187
; %bb.182:
	s_andn2_b64 vcc, exec, s[40:41]
	s_cbranch_vccz .LBB89_188
.LBB89_183:
	s_cmp_lt_i32 s13, 1
	s_mov_b64 s[42:43], 0
	s_cbranch_scc1 .LBB89_189
.LBB89_184:
	s_cmp_gt_i32 s13, 1
	s_cbranch_scc0 .LBB89_190
; %bb.185:
	s_cmp_eq_u32 s13, 2
	s_cbranch_scc0 .LBB89_264
; %bb.186:
	s_waitcnt vmcnt(2)
	v_cmp_le_f64_e64 s[40:41], v[1:2], v[5:6]
	s_mov_b64 s[44:45], 0
	s_branch .LBB89_192
.LBB89_187:
	s_waitcnt vmcnt(1)
	v_cmp_lt_f64_e32 vcc, v[11:12], v[15:16]
	s_andn2_b64 s[38:39], s[38:39], exec
	s_and_b64 s[42:43], vcc, exec
	s_or_b64 s[38:39], s[38:39], s[42:43]
	s_cbranch_execnz .LBB89_183
.LBB89_188:
	s_waitcnt vmcnt(1)
	v_cmp_ge_f64_e32 vcc, v[11:12], v[15:16]
	s_andn2_b64 s[38:39], s[38:39], exec
	s_and_b64 s[40:41], vcc, exec
	s_or_b64 s[38:39], s[38:39], s[40:41]
	s_cmp_lt_i32 s13, 1
	s_mov_b64 s[42:43], 0
	s_cbranch_scc0 .LBB89_184
.LBB89_189:
                                        ; implicit-def: $sgpr40_sgpr41
	s_mov_b64 s[44:45], 0
	s_cbranch_execnz .LBB89_193
	s_branch .LBB89_194
.LBB89_190:
	s_mov_b64 s[44:45], 0
                                        ; implicit-def: $sgpr40_sgpr41
	s_cbranch_execz .LBB89_192
; %bb.191:
	s_waitcnt vmcnt(2)
	v_cmp_gt_f64_e32 vcc, v[1:2], v[5:6]
	s_andn2_b64 s[40:41], s[40:41], exec
	s_and_b64 s[46:47], vcc, exec
	s_or_b64 s[40:41], s[40:41], s[46:47]
.LBB89_192:
	s_branch .LBB89_194
.LBB89_193:
	s_cmp_lg_u32 s13, 0
	s_mov_b64 s[42:43], -1
	s_cselect_b64 s[44:45], -1, 0
.LBB89_194:
	s_andn2_b64 vcc, exec, s[44:45]
	s_cbranch_vccz .LBB89_200
; %bb.195:
	s_andn2_b64 vcc, exec, s[42:43]
	s_cbranch_vccz .LBB89_201
.LBB89_196:
	s_cmp_lt_i32 s13, 1
	s_mov_b64 s[44:45], 0
	s_cbranch_scc1 .LBB89_202
.LBB89_197:
	s_cmp_gt_i32 s13, 1
	s_cbranch_scc0 .LBB89_203
; %bb.198:
	s_cmp_eq_u32 s13, 2
	s_cbranch_scc0 .LBB89_265
; %bb.199:
	s_waitcnt vmcnt(2)
	v_cmp_le_f64_e64 s[42:43], v[3:4], v[7:8]
	s_mov_b64 s[46:47], 0
	s_branch .LBB89_205
.LBB89_200:
	s_waitcnt vmcnt(2)
	v_cmp_lt_f64_e32 vcc, v[1:2], v[5:6]
	s_andn2_b64 s[40:41], s[40:41], exec
	s_and_b64 s[44:45], vcc, exec
	s_or_b64 s[40:41], s[40:41], s[44:45]
	s_cbranch_execnz .LBB89_196
.LBB89_201:
	s_waitcnt vmcnt(2)
	v_cmp_ge_f64_e32 vcc, v[1:2], v[5:6]
	s_andn2_b64 s[40:41], s[40:41], exec
	s_and_b64 s[42:43], vcc, exec
	s_or_b64 s[40:41], s[40:41], s[42:43]
	s_cmp_lt_i32 s13, 1
	s_mov_b64 s[44:45], 0
	s_cbranch_scc0 .LBB89_197
.LBB89_202:
                                        ; implicit-def: $sgpr42_sgpr43
	s_mov_b64 s[46:47], 0
	s_cbranch_execnz .LBB89_206
	s_branch .LBB89_207
.LBB89_203:
	s_mov_b64 s[46:47], 0
                                        ; implicit-def: $sgpr42_sgpr43
	s_cbranch_execz .LBB89_205
; %bb.204:
	s_waitcnt vmcnt(2)
	v_cmp_gt_f64_e32 vcc, v[3:4], v[7:8]
	s_andn2_b64 s[42:43], s[42:43], exec
	s_and_b64 s[48:49], vcc, exec
	s_or_b64 s[42:43], s[42:43], s[48:49]
.LBB89_205:
	s_branch .LBB89_207
.LBB89_206:
	s_cmp_lg_u32 s13, 0
	s_mov_b64 s[44:45], -1
	s_cselect_b64 s[46:47], -1, 0
.LBB89_207:
	s_andn2_b64 vcc, exec, s[46:47]
	s_cbranch_vccz .LBB89_249
; %bb.208:
	s_andn2_b64 vcc, exec, s[44:45]
	s_cbranch_vccnz .LBB89_210
.LBB89_209:
	s_waitcnt vmcnt(2)
	v_cmp_ge_f64_e32 vcc, v[3:4], v[7:8]
	s_andn2_b64 s[42:43], s[42:43], exec
	s_and_b64 s[44:45], vcc, exec
	s_or_b64 s[42:43], s[42:43], s[44:45]
.LBB89_210:
	s_waitcnt vmcnt(11)
	v_mov_b32_e32 v1, 0x100
	v_cndmask_b32_e64 v2, 0, v1, s[28:29]
	v_cndmask_b32_e64 v3, 0, 1, s[26:27]
	v_or_b32_e32 v2, v2, v3
	v_mov_b32_e32 v3, 0x10000
	s_waitcnt vmcnt(2)
	v_mov_b32_e32 v5, 0x1000000
	v_cndmask_b32_e64 v4, 0, v3, s[30:31]
	v_cndmask_b32_e64 v6, 0, v5, s[34:35]
	v_or3_b32 v7, 0, 0, 0
	v_or3_b32 v2, v2, v4, v6
	v_cndmask_b32_e64 v4, 0, 1, s[36:37]
	v_cndmask_b32_e64 v6, 0, v1, s[38:39]
	v_or3_b32 v4, v7, v4, v6
	v_or3_b32 v6, v2, 0, 0
	v_cndmask_b32_e64 v2, 0, v1, s[4:5]
	v_cndmask_b32_e64 v9, 0, 1, s[0:1]
	v_or_b32_e32 v2, v2, v9
	v_cndmask_b32_e64 v9, 0, v3, s[6:7]
	v_cndmask_b32_e64 v10, 0, v5, s[16:17]
	v_or3_b32 v2, v2, v9, v10
	v_cndmask_b32_e64 v9, 0, 1, s[18:19]
	v_cndmask_b32_e64 v1, 0, v1, s[20:21]
	;; [unrolled: 1-line block ×3, first 2 shown]
	v_or3_b32 v1, v7, v9, v1
	v_or3_b32 v7, v2, 0, 0
	v_cndmask_b32_e64 v2, 0, v3, s[22:23]
	v_cndmask_b32_e64 v3, 0, v5, s[24:25]
	s_add_u32 s0, s8, s2
	v_or3_b32 v2, v1, v2, v3
	v_or3_b32 v1, v7, 0, 0
	v_cndmask_b32_e64 v3, 0, v5, s[42:43]
	s_addc_u32 s1, s9, s3
	v_lshlrev_b32_e32 v5, 3, v0
	v_or3_b32 v4, v4, v8, v3
	v_or3_b32 v3, v6, 0, 0
	global_store_dwordx2 v5, v[1:2], s[0:1]
	global_store_dwordx2 v5, v[3:4], s[0:1] offset:2048
	s_mov_b64 s[0:1], 0
.LBB89_211:
	s_and_b64 vcc, exec, s[0:1]
	s_cbranch_vccz .LBB89_519
; %bb.212:
	v_mov_b32_e32 v58, 0
	v_mov_b32_e32 v62, 0
	;; [unrolled: 1-line block ×3, first 2 shown]
	v_cmp_gt_i32_e64 s[0:1], s12, v0
	v_mov_b32_e32 v59, 0
	v_or_b32_e32 v1, s2, v0
	v_mov_b32_e32 v63, 0
	v_mov_b32_e32 v65, 0
	;; [unrolled: 1-line block ×3, first 2 shown]
	s_and_saveexec_b64 s[4:5], s[0:1]
	s_cbranch_execz .LBB89_214
; %bb.213:
	v_mov_b32_e32 v2, 0
	v_lshlrev_b64 v[2:3], 3, v[1:2]
	v_mov_b32_e32 v5, s15
	v_add_co_u32_e32 v4, vcc, s14, v2
	v_addc_co_u32_e32 v5, vcc, v5, v3, vcc
	v_mov_b32_e32 v6, s11
	v_add_co_u32_e32 v2, vcc, s10, v2
	v_addc_co_u32_e32 v3, vcc, v6, v3, vcc
	global_load_dwordx2 v[62:63], v[2:3], off
	global_load_dwordx2 v[64:65], v[4:5], off
	v_or_b32_e32 v66, 0x100, v0
.LBB89_214:
	s_or_b64 exec, exec, s[4:5]
	v_mov_b32_e32 v60, 0
	v_mov_b32_e32 v61, 0
	v_cmp_gt_i32_e32 vcc, s12, v66
	s_and_saveexec_b64 s[4:5], vcc
	s_cbranch_execz .LBB89_216
; %bb.215:
	v_add_u32_e32 v2, s2, v66
	v_mov_b32_e32 v3, 0
	v_lshlrev_b64 v[2:3], 3, v[2:3]
	v_mov_b32_e32 v5, s15
	v_add_co_u32_e32 v4, vcc, s14, v2
	v_addc_co_u32_e32 v5, vcc, v5, v3, vcc
	v_mov_b32_e32 v6, s11
	v_add_co_u32_e32 v2, vcc, s10, v2
	v_addc_co_u32_e32 v3, vcc, v6, v3, vcc
	global_load_dwordx2 v[58:59], v[2:3], off
	global_load_dwordx2 v[60:61], v[4:5], off
	v_add_u32_e32 v66, 0x100, v66
.LBB89_216:
	s_or_b64 exec, exec, s[4:5]
	v_mov_b32_e32 v50, 0
	v_mov_b32_e32 v54, 0
	v_mov_b32_e32 v56, 0
	v_mov_b32_e32 v51, 0
	v_mov_b32_e32 v55, 0
	v_mov_b32_e32 v57, 0
	v_cmp_gt_i32_e32 vcc, s12, v66
	s_and_saveexec_b64 s[4:5], vcc
	s_cbranch_execz .LBB89_218
; %bb.217:
	v_add_u32_e32 v2, s2, v66
	v_mov_b32_e32 v3, 0
	v_lshlrev_b64 v[2:3], 3, v[2:3]
	v_mov_b32_e32 v5, s15
	v_add_co_u32_e32 v4, vcc, s14, v2
	v_addc_co_u32_e32 v5, vcc, v5, v3, vcc
	v_mov_b32_e32 v6, s11
	v_add_co_u32_e32 v2, vcc, s10, v2
	v_addc_co_u32_e32 v3, vcc, v6, v3, vcc
	global_load_dwordx2 v[54:55], v[2:3], off
	global_load_dwordx2 v[56:57], v[4:5], off
	v_add_u32_e32 v66, 0x100, v66
.LBB89_218:
	s_or_b64 exec, exec, s[4:5]
	v_mov_b32_e32 v52, 0
	v_mov_b32_e32 v53, 0
	v_cmp_gt_i32_e32 vcc, s12, v66
	s_and_saveexec_b64 s[4:5], vcc
	s_cbranch_execz .LBB89_220
; %bb.219:
	v_add_u32_e32 v2, s2, v66
	v_mov_b32_e32 v3, 0
	v_lshlrev_b64 v[2:3], 3, v[2:3]
	v_mov_b32_e32 v5, s15
	v_add_co_u32_e32 v4, vcc, s14, v2
	v_addc_co_u32_e32 v5, vcc, v5, v3, vcc
	v_mov_b32_e32 v6, s11
	v_add_co_u32_e32 v2, vcc, s10, v2
	v_addc_co_u32_e32 v3, vcc, v6, v3, vcc
	global_load_dwordx2 v[50:51], v[2:3], off
	global_load_dwordx2 v[52:53], v[4:5], off
	v_add_u32_e32 v66, 0x100, v66
.LBB89_220:
	s_or_b64 exec, exec, s[4:5]
	v_mov_b32_e32 v42, 0
	v_mov_b32_e32 v46, 0
	v_mov_b32_e32 v48, 0
	v_mov_b32_e32 v43, 0
	v_mov_b32_e32 v47, 0
	v_mov_b32_e32 v49, 0
	v_cmp_gt_i32_e32 vcc, s12, v66
	s_and_saveexec_b64 s[4:5], vcc
	s_cbranch_execz .LBB89_222
; %bb.221:
	v_add_u32_e32 v2, s2, v66
	v_mov_b32_e32 v3, 0
	v_lshlrev_b64 v[2:3], 3, v[2:3]
	v_mov_b32_e32 v5, s15
	v_add_co_u32_e32 v4, vcc, s14, v2
	v_addc_co_u32_e32 v5, vcc, v5, v3, vcc
	v_mov_b32_e32 v6, s11
	v_add_co_u32_e32 v2, vcc, s10, v2
	v_addc_co_u32_e32 v3, vcc, v6, v3, vcc
	global_load_dwordx2 v[46:47], v[2:3], off
	global_load_dwordx2 v[48:49], v[4:5], off
	v_add_u32_e32 v66, 0x100, v66
.LBB89_222:
	;; [unrolled: 44-line block ×4, first 2 shown]
	s_or_b64 exec, exec, s[4:5]
	v_mov_b32_e32 v28, 0
	v_mov_b32_e32 v29, 0
	v_cmp_gt_i32_e32 vcc, s12, v66
	s_and_saveexec_b64 s[4:5], vcc
	s_cbranch_execz .LBB89_232
; %bb.231:
	v_add_u32_e32 v2, s2, v66
	v_mov_b32_e32 v3, 0
	v_lshlrev_b64 v[2:3], 3, v[2:3]
	v_mov_b32_e32 v5, s15
	v_add_co_u32_e32 v4, vcc, s14, v2
	v_addc_co_u32_e32 v5, vcc, v5, v3, vcc
	v_mov_b32_e32 v6, s11
	v_add_co_u32_e32 v2, vcc, s10, v2
	v_addc_co_u32_e32 v3, vcc, v6, v3, vcc
	global_load_dwordx2 v[26:27], v[2:3], off
	global_load_dwordx2 v[28:29], v[4:5], off
	v_add_u32_e32 v66, 0x100, v66
.LBB89_232:
	s_or_b64 exec, exec, s[4:5]
	v_mov_b32_e32 v18, 0
	s_waitcnt vmcnt(2)
	v_mov_b32_e32 v22, 0
	v_mov_b32_e32 v24, 0
	;; [unrolled: 1-line block ×5, first 2 shown]
	v_cmp_gt_i32_e32 vcc, s12, v66
	s_and_saveexec_b64 s[4:5], vcc
	s_cbranch_execz .LBB89_234
; %bb.233:
	v_add_u32_e32 v2, s2, v66
	v_mov_b32_e32 v3, 0
	v_lshlrev_b64 v[2:3], 3, v[2:3]
	v_mov_b32_e32 v5, s15
	v_add_co_u32_e32 v4, vcc, s14, v2
	v_addc_co_u32_e32 v5, vcc, v5, v3, vcc
	v_mov_b32_e32 v6, s11
	v_add_co_u32_e32 v2, vcc, s10, v2
	v_addc_co_u32_e32 v3, vcc, v6, v3, vcc
	global_load_dwordx2 v[22:23], v[2:3], off
	global_load_dwordx2 v[24:25], v[4:5], off
	v_add_u32_e32 v66, 0x100, v66
.LBB89_234:
	s_or_b64 exec, exec, s[4:5]
	v_mov_b32_e32 v20, 0
	v_mov_b32_e32 v21, 0
	v_cmp_gt_i32_e32 vcc, s12, v66
	s_and_saveexec_b64 s[4:5], vcc
	s_cbranch_execz .LBB89_236
; %bb.235:
	v_add_u32_e32 v2, s2, v66
	v_mov_b32_e32 v3, 0
	v_lshlrev_b64 v[2:3], 3, v[2:3]
	v_mov_b32_e32 v5, s15
	v_add_co_u32_e32 v4, vcc, s14, v2
	v_addc_co_u32_e32 v5, vcc, v5, v3, vcc
	v_mov_b32_e32 v6, s11
	v_add_co_u32_e32 v2, vcc, s10, v2
	v_addc_co_u32_e32 v3, vcc, v6, v3, vcc
	global_load_dwordx2 v[18:19], v[2:3], off
	global_load_dwordx2 v[20:21], v[4:5], off
	v_add_u32_e32 v66, 0x100, v66
.LBB89_236:
	s_or_b64 exec, exec, s[4:5]
	v_mov_b32_e32 v10, 0
	v_mov_b32_e32 v14, 0
	;; [unrolled: 1-line block ×6, first 2 shown]
	v_cmp_gt_i32_e32 vcc, s12, v66
	s_and_saveexec_b64 s[4:5], vcc
	s_cbranch_execz .LBB89_238
; %bb.237:
	v_add_u32_e32 v2, s2, v66
	v_mov_b32_e32 v3, 0
	v_lshlrev_b64 v[2:3], 3, v[2:3]
	v_mov_b32_e32 v5, s15
	v_add_co_u32_e32 v4, vcc, s14, v2
	v_addc_co_u32_e32 v5, vcc, v5, v3, vcc
	v_mov_b32_e32 v6, s11
	v_add_co_u32_e32 v2, vcc, s10, v2
	v_addc_co_u32_e32 v3, vcc, v6, v3, vcc
	global_load_dwordx2 v[14:15], v[2:3], off
	global_load_dwordx2 v[16:17], v[4:5], off
	v_add_u32_e32 v66, 0x100, v66
.LBB89_238:
	s_or_b64 exec, exec, s[4:5]
	v_mov_b32_e32 v12, 0
	v_mov_b32_e32 v13, 0
	v_cmp_gt_i32_e32 vcc, s12, v66
	s_and_saveexec_b64 s[4:5], vcc
	s_cbranch_execz .LBB89_240
; %bb.239:
	v_add_u32_e32 v2, s2, v66
	v_mov_b32_e32 v3, 0
	v_lshlrev_b64 v[2:3], 3, v[2:3]
	v_mov_b32_e32 v5, s15
	v_add_co_u32_e32 v4, vcc, s14, v2
	v_addc_co_u32_e32 v5, vcc, v5, v3, vcc
	v_mov_b32_e32 v6, s11
	v_add_co_u32_e32 v2, vcc, s10, v2
	v_addc_co_u32_e32 v3, vcc, v6, v3, vcc
	global_load_dwordx2 v[10:11], v[2:3], off
	global_load_dwordx2 v[12:13], v[4:5], off
	v_add_u32_e32 v66, 0x100, v66
.LBB89_240:
	s_or_b64 exec, exec, s[4:5]
	v_mov_b32_e32 v2, 0
	v_mov_b32_e32 v6, 0
	;; [unrolled: 1-line block ×6, first 2 shown]
	v_cmp_gt_i32_e32 vcc, s12, v66
	s_and_saveexec_b64 s[4:5], vcc
	s_cbranch_execz .LBB89_242
; %bb.241:
	v_add_u32_e32 v4, s2, v66
	v_mov_b32_e32 v5, 0
	v_lshlrev_b64 v[4:5], 3, v[4:5]
	v_mov_b32_e32 v6, s15
	v_add_co_u32_e32 v67, vcc, s14, v4
	v_addc_co_u32_e32 v68, vcc, v6, v5, vcc
	v_mov_b32_e32 v6, s11
	v_add_co_u32_e32 v4, vcc, s10, v4
	v_addc_co_u32_e32 v5, vcc, v6, v5, vcc
	global_load_dwordx2 v[6:7], v[4:5], off
	global_load_dwordx2 v[8:9], v[67:68], off
	v_add_u32_e32 v66, 0x100, v66
.LBB89_242:
	s_or_b64 exec, exec, s[4:5]
	v_mov_b32_e32 v4, 0
	v_mov_b32_e32 v5, 0
	v_cmp_gt_i32_e32 vcc, s12, v66
	s_and_saveexec_b64 s[4:5], vcc
	s_cbranch_execz .LBB89_244
; %bb.243:
	v_add_u32_e32 v2, s2, v66
	v_mov_b32_e32 v3, 0
	v_lshlrev_b64 v[2:3], 3, v[2:3]
	v_mov_b32_e32 v4, s15
	v_add_co_u32_e32 v66, vcc, s14, v2
	v_addc_co_u32_e32 v67, vcc, v4, v3, vcc
	v_mov_b32_e32 v4, s11
	v_add_co_u32_e32 v68, vcc, s10, v2
	v_addc_co_u32_e32 v69, vcc, v4, v3, vcc
	global_load_dwordx2 v[2:3], v[68:69], off
	global_load_dwordx2 v[4:5], v[66:67], off
.LBB89_244:
	s_or_b64 exec, exec, s[4:5]
                                        ; implicit-def: $vgpr66
	s_and_saveexec_b64 s[4:5], s[0:1]
	s_cbranch_execz .LBB89_276
; %bb.245:
	s_cmp_lt_i32 s13, 1
	s_mov_b64 s[6:7], 0
	s_cbranch_scc1 .LBB89_250
; %bb.246:
	s_cmp_gt_i32 s13, 1
	s_cbranch_scc0 .LBB89_266
; %bb.247:
	s_cmp_eq_u32 s13, 2
	s_cbranch_scc0 .LBB89_267
; %bb.248:
	s_waitcnt vmcnt(0)
	v_cmp_le_f64_e64 s[10:11], v[62:63], v[64:65]
	s_mov_b64 s[14:15], 0
	s_branch .LBB89_268
.LBB89_249:
	s_waitcnt vmcnt(2)
	v_cmp_lt_f64_e32 vcc, v[3:4], v[7:8]
	s_andn2_b64 s[42:43], s[42:43], exec
	s_and_b64 s[46:47], vcc, exec
	s_or_b64 s[42:43], s[42:43], s[46:47]
	s_cbranch_execz .LBB89_209
	s_branch .LBB89_210
.LBB89_250:
                                        ; implicit-def: $sgpr10_sgpr11
	s_mov_b64 s[14:15], 0
	s_cbranch_execnz .LBB89_271
	s_branch .LBB89_272
.LBB89_251:
	s_mov_b64 s[16:17], -1
                                        ; implicit-def: $sgpr4_sgpr5
	s_branch .LBB89_23
.LBB89_252:
	s_mov_b64 s[18:19], -1
                                        ; implicit-def: $sgpr6_sgpr7
	s_branch .LBB89_36
.LBB89_253:
	s_mov_b64 s[20:21], -1
                                        ; implicit-def: $sgpr16_sgpr17
	s_branch .LBB89_49
.LBB89_254:
	s_mov_b64 s[22:23], -1
                                        ; implicit-def: $sgpr18_sgpr19
	s_branch .LBB89_62
.LBB89_255:
	s_mov_b64 s[24:25], -1
                                        ; implicit-def: $sgpr20_sgpr21
	s_branch .LBB89_75
.LBB89_256:
	s_mov_b64 s[26:27], -1
                                        ; implicit-def: $sgpr22_sgpr23
	s_branch .LBB89_88
.LBB89_257:
	s_mov_b64 s[28:29], -1
                                        ; implicit-def: $sgpr24_sgpr25
	s_branch .LBB89_101
.LBB89_258:
	s_mov_b64 s[30:31], -1
                                        ; implicit-def: $sgpr26_sgpr27
	s_branch .LBB89_114
.LBB89_259:
	s_mov_b64 s[34:35], -1
                                        ; implicit-def: $sgpr28_sgpr29
	s_branch .LBB89_127
.LBB89_260:
	s_mov_b64 s[36:37], -1
                                        ; implicit-def: $sgpr30_sgpr31
	s_branch .LBB89_140
.LBB89_261:
	s_mov_b64 s[38:39], -1
                                        ; implicit-def: $sgpr34_sgpr35
	s_branch .LBB89_153
.LBB89_262:
	s_mov_b64 s[40:41], -1
                                        ; implicit-def: $sgpr36_sgpr37
	s_branch .LBB89_166
.LBB89_263:
	s_mov_b64 s[42:43], -1
                                        ; implicit-def: $sgpr38_sgpr39
	s_branch .LBB89_179
.LBB89_264:
	s_mov_b64 s[44:45], -1
                                        ; implicit-def: $sgpr40_sgpr41
	s_branch .LBB89_192
.LBB89_265:
	s_mov_b64 s[46:47], -1
                                        ; implicit-def: $sgpr42_sgpr43
	s_branch .LBB89_205
.LBB89_266:
	s_mov_b64 s[14:15], 0
                                        ; implicit-def: $sgpr10_sgpr11
	s_cbranch_execnz .LBB89_269
	s_branch .LBB89_270
.LBB89_267:
	s_mov_b64 s[14:15], -1
                                        ; implicit-def: $sgpr10_sgpr11
.LBB89_268:
	s_branch .LBB89_270
.LBB89_269:
	s_waitcnt vmcnt(0)
	v_cmp_gt_f64_e32 vcc, v[62:63], v[64:65]
	s_andn2_b64 s[10:11], s[10:11], exec
	s_and_b64 s[16:17], vcc, exec
	s_or_b64 s[10:11], s[10:11], s[16:17]
.LBB89_270:
	s_branch .LBB89_272
.LBB89_271:
	s_cmp_lg_u32 s13, 0
	s_mov_b64 s[6:7], -1
	s_cselect_b64 s[14:15], -1, 0
.LBB89_272:
	s_andn2_b64 vcc, exec, s[14:15]
	s_cbranch_vccz .LBB89_281
; %bb.273:
	s_andn2_b64 vcc, exec, s[6:7]
	s_cbranch_vccnz .LBB89_275
.LBB89_274:
	s_waitcnt vmcnt(0)
	v_cmp_ge_f64_e32 vcc, v[62:63], v[64:65]
	s_andn2_b64 s[6:7], s[10:11], exec
	s_and_b64 s[10:11], vcc, exec
	s_or_b64 s[10:11], s[6:7], s[10:11]
.LBB89_275:
	v_cndmask_b32_e64 v66, 0, 1, s[10:11]
.LBB89_276:
	s_or_b64 exec, exec, s[4:5]
	s_waitcnt vmcnt(1)
	v_or_b32_e32 v62, 0x100, v0
	v_cmp_gt_i32_e32 vcc, s12, v62
                                        ; implicit-def: $vgpr63
	s_and_saveexec_b64 s[4:5], vcc
	s_cbranch_execz .LBB89_291
; %bb.277:
	s_cmp_lt_i32 s13, 1
	s_mov_b64 s[6:7], 0
	s_cbranch_scc1 .LBB89_282
; %bb.278:
	s_cmp_gt_i32 s13, 1
	s_cbranch_scc0 .LBB89_283
; %bb.279:
	s_cmp_eq_u32 s13, 2
	s_cbranch_scc0 .LBB89_535
; %bb.280:
	s_waitcnt vmcnt(0)
	v_cmp_le_f64_e64 s[10:11], v[58:59], v[60:61]
	s_mov_b64 s[14:15], 0
	s_branch .LBB89_285
.LBB89_281:
	s_waitcnt vmcnt(0)
	v_cmp_lt_f64_e32 vcc, v[62:63], v[64:65]
	s_andn2_b64 s[10:11], s[10:11], exec
	s_and_b64 s[14:15], vcc, exec
	s_or_b64 s[10:11], s[10:11], s[14:15]
	s_cbranch_execz .LBB89_274
	s_branch .LBB89_275
.LBB89_282:
                                        ; implicit-def: $sgpr10_sgpr11
	s_mov_b64 s[14:15], 0
	s_cbranch_execnz .LBB89_286
	s_branch .LBB89_287
.LBB89_283:
	s_mov_b64 s[14:15], 0
                                        ; implicit-def: $sgpr10_sgpr11
	s_cbranch_execz .LBB89_285
; %bb.284:
	s_waitcnt vmcnt(0)
	v_cmp_gt_f64_e32 vcc, v[58:59], v[60:61]
	s_andn2_b64 s[10:11], s[10:11], exec
	s_and_b64 s[16:17], vcc, exec
	s_or_b64 s[10:11], s[10:11], s[16:17]
.LBB89_285:
	s_branch .LBB89_287
.LBB89_286:
	s_cmp_lg_u32 s13, 0
	s_mov_b64 s[6:7], -1
	s_cselect_b64 s[14:15], -1, 0
.LBB89_287:
	s_andn2_b64 vcc, exec, s[14:15]
	s_cbranch_vccz .LBB89_296
; %bb.288:
	s_andn2_b64 vcc, exec, s[6:7]
	s_cbranch_vccnz .LBB89_290
.LBB89_289:
	s_waitcnt vmcnt(0)
	v_cmp_ge_f64_e32 vcc, v[58:59], v[60:61]
	s_andn2_b64 s[6:7], s[10:11], exec
	s_and_b64 s[10:11], vcc, exec
	s_or_b64 s[10:11], s[6:7], s[10:11]
.LBB89_290:
	v_cndmask_b32_e64 v63, 0, 1, s[10:11]
.LBB89_291:
	s_or_b64 exec, exec, s[4:5]
	v_or_b32_e32 v58, 0x200, v0
	v_cmp_gt_i32_e32 vcc, s12, v58
                                        ; implicit-def: $vgpr58
	s_and_saveexec_b64 s[4:5], vcc
	s_cbranch_execz .LBB89_306
; %bb.292:
	s_cmp_lt_i32 s13, 1
	s_mov_b64 s[6:7], 0
	s_cbranch_scc1 .LBB89_297
; %bb.293:
	s_cmp_gt_i32 s13, 1
	s_cbranch_scc0 .LBB89_298
; %bb.294:
	s_cmp_eq_u32 s13, 2
	s_cbranch_scc0 .LBB89_536
; %bb.295:
	s_waitcnt vmcnt(0)
	v_cmp_le_f64_e64 s[10:11], v[54:55], v[56:57]
	s_mov_b64 s[14:15], 0
	s_branch .LBB89_300
.LBB89_296:
	s_waitcnt vmcnt(0)
	v_cmp_lt_f64_e32 vcc, v[58:59], v[60:61]
	s_andn2_b64 s[10:11], s[10:11], exec
	s_and_b64 s[14:15], vcc, exec
	s_or_b64 s[10:11], s[10:11], s[14:15]
	s_cbranch_execz .LBB89_289
	s_branch .LBB89_290
.LBB89_297:
                                        ; implicit-def: $sgpr10_sgpr11
	s_mov_b64 s[14:15], 0
	s_cbranch_execnz .LBB89_301
	s_branch .LBB89_302
.LBB89_298:
	s_mov_b64 s[14:15], 0
                                        ; implicit-def: $sgpr10_sgpr11
	s_cbranch_execz .LBB89_300
; %bb.299:
	s_waitcnt vmcnt(0)
	v_cmp_gt_f64_e32 vcc, v[54:55], v[56:57]
	s_andn2_b64 s[10:11], s[10:11], exec
	s_and_b64 s[16:17], vcc, exec
	s_or_b64 s[10:11], s[10:11], s[16:17]
.LBB89_300:
	s_branch .LBB89_302
.LBB89_301:
	s_cmp_lg_u32 s13, 0
	s_mov_b64 s[6:7], -1
	s_cselect_b64 s[14:15], -1, 0
.LBB89_302:
	s_andn2_b64 vcc, exec, s[14:15]
	s_cbranch_vccz .LBB89_311
; %bb.303:
	s_andn2_b64 vcc, exec, s[6:7]
	s_cbranch_vccnz .LBB89_305
.LBB89_304:
	s_waitcnt vmcnt(0)
	v_cmp_ge_f64_e32 vcc, v[54:55], v[56:57]
	s_andn2_b64 s[6:7], s[10:11], exec
	s_and_b64 s[10:11], vcc, exec
	s_or_b64 s[10:11], s[6:7], s[10:11]
.LBB89_305:
	v_cndmask_b32_e64 v58, 0, 1, s[10:11]
.LBB89_306:
	s_or_b64 exec, exec, s[4:5]
	v_or_b32_e32 v54, 0x300, v0
	v_cmp_gt_i32_e32 vcc, s12, v54
                                        ; implicit-def: $vgpr54
	s_and_saveexec_b64 s[4:5], vcc
	s_cbranch_execz .LBB89_321
; %bb.307:
	s_cmp_lt_i32 s13, 1
	s_mov_b64 s[6:7], 0
	s_cbranch_scc1 .LBB89_312
; %bb.308:
	s_cmp_gt_i32 s13, 1
	s_cbranch_scc0 .LBB89_313
; %bb.309:
	s_cmp_eq_u32 s13, 2
	s_cbranch_scc0 .LBB89_537
; %bb.310:
	s_waitcnt vmcnt(0)
	v_cmp_le_f64_e64 s[10:11], v[50:51], v[52:53]
	s_mov_b64 s[14:15], 0
	s_branch .LBB89_315
.LBB89_311:
	s_waitcnt vmcnt(0)
	v_cmp_lt_f64_e32 vcc, v[54:55], v[56:57]
	s_andn2_b64 s[10:11], s[10:11], exec
	s_and_b64 s[14:15], vcc, exec
	s_or_b64 s[10:11], s[10:11], s[14:15]
	s_cbranch_execz .LBB89_304
	s_branch .LBB89_305
.LBB89_312:
                                        ; implicit-def: $sgpr10_sgpr11
	s_mov_b64 s[14:15], 0
	s_cbranch_execnz .LBB89_316
	s_branch .LBB89_317
.LBB89_313:
	s_mov_b64 s[14:15], 0
                                        ; implicit-def: $sgpr10_sgpr11
	s_cbranch_execz .LBB89_315
; %bb.314:
	s_waitcnt vmcnt(0)
	v_cmp_gt_f64_e32 vcc, v[50:51], v[52:53]
	s_andn2_b64 s[10:11], s[10:11], exec
	s_and_b64 s[16:17], vcc, exec
	s_or_b64 s[10:11], s[10:11], s[16:17]
.LBB89_315:
	s_branch .LBB89_317
.LBB89_316:
	s_cmp_lg_u32 s13, 0
	s_mov_b64 s[6:7], -1
	s_cselect_b64 s[14:15], -1, 0
.LBB89_317:
	s_andn2_b64 vcc, exec, s[14:15]
	s_cbranch_vccz .LBB89_326
; %bb.318:
	s_andn2_b64 vcc, exec, s[6:7]
	s_cbranch_vccnz .LBB89_320
.LBB89_319:
	s_waitcnt vmcnt(0)
	v_cmp_ge_f64_e32 vcc, v[50:51], v[52:53]
	s_andn2_b64 s[6:7], s[10:11], exec
	s_and_b64 s[10:11], vcc, exec
	s_or_b64 s[10:11], s[6:7], s[10:11]
.LBB89_320:
	v_cndmask_b32_e64 v54, 0, 1, s[10:11]
.LBB89_321:
	s_or_b64 exec, exec, s[4:5]
	v_or_b32_e32 v50, 0x400, v0
	v_cmp_gt_i32_e32 vcc, s12, v50
                                        ; implicit-def: $vgpr50
	s_and_saveexec_b64 s[4:5], vcc
	s_cbranch_execz .LBB89_336
; %bb.322:
	s_cmp_lt_i32 s13, 1
	s_mov_b64 s[6:7], 0
	s_cbranch_scc1 .LBB89_327
; %bb.323:
	s_cmp_gt_i32 s13, 1
	s_cbranch_scc0 .LBB89_328
; %bb.324:
	s_cmp_eq_u32 s13, 2
	s_cbranch_scc0 .LBB89_538
; %bb.325:
	s_waitcnt vmcnt(0)
	v_cmp_le_f64_e64 s[10:11], v[46:47], v[48:49]
	s_mov_b64 s[14:15], 0
	s_branch .LBB89_330
.LBB89_326:
	s_waitcnt vmcnt(0)
	v_cmp_lt_f64_e32 vcc, v[50:51], v[52:53]
	s_andn2_b64 s[10:11], s[10:11], exec
	s_and_b64 s[14:15], vcc, exec
	s_or_b64 s[10:11], s[10:11], s[14:15]
	s_cbranch_execz .LBB89_319
	s_branch .LBB89_320
.LBB89_327:
                                        ; implicit-def: $sgpr10_sgpr11
	s_mov_b64 s[14:15], 0
	s_cbranch_execnz .LBB89_331
	s_branch .LBB89_332
.LBB89_328:
	s_mov_b64 s[14:15], 0
                                        ; implicit-def: $sgpr10_sgpr11
	s_cbranch_execz .LBB89_330
; %bb.329:
	s_waitcnt vmcnt(0)
	v_cmp_gt_f64_e32 vcc, v[46:47], v[48:49]
	s_andn2_b64 s[10:11], s[10:11], exec
	s_and_b64 s[16:17], vcc, exec
	s_or_b64 s[10:11], s[10:11], s[16:17]
.LBB89_330:
	s_branch .LBB89_332
.LBB89_331:
	s_cmp_lg_u32 s13, 0
	s_mov_b64 s[6:7], -1
	s_cselect_b64 s[14:15], -1, 0
.LBB89_332:
	s_andn2_b64 vcc, exec, s[14:15]
	s_cbranch_vccz .LBB89_341
; %bb.333:
	s_andn2_b64 vcc, exec, s[6:7]
	s_cbranch_vccnz .LBB89_335
.LBB89_334:
	s_waitcnt vmcnt(0)
	v_cmp_ge_f64_e32 vcc, v[46:47], v[48:49]
	s_andn2_b64 s[6:7], s[10:11], exec
	s_and_b64 s[10:11], vcc, exec
	s_or_b64 s[10:11], s[6:7], s[10:11]
.LBB89_335:
	v_cndmask_b32_e64 v50, 0, 1, s[10:11]
.LBB89_336:
	s_or_b64 exec, exec, s[4:5]
	v_or_b32_e32 v46, 0x500, v0
	v_cmp_gt_i32_e32 vcc, s12, v46
                                        ; implicit-def: $vgpr46
	s_and_saveexec_b64 s[4:5], vcc
	s_cbranch_execz .LBB89_351
; %bb.337:
	s_cmp_lt_i32 s13, 1
	s_mov_b64 s[6:7], 0
	s_cbranch_scc1 .LBB89_342
; %bb.338:
	s_cmp_gt_i32 s13, 1
	s_cbranch_scc0 .LBB89_343
; %bb.339:
	s_cmp_eq_u32 s13, 2
	s_cbranch_scc0 .LBB89_539
; %bb.340:
	s_waitcnt vmcnt(0)
	v_cmp_le_f64_e64 s[10:11], v[42:43], v[44:45]
	s_mov_b64 s[14:15], 0
	s_branch .LBB89_345
.LBB89_341:
	s_waitcnt vmcnt(0)
	v_cmp_lt_f64_e32 vcc, v[46:47], v[48:49]
	s_andn2_b64 s[10:11], s[10:11], exec
	s_and_b64 s[14:15], vcc, exec
	s_or_b64 s[10:11], s[10:11], s[14:15]
	s_cbranch_execz .LBB89_334
	s_branch .LBB89_335
.LBB89_342:
                                        ; implicit-def: $sgpr10_sgpr11
	s_mov_b64 s[14:15], 0
	s_cbranch_execnz .LBB89_346
	s_branch .LBB89_347
.LBB89_343:
	s_mov_b64 s[14:15], 0
                                        ; implicit-def: $sgpr10_sgpr11
	s_cbranch_execz .LBB89_345
; %bb.344:
	s_waitcnt vmcnt(0)
	v_cmp_gt_f64_e32 vcc, v[42:43], v[44:45]
	s_andn2_b64 s[10:11], s[10:11], exec
	s_and_b64 s[16:17], vcc, exec
	s_or_b64 s[10:11], s[10:11], s[16:17]
.LBB89_345:
	s_branch .LBB89_347
.LBB89_346:
	s_cmp_lg_u32 s13, 0
	s_mov_b64 s[6:7], -1
	s_cselect_b64 s[14:15], -1, 0
.LBB89_347:
	s_andn2_b64 vcc, exec, s[14:15]
	s_cbranch_vccz .LBB89_356
; %bb.348:
	s_andn2_b64 vcc, exec, s[6:7]
	s_cbranch_vccnz .LBB89_350
.LBB89_349:
	s_waitcnt vmcnt(0)
	v_cmp_ge_f64_e32 vcc, v[42:43], v[44:45]
	s_andn2_b64 s[6:7], s[10:11], exec
	s_and_b64 s[10:11], vcc, exec
	s_or_b64 s[10:11], s[6:7], s[10:11]
.LBB89_350:
	v_cndmask_b32_e64 v46, 0, 1, s[10:11]
.LBB89_351:
	s_or_b64 exec, exec, s[4:5]
	v_or_b32_e32 v42, 0x600, v0
	v_cmp_gt_i32_e32 vcc, s12, v42
                                        ; implicit-def: $vgpr42
	s_and_saveexec_b64 s[4:5], vcc
	s_cbranch_execz .LBB89_366
; %bb.352:
	s_cmp_lt_i32 s13, 1
	s_mov_b64 s[6:7], 0
	s_cbranch_scc1 .LBB89_357
; %bb.353:
	s_cmp_gt_i32 s13, 1
	s_cbranch_scc0 .LBB89_358
; %bb.354:
	s_cmp_eq_u32 s13, 2
	s_cbranch_scc0 .LBB89_540
; %bb.355:
	s_waitcnt vmcnt(0)
	v_cmp_le_f64_e64 s[10:11], v[38:39], v[40:41]
	s_mov_b64 s[14:15], 0
	s_branch .LBB89_360
.LBB89_356:
	s_waitcnt vmcnt(0)
	v_cmp_lt_f64_e32 vcc, v[42:43], v[44:45]
	s_andn2_b64 s[10:11], s[10:11], exec
	s_and_b64 s[14:15], vcc, exec
	s_or_b64 s[10:11], s[10:11], s[14:15]
	s_cbranch_execz .LBB89_349
	s_branch .LBB89_350
.LBB89_357:
                                        ; implicit-def: $sgpr10_sgpr11
	s_mov_b64 s[14:15], 0
	s_cbranch_execnz .LBB89_361
	s_branch .LBB89_362
.LBB89_358:
	s_mov_b64 s[14:15], 0
                                        ; implicit-def: $sgpr10_sgpr11
	s_cbranch_execz .LBB89_360
; %bb.359:
	s_waitcnt vmcnt(0)
	v_cmp_gt_f64_e32 vcc, v[38:39], v[40:41]
	s_andn2_b64 s[10:11], s[10:11], exec
	s_and_b64 s[16:17], vcc, exec
	s_or_b64 s[10:11], s[10:11], s[16:17]
.LBB89_360:
	s_branch .LBB89_362
.LBB89_361:
	s_cmp_lg_u32 s13, 0
	s_mov_b64 s[6:7], -1
	s_cselect_b64 s[14:15], -1, 0
.LBB89_362:
	s_andn2_b64 vcc, exec, s[14:15]
	s_cbranch_vccz .LBB89_371
; %bb.363:
	s_andn2_b64 vcc, exec, s[6:7]
	s_cbranch_vccnz .LBB89_365
.LBB89_364:
	s_waitcnt vmcnt(0)
	v_cmp_ge_f64_e32 vcc, v[38:39], v[40:41]
	s_andn2_b64 s[6:7], s[10:11], exec
	s_and_b64 s[10:11], vcc, exec
	s_or_b64 s[10:11], s[6:7], s[10:11]
.LBB89_365:
	v_cndmask_b32_e64 v42, 0, 1, s[10:11]
.LBB89_366:
	s_or_b64 exec, exec, s[4:5]
	v_or_b32_e32 v38, 0x700, v0
	v_cmp_gt_i32_e32 vcc, s12, v38
                                        ; implicit-def: $vgpr38
	s_and_saveexec_b64 s[4:5], vcc
	s_cbranch_execz .LBB89_381
; %bb.367:
	s_cmp_lt_i32 s13, 1
	s_mov_b64 s[6:7], 0
	s_cbranch_scc1 .LBB89_372
; %bb.368:
	s_cmp_gt_i32 s13, 1
	s_cbranch_scc0 .LBB89_373
; %bb.369:
	s_cmp_eq_u32 s13, 2
	s_cbranch_scc0 .LBB89_541
; %bb.370:
	s_waitcnt vmcnt(0)
	v_cmp_le_f64_e64 s[10:11], v[34:35], v[36:37]
	s_mov_b64 s[14:15], 0
	s_branch .LBB89_375
.LBB89_371:
	s_waitcnt vmcnt(0)
	v_cmp_lt_f64_e32 vcc, v[38:39], v[40:41]
	s_andn2_b64 s[10:11], s[10:11], exec
	s_and_b64 s[14:15], vcc, exec
	s_or_b64 s[10:11], s[10:11], s[14:15]
	s_cbranch_execz .LBB89_364
	s_branch .LBB89_365
.LBB89_372:
                                        ; implicit-def: $sgpr10_sgpr11
	s_mov_b64 s[14:15], 0
	s_cbranch_execnz .LBB89_376
	s_branch .LBB89_377
.LBB89_373:
	s_mov_b64 s[14:15], 0
                                        ; implicit-def: $sgpr10_sgpr11
	s_cbranch_execz .LBB89_375
; %bb.374:
	s_waitcnt vmcnt(0)
	v_cmp_gt_f64_e32 vcc, v[34:35], v[36:37]
	s_andn2_b64 s[10:11], s[10:11], exec
	s_and_b64 s[16:17], vcc, exec
	s_or_b64 s[10:11], s[10:11], s[16:17]
.LBB89_375:
	s_branch .LBB89_377
.LBB89_376:
	s_cmp_lg_u32 s13, 0
	s_mov_b64 s[6:7], -1
	s_cselect_b64 s[14:15], -1, 0
.LBB89_377:
	s_andn2_b64 vcc, exec, s[14:15]
	s_cbranch_vccz .LBB89_386
; %bb.378:
	s_andn2_b64 vcc, exec, s[6:7]
	s_cbranch_vccnz .LBB89_380
.LBB89_379:
	s_waitcnt vmcnt(0)
	v_cmp_ge_f64_e32 vcc, v[34:35], v[36:37]
	s_andn2_b64 s[6:7], s[10:11], exec
	s_and_b64 s[10:11], vcc, exec
	s_or_b64 s[10:11], s[6:7], s[10:11]
.LBB89_380:
	v_cndmask_b32_e64 v38, 0, 1, s[10:11]
.LBB89_381:
	s_or_b64 exec, exec, s[4:5]
	v_or_b32_e32 v34, 0x800, v0
	v_cmp_gt_i32_e32 vcc, s12, v34
                                        ; implicit-def: $vgpr34
	s_and_saveexec_b64 s[4:5], vcc
	s_cbranch_execz .LBB89_396
; %bb.382:
	s_cmp_lt_i32 s13, 1
	s_mov_b64 s[6:7], 0
	s_cbranch_scc1 .LBB89_387
; %bb.383:
	s_cmp_gt_i32 s13, 1
	s_cbranch_scc0 .LBB89_388
; %bb.384:
	s_cmp_eq_u32 s13, 2
	s_cbranch_scc0 .LBB89_542
; %bb.385:
	s_waitcnt vmcnt(0)
	v_cmp_le_f64_e64 s[10:11], v[30:31], v[32:33]
	s_mov_b64 s[14:15], 0
	s_branch .LBB89_390
.LBB89_386:
	s_waitcnt vmcnt(0)
	v_cmp_lt_f64_e32 vcc, v[34:35], v[36:37]
	s_andn2_b64 s[10:11], s[10:11], exec
	s_and_b64 s[14:15], vcc, exec
	s_or_b64 s[10:11], s[10:11], s[14:15]
	s_cbranch_execz .LBB89_379
	s_branch .LBB89_380
.LBB89_387:
                                        ; implicit-def: $sgpr10_sgpr11
	s_mov_b64 s[14:15], 0
	s_cbranch_execnz .LBB89_391
	s_branch .LBB89_392
.LBB89_388:
	s_mov_b64 s[14:15], 0
                                        ; implicit-def: $sgpr10_sgpr11
	s_cbranch_execz .LBB89_390
; %bb.389:
	s_waitcnt vmcnt(0)
	v_cmp_gt_f64_e32 vcc, v[30:31], v[32:33]
	s_andn2_b64 s[10:11], s[10:11], exec
	s_and_b64 s[16:17], vcc, exec
	s_or_b64 s[10:11], s[10:11], s[16:17]
.LBB89_390:
	s_branch .LBB89_392
.LBB89_391:
	s_cmp_lg_u32 s13, 0
	s_mov_b64 s[6:7], -1
	s_cselect_b64 s[14:15], -1, 0
.LBB89_392:
	s_andn2_b64 vcc, exec, s[14:15]
	s_cbranch_vccz .LBB89_401
; %bb.393:
	s_andn2_b64 vcc, exec, s[6:7]
	s_cbranch_vccnz .LBB89_395
.LBB89_394:
	s_waitcnt vmcnt(0)
	v_cmp_ge_f64_e32 vcc, v[30:31], v[32:33]
	s_andn2_b64 s[6:7], s[10:11], exec
	s_and_b64 s[10:11], vcc, exec
	s_or_b64 s[10:11], s[6:7], s[10:11]
.LBB89_395:
	v_cndmask_b32_e64 v34, 0, 1, s[10:11]
.LBB89_396:
	s_or_b64 exec, exec, s[4:5]
	v_or_b32_e32 v30, 0x900, v0
	v_cmp_gt_i32_e32 vcc, s12, v30
                                        ; implicit-def: $vgpr30
	s_and_saveexec_b64 s[4:5], vcc
	s_cbranch_execz .LBB89_411
; %bb.397:
	s_cmp_lt_i32 s13, 1
	s_mov_b64 s[6:7], 0
	s_cbranch_scc1 .LBB89_402
; %bb.398:
	s_cmp_gt_i32 s13, 1
	s_cbranch_scc0 .LBB89_403
; %bb.399:
	s_cmp_eq_u32 s13, 2
	s_cbranch_scc0 .LBB89_543
; %bb.400:
	s_waitcnt vmcnt(0)
	v_cmp_le_f64_e64 s[10:11], v[26:27], v[28:29]
	s_mov_b64 s[14:15], 0
	s_branch .LBB89_405
.LBB89_401:
	s_waitcnt vmcnt(0)
	v_cmp_lt_f64_e32 vcc, v[30:31], v[32:33]
	s_andn2_b64 s[10:11], s[10:11], exec
	s_and_b64 s[14:15], vcc, exec
	s_or_b64 s[10:11], s[10:11], s[14:15]
	s_cbranch_execz .LBB89_394
	s_branch .LBB89_395
.LBB89_402:
                                        ; implicit-def: $sgpr10_sgpr11
	s_mov_b64 s[14:15], 0
	s_cbranch_execnz .LBB89_406
	s_branch .LBB89_407
.LBB89_403:
	s_mov_b64 s[14:15], 0
                                        ; implicit-def: $sgpr10_sgpr11
	s_cbranch_execz .LBB89_405
; %bb.404:
	s_waitcnt vmcnt(0)
	v_cmp_gt_f64_e32 vcc, v[26:27], v[28:29]
	s_andn2_b64 s[10:11], s[10:11], exec
	s_and_b64 s[16:17], vcc, exec
	s_or_b64 s[10:11], s[10:11], s[16:17]
.LBB89_405:
	s_branch .LBB89_407
.LBB89_406:
	s_cmp_lg_u32 s13, 0
	s_mov_b64 s[6:7], -1
	s_cselect_b64 s[14:15], -1, 0
.LBB89_407:
	s_andn2_b64 vcc, exec, s[14:15]
	s_cbranch_vccz .LBB89_416
; %bb.408:
	s_andn2_b64 vcc, exec, s[6:7]
	s_cbranch_vccnz .LBB89_410
.LBB89_409:
	s_waitcnt vmcnt(0)
	v_cmp_ge_f64_e32 vcc, v[26:27], v[28:29]
	s_andn2_b64 s[6:7], s[10:11], exec
	s_and_b64 s[10:11], vcc, exec
	s_or_b64 s[10:11], s[6:7], s[10:11]
.LBB89_410:
	v_cndmask_b32_e64 v30, 0, 1, s[10:11]
.LBB89_411:
	s_or_b64 exec, exec, s[4:5]
	v_or_b32_e32 v26, 0xa00, v0
	v_cmp_gt_i32_e32 vcc, s12, v26
                                        ; implicit-def: $vgpr26
	s_and_saveexec_b64 s[4:5], vcc
	s_cbranch_execz .LBB89_426
; %bb.412:
	s_cmp_lt_i32 s13, 1
	s_mov_b64 s[6:7], 0
	s_cbranch_scc1 .LBB89_417
; %bb.413:
	s_cmp_gt_i32 s13, 1
	s_cbranch_scc0 .LBB89_418
; %bb.414:
	s_cmp_eq_u32 s13, 2
	s_cbranch_scc0 .LBB89_544
; %bb.415:
	s_waitcnt vmcnt(0)
	v_cmp_le_f64_e64 s[10:11], v[22:23], v[24:25]
	s_mov_b64 s[14:15], 0
	s_branch .LBB89_420
.LBB89_416:
	s_waitcnt vmcnt(0)
	v_cmp_lt_f64_e32 vcc, v[26:27], v[28:29]
	s_andn2_b64 s[10:11], s[10:11], exec
	s_and_b64 s[14:15], vcc, exec
	s_or_b64 s[10:11], s[10:11], s[14:15]
	s_cbranch_execz .LBB89_409
	s_branch .LBB89_410
.LBB89_417:
                                        ; implicit-def: $sgpr10_sgpr11
	s_mov_b64 s[14:15], 0
	s_cbranch_execnz .LBB89_421
	s_branch .LBB89_422
.LBB89_418:
	s_mov_b64 s[14:15], 0
                                        ; implicit-def: $sgpr10_sgpr11
	s_cbranch_execz .LBB89_420
; %bb.419:
	s_waitcnt vmcnt(0)
	v_cmp_gt_f64_e32 vcc, v[22:23], v[24:25]
	s_andn2_b64 s[10:11], s[10:11], exec
	s_and_b64 s[16:17], vcc, exec
	s_or_b64 s[10:11], s[10:11], s[16:17]
.LBB89_420:
	s_branch .LBB89_422
.LBB89_421:
	s_cmp_lg_u32 s13, 0
	s_mov_b64 s[6:7], -1
	s_cselect_b64 s[14:15], -1, 0
.LBB89_422:
	s_andn2_b64 vcc, exec, s[14:15]
	s_cbranch_vccz .LBB89_431
; %bb.423:
	s_andn2_b64 vcc, exec, s[6:7]
	s_cbranch_vccnz .LBB89_425
.LBB89_424:
	s_waitcnt vmcnt(0)
	v_cmp_ge_f64_e32 vcc, v[22:23], v[24:25]
	s_andn2_b64 s[6:7], s[10:11], exec
	s_and_b64 s[10:11], vcc, exec
	s_or_b64 s[10:11], s[6:7], s[10:11]
.LBB89_425:
	v_cndmask_b32_e64 v26, 0, 1, s[10:11]
.LBB89_426:
	s_or_b64 exec, exec, s[4:5]
	v_or_b32_e32 v22, 0xb00, v0
	v_cmp_gt_i32_e32 vcc, s12, v22
                                        ; implicit-def: $vgpr22
	s_and_saveexec_b64 s[4:5], vcc
	s_cbranch_execz .LBB89_441
; %bb.427:
	s_cmp_lt_i32 s13, 1
	s_mov_b64 s[6:7], 0
	s_cbranch_scc1 .LBB89_432
; %bb.428:
	s_cmp_gt_i32 s13, 1
	s_cbranch_scc0 .LBB89_433
; %bb.429:
	s_cmp_eq_u32 s13, 2
	s_cbranch_scc0 .LBB89_545
; %bb.430:
	s_waitcnt vmcnt(0)
	v_cmp_le_f64_e64 s[10:11], v[18:19], v[20:21]
	s_mov_b64 s[14:15], 0
	s_branch .LBB89_435
.LBB89_431:
	s_waitcnt vmcnt(0)
	v_cmp_lt_f64_e32 vcc, v[22:23], v[24:25]
	s_andn2_b64 s[10:11], s[10:11], exec
	s_and_b64 s[14:15], vcc, exec
	s_or_b64 s[10:11], s[10:11], s[14:15]
	s_cbranch_execz .LBB89_424
	s_branch .LBB89_425
.LBB89_432:
                                        ; implicit-def: $sgpr10_sgpr11
	s_mov_b64 s[14:15], 0
	s_cbranch_execnz .LBB89_436
	s_branch .LBB89_437
.LBB89_433:
	s_mov_b64 s[14:15], 0
                                        ; implicit-def: $sgpr10_sgpr11
	s_cbranch_execz .LBB89_435
; %bb.434:
	s_waitcnt vmcnt(0)
	v_cmp_gt_f64_e32 vcc, v[18:19], v[20:21]
	s_andn2_b64 s[10:11], s[10:11], exec
	s_and_b64 s[16:17], vcc, exec
	s_or_b64 s[10:11], s[10:11], s[16:17]
.LBB89_435:
	s_branch .LBB89_437
.LBB89_436:
	s_cmp_lg_u32 s13, 0
	s_mov_b64 s[6:7], -1
	s_cselect_b64 s[14:15], -1, 0
.LBB89_437:
	s_andn2_b64 vcc, exec, s[14:15]
	s_cbranch_vccz .LBB89_446
; %bb.438:
	s_andn2_b64 vcc, exec, s[6:7]
	s_cbranch_vccnz .LBB89_440
.LBB89_439:
	s_waitcnt vmcnt(0)
	v_cmp_ge_f64_e32 vcc, v[18:19], v[20:21]
	s_andn2_b64 s[6:7], s[10:11], exec
	s_and_b64 s[10:11], vcc, exec
	s_or_b64 s[10:11], s[6:7], s[10:11]
.LBB89_440:
	v_cndmask_b32_e64 v22, 0, 1, s[10:11]
.LBB89_441:
	s_or_b64 exec, exec, s[4:5]
	v_or_b32_e32 v18, 0xc00, v0
	v_cmp_gt_i32_e32 vcc, s12, v18
                                        ; implicit-def: $vgpr18
	s_and_saveexec_b64 s[4:5], vcc
	s_cbranch_execz .LBB89_456
; %bb.442:
	s_cmp_lt_i32 s13, 1
	s_mov_b64 s[6:7], 0
	s_cbranch_scc1 .LBB89_447
; %bb.443:
	s_cmp_gt_i32 s13, 1
	s_cbranch_scc0 .LBB89_448
; %bb.444:
	s_cmp_eq_u32 s13, 2
	s_cbranch_scc0 .LBB89_546
; %bb.445:
	s_waitcnt vmcnt(0)
	v_cmp_le_f64_e64 s[10:11], v[14:15], v[16:17]
	s_mov_b64 s[14:15], 0
	s_branch .LBB89_450
.LBB89_446:
	s_waitcnt vmcnt(0)
	v_cmp_lt_f64_e32 vcc, v[18:19], v[20:21]
	s_andn2_b64 s[10:11], s[10:11], exec
	s_and_b64 s[14:15], vcc, exec
	s_or_b64 s[10:11], s[10:11], s[14:15]
	s_cbranch_execz .LBB89_439
	s_branch .LBB89_440
.LBB89_447:
                                        ; implicit-def: $sgpr10_sgpr11
	s_mov_b64 s[14:15], 0
	s_cbranch_execnz .LBB89_451
	s_branch .LBB89_452
.LBB89_448:
	s_mov_b64 s[14:15], 0
                                        ; implicit-def: $sgpr10_sgpr11
	s_cbranch_execz .LBB89_450
; %bb.449:
	s_waitcnt vmcnt(0)
	v_cmp_gt_f64_e32 vcc, v[14:15], v[16:17]
	s_andn2_b64 s[10:11], s[10:11], exec
	s_and_b64 s[16:17], vcc, exec
	s_or_b64 s[10:11], s[10:11], s[16:17]
.LBB89_450:
	s_branch .LBB89_452
.LBB89_451:
	s_cmp_lg_u32 s13, 0
	s_mov_b64 s[6:7], -1
	s_cselect_b64 s[14:15], -1, 0
.LBB89_452:
	s_andn2_b64 vcc, exec, s[14:15]
	s_cbranch_vccz .LBB89_461
; %bb.453:
	s_andn2_b64 vcc, exec, s[6:7]
	s_cbranch_vccnz .LBB89_455
.LBB89_454:
	s_waitcnt vmcnt(0)
	v_cmp_ge_f64_e32 vcc, v[14:15], v[16:17]
	s_andn2_b64 s[6:7], s[10:11], exec
	s_and_b64 s[10:11], vcc, exec
	s_or_b64 s[10:11], s[6:7], s[10:11]
.LBB89_455:
	v_cndmask_b32_e64 v18, 0, 1, s[10:11]
.LBB89_456:
	s_or_b64 exec, exec, s[4:5]
	v_or_b32_e32 v14, 0xd00, v0
	v_cmp_gt_i32_e32 vcc, s12, v14
                                        ; implicit-def: $vgpr14
	s_and_saveexec_b64 s[4:5], vcc
	s_cbranch_execz .LBB89_471
; %bb.457:
	s_cmp_lt_i32 s13, 1
	s_mov_b64 s[6:7], 0
	s_cbranch_scc1 .LBB89_462
; %bb.458:
	s_cmp_gt_i32 s13, 1
	s_cbranch_scc0 .LBB89_463
; %bb.459:
	s_cmp_eq_u32 s13, 2
	s_cbranch_scc0 .LBB89_547
; %bb.460:
	s_waitcnt vmcnt(0)
	v_cmp_le_f64_e64 s[10:11], v[10:11], v[12:13]
	s_mov_b64 s[14:15], 0
	s_branch .LBB89_465
.LBB89_461:
	s_waitcnt vmcnt(0)
	v_cmp_lt_f64_e32 vcc, v[14:15], v[16:17]
	s_andn2_b64 s[10:11], s[10:11], exec
	s_and_b64 s[14:15], vcc, exec
	s_or_b64 s[10:11], s[10:11], s[14:15]
	s_cbranch_execz .LBB89_454
	s_branch .LBB89_455
.LBB89_462:
                                        ; implicit-def: $sgpr10_sgpr11
	s_mov_b64 s[14:15], 0
	s_cbranch_execnz .LBB89_466
	s_branch .LBB89_467
.LBB89_463:
	s_mov_b64 s[14:15], 0
                                        ; implicit-def: $sgpr10_sgpr11
	s_cbranch_execz .LBB89_465
; %bb.464:
	s_waitcnt vmcnt(0)
	v_cmp_gt_f64_e32 vcc, v[10:11], v[12:13]
	s_andn2_b64 s[10:11], s[10:11], exec
	s_and_b64 s[16:17], vcc, exec
	s_or_b64 s[10:11], s[10:11], s[16:17]
.LBB89_465:
	s_branch .LBB89_467
.LBB89_466:
	s_cmp_lg_u32 s13, 0
	s_mov_b64 s[6:7], -1
	s_cselect_b64 s[14:15], -1, 0
.LBB89_467:
	s_andn2_b64 vcc, exec, s[14:15]
	s_cbranch_vccz .LBB89_476
; %bb.468:
	s_andn2_b64 vcc, exec, s[6:7]
	s_cbranch_vccnz .LBB89_470
.LBB89_469:
	s_waitcnt vmcnt(0)
	v_cmp_ge_f64_e32 vcc, v[10:11], v[12:13]
	s_andn2_b64 s[6:7], s[10:11], exec
	s_and_b64 s[10:11], vcc, exec
	s_or_b64 s[10:11], s[6:7], s[10:11]
.LBB89_470:
	v_cndmask_b32_e64 v14, 0, 1, s[10:11]
.LBB89_471:
	s_or_b64 exec, exec, s[4:5]
	v_or_b32_e32 v10, 0xe00, v0
	v_cmp_gt_i32_e32 vcc, s12, v10
                                        ; implicit-def: $vgpr10
	s_and_saveexec_b64 s[4:5], vcc
	s_cbranch_execz .LBB89_486
; %bb.472:
	s_cmp_lt_i32 s13, 1
	s_mov_b64 s[6:7], 0
	s_cbranch_scc1 .LBB89_477
; %bb.473:
	s_cmp_gt_i32 s13, 1
	s_cbranch_scc0 .LBB89_478
; %bb.474:
	s_cmp_eq_u32 s13, 2
	s_cbranch_scc0 .LBB89_548
; %bb.475:
	s_waitcnt vmcnt(0)
	v_cmp_le_f64_e64 s[10:11], v[6:7], v[8:9]
	s_mov_b64 s[14:15], 0
	s_branch .LBB89_480
.LBB89_476:
	s_waitcnt vmcnt(0)
	v_cmp_lt_f64_e32 vcc, v[10:11], v[12:13]
	s_andn2_b64 s[10:11], s[10:11], exec
	s_and_b64 s[14:15], vcc, exec
	s_or_b64 s[10:11], s[10:11], s[14:15]
	s_cbranch_execz .LBB89_469
	s_branch .LBB89_470
.LBB89_477:
                                        ; implicit-def: $sgpr10_sgpr11
	s_mov_b64 s[14:15], 0
	s_cbranch_execnz .LBB89_481
	s_branch .LBB89_482
.LBB89_478:
	s_mov_b64 s[14:15], 0
                                        ; implicit-def: $sgpr10_sgpr11
	s_cbranch_execz .LBB89_480
; %bb.479:
	s_waitcnt vmcnt(0)
	v_cmp_gt_f64_e32 vcc, v[6:7], v[8:9]
	s_andn2_b64 s[10:11], s[10:11], exec
	s_and_b64 s[16:17], vcc, exec
	s_or_b64 s[10:11], s[10:11], s[16:17]
.LBB89_480:
	s_branch .LBB89_482
.LBB89_481:
	s_cmp_lg_u32 s13, 0
	s_mov_b64 s[6:7], -1
	s_cselect_b64 s[14:15], -1, 0
.LBB89_482:
	s_andn2_b64 vcc, exec, s[14:15]
	s_cbranch_vccz .LBB89_491
; %bb.483:
	s_andn2_b64 vcc, exec, s[6:7]
	s_cbranch_vccnz .LBB89_485
.LBB89_484:
	s_waitcnt vmcnt(0)
	v_cmp_ge_f64_e32 vcc, v[6:7], v[8:9]
	s_andn2_b64 s[6:7], s[10:11], exec
	s_and_b64 s[10:11], vcc, exec
	s_or_b64 s[10:11], s[6:7], s[10:11]
.LBB89_485:
	v_cndmask_b32_e64 v10, 0, 1, s[10:11]
.LBB89_486:
	s_or_b64 exec, exec, s[4:5]
	v_or_b32_e32 v6, 0xf00, v0
	v_cmp_gt_i32_e32 vcc, s12, v6
                                        ; implicit-def: $vgpr6
	s_and_saveexec_b64 s[4:5], vcc
	s_cbranch_execz .LBB89_501
; %bb.487:
	s_cmp_lt_i32 s13, 1
	s_mov_b64 s[6:7], 0
	s_cbranch_scc1 .LBB89_492
; %bb.488:
	s_cmp_gt_i32 s13, 1
	s_cbranch_scc0 .LBB89_493
; %bb.489:
	s_cmp_eq_u32 s13, 2
	s_cbranch_scc0 .LBB89_549
; %bb.490:
	s_waitcnt vmcnt(0)
	v_cmp_le_f64_e64 s[10:11], v[2:3], v[4:5]
	s_mov_b64 s[14:15], 0
	s_branch .LBB89_495
.LBB89_491:
	s_waitcnt vmcnt(0)
	v_cmp_lt_f64_e32 vcc, v[6:7], v[8:9]
	s_andn2_b64 s[10:11], s[10:11], exec
	s_and_b64 s[14:15], vcc, exec
	s_or_b64 s[10:11], s[10:11], s[14:15]
	s_cbranch_execz .LBB89_484
	s_branch .LBB89_485
.LBB89_492:
                                        ; implicit-def: $sgpr10_sgpr11
	s_mov_b64 s[14:15], 0
	s_cbranch_execnz .LBB89_496
	s_branch .LBB89_497
.LBB89_493:
	s_mov_b64 s[14:15], 0
                                        ; implicit-def: $sgpr10_sgpr11
	s_cbranch_execz .LBB89_495
; %bb.494:
	s_waitcnt vmcnt(0)
	v_cmp_gt_f64_e32 vcc, v[2:3], v[4:5]
	s_andn2_b64 s[10:11], s[10:11], exec
	s_and_b64 s[16:17], vcc, exec
	s_or_b64 s[10:11], s[10:11], s[16:17]
.LBB89_495:
	s_branch .LBB89_497
.LBB89_496:
	s_cmp_lg_u32 s13, 0
	s_mov_b64 s[6:7], -1
	s_cselect_b64 s[14:15], -1, 0
.LBB89_497:
	s_andn2_b64 vcc, exec, s[14:15]
	s_cbranch_vccz .LBB89_534
; %bb.498:
	s_andn2_b64 vcc, exec, s[6:7]
	s_cbranch_vccnz .LBB89_500
.LBB89_499:
	s_waitcnt vmcnt(0)
	v_cmp_ge_f64_e32 vcc, v[2:3], v[4:5]
	s_andn2_b64 s[6:7], s[10:11], exec
	s_and_b64 s[10:11], vcc, exec
	s_or_b64 s[10:11], s[6:7], s[10:11]
.LBB89_500:
	v_cndmask_b32_e64 v6, 0, 1, s[10:11]
.LBB89_501:
	s_or_b64 exec, exec, s[4:5]
	s_and_saveexec_b64 s[4:5], s[0:1]
	s_xor_b64 s[0:1], exec, s[4:5]
	s_cbranch_execz .LBB89_503
; %bb.502:
	v_mov_b32_e32 v0, v62
	global_store_byte v1, v66, s[8:9]
.LBB89_503:
	s_or_b64 exec, exec, s[0:1]
	v_cmp_gt_i32_e32 vcc, s12, v0
	s_and_saveexec_b64 s[0:1], vcc
	s_cbranch_execnz .LBB89_520
; %bb.504:
	s_or_b64 exec, exec, s[0:1]
	v_cmp_gt_i32_e32 vcc, s12, v0
	s_and_saveexec_b64 s[0:1], vcc
	s_cbranch_execnz .LBB89_521
.LBB89_505:
	s_or_b64 exec, exec, s[0:1]
	v_cmp_gt_i32_e32 vcc, s12, v0
	s_and_saveexec_b64 s[0:1], vcc
	s_cbranch_execnz .LBB89_522
.LBB89_506:
	s_or_b64 exec, exec, s[0:1]
	v_cmp_gt_i32_e32 vcc, s12, v0
	s_and_saveexec_b64 s[0:1], vcc
	s_cbranch_execnz .LBB89_523
.LBB89_507:
	s_or_b64 exec, exec, s[0:1]
	v_cmp_gt_i32_e32 vcc, s12, v0
	s_and_saveexec_b64 s[0:1], vcc
	s_cbranch_execnz .LBB89_524
.LBB89_508:
	s_or_b64 exec, exec, s[0:1]
	v_cmp_gt_i32_e32 vcc, s12, v0
	s_and_saveexec_b64 s[0:1], vcc
	s_cbranch_execnz .LBB89_525
.LBB89_509:
	s_or_b64 exec, exec, s[0:1]
	v_cmp_gt_i32_e32 vcc, s12, v0
	s_and_saveexec_b64 s[0:1], vcc
	s_cbranch_execnz .LBB89_526
.LBB89_510:
	s_or_b64 exec, exec, s[0:1]
	v_cmp_gt_i32_e32 vcc, s12, v0
	s_and_saveexec_b64 s[0:1], vcc
	s_cbranch_execnz .LBB89_527
.LBB89_511:
	s_or_b64 exec, exec, s[0:1]
	v_cmp_gt_i32_e32 vcc, s12, v0
	s_and_saveexec_b64 s[0:1], vcc
	s_cbranch_execnz .LBB89_528
.LBB89_512:
	s_or_b64 exec, exec, s[0:1]
	v_cmp_gt_i32_e32 vcc, s12, v0
	s_and_saveexec_b64 s[0:1], vcc
	s_cbranch_execnz .LBB89_529
.LBB89_513:
	s_or_b64 exec, exec, s[0:1]
	v_cmp_gt_i32_e32 vcc, s12, v0
	s_and_saveexec_b64 s[0:1], vcc
	s_cbranch_execnz .LBB89_530
.LBB89_514:
	s_or_b64 exec, exec, s[0:1]
	v_cmp_gt_i32_e32 vcc, s12, v0
	s_and_saveexec_b64 s[0:1], vcc
	s_cbranch_execnz .LBB89_531
.LBB89_515:
	s_or_b64 exec, exec, s[0:1]
	v_cmp_gt_i32_e32 vcc, s12, v0
	s_and_saveexec_b64 s[0:1], vcc
	s_cbranch_execnz .LBB89_532
.LBB89_516:
	s_or_b64 exec, exec, s[0:1]
	v_cmp_gt_i32_e32 vcc, s12, v0
	s_and_saveexec_b64 s[0:1], vcc
	s_cbranch_execnz .LBB89_533
.LBB89_517:
	s_or_b64 exec, exec, s[0:1]
	v_cmp_gt_i32_e32 vcc, s12, v0
	s_and_saveexec_b64 s[0:1], vcc
	s_cbranch_execz .LBB89_519
.LBB89_518:
	v_add_u32_e32 v0, s2, v0
	global_store_byte v0, v6, s[8:9]
.LBB89_519:
	s_endpgm
.LBB89_520:
	v_add_u32_e32 v1, s2, v0
	v_add_u32_e32 v0, 0x100, v0
	global_store_byte v1, v63, s[8:9]
	s_or_b64 exec, exec, s[0:1]
	v_cmp_gt_i32_e32 vcc, s12, v0
	s_and_saveexec_b64 s[0:1], vcc
	s_cbranch_execz .LBB89_505
.LBB89_521:
	v_add_u32_e32 v1, s2, v0
	v_add_u32_e32 v0, 0x100, v0
	global_store_byte v1, v58, s[8:9]
	s_or_b64 exec, exec, s[0:1]
	v_cmp_gt_i32_e32 vcc, s12, v0
	s_and_saveexec_b64 s[0:1], vcc
	s_cbranch_execz .LBB89_506
.LBB89_522:
	v_add_u32_e32 v1, s2, v0
	v_add_u32_e32 v0, 0x100, v0
	global_store_byte v1, v54, s[8:9]
	s_or_b64 exec, exec, s[0:1]
	v_cmp_gt_i32_e32 vcc, s12, v0
	s_and_saveexec_b64 s[0:1], vcc
	s_cbranch_execz .LBB89_507
.LBB89_523:
	v_add_u32_e32 v1, s2, v0
	v_add_u32_e32 v0, 0x100, v0
	global_store_byte v1, v50, s[8:9]
	s_or_b64 exec, exec, s[0:1]
	v_cmp_gt_i32_e32 vcc, s12, v0
	s_and_saveexec_b64 s[0:1], vcc
	s_cbranch_execz .LBB89_508
.LBB89_524:
	v_add_u32_e32 v1, s2, v0
	v_add_u32_e32 v0, 0x100, v0
	global_store_byte v1, v46, s[8:9]
	s_or_b64 exec, exec, s[0:1]
	v_cmp_gt_i32_e32 vcc, s12, v0
	s_and_saveexec_b64 s[0:1], vcc
	s_cbranch_execz .LBB89_509
.LBB89_525:
	v_add_u32_e32 v1, s2, v0
	v_add_u32_e32 v0, 0x100, v0
	global_store_byte v1, v42, s[8:9]
	s_or_b64 exec, exec, s[0:1]
	v_cmp_gt_i32_e32 vcc, s12, v0
	s_and_saveexec_b64 s[0:1], vcc
	s_cbranch_execz .LBB89_510
.LBB89_526:
	v_add_u32_e32 v1, s2, v0
	v_add_u32_e32 v0, 0x100, v0
	global_store_byte v1, v38, s[8:9]
	s_or_b64 exec, exec, s[0:1]
	v_cmp_gt_i32_e32 vcc, s12, v0
	s_and_saveexec_b64 s[0:1], vcc
	s_cbranch_execz .LBB89_511
.LBB89_527:
	v_add_u32_e32 v1, s2, v0
	v_add_u32_e32 v0, 0x100, v0
	global_store_byte v1, v34, s[8:9]
	s_or_b64 exec, exec, s[0:1]
	v_cmp_gt_i32_e32 vcc, s12, v0
	s_and_saveexec_b64 s[0:1], vcc
	s_cbranch_execz .LBB89_512
.LBB89_528:
	v_add_u32_e32 v1, s2, v0
	v_add_u32_e32 v0, 0x100, v0
	global_store_byte v1, v30, s[8:9]
	s_or_b64 exec, exec, s[0:1]
	v_cmp_gt_i32_e32 vcc, s12, v0
	s_and_saveexec_b64 s[0:1], vcc
	s_cbranch_execz .LBB89_513
.LBB89_529:
	v_add_u32_e32 v1, s2, v0
	v_add_u32_e32 v0, 0x100, v0
	global_store_byte v1, v26, s[8:9]
	s_or_b64 exec, exec, s[0:1]
	v_cmp_gt_i32_e32 vcc, s12, v0
	s_and_saveexec_b64 s[0:1], vcc
	s_cbranch_execz .LBB89_514
.LBB89_530:
	v_add_u32_e32 v1, s2, v0
	v_add_u32_e32 v0, 0x100, v0
	global_store_byte v1, v22, s[8:9]
	s_or_b64 exec, exec, s[0:1]
	v_cmp_gt_i32_e32 vcc, s12, v0
	s_and_saveexec_b64 s[0:1], vcc
	s_cbranch_execz .LBB89_515
.LBB89_531:
	v_add_u32_e32 v1, s2, v0
	v_add_u32_e32 v0, 0x100, v0
	global_store_byte v1, v18, s[8:9]
	s_or_b64 exec, exec, s[0:1]
	v_cmp_gt_i32_e32 vcc, s12, v0
	s_and_saveexec_b64 s[0:1], vcc
	s_cbranch_execz .LBB89_516
.LBB89_532:
	v_add_u32_e32 v1, s2, v0
	v_add_u32_e32 v0, 0x100, v0
	global_store_byte v1, v14, s[8:9]
	s_or_b64 exec, exec, s[0:1]
	v_cmp_gt_i32_e32 vcc, s12, v0
	s_and_saveexec_b64 s[0:1], vcc
	s_cbranch_execz .LBB89_517
.LBB89_533:
	v_add_u32_e32 v1, s2, v0
	v_add_u32_e32 v0, 0x100, v0
	global_store_byte v1, v10, s[8:9]
	s_or_b64 exec, exec, s[0:1]
	v_cmp_gt_i32_e32 vcc, s12, v0
	s_and_saveexec_b64 s[0:1], vcc
	s_cbranch_execnz .LBB89_518
	s_branch .LBB89_519
.LBB89_534:
	s_waitcnt vmcnt(0)
	v_cmp_lt_f64_e32 vcc, v[2:3], v[4:5]
	s_andn2_b64 s[10:11], s[10:11], exec
	s_and_b64 s[14:15], vcc, exec
	s_or_b64 s[10:11], s[10:11], s[14:15]
	s_cbranch_execz .LBB89_499
	s_branch .LBB89_500
.LBB89_535:
	s_mov_b64 s[14:15], -1
                                        ; implicit-def: $sgpr10_sgpr11
	s_branch .LBB89_285
.LBB89_536:
	s_mov_b64 s[14:15], -1
                                        ; implicit-def: $sgpr10_sgpr11
	s_branch .LBB89_300
.LBB89_537:
	s_mov_b64 s[14:15], -1
                                        ; implicit-def: $sgpr10_sgpr11
	s_branch .LBB89_315
.LBB89_538:
	s_mov_b64 s[14:15], -1
                                        ; implicit-def: $sgpr10_sgpr11
	s_branch .LBB89_330
.LBB89_539:
	s_mov_b64 s[14:15], -1
                                        ; implicit-def: $sgpr10_sgpr11
	s_branch .LBB89_345
.LBB89_540:
	s_mov_b64 s[14:15], -1
                                        ; implicit-def: $sgpr10_sgpr11
	s_branch .LBB89_360
.LBB89_541:
	s_mov_b64 s[14:15], -1
                                        ; implicit-def: $sgpr10_sgpr11
	s_branch .LBB89_375
.LBB89_542:
	s_mov_b64 s[14:15], -1
                                        ; implicit-def: $sgpr10_sgpr11
	s_branch .LBB89_390
.LBB89_543:
	s_mov_b64 s[14:15], -1
                                        ; implicit-def: $sgpr10_sgpr11
	s_branch .LBB89_405
.LBB89_544:
	s_mov_b64 s[14:15], -1
                                        ; implicit-def: $sgpr10_sgpr11
	s_branch .LBB89_420
.LBB89_545:
	s_mov_b64 s[14:15], -1
                                        ; implicit-def: $sgpr10_sgpr11
	s_branch .LBB89_435
.LBB89_546:
	s_mov_b64 s[14:15], -1
                                        ; implicit-def: $sgpr10_sgpr11
	s_branch .LBB89_450
.LBB89_547:
	s_mov_b64 s[14:15], -1
                                        ; implicit-def: $sgpr10_sgpr11
	s_branch .LBB89_465
.LBB89_548:
	s_mov_b64 s[14:15], -1
                                        ; implicit-def: $sgpr10_sgpr11
	s_branch .LBB89_480
.LBB89_549:
	s_mov_b64 s[14:15], -1
                                        ; implicit-def: $sgpr10_sgpr11
	s_branch .LBB89_495
	.section	.rodata,"a",@progbits
	.p2align	6, 0x0
	.amdhsa_kernel _ZN2at6native29vectorized_elementwise_kernelILi8ENS0_12_GLOBAL__N_114CompareFunctorIdEESt5arrayIPcLm3EEEEviT0_T1_
		.amdhsa_group_segment_fixed_size 0
		.amdhsa_private_segment_fixed_size 0
		.amdhsa_kernarg_size 32
		.amdhsa_user_sgpr_count 6
		.amdhsa_user_sgpr_private_segment_buffer 1
		.amdhsa_user_sgpr_dispatch_ptr 0
		.amdhsa_user_sgpr_queue_ptr 0
		.amdhsa_user_sgpr_kernarg_segment_ptr 1
		.amdhsa_user_sgpr_dispatch_id 0
		.amdhsa_user_sgpr_flat_scratch_init 0
		.amdhsa_user_sgpr_private_segment_size 0
		.amdhsa_uses_dynamic_stack 0
		.amdhsa_system_sgpr_private_segment_wavefront_offset 0
		.amdhsa_system_sgpr_workgroup_id_x 1
		.amdhsa_system_sgpr_workgroup_id_y 0
		.amdhsa_system_sgpr_workgroup_id_z 0
		.amdhsa_system_sgpr_workgroup_info 0
		.amdhsa_system_vgpr_workitem_id 0
		.amdhsa_next_free_vgpr 70
		.amdhsa_next_free_sgpr 50
		.amdhsa_reserve_vcc 1
		.amdhsa_reserve_flat_scratch 0
		.amdhsa_float_round_mode_32 0
		.amdhsa_float_round_mode_16_64 0
		.amdhsa_float_denorm_mode_32 3
		.amdhsa_float_denorm_mode_16_64 3
		.amdhsa_dx10_clamp 1
		.amdhsa_ieee_mode 1
		.amdhsa_fp16_overflow 0
		.amdhsa_exception_fp_ieee_invalid_op 0
		.amdhsa_exception_fp_denorm_src 0
		.amdhsa_exception_fp_ieee_div_zero 0
		.amdhsa_exception_fp_ieee_overflow 0
		.amdhsa_exception_fp_ieee_underflow 0
		.amdhsa_exception_fp_ieee_inexact 0
		.amdhsa_exception_int_div_zero 0
	.end_amdhsa_kernel
	.section	.text._ZN2at6native29vectorized_elementwise_kernelILi8ENS0_12_GLOBAL__N_114CompareFunctorIdEESt5arrayIPcLm3EEEEviT0_T1_,"axG",@progbits,_ZN2at6native29vectorized_elementwise_kernelILi8ENS0_12_GLOBAL__N_114CompareFunctorIdEESt5arrayIPcLm3EEEEviT0_T1_,comdat
.Lfunc_end89:
	.size	_ZN2at6native29vectorized_elementwise_kernelILi8ENS0_12_GLOBAL__N_114CompareFunctorIdEESt5arrayIPcLm3EEEEviT0_T1_, .Lfunc_end89-_ZN2at6native29vectorized_elementwise_kernelILi8ENS0_12_GLOBAL__N_114CompareFunctorIdEESt5arrayIPcLm3EEEEviT0_T1_
                                        ; -- End function
	.set _ZN2at6native29vectorized_elementwise_kernelILi8ENS0_12_GLOBAL__N_114CompareFunctorIdEESt5arrayIPcLm3EEEEviT0_T1_.num_vgpr, 70
	.set _ZN2at6native29vectorized_elementwise_kernelILi8ENS0_12_GLOBAL__N_114CompareFunctorIdEESt5arrayIPcLm3EEEEviT0_T1_.num_agpr, 0
	.set _ZN2at6native29vectorized_elementwise_kernelILi8ENS0_12_GLOBAL__N_114CompareFunctorIdEESt5arrayIPcLm3EEEEviT0_T1_.numbered_sgpr, 50
	.set _ZN2at6native29vectorized_elementwise_kernelILi8ENS0_12_GLOBAL__N_114CompareFunctorIdEESt5arrayIPcLm3EEEEviT0_T1_.num_named_barrier, 0
	.set _ZN2at6native29vectorized_elementwise_kernelILi8ENS0_12_GLOBAL__N_114CompareFunctorIdEESt5arrayIPcLm3EEEEviT0_T1_.private_seg_size, 0
	.set _ZN2at6native29vectorized_elementwise_kernelILi8ENS0_12_GLOBAL__N_114CompareFunctorIdEESt5arrayIPcLm3EEEEviT0_T1_.uses_vcc, 1
	.set _ZN2at6native29vectorized_elementwise_kernelILi8ENS0_12_GLOBAL__N_114CompareFunctorIdEESt5arrayIPcLm3EEEEviT0_T1_.uses_flat_scratch, 0
	.set _ZN2at6native29vectorized_elementwise_kernelILi8ENS0_12_GLOBAL__N_114CompareFunctorIdEESt5arrayIPcLm3EEEEviT0_T1_.has_dyn_sized_stack, 0
	.set _ZN2at6native29vectorized_elementwise_kernelILi8ENS0_12_GLOBAL__N_114CompareFunctorIdEESt5arrayIPcLm3EEEEviT0_T1_.has_recursion, 0
	.set _ZN2at6native29vectorized_elementwise_kernelILi8ENS0_12_GLOBAL__N_114CompareFunctorIdEESt5arrayIPcLm3EEEEviT0_T1_.has_indirect_call, 0
	.section	.AMDGPU.csdata,"",@progbits
; Kernel info:
; codeLenInByte = 9152
; TotalNumSgprs: 54
; NumVgprs: 70
; ScratchSize: 0
; MemoryBound: 1
; FloatMode: 240
; IeeeMode: 1
; LDSByteSize: 0 bytes/workgroup (compile time only)
; SGPRBlocks: 6
; VGPRBlocks: 17
; NumSGPRsForWavesPerEU: 54
; NumVGPRsForWavesPerEU: 70
; Occupancy: 3
; WaveLimiterHint : 1
; COMPUTE_PGM_RSRC2:SCRATCH_EN: 0
; COMPUTE_PGM_RSRC2:USER_SGPR: 6
; COMPUTE_PGM_RSRC2:TRAP_HANDLER: 0
; COMPUTE_PGM_RSRC2:TGID_X_EN: 1
; COMPUTE_PGM_RSRC2:TGID_Y_EN: 0
; COMPUTE_PGM_RSRC2:TGID_Z_EN: 0
; COMPUTE_PGM_RSRC2:TIDIG_COMP_CNT: 0
	.section	.text._ZN2at6native29vectorized_elementwise_kernelILi4ENS0_12_GLOBAL__N_114CompareFunctorIdEESt5arrayIPcLm3EEEEviT0_T1_,"axG",@progbits,_ZN2at6native29vectorized_elementwise_kernelILi4ENS0_12_GLOBAL__N_114CompareFunctorIdEESt5arrayIPcLm3EEEEviT0_T1_,comdat
	.globl	_ZN2at6native29vectorized_elementwise_kernelILi4ENS0_12_GLOBAL__N_114CompareFunctorIdEESt5arrayIPcLm3EEEEviT0_T1_ ; -- Begin function _ZN2at6native29vectorized_elementwise_kernelILi4ENS0_12_GLOBAL__N_114CompareFunctorIdEESt5arrayIPcLm3EEEEviT0_T1_
	.p2align	8
	.type	_ZN2at6native29vectorized_elementwise_kernelILi4ENS0_12_GLOBAL__N_114CompareFunctorIdEESt5arrayIPcLm3EEEEviT0_T1_,@function
_ZN2at6native29vectorized_elementwise_kernelILi4ENS0_12_GLOBAL__N_114CompareFunctorIdEESt5arrayIPcLm3EEEEviT0_T1_: ; @_ZN2at6native29vectorized_elementwise_kernelILi4ENS0_12_GLOBAL__N_114CompareFunctorIdEESt5arrayIPcLm3EEEEviT0_T1_
; %bb.0:
	s_load_dwordx2 s[12:13], s[4:5], 0x0
	s_load_dwordx4 s[8:11], s[4:5], 0x8
	s_load_dwordx2 s[14:15], s[4:5], 0x18
	s_lshl_b32 s2, s6, 12
	s_mov_b64 s[0:1], -1
	s_waitcnt lgkmcnt(0)
	s_sub_i32 s12, s12, s2
	s_cmpk_gt_i32 s12, 0xfff
	s_cbranch_scc0 .LBB90_211
; %bb.1:
	s_ashr_i32 s3, s2, 31
	s_lshl_b64 s[4:5], s[2:3], 3
	s_add_u32 s0, s10, s4
	s_addc_u32 s1, s11, s5
	v_lshlrev_b32_e32 v13, 5, v0
	v_mov_b32_e32 v1, s1
	v_add_co_u32_e32 v5, vcc, s0, v13
	v_addc_co_u32_e32 v7, vcc, 0, v1, vcc
	v_add_co_u32_e32 v1, vcc, 0x2000, v5
	global_load_dwordx4 v[49:52], v13, s[0:1] offset:16
	global_load_dwordx4 v[57:60], v13, s[0:1]
	v_addc_co_u32_e64 v2, s[0:1], 0, v7, vcc
	v_addc_co_u32_e32 v4, vcc, 0, v7, vcc
	v_mov_b32_e32 v3, v1
	global_load_dwordx4 v[41:44], v[3:4], off
	global_load_dwordx4 v[33:36], v[1:2], off offset:16
	v_add_co_u32_e32 v1, vcc, 0x4000, v5
	v_addc_co_u32_e64 v2, s[0:1], 0, v7, vcc
	v_addc_co_u32_e32 v4, vcc, 0, v7, vcc
	v_add_co_u32_e32 v5, vcc, 0x6000, v5
	v_addc_co_u32_e64 v6, s[0:1], 0, v7, vcc
	s_add_u32 s0, s14, s4
	v_mov_b32_e32 v3, v1
	v_addc_co_u32_e32 v8, vcc, 0, v7, vcc
	v_mov_b32_e32 v7, v5
	s_addc_u32 s1, s15, s5
	global_load_dwordx4 v[25:28], v[3:4], off
	global_load_dwordx4 v[17:20], v[1:2], off offset:16
	global_load_dwordx4 v[9:12], v[7:8], off
	s_nop 0
	global_load_dwordx4 v[1:4], v[5:6], off offset:16
	v_mov_b32_e32 v5, s1
	v_add_co_u32_e32 v7, vcc, s0, v13
	s_movk_i32 s6, 0x2000
	v_addc_co_u32_e32 v8, vcc, 0, v5, vcc
	v_add_co_u32_e32 v5, vcc, s6, v7
	s_movk_i32 s7, 0x4000
	v_addc_co_u32_e32 v6, vcc, 0, v8, vcc
	global_load_dwordx4 v[53:56], v13, s[0:1] offset:16
	global_load_dwordx4 v[61:64], v13, s[0:1]
	global_load_dwordx4 v[45:48], v[5:6], off
	global_load_dwordx4 v[37:40], v[5:6], off offset:16
	v_add_co_u32_e32 v5, vcc, s7, v7
	v_addc_co_u32_e32 v6, vcc, 0, v8, vcc
	v_add_co_u32_e32 v65, vcc, 0x6000, v7
	v_addc_co_u32_e64 v66, s[0:1], 0, v8, vcc
	v_addc_co_u32_e32 v68, vcc, 0, v8, vcc
	v_mov_b32_e32 v67, v65
	global_load_dwordx4 v[29:32], v[5:6], off
	global_load_dwordx4 v[21:24], v[5:6], off offset:16
	global_load_dwordx4 v[13:16], v[67:68], off
	s_nop 0
	global_load_dwordx4 v[5:8], v[65:66], off offset:16
	s_cmp_lt_i32 s13, 1
	s_mov_b64 s[4:5], 0
	s_cbranch_scc1 .LBB90_5
; %bb.2:
	s_cmp_gt_i32 s13, 1
	s_cbranch_scc0 .LBB90_6
; %bb.3:
	s_cmp_eq_u32 s13, 2
	s_cbranch_scc0 .LBB90_7
; %bb.4:
	s_waitcnt vmcnt(6)
	v_cmp_le_f64_e64 s[0:1], v[57:58], v[61:62]
	s_mov_b64 s[6:7], 0
	s_branch .LBB90_8
.LBB90_5:
                                        ; implicit-def: $sgpr0_sgpr1
	s_mov_b64 s[6:7], 0
	s_cbranch_execnz .LBB90_11
	s_branch .LBB90_12
.LBB90_6:
	s_mov_b64 s[6:7], 0
                                        ; implicit-def: $sgpr0_sgpr1
	s_cbranch_execnz .LBB90_9
	s_branch .LBB90_10
.LBB90_7:
	s_mov_b64 s[6:7], -1
                                        ; implicit-def: $sgpr0_sgpr1
.LBB90_8:
	s_branch .LBB90_10
.LBB90_9:
	s_waitcnt vmcnt(6)
	v_cmp_gt_f64_e32 vcc, v[57:58], v[61:62]
	s_andn2_b64 s[0:1], s[0:1], exec
	s_and_b64 s[16:17], vcc, exec
	s_or_b64 s[0:1], s[0:1], s[16:17]
.LBB90_10:
	s_branch .LBB90_12
.LBB90_11:
	s_cmp_lg_u32 s13, 0
	s_mov_b64 s[4:5], -1
	s_cselect_b64 s[6:7], -1, 0
.LBB90_12:
	s_andn2_b64 vcc, exec, s[6:7]
	s_cbranch_vccz .LBB90_18
; %bb.13:
	s_andn2_b64 vcc, exec, s[4:5]
	s_cbranch_vccz .LBB90_19
.LBB90_14:
	s_cmp_lt_i32 s13, 1
	s_mov_b64 s[6:7], 0
	s_cbranch_scc1 .LBB90_20
.LBB90_15:
	s_cmp_gt_i32 s13, 1
	s_cbranch_scc0 .LBB90_21
; %bb.16:
	s_cmp_eq_u32 s13, 2
	s_cbranch_scc0 .LBB90_251
; %bb.17:
	s_waitcnt vmcnt(6)
	v_cmp_le_f64_e64 s[4:5], v[59:60], v[63:64]
	s_mov_b64 s[16:17], 0
	s_branch .LBB90_23
.LBB90_18:
	s_waitcnt vmcnt(6)
	v_cmp_lt_f64_e32 vcc, v[57:58], v[61:62]
	s_andn2_b64 s[0:1], s[0:1], exec
	s_and_b64 s[6:7], vcc, exec
	s_or_b64 s[0:1], s[0:1], s[6:7]
	s_cbranch_execnz .LBB90_14
.LBB90_19:
	s_waitcnt vmcnt(6)
	v_cmp_ge_f64_e32 vcc, v[57:58], v[61:62]
	s_andn2_b64 s[0:1], s[0:1], exec
	s_and_b64 s[4:5], vcc, exec
	s_or_b64 s[0:1], s[0:1], s[4:5]
	s_cmp_lt_i32 s13, 1
	s_mov_b64 s[6:7], 0
	s_cbranch_scc0 .LBB90_15
.LBB90_20:
                                        ; implicit-def: $sgpr4_sgpr5
	s_mov_b64 s[16:17], 0
	s_cbranch_execnz .LBB90_24
	s_branch .LBB90_25
.LBB90_21:
	s_mov_b64 s[16:17], 0
                                        ; implicit-def: $sgpr4_sgpr5
	s_cbranch_execz .LBB90_23
; %bb.22:
	s_waitcnt vmcnt(6)
	v_cmp_gt_f64_e32 vcc, v[59:60], v[63:64]
	s_andn2_b64 s[4:5], s[4:5], exec
	s_and_b64 s[18:19], vcc, exec
	s_or_b64 s[4:5], s[4:5], s[18:19]
.LBB90_23:
	s_branch .LBB90_25
.LBB90_24:
	s_cmp_lg_u32 s13, 0
	s_mov_b64 s[6:7], -1
	s_cselect_b64 s[16:17], -1, 0
.LBB90_25:
	s_andn2_b64 vcc, exec, s[16:17]
	s_cbranch_vccz .LBB90_31
; %bb.26:
	s_andn2_b64 vcc, exec, s[6:7]
	s_cbranch_vccz .LBB90_32
.LBB90_27:
	s_cmp_lt_i32 s13, 1
	s_mov_b64 s[16:17], 0
	s_cbranch_scc1 .LBB90_33
.LBB90_28:
	s_cmp_gt_i32 s13, 1
	s_cbranch_scc0 .LBB90_34
; %bb.29:
	s_cmp_eq_u32 s13, 2
	s_cbranch_scc0 .LBB90_252
; %bb.30:
	s_waitcnt vmcnt(7)
	v_cmp_le_f64_e64 s[6:7], v[49:50], v[53:54]
	s_mov_b64 s[18:19], 0
	s_branch .LBB90_36
.LBB90_31:
	s_waitcnt vmcnt(6)
	v_cmp_lt_f64_e32 vcc, v[59:60], v[63:64]
	s_andn2_b64 s[4:5], s[4:5], exec
	s_and_b64 s[16:17], vcc, exec
	s_or_b64 s[4:5], s[4:5], s[16:17]
	s_cbranch_execnz .LBB90_27
.LBB90_32:
	s_waitcnt vmcnt(6)
	v_cmp_ge_f64_e32 vcc, v[59:60], v[63:64]
	s_andn2_b64 s[4:5], s[4:5], exec
	s_and_b64 s[6:7], vcc, exec
	s_or_b64 s[4:5], s[4:5], s[6:7]
	s_cmp_lt_i32 s13, 1
	s_mov_b64 s[16:17], 0
	s_cbranch_scc0 .LBB90_28
.LBB90_33:
                                        ; implicit-def: $sgpr6_sgpr7
	s_mov_b64 s[18:19], 0
	s_cbranch_execnz .LBB90_37
	s_branch .LBB90_38
.LBB90_34:
	s_mov_b64 s[18:19], 0
                                        ; implicit-def: $sgpr6_sgpr7
	s_cbranch_execz .LBB90_36
; %bb.35:
	s_waitcnt vmcnt(7)
	v_cmp_gt_f64_e32 vcc, v[49:50], v[53:54]
	s_andn2_b64 s[6:7], s[6:7], exec
	s_and_b64 s[20:21], vcc, exec
	s_or_b64 s[6:7], s[6:7], s[20:21]
.LBB90_36:
	s_branch .LBB90_38
.LBB90_37:
	s_cmp_lg_u32 s13, 0
	s_mov_b64 s[16:17], -1
	s_cselect_b64 s[18:19], -1, 0
.LBB90_38:
	s_andn2_b64 vcc, exec, s[18:19]
	s_cbranch_vccz .LBB90_44
; %bb.39:
	s_andn2_b64 vcc, exec, s[16:17]
	s_cbranch_vccz .LBB90_45
.LBB90_40:
	s_cmp_lt_i32 s13, 1
	s_mov_b64 s[18:19], 0
	s_cbranch_scc1 .LBB90_46
.LBB90_41:
	s_cmp_gt_i32 s13, 1
	s_cbranch_scc0 .LBB90_47
; %bb.42:
	s_cmp_eq_u32 s13, 2
	s_cbranch_scc0 .LBB90_253
; %bb.43:
	s_waitcnt vmcnt(7)
	v_cmp_le_f64_e64 s[16:17], v[51:52], v[55:56]
	s_mov_b64 s[20:21], 0
	s_branch .LBB90_49
.LBB90_44:
	s_waitcnt vmcnt(7)
	v_cmp_lt_f64_e32 vcc, v[49:50], v[53:54]
	s_andn2_b64 s[6:7], s[6:7], exec
	s_and_b64 s[18:19], vcc, exec
	s_or_b64 s[6:7], s[6:7], s[18:19]
	s_cbranch_execnz .LBB90_40
.LBB90_45:
	s_waitcnt vmcnt(7)
	v_cmp_ge_f64_e32 vcc, v[49:50], v[53:54]
	s_andn2_b64 s[6:7], s[6:7], exec
	s_and_b64 s[16:17], vcc, exec
	s_or_b64 s[6:7], s[6:7], s[16:17]
	s_cmp_lt_i32 s13, 1
	s_mov_b64 s[18:19], 0
	s_cbranch_scc0 .LBB90_41
.LBB90_46:
                                        ; implicit-def: $sgpr16_sgpr17
	s_mov_b64 s[20:21], 0
	s_cbranch_execnz .LBB90_50
	s_branch .LBB90_51
.LBB90_47:
	s_mov_b64 s[20:21], 0
                                        ; implicit-def: $sgpr16_sgpr17
	s_cbranch_execz .LBB90_49
; %bb.48:
	s_waitcnt vmcnt(7)
	v_cmp_gt_f64_e32 vcc, v[51:52], v[55:56]
	s_andn2_b64 s[16:17], s[16:17], exec
	s_and_b64 s[22:23], vcc, exec
	s_or_b64 s[16:17], s[16:17], s[22:23]
.LBB90_49:
	s_branch .LBB90_51
.LBB90_50:
	s_cmp_lg_u32 s13, 0
	s_mov_b64 s[18:19], -1
	s_cselect_b64 s[20:21], -1, 0
.LBB90_51:
	s_andn2_b64 vcc, exec, s[20:21]
	s_cbranch_vccz .LBB90_57
; %bb.52:
	s_andn2_b64 vcc, exec, s[18:19]
	s_cbranch_vccz .LBB90_58
.LBB90_53:
	s_cmp_lt_i32 s13, 1
	s_mov_b64 s[20:21], 0
	s_cbranch_scc1 .LBB90_59
.LBB90_54:
	s_cmp_gt_i32 s13, 1
	s_cbranch_scc0 .LBB90_60
; %bb.55:
	s_cmp_eq_u32 s13, 2
	s_cbranch_scc0 .LBB90_254
; %bb.56:
	s_waitcnt vmcnt(5)
	v_cmp_le_f64_e64 s[18:19], v[41:42], v[45:46]
	s_mov_b64 s[22:23], 0
	s_branch .LBB90_62
.LBB90_57:
	s_waitcnt vmcnt(7)
	v_cmp_lt_f64_e32 vcc, v[51:52], v[55:56]
	s_andn2_b64 s[16:17], s[16:17], exec
	s_and_b64 s[20:21], vcc, exec
	s_or_b64 s[16:17], s[16:17], s[20:21]
	s_cbranch_execnz .LBB90_53
.LBB90_58:
	s_waitcnt vmcnt(7)
	v_cmp_ge_f64_e32 vcc, v[51:52], v[55:56]
	s_andn2_b64 s[16:17], s[16:17], exec
	s_and_b64 s[18:19], vcc, exec
	s_or_b64 s[16:17], s[16:17], s[18:19]
	s_cmp_lt_i32 s13, 1
	s_mov_b64 s[20:21], 0
	s_cbranch_scc0 .LBB90_54
.LBB90_59:
                                        ; implicit-def: $sgpr18_sgpr19
	s_mov_b64 s[22:23], 0
	s_cbranch_execnz .LBB90_63
	s_branch .LBB90_64
.LBB90_60:
	s_mov_b64 s[22:23], 0
                                        ; implicit-def: $sgpr18_sgpr19
	s_cbranch_execz .LBB90_62
; %bb.61:
	s_waitcnt vmcnt(5)
	v_cmp_gt_f64_e32 vcc, v[41:42], v[45:46]
	s_andn2_b64 s[18:19], s[18:19], exec
	s_and_b64 s[24:25], vcc, exec
	s_or_b64 s[18:19], s[18:19], s[24:25]
.LBB90_62:
	s_branch .LBB90_64
.LBB90_63:
	s_cmp_lg_u32 s13, 0
	s_mov_b64 s[20:21], -1
	s_cselect_b64 s[22:23], -1, 0
.LBB90_64:
	s_andn2_b64 vcc, exec, s[22:23]
	s_cbranch_vccz .LBB90_70
; %bb.65:
	s_andn2_b64 vcc, exec, s[20:21]
	s_cbranch_vccz .LBB90_71
.LBB90_66:
	s_cmp_lt_i32 s13, 1
	s_mov_b64 s[22:23], 0
	s_cbranch_scc1 .LBB90_72
.LBB90_67:
	s_cmp_gt_i32 s13, 1
	s_cbranch_scc0 .LBB90_73
; %bb.68:
	s_cmp_eq_u32 s13, 2
	s_cbranch_scc0 .LBB90_255
; %bb.69:
	s_waitcnt vmcnt(5)
	v_cmp_le_f64_e64 s[20:21], v[43:44], v[47:48]
	s_mov_b64 s[24:25], 0
	s_branch .LBB90_75
.LBB90_70:
	s_waitcnt vmcnt(5)
	v_cmp_lt_f64_e32 vcc, v[41:42], v[45:46]
	s_andn2_b64 s[18:19], s[18:19], exec
	s_and_b64 s[22:23], vcc, exec
	s_or_b64 s[18:19], s[18:19], s[22:23]
	s_cbranch_execnz .LBB90_66
.LBB90_71:
	s_waitcnt vmcnt(5)
	v_cmp_ge_f64_e32 vcc, v[41:42], v[45:46]
	s_andn2_b64 s[18:19], s[18:19], exec
	s_and_b64 s[20:21], vcc, exec
	s_or_b64 s[18:19], s[18:19], s[20:21]
	s_cmp_lt_i32 s13, 1
	s_mov_b64 s[22:23], 0
	s_cbranch_scc0 .LBB90_67
.LBB90_72:
                                        ; implicit-def: $sgpr20_sgpr21
	s_mov_b64 s[24:25], 0
	s_cbranch_execnz .LBB90_76
	s_branch .LBB90_77
.LBB90_73:
	s_mov_b64 s[24:25], 0
                                        ; implicit-def: $sgpr20_sgpr21
	s_cbranch_execz .LBB90_75
; %bb.74:
	s_waitcnt vmcnt(5)
	v_cmp_gt_f64_e32 vcc, v[43:44], v[47:48]
	s_andn2_b64 s[20:21], s[20:21], exec
	s_and_b64 s[26:27], vcc, exec
	s_or_b64 s[20:21], s[20:21], s[26:27]
.LBB90_75:
	s_branch .LBB90_77
.LBB90_76:
	s_cmp_lg_u32 s13, 0
	s_mov_b64 s[22:23], -1
	s_cselect_b64 s[24:25], -1, 0
.LBB90_77:
	s_andn2_b64 vcc, exec, s[24:25]
	s_cbranch_vccz .LBB90_83
; %bb.78:
	s_andn2_b64 vcc, exec, s[22:23]
	s_cbranch_vccz .LBB90_84
.LBB90_79:
	s_cmp_lt_i32 s13, 1
	s_mov_b64 s[24:25], 0
	s_cbranch_scc1 .LBB90_85
.LBB90_80:
	s_cmp_gt_i32 s13, 1
	s_cbranch_scc0 .LBB90_86
; %bb.81:
	s_cmp_eq_u32 s13, 2
	s_cbranch_scc0 .LBB90_256
; %bb.82:
	s_waitcnt vmcnt(4)
	v_cmp_le_f64_e64 s[22:23], v[33:34], v[37:38]
	s_mov_b64 s[26:27], 0
	s_branch .LBB90_88
.LBB90_83:
	s_waitcnt vmcnt(5)
	v_cmp_lt_f64_e32 vcc, v[43:44], v[47:48]
	s_andn2_b64 s[20:21], s[20:21], exec
	s_and_b64 s[24:25], vcc, exec
	s_or_b64 s[20:21], s[20:21], s[24:25]
	s_cbranch_execnz .LBB90_79
.LBB90_84:
	s_waitcnt vmcnt(5)
	v_cmp_ge_f64_e32 vcc, v[43:44], v[47:48]
	s_andn2_b64 s[20:21], s[20:21], exec
	s_and_b64 s[22:23], vcc, exec
	s_or_b64 s[20:21], s[20:21], s[22:23]
	s_cmp_lt_i32 s13, 1
	s_mov_b64 s[24:25], 0
	s_cbranch_scc0 .LBB90_80
.LBB90_85:
                                        ; implicit-def: $sgpr22_sgpr23
	s_mov_b64 s[26:27], 0
	s_cbranch_execnz .LBB90_89
	s_branch .LBB90_90
.LBB90_86:
	s_mov_b64 s[26:27], 0
                                        ; implicit-def: $sgpr22_sgpr23
	s_cbranch_execz .LBB90_88
; %bb.87:
	s_waitcnt vmcnt(4)
	v_cmp_gt_f64_e32 vcc, v[33:34], v[37:38]
	s_andn2_b64 s[22:23], s[22:23], exec
	s_and_b64 s[28:29], vcc, exec
	s_or_b64 s[22:23], s[22:23], s[28:29]
.LBB90_88:
	s_branch .LBB90_90
.LBB90_89:
	s_cmp_lg_u32 s13, 0
	s_mov_b64 s[24:25], -1
	s_cselect_b64 s[26:27], -1, 0
.LBB90_90:
	s_andn2_b64 vcc, exec, s[26:27]
	s_cbranch_vccz .LBB90_96
; %bb.91:
	s_andn2_b64 vcc, exec, s[24:25]
	s_cbranch_vccz .LBB90_97
.LBB90_92:
	s_cmp_lt_i32 s13, 1
	s_mov_b64 s[26:27], 0
	s_cbranch_scc1 .LBB90_98
.LBB90_93:
	s_cmp_gt_i32 s13, 1
	s_cbranch_scc0 .LBB90_99
; %bb.94:
	s_cmp_eq_u32 s13, 2
	s_cbranch_scc0 .LBB90_257
; %bb.95:
	s_waitcnt vmcnt(4)
	v_cmp_le_f64_e64 s[24:25], v[35:36], v[39:40]
	s_mov_b64 s[28:29], 0
	s_branch .LBB90_101
.LBB90_96:
	s_waitcnt vmcnt(4)
	v_cmp_lt_f64_e32 vcc, v[33:34], v[37:38]
	s_andn2_b64 s[22:23], s[22:23], exec
	s_and_b64 s[26:27], vcc, exec
	s_or_b64 s[22:23], s[22:23], s[26:27]
	s_cbranch_execnz .LBB90_92
.LBB90_97:
	s_waitcnt vmcnt(4)
	v_cmp_ge_f64_e32 vcc, v[33:34], v[37:38]
	s_andn2_b64 s[22:23], s[22:23], exec
	s_and_b64 s[24:25], vcc, exec
	s_or_b64 s[22:23], s[22:23], s[24:25]
	s_cmp_lt_i32 s13, 1
	s_mov_b64 s[26:27], 0
	s_cbranch_scc0 .LBB90_93
.LBB90_98:
                                        ; implicit-def: $sgpr24_sgpr25
	s_mov_b64 s[28:29], 0
	s_cbranch_execnz .LBB90_102
	s_branch .LBB90_103
.LBB90_99:
	s_mov_b64 s[28:29], 0
                                        ; implicit-def: $sgpr24_sgpr25
	s_cbranch_execz .LBB90_101
; %bb.100:
	s_waitcnt vmcnt(4)
	v_cmp_gt_f64_e32 vcc, v[35:36], v[39:40]
	s_andn2_b64 s[24:25], s[24:25], exec
	s_and_b64 s[30:31], vcc, exec
	s_or_b64 s[24:25], s[24:25], s[30:31]
.LBB90_101:
	s_branch .LBB90_103
.LBB90_102:
	s_cmp_lg_u32 s13, 0
	s_mov_b64 s[26:27], -1
	s_cselect_b64 s[28:29], -1, 0
.LBB90_103:
	s_andn2_b64 vcc, exec, s[28:29]
	s_cbranch_vccz .LBB90_109
; %bb.104:
	s_andn2_b64 vcc, exec, s[26:27]
	s_cbranch_vccz .LBB90_110
.LBB90_105:
	s_cmp_lt_i32 s13, 1
	s_mov_b64 s[28:29], 0
	s_cbranch_scc1 .LBB90_111
.LBB90_106:
	s_cmp_gt_i32 s13, 1
	s_cbranch_scc0 .LBB90_112
; %bb.107:
	s_cmp_eq_u32 s13, 2
	s_cbranch_scc0 .LBB90_258
; %bb.108:
	s_waitcnt vmcnt(3)
	v_cmp_le_f64_e64 s[26:27], v[25:26], v[29:30]
	s_mov_b64 s[30:31], 0
	s_branch .LBB90_114
.LBB90_109:
	s_waitcnt vmcnt(4)
	v_cmp_lt_f64_e32 vcc, v[35:36], v[39:40]
	s_andn2_b64 s[24:25], s[24:25], exec
	s_and_b64 s[28:29], vcc, exec
	s_or_b64 s[24:25], s[24:25], s[28:29]
	s_cbranch_execnz .LBB90_105
.LBB90_110:
	s_waitcnt vmcnt(4)
	v_cmp_ge_f64_e32 vcc, v[35:36], v[39:40]
	s_andn2_b64 s[24:25], s[24:25], exec
	s_and_b64 s[26:27], vcc, exec
	s_or_b64 s[24:25], s[24:25], s[26:27]
	s_cmp_lt_i32 s13, 1
	s_mov_b64 s[28:29], 0
	s_cbranch_scc0 .LBB90_106
.LBB90_111:
                                        ; implicit-def: $sgpr26_sgpr27
	s_mov_b64 s[30:31], 0
	s_cbranch_execnz .LBB90_115
	s_branch .LBB90_116
.LBB90_112:
	s_mov_b64 s[30:31], 0
                                        ; implicit-def: $sgpr26_sgpr27
	s_cbranch_execz .LBB90_114
; %bb.113:
	s_waitcnt vmcnt(3)
	v_cmp_gt_f64_e32 vcc, v[25:26], v[29:30]
	s_andn2_b64 s[26:27], s[26:27], exec
	s_and_b64 s[34:35], vcc, exec
	s_or_b64 s[26:27], s[26:27], s[34:35]
.LBB90_114:
	s_branch .LBB90_116
.LBB90_115:
	s_cmp_lg_u32 s13, 0
	s_mov_b64 s[28:29], -1
	s_cselect_b64 s[30:31], -1, 0
.LBB90_116:
	s_andn2_b64 vcc, exec, s[30:31]
	s_cbranch_vccz .LBB90_122
; %bb.117:
	s_andn2_b64 vcc, exec, s[28:29]
	s_cbranch_vccz .LBB90_123
.LBB90_118:
	s_cmp_lt_i32 s13, 1
	s_mov_b64 s[30:31], 0
	s_cbranch_scc1 .LBB90_124
.LBB90_119:
	s_cmp_gt_i32 s13, 1
	s_cbranch_scc0 .LBB90_125
; %bb.120:
	s_cmp_eq_u32 s13, 2
	s_cbranch_scc0 .LBB90_259
; %bb.121:
	s_waitcnt vmcnt(3)
	v_cmp_le_f64_e64 s[28:29], v[27:28], v[31:32]
	s_mov_b64 s[34:35], 0
	s_branch .LBB90_127
.LBB90_122:
	s_waitcnt vmcnt(3)
	v_cmp_lt_f64_e32 vcc, v[25:26], v[29:30]
	s_andn2_b64 s[26:27], s[26:27], exec
	s_and_b64 s[30:31], vcc, exec
	s_or_b64 s[26:27], s[26:27], s[30:31]
	s_cbranch_execnz .LBB90_118
.LBB90_123:
	s_waitcnt vmcnt(3)
	v_cmp_ge_f64_e32 vcc, v[25:26], v[29:30]
	s_andn2_b64 s[26:27], s[26:27], exec
	s_and_b64 s[28:29], vcc, exec
	s_or_b64 s[26:27], s[26:27], s[28:29]
	s_cmp_lt_i32 s13, 1
	s_mov_b64 s[30:31], 0
	s_cbranch_scc0 .LBB90_119
.LBB90_124:
                                        ; implicit-def: $sgpr28_sgpr29
	s_mov_b64 s[34:35], 0
	s_cbranch_execnz .LBB90_128
	s_branch .LBB90_129
.LBB90_125:
	s_mov_b64 s[34:35], 0
                                        ; implicit-def: $sgpr28_sgpr29
	s_cbranch_execz .LBB90_127
; %bb.126:
	s_waitcnt vmcnt(3)
	v_cmp_gt_f64_e32 vcc, v[27:28], v[31:32]
	s_andn2_b64 s[28:29], s[28:29], exec
	s_and_b64 s[36:37], vcc, exec
	s_or_b64 s[28:29], s[28:29], s[36:37]
.LBB90_127:
	s_branch .LBB90_129
.LBB90_128:
	s_cmp_lg_u32 s13, 0
	s_mov_b64 s[30:31], -1
	s_cselect_b64 s[34:35], -1, 0
.LBB90_129:
	s_andn2_b64 vcc, exec, s[34:35]
	s_cbranch_vccz .LBB90_135
; %bb.130:
	s_andn2_b64 vcc, exec, s[30:31]
	s_cbranch_vccz .LBB90_136
.LBB90_131:
	s_cmp_lt_i32 s13, 1
	s_mov_b64 s[34:35], 0
	s_cbranch_scc1 .LBB90_137
.LBB90_132:
	s_cmp_gt_i32 s13, 1
	s_cbranch_scc0 .LBB90_138
; %bb.133:
	s_cmp_eq_u32 s13, 2
	s_cbranch_scc0 .LBB90_260
; %bb.134:
	s_waitcnt vmcnt(2)
	v_cmp_le_f64_e64 s[30:31], v[17:18], v[21:22]
	s_mov_b64 s[36:37], 0
	s_branch .LBB90_140
.LBB90_135:
	s_waitcnt vmcnt(3)
	v_cmp_lt_f64_e32 vcc, v[27:28], v[31:32]
	s_andn2_b64 s[28:29], s[28:29], exec
	s_and_b64 s[34:35], vcc, exec
	s_or_b64 s[28:29], s[28:29], s[34:35]
	s_cbranch_execnz .LBB90_131
.LBB90_136:
	s_waitcnt vmcnt(3)
	v_cmp_ge_f64_e32 vcc, v[27:28], v[31:32]
	s_andn2_b64 s[28:29], s[28:29], exec
	s_and_b64 s[30:31], vcc, exec
	s_or_b64 s[28:29], s[28:29], s[30:31]
	s_cmp_lt_i32 s13, 1
	s_mov_b64 s[34:35], 0
	s_cbranch_scc0 .LBB90_132
.LBB90_137:
                                        ; implicit-def: $sgpr30_sgpr31
	s_mov_b64 s[36:37], 0
	s_cbranch_execnz .LBB90_141
	s_branch .LBB90_142
.LBB90_138:
	s_mov_b64 s[36:37], 0
                                        ; implicit-def: $sgpr30_sgpr31
	s_cbranch_execz .LBB90_140
; %bb.139:
	s_waitcnt vmcnt(2)
	v_cmp_gt_f64_e32 vcc, v[17:18], v[21:22]
	s_andn2_b64 s[30:31], s[30:31], exec
	s_and_b64 s[38:39], vcc, exec
	s_or_b64 s[30:31], s[30:31], s[38:39]
.LBB90_140:
	s_branch .LBB90_142
.LBB90_141:
	s_cmp_lg_u32 s13, 0
	s_mov_b64 s[34:35], -1
	s_cselect_b64 s[36:37], -1, 0
.LBB90_142:
	s_andn2_b64 vcc, exec, s[36:37]
	s_cbranch_vccz .LBB90_148
; %bb.143:
	s_andn2_b64 vcc, exec, s[34:35]
	s_cbranch_vccz .LBB90_149
.LBB90_144:
	s_cmp_lt_i32 s13, 1
	s_mov_b64 s[36:37], 0
	s_cbranch_scc1 .LBB90_150
.LBB90_145:
	s_cmp_gt_i32 s13, 1
	s_cbranch_scc0 .LBB90_151
; %bb.146:
	s_cmp_eq_u32 s13, 2
	s_cbranch_scc0 .LBB90_261
; %bb.147:
	s_waitcnt vmcnt(2)
	v_cmp_le_f64_e64 s[34:35], v[19:20], v[23:24]
	s_mov_b64 s[38:39], 0
	s_branch .LBB90_153
.LBB90_148:
	s_waitcnt vmcnt(2)
	v_cmp_lt_f64_e32 vcc, v[17:18], v[21:22]
	s_andn2_b64 s[30:31], s[30:31], exec
	s_and_b64 s[36:37], vcc, exec
	s_or_b64 s[30:31], s[30:31], s[36:37]
	s_cbranch_execnz .LBB90_144
.LBB90_149:
	s_waitcnt vmcnt(2)
	v_cmp_ge_f64_e32 vcc, v[17:18], v[21:22]
	s_andn2_b64 s[30:31], s[30:31], exec
	s_and_b64 s[34:35], vcc, exec
	s_or_b64 s[30:31], s[30:31], s[34:35]
	s_cmp_lt_i32 s13, 1
	s_mov_b64 s[36:37], 0
	s_cbranch_scc0 .LBB90_145
.LBB90_150:
                                        ; implicit-def: $sgpr34_sgpr35
	s_mov_b64 s[38:39], 0
	s_cbranch_execnz .LBB90_154
	s_branch .LBB90_155
.LBB90_151:
	s_mov_b64 s[38:39], 0
                                        ; implicit-def: $sgpr34_sgpr35
	s_cbranch_execz .LBB90_153
; %bb.152:
	s_waitcnt vmcnt(2)
	v_cmp_gt_f64_e32 vcc, v[19:20], v[23:24]
	s_andn2_b64 s[34:35], s[34:35], exec
	s_and_b64 s[40:41], vcc, exec
	s_or_b64 s[34:35], s[34:35], s[40:41]
.LBB90_153:
	s_branch .LBB90_155
.LBB90_154:
	s_cmp_lg_u32 s13, 0
	s_mov_b64 s[36:37], -1
	s_cselect_b64 s[38:39], -1, 0
.LBB90_155:
	s_andn2_b64 vcc, exec, s[38:39]
	s_cbranch_vccz .LBB90_161
; %bb.156:
	s_andn2_b64 vcc, exec, s[36:37]
	s_cbranch_vccz .LBB90_162
.LBB90_157:
	s_cmp_lt_i32 s13, 1
	s_mov_b64 s[38:39], 0
	s_cbranch_scc1 .LBB90_163
.LBB90_158:
	s_cmp_gt_i32 s13, 1
	s_cbranch_scc0 .LBB90_164
; %bb.159:
	s_cmp_eq_u32 s13, 2
	s_cbranch_scc0 .LBB90_262
; %bb.160:
	s_waitcnt vmcnt(1)
	v_cmp_le_f64_e64 s[36:37], v[9:10], v[13:14]
	s_mov_b64 s[40:41], 0
	s_branch .LBB90_166
.LBB90_161:
	s_waitcnt vmcnt(2)
	v_cmp_lt_f64_e32 vcc, v[19:20], v[23:24]
	s_andn2_b64 s[34:35], s[34:35], exec
	s_and_b64 s[38:39], vcc, exec
	s_or_b64 s[34:35], s[34:35], s[38:39]
	s_cbranch_execnz .LBB90_157
.LBB90_162:
	s_waitcnt vmcnt(2)
	v_cmp_ge_f64_e32 vcc, v[19:20], v[23:24]
	s_andn2_b64 s[34:35], s[34:35], exec
	s_and_b64 s[36:37], vcc, exec
	s_or_b64 s[34:35], s[34:35], s[36:37]
	s_cmp_lt_i32 s13, 1
	s_mov_b64 s[38:39], 0
	s_cbranch_scc0 .LBB90_158
.LBB90_163:
                                        ; implicit-def: $sgpr36_sgpr37
	s_mov_b64 s[40:41], 0
	s_cbranch_execnz .LBB90_167
	s_branch .LBB90_168
.LBB90_164:
	s_mov_b64 s[40:41], 0
                                        ; implicit-def: $sgpr36_sgpr37
	s_cbranch_execz .LBB90_166
; %bb.165:
	s_waitcnt vmcnt(1)
	v_cmp_gt_f64_e32 vcc, v[9:10], v[13:14]
	s_andn2_b64 s[36:37], s[36:37], exec
	s_and_b64 s[42:43], vcc, exec
	s_or_b64 s[36:37], s[36:37], s[42:43]
.LBB90_166:
	s_branch .LBB90_168
.LBB90_167:
	s_cmp_lg_u32 s13, 0
	s_mov_b64 s[38:39], -1
	s_cselect_b64 s[40:41], -1, 0
.LBB90_168:
	s_andn2_b64 vcc, exec, s[40:41]
	s_cbranch_vccz .LBB90_174
; %bb.169:
	s_andn2_b64 vcc, exec, s[38:39]
	s_cbranch_vccz .LBB90_175
.LBB90_170:
	s_cmp_lt_i32 s13, 1
	s_mov_b64 s[40:41], 0
	s_cbranch_scc1 .LBB90_176
.LBB90_171:
	s_cmp_gt_i32 s13, 1
	s_cbranch_scc0 .LBB90_177
; %bb.172:
	s_cmp_eq_u32 s13, 2
	s_cbranch_scc0 .LBB90_263
; %bb.173:
	s_waitcnt vmcnt(1)
	v_cmp_le_f64_e64 s[38:39], v[11:12], v[15:16]
	s_mov_b64 s[42:43], 0
	s_branch .LBB90_179
.LBB90_174:
	s_waitcnt vmcnt(1)
	v_cmp_lt_f64_e32 vcc, v[9:10], v[13:14]
	s_andn2_b64 s[36:37], s[36:37], exec
	s_and_b64 s[40:41], vcc, exec
	s_or_b64 s[36:37], s[36:37], s[40:41]
	s_cbranch_execnz .LBB90_170
.LBB90_175:
	s_waitcnt vmcnt(1)
	v_cmp_ge_f64_e32 vcc, v[9:10], v[13:14]
	s_andn2_b64 s[36:37], s[36:37], exec
	s_and_b64 s[38:39], vcc, exec
	s_or_b64 s[36:37], s[36:37], s[38:39]
	s_cmp_lt_i32 s13, 1
	s_mov_b64 s[40:41], 0
	s_cbranch_scc0 .LBB90_171
.LBB90_176:
                                        ; implicit-def: $sgpr38_sgpr39
	s_mov_b64 s[42:43], 0
	s_cbranch_execnz .LBB90_180
	s_branch .LBB90_181
.LBB90_177:
	s_mov_b64 s[42:43], 0
                                        ; implicit-def: $sgpr38_sgpr39
	s_cbranch_execz .LBB90_179
; %bb.178:
	s_waitcnt vmcnt(1)
	v_cmp_gt_f64_e32 vcc, v[11:12], v[15:16]
	s_andn2_b64 s[38:39], s[38:39], exec
	s_and_b64 s[44:45], vcc, exec
	s_or_b64 s[38:39], s[38:39], s[44:45]
.LBB90_179:
	s_branch .LBB90_181
.LBB90_180:
	s_cmp_lg_u32 s13, 0
	s_mov_b64 s[40:41], -1
	s_cselect_b64 s[42:43], -1, 0
.LBB90_181:
	s_andn2_b64 vcc, exec, s[42:43]
	s_cbranch_vccz .LBB90_187
; %bb.182:
	s_andn2_b64 vcc, exec, s[40:41]
	s_cbranch_vccz .LBB90_188
.LBB90_183:
	s_cmp_lt_i32 s13, 1
	s_mov_b64 s[42:43], 0
	s_cbranch_scc1 .LBB90_189
.LBB90_184:
	s_cmp_gt_i32 s13, 1
	s_cbranch_scc0 .LBB90_190
; %bb.185:
	s_cmp_eq_u32 s13, 2
	s_cbranch_scc0 .LBB90_264
; %bb.186:
	s_waitcnt vmcnt(0)
	v_cmp_le_f64_e64 s[40:41], v[1:2], v[5:6]
	s_mov_b64 s[44:45], 0
	s_branch .LBB90_192
.LBB90_187:
	s_waitcnt vmcnt(1)
	v_cmp_lt_f64_e32 vcc, v[11:12], v[15:16]
	s_andn2_b64 s[38:39], s[38:39], exec
	s_and_b64 s[42:43], vcc, exec
	s_or_b64 s[38:39], s[38:39], s[42:43]
	s_cbranch_execnz .LBB90_183
.LBB90_188:
	s_waitcnt vmcnt(1)
	v_cmp_ge_f64_e32 vcc, v[11:12], v[15:16]
	s_andn2_b64 s[38:39], s[38:39], exec
	s_and_b64 s[40:41], vcc, exec
	s_or_b64 s[38:39], s[38:39], s[40:41]
	s_cmp_lt_i32 s13, 1
	s_mov_b64 s[42:43], 0
	s_cbranch_scc0 .LBB90_184
.LBB90_189:
                                        ; implicit-def: $sgpr40_sgpr41
	s_mov_b64 s[44:45], 0
	s_cbranch_execnz .LBB90_193
	s_branch .LBB90_194
.LBB90_190:
	s_mov_b64 s[44:45], 0
                                        ; implicit-def: $sgpr40_sgpr41
	s_cbranch_execz .LBB90_192
; %bb.191:
	s_waitcnt vmcnt(0)
	v_cmp_gt_f64_e32 vcc, v[1:2], v[5:6]
	s_andn2_b64 s[40:41], s[40:41], exec
	s_and_b64 s[46:47], vcc, exec
	s_or_b64 s[40:41], s[40:41], s[46:47]
.LBB90_192:
	s_branch .LBB90_194
.LBB90_193:
	s_cmp_lg_u32 s13, 0
	s_mov_b64 s[42:43], -1
	s_cselect_b64 s[44:45], -1, 0
.LBB90_194:
	s_andn2_b64 vcc, exec, s[44:45]
	s_cbranch_vccz .LBB90_200
; %bb.195:
	s_andn2_b64 vcc, exec, s[42:43]
	s_cbranch_vccz .LBB90_201
.LBB90_196:
	s_cmp_lt_i32 s13, 1
	s_mov_b64 s[44:45], 0
	s_cbranch_scc1 .LBB90_202
.LBB90_197:
	s_cmp_gt_i32 s13, 1
	s_cbranch_scc0 .LBB90_203
; %bb.198:
	s_cmp_eq_u32 s13, 2
	s_cbranch_scc0 .LBB90_265
; %bb.199:
	s_waitcnt vmcnt(0)
	v_cmp_le_f64_e64 s[42:43], v[3:4], v[7:8]
	s_mov_b64 s[46:47], 0
	s_branch .LBB90_205
.LBB90_200:
	s_waitcnt vmcnt(0)
	v_cmp_lt_f64_e32 vcc, v[1:2], v[5:6]
	s_andn2_b64 s[40:41], s[40:41], exec
	s_and_b64 s[44:45], vcc, exec
	s_or_b64 s[40:41], s[40:41], s[44:45]
	s_cbranch_execnz .LBB90_196
.LBB90_201:
	s_waitcnt vmcnt(0)
	v_cmp_ge_f64_e32 vcc, v[1:2], v[5:6]
	s_andn2_b64 s[40:41], s[40:41], exec
	s_and_b64 s[42:43], vcc, exec
	s_or_b64 s[40:41], s[40:41], s[42:43]
	s_cmp_lt_i32 s13, 1
	s_mov_b64 s[44:45], 0
	s_cbranch_scc0 .LBB90_197
.LBB90_202:
                                        ; implicit-def: $sgpr42_sgpr43
	s_mov_b64 s[46:47], 0
	s_cbranch_execnz .LBB90_206
	s_branch .LBB90_207
.LBB90_203:
	s_mov_b64 s[46:47], 0
                                        ; implicit-def: $sgpr42_sgpr43
	s_cbranch_execz .LBB90_205
; %bb.204:
	s_waitcnt vmcnt(0)
	v_cmp_gt_f64_e32 vcc, v[3:4], v[7:8]
	s_andn2_b64 s[42:43], s[42:43], exec
	s_and_b64 s[48:49], vcc, exec
	s_or_b64 s[42:43], s[42:43], s[48:49]
.LBB90_205:
	s_branch .LBB90_207
.LBB90_206:
	s_cmp_lg_u32 s13, 0
	s_mov_b64 s[44:45], -1
	s_cselect_b64 s[46:47], -1, 0
.LBB90_207:
	s_andn2_b64 vcc, exec, s[46:47]
	s_cbranch_vccz .LBB90_249
; %bb.208:
	s_andn2_b64 vcc, exec, s[44:45]
	s_cbranch_vccnz .LBB90_210
.LBB90_209:
	s_waitcnt vmcnt(0)
	v_cmp_ge_f64_e32 vcc, v[3:4], v[7:8]
	s_andn2_b64 s[42:43], s[42:43], exec
	s_and_b64 s[44:45], vcc, exec
	s_or_b64 s[42:43], s[42:43], s[44:45]
.LBB90_210:
	s_waitcnt vmcnt(8)
	v_mov_b32_e32 v1, 0x100
	v_cndmask_b32_e64 v2, 0, v1, s[38:39]
	v_cndmask_b32_e64 v3, 0, 1, s[36:37]
	v_or_b32_e32 v2, v2, v3
	v_mov_b32_e32 v3, 0x10000
	s_waitcnt vmcnt(0)
	v_cndmask_b32_e64 v5, 0, v1, s[28:29]
	v_cndmask_b32_e64 v6, 0, 1, s[26:27]
	v_mov_b32_e32 v7, 0x1000000
	v_or_b32_e32 v5, v5, v6
	v_cndmask_b32_e64 v6, 0, v3, s[30:31]
	v_cndmask_b32_e64 v8, 0, v7, s[34:35]
	v_or3_b32 v5, v5, v6, v8
	v_cndmask_b32_e64 v6, 0, v1, s[20:21]
	v_cndmask_b32_e64 v8, 0, 1, s[18:19]
	v_or_b32_e32 v6, v6, v8
	v_cndmask_b32_e64 v8, 0, v3, s[22:23]
	v_cndmask_b32_e64 v9, 0, v7, s[24:25]
	v_or3_b32 v6, v6, v8, v9
	v_cndmask_b32_e64 v1, 0, v1, s[4:5]
	v_cndmask_b32_e64 v8, 0, 1, s[0:1]
	;; [unrolled: 1-line block ×3, first 2 shown]
	v_or_b32_e32 v1, v1, v8
	v_cndmask_b32_e64 v3, 0, v3, s[6:7]
	v_cndmask_b32_e64 v8, 0, v7, s[16:17]
	v_or3_b32 v1, v1, v3, v8
	v_cndmask_b32_e64 v3, 0, v7, s[42:43]
	s_add_u32 s0, s8, s2
	v_or3_b32 v2, v2, v4, v3
	s_addc_u32 s1, s9, s3
	v_lshlrev_b32_e32 v3, 2, v0
	global_store_dword v3, v1, s[0:1]
	global_store_dword v3, v6, s[0:1] offset:1024
	global_store_dword v3, v5, s[0:1] offset:2048
	;; [unrolled: 1-line block ×3, first 2 shown]
	s_mov_b64 s[0:1], 0
.LBB90_211:
	s_and_b64 vcc, exec, s[0:1]
	s_cbranch_vccz .LBB90_519
; %bb.212:
	v_mov_b32_e32 v58, 0
	v_mov_b32_e32 v62, 0
	;; [unrolled: 1-line block ×3, first 2 shown]
	v_cmp_gt_i32_e64 s[0:1], s12, v0
	v_mov_b32_e32 v59, 0
	v_or_b32_e32 v1, s2, v0
	v_mov_b32_e32 v63, 0
	v_mov_b32_e32 v65, 0
	;; [unrolled: 1-line block ×3, first 2 shown]
	s_and_saveexec_b64 s[4:5], s[0:1]
	s_cbranch_execz .LBB90_214
; %bb.213:
	v_mov_b32_e32 v2, 0
	v_lshlrev_b64 v[2:3], 3, v[1:2]
	v_mov_b32_e32 v5, s15
	v_add_co_u32_e32 v4, vcc, s14, v2
	v_addc_co_u32_e32 v5, vcc, v5, v3, vcc
	v_mov_b32_e32 v6, s11
	v_add_co_u32_e32 v2, vcc, s10, v2
	v_addc_co_u32_e32 v3, vcc, v6, v3, vcc
	global_load_dwordx2 v[62:63], v[2:3], off
	global_load_dwordx2 v[64:65], v[4:5], off
	v_or_b32_e32 v66, 0x100, v0
.LBB90_214:
	s_or_b64 exec, exec, s[4:5]
	v_mov_b32_e32 v60, 0
	v_mov_b32_e32 v61, 0
	v_cmp_gt_i32_e32 vcc, s12, v66
	s_and_saveexec_b64 s[4:5], vcc
	s_cbranch_execz .LBB90_216
; %bb.215:
	v_add_u32_e32 v2, s2, v66
	v_mov_b32_e32 v3, 0
	v_lshlrev_b64 v[2:3], 3, v[2:3]
	v_mov_b32_e32 v5, s15
	v_add_co_u32_e32 v4, vcc, s14, v2
	v_addc_co_u32_e32 v5, vcc, v5, v3, vcc
	v_mov_b32_e32 v6, s11
	v_add_co_u32_e32 v2, vcc, s10, v2
	v_addc_co_u32_e32 v3, vcc, v6, v3, vcc
	global_load_dwordx2 v[58:59], v[2:3], off
	global_load_dwordx2 v[60:61], v[4:5], off
	v_add_u32_e32 v66, 0x100, v66
.LBB90_216:
	s_or_b64 exec, exec, s[4:5]
	v_mov_b32_e32 v50, 0
	v_mov_b32_e32 v54, 0
	v_mov_b32_e32 v56, 0
	v_mov_b32_e32 v51, 0
	v_mov_b32_e32 v55, 0
	v_mov_b32_e32 v57, 0
	v_cmp_gt_i32_e32 vcc, s12, v66
	s_and_saveexec_b64 s[4:5], vcc
	s_cbranch_execz .LBB90_218
; %bb.217:
	v_add_u32_e32 v2, s2, v66
	v_mov_b32_e32 v3, 0
	v_lshlrev_b64 v[2:3], 3, v[2:3]
	v_mov_b32_e32 v5, s15
	v_add_co_u32_e32 v4, vcc, s14, v2
	v_addc_co_u32_e32 v5, vcc, v5, v3, vcc
	v_mov_b32_e32 v6, s11
	v_add_co_u32_e32 v2, vcc, s10, v2
	v_addc_co_u32_e32 v3, vcc, v6, v3, vcc
	global_load_dwordx2 v[54:55], v[2:3], off
	global_load_dwordx2 v[56:57], v[4:5], off
	v_add_u32_e32 v66, 0x100, v66
.LBB90_218:
	s_or_b64 exec, exec, s[4:5]
	v_mov_b32_e32 v52, 0
	v_mov_b32_e32 v53, 0
	v_cmp_gt_i32_e32 vcc, s12, v66
	s_and_saveexec_b64 s[4:5], vcc
	s_cbranch_execz .LBB90_220
; %bb.219:
	v_add_u32_e32 v2, s2, v66
	v_mov_b32_e32 v3, 0
	v_lshlrev_b64 v[2:3], 3, v[2:3]
	v_mov_b32_e32 v5, s15
	v_add_co_u32_e32 v4, vcc, s14, v2
	v_addc_co_u32_e32 v5, vcc, v5, v3, vcc
	v_mov_b32_e32 v6, s11
	v_add_co_u32_e32 v2, vcc, s10, v2
	v_addc_co_u32_e32 v3, vcc, v6, v3, vcc
	global_load_dwordx2 v[50:51], v[2:3], off
	global_load_dwordx2 v[52:53], v[4:5], off
	v_add_u32_e32 v66, 0x100, v66
.LBB90_220:
	s_or_b64 exec, exec, s[4:5]
	v_mov_b32_e32 v42, 0
	v_mov_b32_e32 v46, 0
	v_mov_b32_e32 v48, 0
	v_mov_b32_e32 v43, 0
	v_mov_b32_e32 v47, 0
	v_mov_b32_e32 v49, 0
	v_cmp_gt_i32_e32 vcc, s12, v66
	s_and_saveexec_b64 s[4:5], vcc
	s_cbranch_execz .LBB90_222
; %bb.221:
	v_add_u32_e32 v2, s2, v66
	v_mov_b32_e32 v3, 0
	v_lshlrev_b64 v[2:3], 3, v[2:3]
	v_mov_b32_e32 v5, s15
	v_add_co_u32_e32 v4, vcc, s14, v2
	v_addc_co_u32_e32 v5, vcc, v5, v3, vcc
	v_mov_b32_e32 v6, s11
	v_add_co_u32_e32 v2, vcc, s10, v2
	v_addc_co_u32_e32 v3, vcc, v6, v3, vcc
	global_load_dwordx2 v[46:47], v[2:3], off
	global_load_dwordx2 v[48:49], v[4:5], off
	v_add_u32_e32 v66, 0x100, v66
.LBB90_222:
	;; [unrolled: 44-line block ×7, first 2 shown]
	s_or_b64 exec, exec, s[4:5]
	v_mov_b32_e32 v4, 0
	v_mov_b32_e32 v5, 0
	v_cmp_gt_i32_e32 vcc, s12, v66
	s_and_saveexec_b64 s[4:5], vcc
	s_cbranch_execz .LBB90_244
; %bb.243:
	v_add_u32_e32 v2, s2, v66
	v_mov_b32_e32 v3, 0
	v_lshlrev_b64 v[2:3], 3, v[2:3]
	v_mov_b32_e32 v4, s15
	v_add_co_u32_e32 v66, vcc, s14, v2
	v_addc_co_u32_e32 v67, vcc, v4, v3, vcc
	v_mov_b32_e32 v4, s11
	v_add_co_u32_e32 v68, vcc, s10, v2
	v_addc_co_u32_e32 v69, vcc, v4, v3, vcc
	global_load_dwordx2 v[2:3], v[68:69], off
	global_load_dwordx2 v[4:5], v[66:67], off
.LBB90_244:
	s_or_b64 exec, exec, s[4:5]
                                        ; implicit-def: $vgpr66
	s_and_saveexec_b64 s[4:5], s[0:1]
	s_cbranch_execz .LBB90_276
; %bb.245:
	s_cmp_lt_i32 s13, 1
	s_mov_b64 s[6:7], 0
	s_cbranch_scc1 .LBB90_250
; %bb.246:
	s_cmp_gt_i32 s13, 1
	s_cbranch_scc0 .LBB90_266
; %bb.247:
	s_cmp_eq_u32 s13, 2
	s_cbranch_scc0 .LBB90_267
; %bb.248:
	s_waitcnt vmcnt(0)
	v_cmp_le_f64_e64 s[10:11], v[62:63], v[64:65]
	s_mov_b64 s[14:15], 0
	s_branch .LBB90_268
.LBB90_249:
	s_waitcnt vmcnt(0)
	v_cmp_lt_f64_e32 vcc, v[3:4], v[7:8]
	s_andn2_b64 s[42:43], s[42:43], exec
	s_and_b64 s[46:47], vcc, exec
	s_or_b64 s[42:43], s[42:43], s[46:47]
	s_cbranch_execz .LBB90_209
	s_branch .LBB90_210
.LBB90_250:
                                        ; implicit-def: $sgpr10_sgpr11
	s_mov_b64 s[14:15], 0
	s_cbranch_execnz .LBB90_271
	s_branch .LBB90_272
.LBB90_251:
	s_mov_b64 s[16:17], -1
                                        ; implicit-def: $sgpr4_sgpr5
	s_branch .LBB90_23
.LBB90_252:
	s_mov_b64 s[18:19], -1
                                        ; implicit-def: $sgpr6_sgpr7
	s_branch .LBB90_36
.LBB90_253:
	s_mov_b64 s[20:21], -1
                                        ; implicit-def: $sgpr16_sgpr17
	s_branch .LBB90_49
.LBB90_254:
	s_mov_b64 s[22:23], -1
                                        ; implicit-def: $sgpr18_sgpr19
	s_branch .LBB90_62
.LBB90_255:
	s_mov_b64 s[24:25], -1
                                        ; implicit-def: $sgpr20_sgpr21
	s_branch .LBB90_75
.LBB90_256:
	s_mov_b64 s[26:27], -1
                                        ; implicit-def: $sgpr22_sgpr23
	s_branch .LBB90_88
.LBB90_257:
	s_mov_b64 s[28:29], -1
                                        ; implicit-def: $sgpr24_sgpr25
	s_branch .LBB90_101
.LBB90_258:
	s_mov_b64 s[30:31], -1
                                        ; implicit-def: $sgpr26_sgpr27
	s_branch .LBB90_114
.LBB90_259:
	s_mov_b64 s[34:35], -1
                                        ; implicit-def: $sgpr28_sgpr29
	s_branch .LBB90_127
.LBB90_260:
	s_mov_b64 s[36:37], -1
                                        ; implicit-def: $sgpr30_sgpr31
	s_branch .LBB90_140
.LBB90_261:
	s_mov_b64 s[38:39], -1
                                        ; implicit-def: $sgpr34_sgpr35
	s_branch .LBB90_153
.LBB90_262:
	s_mov_b64 s[40:41], -1
                                        ; implicit-def: $sgpr36_sgpr37
	s_branch .LBB90_166
.LBB90_263:
	s_mov_b64 s[42:43], -1
                                        ; implicit-def: $sgpr38_sgpr39
	s_branch .LBB90_179
.LBB90_264:
	s_mov_b64 s[44:45], -1
                                        ; implicit-def: $sgpr40_sgpr41
	s_branch .LBB90_192
.LBB90_265:
	s_mov_b64 s[46:47], -1
                                        ; implicit-def: $sgpr42_sgpr43
	s_branch .LBB90_205
.LBB90_266:
	s_mov_b64 s[14:15], 0
                                        ; implicit-def: $sgpr10_sgpr11
	s_cbranch_execnz .LBB90_269
	s_branch .LBB90_270
.LBB90_267:
	s_mov_b64 s[14:15], -1
                                        ; implicit-def: $sgpr10_sgpr11
.LBB90_268:
	s_branch .LBB90_270
.LBB90_269:
	s_waitcnt vmcnt(0)
	v_cmp_gt_f64_e32 vcc, v[62:63], v[64:65]
	s_andn2_b64 s[10:11], s[10:11], exec
	s_and_b64 s[16:17], vcc, exec
	s_or_b64 s[10:11], s[10:11], s[16:17]
.LBB90_270:
	s_branch .LBB90_272
.LBB90_271:
	s_cmp_lg_u32 s13, 0
	s_mov_b64 s[6:7], -1
	s_cselect_b64 s[14:15], -1, 0
.LBB90_272:
	s_andn2_b64 vcc, exec, s[14:15]
	s_cbranch_vccz .LBB90_281
; %bb.273:
	s_andn2_b64 vcc, exec, s[6:7]
	s_cbranch_vccnz .LBB90_275
.LBB90_274:
	s_waitcnt vmcnt(0)
	v_cmp_ge_f64_e32 vcc, v[62:63], v[64:65]
	s_andn2_b64 s[6:7], s[10:11], exec
	s_and_b64 s[10:11], vcc, exec
	s_or_b64 s[10:11], s[6:7], s[10:11]
.LBB90_275:
	v_cndmask_b32_e64 v66, 0, 1, s[10:11]
.LBB90_276:
	s_or_b64 exec, exec, s[4:5]
	s_waitcnt vmcnt(1)
	v_or_b32_e32 v62, 0x100, v0
	v_cmp_gt_i32_e32 vcc, s12, v62
                                        ; implicit-def: $vgpr63
	s_and_saveexec_b64 s[4:5], vcc
	s_cbranch_execz .LBB90_291
; %bb.277:
	s_cmp_lt_i32 s13, 1
	s_mov_b64 s[6:7], 0
	s_cbranch_scc1 .LBB90_282
; %bb.278:
	s_cmp_gt_i32 s13, 1
	s_cbranch_scc0 .LBB90_283
; %bb.279:
	s_cmp_eq_u32 s13, 2
	s_cbranch_scc0 .LBB90_535
; %bb.280:
	s_waitcnt vmcnt(0)
	v_cmp_le_f64_e64 s[10:11], v[58:59], v[60:61]
	s_mov_b64 s[14:15], 0
	s_branch .LBB90_285
.LBB90_281:
	s_waitcnt vmcnt(0)
	v_cmp_lt_f64_e32 vcc, v[62:63], v[64:65]
	s_andn2_b64 s[10:11], s[10:11], exec
	s_and_b64 s[14:15], vcc, exec
	s_or_b64 s[10:11], s[10:11], s[14:15]
	s_cbranch_execz .LBB90_274
	s_branch .LBB90_275
.LBB90_282:
                                        ; implicit-def: $sgpr10_sgpr11
	s_mov_b64 s[14:15], 0
	s_cbranch_execnz .LBB90_286
	s_branch .LBB90_287
.LBB90_283:
	s_mov_b64 s[14:15], 0
                                        ; implicit-def: $sgpr10_sgpr11
	s_cbranch_execz .LBB90_285
; %bb.284:
	s_waitcnt vmcnt(0)
	v_cmp_gt_f64_e32 vcc, v[58:59], v[60:61]
	s_andn2_b64 s[10:11], s[10:11], exec
	s_and_b64 s[16:17], vcc, exec
	s_or_b64 s[10:11], s[10:11], s[16:17]
.LBB90_285:
	s_branch .LBB90_287
.LBB90_286:
	s_cmp_lg_u32 s13, 0
	s_mov_b64 s[6:7], -1
	s_cselect_b64 s[14:15], -1, 0
.LBB90_287:
	s_andn2_b64 vcc, exec, s[14:15]
	s_cbranch_vccz .LBB90_296
; %bb.288:
	s_andn2_b64 vcc, exec, s[6:7]
	s_cbranch_vccnz .LBB90_290
.LBB90_289:
	s_waitcnt vmcnt(0)
	v_cmp_ge_f64_e32 vcc, v[58:59], v[60:61]
	s_andn2_b64 s[6:7], s[10:11], exec
	s_and_b64 s[10:11], vcc, exec
	s_or_b64 s[10:11], s[6:7], s[10:11]
.LBB90_290:
	v_cndmask_b32_e64 v63, 0, 1, s[10:11]
.LBB90_291:
	s_or_b64 exec, exec, s[4:5]
	v_or_b32_e32 v58, 0x200, v0
	v_cmp_gt_i32_e32 vcc, s12, v58
                                        ; implicit-def: $vgpr58
	s_and_saveexec_b64 s[4:5], vcc
	s_cbranch_execz .LBB90_306
; %bb.292:
	s_cmp_lt_i32 s13, 1
	s_mov_b64 s[6:7], 0
	s_cbranch_scc1 .LBB90_297
; %bb.293:
	s_cmp_gt_i32 s13, 1
	s_cbranch_scc0 .LBB90_298
; %bb.294:
	s_cmp_eq_u32 s13, 2
	s_cbranch_scc0 .LBB90_536
; %bb.295:
	s_waitcnt vmcnt(0)
	v_cmp_le_f64_e64 s[10:11], v[54:55], v[56:57]
	s_mov_b64 s[14:15], 0
	s_branch .LBB90_300
.LBB90_296:
	s_waitcnt vmcnt(0)
	v_cmp_lt_f64_e32 vcc, v[58:59], v[60:61]
	s_andn2_b64 s[10:11], s[10:11], exec
	s_and_b64 s[14:15], vcc, exec
	s_or_b64 s[10:11], s[10:11], s[14:15]
	s_cbranch_execz .LBB90_289
	s_branch .LBB90_290
.LBB90_297:
                                        ; implicit-def: $sgpr10_sgpr11
	s_mov_b64 s[14:15], 0
	s_cbranch_execnz .LBB90_301
	s_branch .LBB90_302
.LBB90_298:
	s_mov_b64 s[14:15], 0
                                        ; implicit-def: $sgpr10_sgpr11
	s_cbranch_execz .LBB90_300
; %bb.299:
	s_waitcnt vmcnt(0)
	v_cmp_gt_f64_e32 vcc, v[54:55], v[56:57]
	s_andn2_b64 s[10:11], s[10:11], exec
	s_and_b64 s[16:17], vcc, exec
	s_or_b64 s[10:11], s[10:11], s[16:17]
.LBB90_300:
	s_branch .LBB90_302
.LBB90_301:
	s_cmp_lg_u32 s13, 0
	s_mov_b64 s[6:7], -1
	s_cselect_b64 s[14:15], -1, 0
.LBB90_302:
	s_andn2_b64 vcc, exec, s[14:15]
	s_cbranch_vccz .LBB90_311
; %bb.303:
	s_andn2_b64 vcc, exec, s[6:7]
	s_cbranch_vccnz .LBB90_305
.LBB90_304:
	s_waitcnt vmcnt(0)
	v_cmp_ge_f64_e32 vcc, v[54:55], v[56:57]
	s_andn2_b64 s[6:7], s[10:11], exec
	s_and_b64 s[10:11], vcc, exec
	s_or_b64 s[10:11], s[6:7], s[10:11]
.LBB90_305:
	v_cndmask_b32_e64 v58, 0, 1, s[10:11]
.LBB90_306:
	s_or_b64 exec, exec, s[4:5]
	v_or_b32_e32 v54, 0x300, v0
	v_cmp_gt_i32_e32 vcc, s12, v54
                                        ; implicit-def: $vgpr54
	s_and_saveexec_b64 s[4:5], vcc
	s_cbranch_execz .LBB90_321
; %bb.307:
	s_cmp_lt_i32 s13, 1
	s_mov_b64 s[6:7], 0
	s_cbranch_scc1 .LBB90_312
; %bb.308:
	s_cmp_gt_i32 s13, 1
	s_cbranch_scc0 .LBB90_313
; %bb.309:
	s_cmp_eq_u32 s13, 2
	s_cbranch_scc0 .LBB90_537
; %bb.310:
	s_waitcnt vmcnt(0)
	v_cmp_le_f64_e64 s[10:11], v[50:51], v[52:53]
	s_mov_b64 s[14:15], 0
	s_branch .LBB90_315
.LBB90_311:
	s_waitcnt vmcnt(0)
	v_cmp_lt_f64_e32 vcc, v[54:55], v[56:57]
	s_andn2_b64 s[10:11], s[10:11], exec
	s_and_b64 s[14:15], vcc, exec
	s_or_b64 s[10:11], s[10:11], s[14:15]
	s_cbranch_execz .LBB90_304
	s_branch .LBB90_305
.LBB90_312:
                                        ; implicit-def: $sgpr10_sgpr11
	s_mov_b64 s[14:15], 0
	s_cbranch_execnz .LBB90_316
	s_branch .LBB90_317
.LBB90_313:
	s_mov_b64 s[14:15], 0
                                        ; implicit-def: $sgpr10_sgpr11
	s_cbranch_execz .LBB90_315
; %bb.314:
	s_waitcnt vmcnt(0)
	v_cmp_gt_f64_e32 vcc, v[50:51], v[52:53]
	s_andn2_b64 s[10:11], s[10:11], exec
	s_and_b64 s[16:17], vcc, exec
	s_or_b64 s[10:11], s[10:11], s[16:17]
.LBB90_315:
	s_branch .LBB90_317
.LBB90_316:
	s_cmp_lg_u32 s13, 0
	s_mov_b64 s[6:7], -1
	s_cselect_b64 s[14:15], -1, 0
.LBB90_317:
	s_andn2_b64 vcc, exec, s[14:15]
	s_cbranch_vccz .LBB90_326
; %bb.318:
	s_andn2_b64 vcc, exec, s[6:7]
	s_cbranch_vccnz .LBB90_320
.LBB90_319:
	s_waitcnt vmcnt(0)
	v_cmp_ge_f64_e32 vcc, v[50:51], v[52:53]
	s_andn2_b64 s[6:7], s[10:11], exec
	s_and_b64 s[10:11], vcc, exec
	s_or_b64 s[10:11], s[6:7], s[10:11]
.LBB90_320:
	v_cndmask_b32_e64 v54, 0, 1, s[10:11]
.LBB90_321:
	s_or_b64 exec, exec, s[4:5]
	v_or_b32_e32 v50, 0x400, v0
	v_cmp_gt_i32_e32 vcc, s12, v50
                                        ; implicit-def: $vgpr50
	s_and_saveexec_b64 s[4:5], vcc
	s_cbranch_execz .LBB90_336
; %bb.322:
	s_cmp_lt_i32 s13, 1
	s_mov_b64 s[6:7], 0
	s_cbranch_scc1 .LBB90_327
; %bb.323:
	s_cmp_gt_i32 s13, 1
	s_cbranch_scc0 .LBB90_328
; %bb.324:
	s_cmp_eq_u32 s13, 2
	s_cbranch_scc0 .LBB90_538
; %bb.325:
	s_waitcnt vmcnt(0)
	v_cmp_le_f64_e64 s[10:11], v[46:47], v[48:49]
	s_mov_b64 s[14:15], 0
	s_branch .LBB90_330
.LBB90_326:
	s_waitcnt vmcnt(0)
	v_cmp_lt_f64_e32 vcc, v[50:51], v[52:53]
	s_andn2_b64 s[10:11], s[10:11], exec
	s_and_b64 s[14:15], vcc, exec
	s_or_b64 s[10:11], s[10:11], s[14:15]
	s_cbranch_execz .LBB90_319
	s_branch .LBB90_320
.LBB90_327:
                                        ; implicit-def: $sgpr10_sgpr11
	s_mov_b64 s[14:15], 0
	s_cbranch_execnz .LBB90_331
	s_branch .LBB90_332
.LBB90_328:
	s_mov_b64 s[14:15], 0
                                        ; implicit-def: $sgpr10_sgpr11
	s_cbranch_execz .LBB90_330
; %bb.329:
	s_waitcnt vmcnt(0)
	v_cmp_gt_f64_e32 vcc, v[46:47], v[48:49]
	s_andn2_b64 s[10:11], s[10:11], exec
	s_and_b64 s[16:17], vcc, exec
	s_or_b64 s[10:11], s[10:11], s[16:17]
.LBB90_330:
	s_branch .LBB90_332
.LBB90_331:
	s_cmp_lg_u32 s13, 0
	s_mov_b64 s[6:7], -1
	s_cselect_b64 s[14:15], -1, 0
.LBB90_332:
	s_andn2_b64 vcc, exec, s[14:15]
	s_cbranch_vccz .LBB90_341
; %bb.333:
	s_andn2_b64 vcc, exec, s[6:7]
	s_cbranch_vccnz .LBB90_335
.LBB90_334:
	s_waitcnt vmcnt(0)
	v_cmp_ge_f64_e32 vcc, v[46:47], v[48:49]
	s_andn2_b64 s[6:7], s[10:11], exec
	s_and_b64 s[10:11], vcc, exec
	s_or_b64 s[10:11], s[6:7], s[10:11]
.LBB90_335:
	v_cndmask_b32_e64 v50, 0, 1, s[10:11]
.LBB90_336:
	s_or_b64 exec, exec, s[4:5]
	v_or_b32_e32 v46, 0x500, v0
	v_cmp_gt_i32_e32 vcc, s12, v46
                                        ; implicit-def: $vgpr46
	s_and_saveexec_b64 s[4:5], vcc
	s_cbranch_execz .LBB90_351
; %bb.337:
	s_cmp_lt_i32 s13, 1
	s_mov_b64 s[6:7], 0
	s_cbranch_scc1 .LBB90_342
; %bb.338:
	s_cmp_gt_i32 s13, 1
	s_cbranch_scc0 .LBB90_343
; %bb.339:
	s_cmp_eq_u32 s13, 2
	s_cbranch_scc0 .LBB90_539
; %bb.340:
	s_waitcnt vmcnt(0)
	v_cmp_le_f64_e64 s[10:11], v[42:43], v[44:45]
	s_mov_b64 s[14:15], 0
	s_branch .LBB90_345
.LBB90_341:
	s_waitcnt vmcnt(0)
	v_cmp_lt_f64_e32 vcc, v[46:47], v[48:49]
	s_andn2_b64 s[10:11], s[10:11], exec
	s_and_b64 s[14:15], vcc, exec
	s_or_b64 s[10:11], s[10:11], s[14:15]
	s_cbranch_execz .LBB90_334
	s_branch .LBB90_335
.LBB90_342:
                                        ; implicit-def: $sgpr10_sgpr11
	s_mov_b64 s[14:15], 0
	s_cbranch_execnz .LBB90_346
	s_branch .LBB90_347
.LBB90_343:
	s_mov_b64 s[14:15], 0
                                        ; implicit-def: $sgpr10_sgpr11
	s_cbranch_execz .LBB90_345
; %bb.344:
	s_waitcnt vmcnt(0)
	v_cmp_gt_f64_e32 vcc, v[42:43], v[44:45]
	s_andn2_b64 s[10:11], s[10:11], exec
	s_and_b64 s[16:17], vcc, exec
	s_or_b64 s[10:11], s[10:11], s[16:17]
.LBB90_345:
	s_branch .LBB90_347
.LBB90_346:
	s_cmp_lg_u32 s13, 0
	s_mov_b64 s[6:7], -1
	s_cselect_b64 s[14:15], -1, 0
.LBB90_347:
	s_andn2_b64 vcc, exec, s[14:15]
	s_cbranch_vccz .LBB90_356
; %bb.348:
	s_andn2_b64 vcc, exec, s[6:7]
	s_cbranch_vccnz .LBB90_350
.LBB90_349:
	s_waitcnt vmcnt(0)
	v_cmp_ge_f64_e32 vcc, v[42:43], v[44:45]
	s_andn2_b64 s[6:7], s[10:11], exec
	s_and_b64 s[10:11], vcc, exec
	s_or_b64 s[10:11], s[6:7], s[10:11]
.LBB90_350:
	v_cndmask_b32_e64 v46, 0, 1, s[10:11]
.LBB90_351:
	s_or_b64 exec, exec, s[4:5]
	v_or_b32_e32 v42, 0x600, v0
	v_cmp_gt_i32_e32 vcc, s12, v42
                                        ; implicit-def: $vgpr42
	s_and_saveexec_b64 s[4:5], vcc
	s_cbranch_execz .LBB90_366
; %bb.352:
	s_cmp_lt_i32 s13, 1
	s_mov_b64 s[6:7], 0
	s_cbranch_scc1 .LBB90_357
; %bb.353:
	s_cmp_gt_i32 s13, 1
	s_cbranch_scc0 .LBB90_358
; %bb.354:
	s_cmp_eq_u32 s13, 2
	s_cbranch_scc0 .LBB90_540
; %bb.355:
	s_waitcnt vmcnt(0)
	v_cmp_le_f64_e64 s[10:11], v[38:39], v[40:41]
	s_mov_b64 s[14:15], 0
	s_branch .LBB90_360
.LBB90_356:
	s_waitcnt vmcnt(0)
	v_cmp_lt_f64_e32 vcc, v[42:43], v[44:45]
	s_andn2_b64 s[10:11], s[10:11], exec
	s_and_b64 s[14:15], vcc, exec
	s_or_b64 s[10:11], s[10:11], s[14:15]
	s_cbranch_execz .LBB90_349
	s_branch .LBB90_350
.LBB90_357:
                                        ; implicit-def: $sgpr10_sgpr11
	s_mov_b64 s[14:15], 0
	s_cbranch_execnz .LBB90_361
	s_branch .LBB90_362
.LBB90_358:
	s_mov_b64 s[14:15], 0
                                        ; implicit-def: $sgpr10_sgpr11
	s_cbranch_execz .LBB90_360
; %bb.359:
	s_waitcnt vmcnt(0)
	v_cmp_gt_f64_e32 vcc, v[38:39], v[40:41]
	s_andn2_b64 s[10:11], s[10:11], exec
	s_and_b64 s[16:17], vcc, exec
	s_or_b64 s[10:11], s[10:11], s[16:17]
.LBB90_360:
	s_branch .LBB90_362
.LBB90_361:
	s_cmp_lg_u32 s13, 0
	s_mov_b64 s[6:7], -1
	s_cselect_b64 s[14:15], -1, 0
.LBB90_362:
	s_andn2_b64 vcc, exec, s[14:15]
	s_cbranch_vccz .LBB90_371
; %bb.363:
	s_andn2_b64 vcc, exec, s[6:7]
	s_cbranch_vccnz .LBB90_365
.LBB90_364:
	s_waitcnt vmcnt(0)
	v_cmp_ge_f64_e32 vcc, v[38:39], v[40:41]
	s_andn2_b64 s[6:7], s[10:11], exec
	s_and_b64 s[10:11], vcc, exec
	s_or_b64 s[10:11], s[6:7], s[10:11]
.LBB90_365:
	v_cndmask_b32_e64 v42, 0, 1, s[10:11]
.LBB90_366:
	s_or_b64 exec, exec, s[4:5]
	v_or_b32_e32 v38, 0x700, v0
	v_cmp_gt_i32_e32 vcc, s12, v38
                                        ; implicit-def: $vgpr38
	s_and_saveexec_b64 s[4:5], vcc
	s_cbranch_execz .LBB90_381
; %bb.367:
	s_cmp_lt_i32 s13, 1
	s_mov_b64 s[6:7], 0
	s_cbranch_scc1 .LBB90_372
; %bb.368:
	s_cmp_gt_i32 s13, 1
	s_cbranch_scc0 .LBB90_373
; %bb.369:
	s_cmp_eq_u32 s13, 2
	s_cbranch_scc0 .LBB90_541
; %bb.370:
	s_waitcnt vmcnt(0)
	v_cmp_le_f64_e64 s[10:11], v[34:35], v[36:37]
	s_mov_b64 s[14:15], 0
	s_branch .LBB90_375
.LBB90_371:
	s_waitcnt vmcnt(0)
	v_cmp_lt_f64_e32 vcc, v[38:39], v[40:41]
	s_andn2_b64 s[10:11], s[10:11], exec
	s_and_b64 s[14:15], vcc, exec
	s_or_b64 s[10:11], s[10:11], s[14:15]
	s_cbranch_execz .LBB90_364
	s_branch .LBB90_365
.LBB90_372:
                                        ; implicit-def: $sgpr10_sgpr11
	s_mov_b64 s[14:15], 0
	s_cbranch_execnz .LBB90_376
	s_branch .LBB90_377
.LBB90_373:
	s_mov_b64 s[14:15], 0
                                        ; implicit-def: $sgpr10_sgpr11
	s_cbranch_execz .LBB90_375
; %bb.374:
	s_waitcnt vmcnt(0)
	v_cmp_gt_f64_e32 vcc, v[34:35], v[36:37]
	s_andn2_b64 s[10:11], s[10:11], exec
	s_and_b64 s[16:17], vcc, exec
	s_or_b64 s[10:11], s[10:11], s[16:17]
.LBB90_375:
	s_branch .LBB90_377
.LBB90_376:
	s_cmp_lg_u32 s13, 0
	s_mov_b64 s[6:7], -1
	s_cselect_b64 s[14:15], -1, 0
.LBB90_377:
	s_andn2_b64 vcc, exec, s[14:15]
	s_cbranch_vccz .LBB90_386
; %bb.378:
	s_andn2_b64 vcc, exec, s[6:7]
	s_cbranch_vccnz .LBB90_380
.LBB90_379:
	s_waitcnt vmcnt(0)
	v_cmp_ge_f64_e32 vcc, v[34:35], v[36:37]
	s_andn2_b64 s[6:7], s[10:11], exec
	s_and_b64 s[10:11], vcc, exec
	s_or_b64 s[10:11], s[6:7], s[10:11]
.LBB90_380:
	v_cndmask_b32_e64 v38, 0, 1, s[10:11]
.LBB90_381:
	s_or_b64 exec, exec, s[4:5]
	v_or_b32_e32 v34, 0x800, v0
	v_cmp_gt_i32_e32 vcc, s12, v34
                                        ; implicit-def: $vgpr34
	s_and_saveexec_b64 s[4:5], vcc
	s_cbranch_execz .LBB90_396
; %bb.382:
	s_cmp_lt_i32 s13, 1
	s_mov_b64 s[6:7], 0
	s_cbranch_scc1 .LBB90_387
; %bb.383:
	s_cmp_gt_i32 s13, 1
	s_cbranch_scc0 .LBB90_388
; %bb.384:
	s_cmp_eq_u32 s13, 2
	s_cbranch_scc0 .LBB90_542
; %bb.385:
	s_waitcnt vmcnt(0)
	v_cmp_le_f64_e64 s[10:11], v[30:31], v[32:33]
	s_mov_b64 s[14:15], 0
	s_branch .LBB90_390
.LBB90_386:
	s_waitcnt vmcnt(0)
	v_cmp_lt_f64_e32 vcc, v[34:35], v[36:37]
	s_andn2_b64 s[10:11], s[10:11], exec
	s_and_b64 s[14:15], vcc, exec
	s_or_b64 s[10:11], s[10:11], s[14:15]
	s_cbranch_execz .LBB90_379
	s_branch .LBB90_380
.LBB90_387:
                                        ; implicit-def: $sgpr10_sgpr11
	s_mov_b64 s[14:15], 0
	s_cbranch_execnz .LBB90_391
	s_branch .LBB90_392
.LBB90_388:
	s_mov_b64 s[14:15], 0
                                        ; implicit-def: $sgpr10_sgpr11
	s_cbranch_execz .LBB90_390
; %bb.389:
	s_waitcnt vmcnt(0)
	v_cmp_gt_f64_e32 vcc, v[30:31], v[32:33]
	s_andn2_b64 s[10:11], s[10:11], exec
	s_and_b64 s[16:17], vcc, exec
	s_or_b64 s[10:11], s[10:11], s[16:17]
.LBB90_390:
	s_branch .LBB90_392
.LBB90_391:
	s_cmp_lg_u32 s13, 0
	s_mov_b64 s[6:7], -1
	s_cselect_b64 s[14:15], -1, 0
.LBB90_392:
	s_andn2_b64 vcc, exec, s[14:15]
	s_cbranch_vccz .LBB90_401
; %bb.393:
	s_andn2_b64 vcc, exec, s[6:7]
	s_cbranch_vccnz .LBB90_395
.LBB90_394:
	s_waitcnt vmcnt(0)
	v_cmp_ge_f64_e32 vcc, v[30:31], v[32:33]
	s_andn2_b64 s[6:7], s[10:11], exec
	s_and_b64 s[10:11], vcc, exec
	s_or_b64 s[10:11], s[6:7], s[10:11]
.LBB90_395:
	v_cndmask_b32_e64 v34, 0, 1, s[10:11]
.LBB90_396:
	s_or_b64 exec, exec, s[4:5]
	v_or_b32_e32 v30, 0x900, v0
	v_cmp_gt_i32_e32 vcc, s12, v30
                                        ; implicit-def: $vgpr30
	s_and_saveexec_b64 s[4:5], vcc
	s_cbranch_execz .LBB90_411
; %bb.397:
	s_cmp_lt_i32 s13, 1
	s_mov_b64 s[6:7], 0
	s_cbranch_scc1 .LBB90_402
; %bb.398:
	s_cmp_gt_i32 s13, 1
	s_cbranch_scc0 .LBB90_403
; %bb.399:
	s_cmp_eq_u32 s13, 2
	s_cbranch_scc0 .LBB90_543
; %bb.400:
	s_waitcnt vmcnt(0)
	v_cmp_le_f64_e64 s[10:11], v[26:27], v[28:29]
	s_mov_b64 s[14:15], 0
	s_branch .LBB90_405
.LBB90_401:
	s_waitcnt vmcnt(0)
	v_cmp_lt_f64_e32 vcc, v[30:31], v[32:33]
	s_andn2_b64 s[10:11], s[10:11], exec
	s_and_b64 s[14:15], vcc, exec
	s_or_b64 s[10:11], s[10:11], s[14:15]
	s_cbranch_execz .LBB90_394
	s_branch .LBB90_395
.LBB90_402:
                                        ; implicit-def: $sgpr10_sgpr11
	s_mov_b64 s[14:15], 0
	s_cbranch_execnz .LBB90_406
	s_branch .LBB90_407
.LBB90_403:
	s_mov_b64 s[14:15], 0
                                        ; implicit-def: $sgpr10_sgpr11
	s_cbranch_execz .LBB90_405
; %bb.404:
	s_waitcnt vmcnt(0)
	v_cmp_gt_f64_e32 vcc, v[26:27], v[28:29]
	s_andn2_b64 s[10:11], s[10:11], exec
	s_and_b64 s[16:17], vcc, exec
	s_or_b64 s[10:11], s[10:11], s[16:17]
.LBB90_405:
	s_branch .LBB90_407
.LBB90_406:
	s_cmp_lg_u32 s13, 0
	s_mov_b64 s[6:7], -1
	s_cselect_b64 s[14:15], -1, 0
.LBB90_407:
	s_andn2_b64 vcc, exec, s[14:15]
	s_cbranch_vccz .LBB90_416
; %bb.408:
	s_andn2_b64 vcc, exec, s[6:7]
	s_cbranch_vccnz .LBB90_410
.LBB90_409:
	s_waitcnt vmcnt(0)
	v_cmp_ge_f64_e32 vcc, v[26:27], v[28:29]
	s_andn2_b64 s[6:7], s[10:11], exec
	s_and_b64 s[10:11], vcc, exec
	s_or_b64 s[10:11], s[6:7], s[10:11]
.LBB90_410:
	v_cndmask_b32_e64 v30, 0, 1, s[10:11]
.LBB90_411:
	s_or_b64 exec, exec, s[4:5]
	v_or_b32_e32 v26, 0xa00, v0
	v_cmp_gt_i32_e32 vcc, s12, v26
                                        ; implicit-def: $vgpr26
	s_and_saveexec_b64 s[4:5], vcc
	s_cbranch_execz .LBB90_426
; %bb.412:
	s_cmp_lt_i32 s13, 1
	s_mov_b64 s[6:7], 0
	s_cbranch_scc1 .LBB90_417
; %bb.413:
	s_cmp_gt_i32 s13, 1
	s_cbranch_scc0 .LBB90_418
; %bb.414:
	s_cmp_eq_u32 s13, 2
	s_cbranch_scc0 .LBB90_544
; %bb.415:
	s_waitcnt vmcnt(0)
	v_cmp_le_f64_e64 s[10:11], v[22:23], v[24:25]
	s_mov_b64 s[14:15], 0
	s_branch .LBB90_420
.LBB90_416:
	s_waitcnt vmcnt(0)
	v_cmp_lt_f64_e32 vcc, v[26:27], v[28:29]
	s_andn2_b64 s[10:11], s[10:11], exec
	s_and_b64 s[14:15], vcc, exec
	s_or_b64 s[10:11], s[10:11], s[14:15]
	s_cbranch_execz .LBB90_409
	s_branch .LBB90_410
.LBB90_417:
                                        ; implicit-def: $sgpr10_sgpr11
	s_mov_b64 s[14:15], 0
	s_cbranch_execnz .LBB90_421
	s_branch .LBB90_422
.LBB90_418:
	s_mov_b64 s[14:15], 0
                                        ; implicit-def: $sgpr10_sgpr11
	s_cbranch_execz .LBB90_420
; %bb.419:
	s_waitcnt vmcnt(0)
	v_cmp_gt_f64_e32 vcc, v[22:23], v[24:25]
	s_andn2_b64 s[10:11], s[10:11], exec
	s_and_b64 s[16:17], vcc, exec
	s_or_b64 s[10:11], s[10:11], s[16:17]
.LBB90_420:
	s_branch .LBB90_422
.LBB90_421:
	s_cmp_lg_u32 s13, 0
	s_mov_b64 s[6:7], -1
	s_cselect_b64 s[14:15], -1, 0
.LBB90_422:
	s_andn2_b64 vcc, exec, s[14:15]
	s_cbranch_vccz .LBB90_431
; %bb.423:
	s_andn2_b64 vcc, exec, s[6:7]
	s_cbranch_vccnz .LBB90_425
.LBB90_424:
	s_waitcnt vmcnt(0)
	v_cmp_ge_f64_e32 vcc, v[22:23], v[24:25]
	s_andn2_b64 s[6:7], s[10:11], exec
	s_and_b64 s[10:11], vcc, exec
	s_or_b64 s[10:11], s[6:7], s[10:11]
.LBB90_425:
	v_cndmask_b32_e64 v26, 0, 1, s[10:11]
.LBB90_426:
	s_or_b64 exec, exec, s[4:5]
	v_or_b32_e32 v22, 0xb00, v0
	v_cmp_gt_i32_e32 vcc, s12, v22
                                        ; implicit-def: $vgpr22
	s_and_saveexec_b64 s[4:5], vcc
	s_cbranch_execz .LBB90_441
; %bb.427:
	s_cmp_lt_i32 s13, 1
	s_mov_b64 s[6:7], 0
	s_cbranch_scc1 .LBB90_432
; %bb.428:
	s_cmp_gt_i32 s13, 1
	s_cbranch_scc0 .LBB90_433
; %bb.429:
	s_cmp_eq_u32 s13, 2
	s_cbranch_scc0 .LBB90_545
; %bb.430:
	s_waitcnt vmcnt(0)
	v_cmp_le_f64_e64 s[10:11], v[18:19], v[20:21]
	s_mov_b64 s[14:15], 0
	s_branch .LBB90_435
.LBB90_431:
	s_waitcnt vmcnt(0)
	v_cmp_lt_f64_e32 vcc, v[22:23], v[24:25]
	s_andn2_b64 s[10:11], s[10:11], exec
	s_and_b64 s[14:15], vcc, exec
	s_or_b64 s[10:11], s[10:11], s[14:15]
	s_cbranch_execz .LBB90_424
	s_branch .LBB90_425
.LBB90_432:
                                        ; implicit-def: $sgpr10_sgpr11
	s_mov_b64 s[14:15], 0
	s_cbranch_execnz .LBB90_436
	s_branch .LBB90_437
.LBB90_433:
	s_mov_b64 s[14:15], 0
                                        ; implicit-def: $sgpr10_sgpr11
	s_cbranch_execz .LBB90_435
; %bb.434:
	s_waitcnt vmcnt(0)
	v_cmp_gt_f64_e32 vcc, v[18:19], v[20:21]
	s_andn2_b64 s[10:11], s[10:11], exec
	s_and_b64 s[16:17], vcc, exec
	s_or_b64 s[10:11], s[10:11], s[16:17]
.LBB90_435:
	s_branch .LBB90_437
.LBB90_436:
	s_cmp_lg_u32 s13, 0
	s_mov_b64 s[6:7], -1
	s_cselect_b64 s[14:15], -1, 0
.LBB90_437:
	s_andn2_b64 vcc, exec, s[14:15]
	s_cbranch_vccz .LBB90_446
; %bb.438:
	s_andn2_b64 vcc, exec, s[6:7]
	s_cbranch_vccnz .LBB90_440
.LBB90_439:
	s_waitcnt vmcnt(0)
	v_cmp_ge_f64_e32 vcc, v[18:19], v[20:21]
	s_andn2_b64 s[6:7], s[10:11], exec
	s_and_b64 s[10:11], vcc, exec
	s_or_b64 s[10:11], s[6:7], s[10:11]
.LBB90_440:
	v_cndmask_b32_e64 v22, 0, 1, s[10:11]
.LBB90_441:
	s_or_b64 exec, exec, s[4:5]
	v_or_b32_e32 v18, 0xc00, v0
	v_cmp_gt_i32_e32 vcc, s12, v18
                                        ; implicit-def: $vgpr18
	s_and_saveexec_b64 s[4:5], vcc
	s_cbranch_execz .LBB90_456
; %bb.442:
	s_cmp_lt_i32 s13, 1
	s_mov_b64 s[6:7], 0
	s_cbranch_scc1 .LBB90_447
; %bb.443:
	s_cmp_gt_i32 s13, 1
	s_cbranch_scc0 .LBB90_448
; %bb.444:
	s_cmp_eq_u32 s13, 2
	s_cbranch_scc0 .LBB90_546
; %bb.445:
	s_waitcnt vmcnt(0)
	v_cmp_le_f64_e64 s[10:11], v[14:15], v[16:17]
	s_mov_b64 s[14:15], 0
	s_branch .LBB90_450
.LBB90_446:
	s_waitcnt vmcnt(0)
	v_cmp_lt_f64_e32 vcc, v[18:19], v[20:21]
	s_andn2_b64 s[10:11], s[10:11], exec
	s_and_b64 s[14:15], vcc, exec
	s_or_b64 s[10:11], s[10:11], s[14:15]
	s_cbranch_execz .LBB90_439
	s_branch .LBB90_440
.LBB90_447:
                                        ; implicit-def: $sgpr10_sgpr11
	s_mov_b64 s[14:15], 0
	s_cbranch_execnz .LBB90_451
	s_branch .LBB90_452
.LBB90_448:
	s_mov_b64 s[14:15], 0
                                        ; implicit-def: $sgpr10_sgpr11
	s_cbranch_execz .LBB90_450
; %bb.449:
	s_waitcnt vmcnt(0)
	v_cmp_gt_f64_e32 vcc, v[14:15], v[16:17]
	s_andn2_b64 s[10:11], s[10:11], exec
	s_and_b64 s[16:17], vcc, exec
	s_or_b64 s[10:11], s[10:11], s[16:17]
.LBB90_450:
	s_branch .LBB90_452
.LBB90_451:
	s_cmp_lg_u32 s13, 0
	s_mov_b64 s[6:7], -1
	s_cselect_b64 s[14:15], -1, 0
.LBB90_452:
	s_andn2_b64 vcc, exec, s[14:15]
	s_cbranch_vccz .LBB90_461
; %bb.453:
	s_andn2_b64 vcc, exec, s[6:7]
	s_cbranch_vccnz .LBB90_455
.LBB90_454:
	s_waitcnt vmcnt(0)
	v_cmp_ge_f64_e32 vcc, v[14:15], v[16:17]
	s_andn2_b64 s[6:7], s[10:11], exec
	s_and_b64 s[10:11], vcc, exec
	s_or_b64 s[10:11], s[6:7], s[10:11]
.LBB90_455:
	v_cndmask_b32_e64 v18, 0, 1, s[10:11]
.LBB90_456:
	s_or_b64 exec, exec, s[4:5]
	v_or_b32_e32 v14, 0xd00, v0
	v_cmp_gt_i32_e32 vcc, s12, v14
                                        ; implicit-def: $vgpr14
	s_and_saveexec_b64 s[4:5], vcc
	s_cbranch_execz .LBB90_471
; %bb.457:
	s_cmp_lt_i32 s13, 1
	s_mov_b64 s[6:7], 0
	s_cbranch_scc1 .LBB90_462
; %bb.458:
	s_cmp_gt_i32 s13, 1
	s_cbranch_scc0 .LBB90_463
; %bb.459:
	s_cmp_eq_u32 s13, 2
	s_cbranch_scc0 .LBB90_547
; %bb.460:
	s_waitcnt vmcnt(0)
	v_cmp_le_f64_e64 s[10:11], v[10:11], v[12:13]
	s_mov_b64 s[14:15], 0
	s_branch .LBB90_465
.LBB90_461:
	s_waitcnt vmcnt(0)
	v_cmp_lt_f64_e32 vcc, v[14:15], v[16:17]
	s_andn2_b64 s[10:11], s[10:11], exec
	s_and_b64 s[14:15], vcc, exec
	s_or_b64 s[10:11], s[10:11], s[14:15]
	s_cbranch_execz .LBB90_454
	s_branch .LBB90_455
.LBB90_462:
                                        ; implicit-def: $sgpr10_sgpr11
	s_mov_b64 s[14:15], 0
	s_cbranch_execnz .LBB90_466
	s_branch .LBB90_467
.LBB90_463:
	s_mov_b64 s[14:15], 0
                                        ; implicit-def: $sgpr10_sgpr11
	s_cbranch_execz .LBB90_465
; %bb.464:
	s_waitcnt vmcnt(0)
	v_cmp_gt_f64_e32 vcc, v[10:11], v[12:13]
	s_andn2_b64 s[10:11], s[10:11], exec
	s_and_b64 s[16:17], vcc, exec
	s_or_b64 s[10:11], s[10:11], s[16:17]
.LBB90_465:
	s_branch .LBB90_467
.LBB90_466:
	s_cmp_lg_u32 s13, 0
	s_mov_b64 s[6:7], -1
	s_cselect_b64 s[14:15], -1, 0
.LBB90_467:
	s_andn2_b64 vcc, exec, s[14:15]
	s_cbranch_vccz .LBB90_476
; %bb.468:
	s_andn2_b64 vcc, exec, s[6:7]
	s_cbranch_vccnz .LBB90_470
.LBB90_469:
	s_waitcnt vmcnt(0)
	v_cmp_ge_f64_e32 vcc, v[10:11], v[12:13]
	s_andn2_b64 s[6:7], s[10:11], exec
	s_and_b64 s[10:11], vcc, exec
	s_or_b64 s[10:11], s[6:7], s[10:11]
.LBB90_470:
	v_cndmask_b32_e64 v14, 0, 1, s[10:11]
.LBB90_471:
	s_or_b64 exec, exec, s[4:5]
	v_or_b32_e32 v10, 0xe00, v0
	v_cmp_gt_i32_e32 vcc, s12, v10
                                        ; implicit-def: $vgpr10
	s_and_saveexec_b64 s[4:5], vcc
	s_cbranch_execz .LBB90_486
; %bb.472:
	s_cmp_lt_i32 s13, 1
	s_mov_b64 s[6:7], 0
	s_cbranch_scc1 .LBB90_477
; %bb.473:
	s_cmp_gt_i32 s13, 1
	s_cbranch_scc0 .LBB90_478
; %bb.474:
	s_cmp_eq_u32 s13, 2
	s_cbranch_scc0 .LBB90_548
; %bb.475:
	s_waitcnt vmcnt(0)
	v_cmp_le_f64_e64 s[10:11], v[6:7], v[8:9]
	s_mov_b64 s[14:15], 0
	s_branch .LBB90_480
.LBB90_476:
	s_waitcnt vmcnt(0)
	v_cmp_lt_f64_e32 vcc, v[10:11], v[12:13]
	s_andn2_b64 s[10:11], s[10:11], exec
	s_and_b64 s[14:15], vcc, exec
	s_or_b64 s[10:11], s[10:11], s[14:15]
	s_cbranch_execz .LBB90_469
	s_branch .LBB90_470
.LBB90_477:
                                        ; implicit-def: $sgpr10_sgpr11
	s_mov_b64 s[14:15], 0
	s_cbranch_execnz .LBB90_481
	s_branch .LBB90_482
.LBB90_478:
	s_mov_b64 s[14:15], 0
                                        ; implicit-def: $sgpr10_sgpr11
	s_cbranch_execz .LBB90_480
; %bb.479:
	s_waitcnt vmcnt(0)
	v_cmp_gt_f64_e32 vcc, v[6:7], v[8:9]
	s_andn2_b64 s[10:11], s[10:11], exec
	s_and_b64 s[16:17], vcc, exec
	s_or_b64 s[10:11], s[10:11], s[16:17]
.LBB90_480:
	s_branch .LBB90_482
.LBB90_481:
	s_cmp_lg_u32 s13, 0
	s_mov_b64 s[6:7], -1
	s_cselect_b64 s[14:15], -1, 0
.LBB90_482:
	s_andn2_b64 vcc, exec, s[14:15]
	s_cbranch_vccz .LBB90_491
; %bb.483:
	s_andn2_b64 vcc, exec, s[6:7]
	s_cbranch_vccnz .LBB90_485
.LBB90_484:
	s_waitcnt vmcnt(0)
	v_cmp_ge_f64_e32 vcc, v[6:7], v[8:9]
	s_andn2_b64 s[6:7], s[10:11], exec
	s_and_b64 s[10:11], vcc, exec
	s_or_b64 s[10:11], s[6:7], s[10:11]
.LBB90_485:
	v_cndmask_b32_e64 v10, 0, 1, s[10:11]
.LBB90_486:
	s_or_b64 exec, exec, s[4:5]
	v_or_b32_e32 v6, 0xf00, v0
	v_cmp_gt_i32_e32 vcc, s12, v6
                                        ; implicit-def: $vgpr6
	s_and_saveexec_b64 s[4:5], vcc
	s_cbranch_execz .LBB90_501
; %bb.487:
	s_cmp_lt_i32 s13, 1
	s_mov_b64 s[6:7], 0
	s_cbranch_scc1 .LBB90_492
; %bb.488:
	s_cmp_gt_i32 s13, 1
	s_cbranch_scc0 .LBB90_493
; %bb.489:
	s_cmp_eq_u32 s13, 2
	s_cbranch_scc0 .LBB90_549
; %bb.490:
	s_waitcnt vmcnt(0)
	v_cmp_le_f64_e64 s[10:11], v[2:3], v[4:5]
	s_mov_b64 s[14:15], 0
	s_branch .LBB90_495
.LBB90_491:
	s_waitcnt vmcnt(0)
	v_cmp_lt_f64_e32 vcc, v[6:7], v[8:9]
	s_andn2_b64 s[10:11], s[10:11], exec
	s_and_b64 s[14:15], vcc, exec
	s_or_b64 s[10:11], s[10:11], s[14:15]
	s_cbranch_execz .LBB90_484
	s_branch .LBB90_485
.LBB90_492:
                                        ; implicit-def: $sgpr10_sgpr11
	s_mov_b64 s[14:15], 0
	s_cbranch_execnz .LBB90_496
	s_branch .LBB90_497
.LBB90_493:
	s_mov_b64 s[14:15], 0
                                        ; implicit-def: $sgpr10_sgpr11
	s_cbranch_execz .LBB90_495
; %bb.494:
	s_waitcnt vmcnt(0)
	v_cmp_gt_f64_e32 vcc, v[2:3], v[4:5]
	s_andn2_b64 s[10:11], s[10:11], exec
	s_and_b64 s[16:17], vcc, exec
	s_or_b64 s[10:11], s[10:11], s[16:17]
.LBB90_495:
	s_branch .LBB90_497
.LBB90_496:
	s_cmp_lg_u32 s13, 0
	s_mov_b64 s[6:7], -1
	s_cselect_b64 s[14:15], -1, 0
.LBB90_497:
	s_andn2_b64 vcc, exec, s[14:15]
	s_cbranch_vccz .LBB90_534
; %bb.498:
	s_andn2_b64 vcc, exec, s[6:7]
	s_cbranch_vccnz .LBB90_500
.LBB90_499:
	s_waitcnt vmcnt(0)
	v_cmp_ge_f64_e32 vcc, v[2:3], v[4:5]
	s_andn2_b64 s[6:7], s[10:11], exec
	s_and_b64 s[10:11], vcc, exec
	s_or_b64 s[10:11], s[6:7], s[10:11]
.LBB90_500:
	v_cndmask_b32_e64 v6, 0, 1, s[10:11]
.LBB90_501:
	s_or_b64 exec, exec, s[4:5]
	s_and_saveexec_b64 s[4:5], s[0:1]
	s_xor_b64 s[0:1], exec, s[4:5]
	s_cbranch_execz .LBB90_503
; %bb.502:
	v_mov_b32_e32 v0, v62
	global_store_byte v1, v66, s[8:9]
.LBB90_503:
	s_or_b64 exec, exec, s[0:1]
	v_cmp_gt_i32_e32 vcc, s12, v0
	s_and_saveexec_b64 s[0:1], vcc
	s_cbranch_execnz .LBB90_520
; %bb.504:
	s_or_b64 exec, exec, s[0:1]
	v_cmp_gt_i32_e32 vcc, s12, v0
	s_and_saveexec_b64 s[0:1], vcc
	s_cbranch_execnz .LBB90_521
.LBB90_505:
	s_or_b64 exec, exec, s[0:1]
	v_cmp_gt_i32_e32 vcc, s12, v0
	s_and_saveexec_b64 s[0:1], vcc
	s_cbranch_execnz .LBB90_522
.LBB90_506:
	s_or_b64 exec, exec, s[0:1]
	v_cmp_gt_i32_e32 vcc, s12, v0
	s_and_saveexec_b64 s[0:1], vcc
	s_cbranch_execnz .LBB90_523
.LBB90_507:
	s_or_b64 exec, exec, s[0:1]
	v_cmp_gt_i32_e32 vcc, s12, v0
	s_and_saveexec_b64 s[0:1], vcc
	s_cbranch_execnz .LBB90_524
.LBB90_508:
	s_or_b64 exec, exec, s[0:1]
	v_cmp_gt_i32_e32 vcc, s12, v0
	s_and_saveexec_b64 s[0:1], vcc
	s_cbranch_execnz .LBB90_525
.LBB90_509:
	s_or_b64 exec, exec, s[0:1]
	v_cmp_gt_i32_e32 vcc, s12, v0
	s_and_saveexec_b64 s[0:1], vcc
	s_cbranch_execnz .LBB90_526
.LBB90_510:
	s_or_b64 exec, exec, s[0:1]
	v_cmp_gt_i32_e32 vcc, s12, v0
	s_and_saveexec_b64 s[0:1], vcc
	s_cbranch_execnz .LBB90_527
.LBB90_511:
	s_or_b64 exec, exec, s[0:1]
	v_cmp_gt_i32_e32 vcc, s12, v0
	s_and_saveexec_b64 s[0:1], vcc
	s_cbranch_execnz .LBB90_528
.LBB90_512:
	s_or_b64 exec, exec, s[0:1]
	v_cmp_gt_i32_e32 vcc, s12, v0
	s_and_saveexec_b64 s[0:1], vcc
	s_cbranch_execnz .LBB90_529
.LBB90_513:
	s_or_b64 exec, exec, s[0:1]
	v_cmp_gt_i32_e32 vcc, s12, v0
	s_and_saveexec_b64 s[0:1], vcc
	s_cbranch_execnz .LBB90_530
.LBB90_514:
	s_or_b64 exec, exec, s[0:1]
	v_cmp_gt_i32_e32 vcc, s12, v0
	s_and_saveexec_b64 s[0:1], vcc
	s_cbranch_execnz .LBB90_531
.LBB90_515:
	s_or_b64 exec, exec, s[0:1]
	v_cmp_gt_i32_e32 vcc, s12, v0
	s_and_saveexec_b64 s[0:1], vcc
	s_cbranch_execnz .LBB90_532
.LBB90_516:
	s_or_b64 exec, exec, s[0:1]
	v_cmp_gt_i32_e32 vcc, s12, v0
	s_and_saveexec_b64 s[0:1], vcc
	s_cbranch_execnz .LBB90_533
.LBB90_517:
	s_or_b64 exec, exec, s[0:1]
	v_cmp_gt_i32_e32 vcc, s12, v0
	s_and_saveexec_b64 s[0:1], vcc
	s_cbranch_execz .LBB90_519
.LBB90_518:
	v_add_u32_e32 v0, s2, v0
	global_store_byte v0, v6, s[8:9]
.LBB90_519:
	s_endpgm
.LBB90_520:
	v_add_u32_e32 v1, s2, v0
	v_add_u32_e32 v0, 0x100, v0
	global_store_byte v1, v63, s[8:9]
	s_or_b64 exec, exec, s[0:1]
	v_cmp_gt_i32_e32 vcc, s12, v0
	s_and_saveexec_b64 s[0:1], vcc
	s_cbranch_execz .LBB90_505
.LBB90_521:
	v_add_u32_e32 v1, s2, v0
	v_add_u32_e32 v0, 0x100, v0
	global_store_byte v1, v58, s[8:9]
	s_or_b64 exec, exec, s[0:1]
	v_cmp_gt_i32_e32 vcc, s12, v0
	s_and_saveexec_b64 s[0:1], vcc
	s_cbranch_execz .LBB90_506
.LBB90_522:
	v_add_u32_e32 v1, s2, v0
	v_add_u32_e32 v0, 0x100, v0
	global_store_byte v1, v54, s[8:9]
	s_or_b64 exec, exec, s[0:1]
	v_cmp_gt_i32_e32 vcc, s12, v0
	s_and_saveexec_b64 s[0:1], vcc
	s_cbranch_execz .LBB90_507
.LBB90_523:
	v_add_u32_e32 v1, s2, v0
	v_add_u32_e32 v0, 0x100, v0
	global_store_byte v1, v50, s[8:9]
	s_or_b64 exec, exec, s[0:1]
	v_cmp_gt_i32_e32 vcc, s12, v0
	s_and_saveexec_b64 s[0:1], vcc
	s_cbranch_execz .LBB90_508
.LBB90_524:
	v_add_u32_e32 v1, s2, v0
	v_add_u32_e32 v0, 0x100, v0
	global_store_byte v1, v46, s[8:9]
	s_or_b64 exec, exec, s[0:1]
	v_cmp_gt_i32_e32 vcc, s12, v0
	s_and_saveexec_b64 s[0:1], vcc
	s_cbranch_execz .LBB90_509
.LBB90_525:
	v_add_u32_e32 v1, s2, v0
	v_add_u32_e32 v0, 0x100, v0
	global_store_byte v1, v42, s[8:9]
	s_or_b64 exec, exec, s[0:1]
	v_cmp_gt_i32_e32 vcc, s12, v0
	s_and_saveexec_b64 s[0:1], vcc
	s_cbranch_execz .LBB90_510
.LBB90_526:
	v_add_u32_e32 v1, s2, v0
	v_add_u32_e32 v0, 0x100, v0
	global_store_byte v1, v38, s[8:9]
	s_or_b64 exec, exec, s[0:1]
	v_cmp_gt_i32_e32 vcc, s12, v0
	s_and_saveexec_b64 s[0:1], vcc
	s_cbranch_execz .LBB90_511
.LBB90_527:
	v_add_u32_e32 v1, s2, v0
	v_add_u32_e32 v0, 0x100, v0
	global_store_byte v1, v34, s[8:9]
	s_or_b64 exec, exec, s[0:1]
	v_cmp_gt_i32_e32 vcc, s12, v0
	s_and_saveexec_b64 s[0:1], vcc
	s_cbranch_execz .LBB90_512
.LBB90_528:
	v_add_u32_e32 v1, s2, v0
	v_add_u32_e32 v0, 0x100, v0
	global_store_byte v1, v30, s[8:9]
	s_or_b64 exec, exec, s[0:1]
	v_cmp_gt_i32_e32 vcc, s12, v0
	s_and_saveexec_b64 s[0:1], vcc
	s_cbranch_execz .LBB90_513
.LBB90_529:
	v_add_u32_e32 v1, s2, v0
	v_add_u32_e32 v0, 0x100, v0
	global_store_byte v1, v26, s[8:9]
	s_or_b64 exec, exec, s[0:1]
	v_cmp_gt_i32_e32 vcc, s12, v0
	s_and_saveexec_b64 s[0:1], vcc
	s_cbranch_execz .LBB90_514
.LBB90_530:
	v_add_u32_e32 v1, s2, v0
	v_add_u32_e32 v0, 0x100, v0
	global_store_byte v1, v22, s[8:9]
	s_or_b64 exec, exec, s[0:1]
	v_cmp_gt_i32_e32 vcc, s12, v0
	s_and_saveexec_b64 s[0:1], vcc
	s_cbranch_execz .LBB90_515
.LBB90_531:
	v_add_u32_e32 v1, s2, v0
	v_add_u32_e32 v0, 0x100, v0
	global_store_byte v1, v18, s[8:9]
	s_or_b64 exec, exec, s[0:1]
	v_cmp_gt_i32_e32 vcc, s12, v0
	s_and_saveexec_b64 s[0:1], vcc
	s_cbranch_execz .LBB90_516
.LBB90_532:
	v_add_u32_e32 v1, s2, v0
	v_add_u32_e32 v0, 0x100, v0
	global_store_byte v1, v14, s[8:9]
	s_or_b64 exec, exec, s[0:1]
	v_cmp_gt_i32_e32 vcc, s12, v0
	s_and_saveexec_b64 s[0:1], vcc
	s_cbranch_execz .LBB90_517
.LBB90_533:
	v_add_u32_e32 v1, s2, v0
	v_add_u32_e32 v0, 0x100, v0
	global_store_byte v1, v10, s[8:9]
	s_or_b64 exec, exec, s[0:1]
	v_cmp_gt_i32_e32 vcc, s12, v0
	s_and_saveexec_b64 s[0:1], vcc
	s_cbranch_execnz .LBB90_518
	s_branch .LBB90_519
.LBB90_534:
	s_waitcnt vmcnt(0)
	v_cmp_lt_f64_e32 vcc, v[2:3], v[4:5]
	s_andn2_b64 s[10:11], s[10:11], exec
	s_and_b64 s[14:15], vcc, exec
	s_or_b64 s[10:11], s[10:11], s[14:15]
	s_cbranch_execz .LBB90_499
	s_branch .LBB90_500
.LBB90_535:
	s_mov_b64 s[14:15], -1
                                        ; implicit-def: $sgpr10_sgpr11
	s_branch .LBB90_285
.LBB90_536:
	s_mov_b64 s[14:15], -1
                                        ; implicit-def: $sgpr10_sgpr11
	s_branch .LBB90_300
.LBB90_537:
	s_mov_b64 s[14:15], -1
                                        ; implicit-def: $sgpr10_sgpr11
	s_branch .LBB90_315
.LBB90_538:
	s_mov_b64 s[14:15], -1
                                        ; implicit-def: $sgpr10_sgpr11
	s_branch .LBB90_330
.LBB90_539:
	s_mov_b64 s[14:15], -1
                                        ; implicit-def: $sgpr10_sgpr11
	s_branch .LBB90_345
.LBB90_540:
	s_mov_b64 s[14:15], -1
                                        ; implicit-def: $sgpr10_sgpr11
	s_branch .LBB90_360
.LBB90_541:
	s_mov_b64 s[14:15], -1
                                        ; implicit-def: $sgpr10_sgpr11
	s_branch .LBB90_375
.LBB90_542:
	s_mov_b64 s[14:15], -1
                                        ; implicit-def: $sgpr10_sgpr11
	s_branch .LBB90_390
.LBB90_543:
	s_mov_b64 s[14:15], -1
                                        ; implicit-def: $sgpr10_sgpr11
	s_branch .LBB90_405
.LBB90_544:
	s_mov_b64 s[14:15], -1
                                        ; implicit-def: $sgpr10_sgpr11
	s_branch .LBB90_420
.LBB90_545:
	s_mov_b64 s[14:15], -1
                                        ; implicit-def: $sgpr10_sgpr11
	s_branch .LBB90_435
.LBB90_546:
	s_mov_b64 s[14:15], -1
                                        ; implicit-def: $sgpr10_sgpr11
	s_branch .LBB90_450
.LBB90_547:
	s_mov_b64 s[14:15], -1
                                        ; implicit-def: $sgpr10_sgpr11
	s_branch .LBB90_465
.LBB90_548:
	s_mov_b64 s[14:15], -1
                                        ; implicit-def: $sgpr10_sgpr11
	s_branch .LBB90_480
.LBB90_549:
	s_mov_b64 s[14:15], -1
                                        ; implicit-def: $sgpr10_sgpr11
	s_branch .LBB90_495
	.section	.rodata,"a",@progbits
	.p2align	6, 0x0
	.amdhsa_kernel _ZN2at6native29vectorized_elementwise_kernelILi4ENS0_12_GLOBAL__N_114CompareFunctorIdEESt5arrayIPcLm3EEEEviT0_T1_
		.amdhsa_group_segment_fixed_size 0
		.amdhsa_private_segment_fixed_size 0
		.amdhsa_kernarg_size 32
		.amdhsa_user_sgpr_count 6
		.amdhsa_user_sgpr_private_segment_buffer 1
		.amdhsa_user_sgpr_dispatch_ptr 0
		.amdhsa_user_sgpr_queue_ptr 0
		.amdhsa_user_sgpr_kernarg_segment_ptr 1
		.amdhsa_user_sgpr_dispatch_id 0
		.amdhsa_user_sgpr_flat_scratch_init 0
		.amdhsa_user_sgpr_private_segment_size 0
		.amdhsa_uses_dynamic_stack 0
		.amdhsa_system_sgpr_private_segment_wavefront_offset 0
		.amdhsa_system_sgpr_workgroup_id_x 1
		.amdhsa_system_sgpr_workgroup_id_y 0
		.amdhsa_system_sgpr_workgroup_id_z 0
		.amdhsa_system_sgpr_workgroup_info 0
		.amdhsa_system_vgpr_workitem_id 0
		.amdhsa_next_free_vgpr 70
		.amdhsa_next_free_sgpr 50
		.amdhsa_reserve_vcc 1
		.amdhsa_reserve_flat_scratch 0
		.amdhsa_float_round_mode_32 0
		.amdhsa_float_round_mode_16_64 0
		.amdhsa_float_denorm_mode_32 3
		.amdhsa_float_denorm_mode_16_64 3
		.amdhsa_dx10_clamp 1
		.amdhsa_ieee_mode 1
		.amdhsa_fp16_overflow 0
		.amdhsa_exception_fp_ieee_invalid_op 0
		.amdhsa_exception_fp_denorm_src 0
		.amdhsa_exception_fp_ieee_div_zero 0
		.amdhsa_exception_fp_ieee_overflow 0
		.amdhsa_exception_fp_ieee_underflow 0
		.amdhsa_exception_fp_ieee_inexact 0
		.amdhsa_exception_int_div_zero 0
	.end_amdhsa_kernel
	.section	.text._ZN2at6native29vectorized_elementwise_kernelILi4ENS0_12_GLOBAL__N_114CompareFunctorIdEESt5arrayIPcLm3EEEEviT0_T1_,"axG",@progbits,_ZN2at6native29vectorized_elementwise_kernelILi4ENS0_12_GLOBAL__N_114CompareFunctorIdEESt5arrayIPcLm3EEEEviT0_T1_,comdat
.Lfunc_end90:
	.size	_ZN2at6native29vectorized_elementwise_kernelILi4ENS0_12_GLOBAL__N_114CompareFunctorIdEESt5arrayIPcLm3EEEEviT0_T1_, .Lfunc_end90-_ZN2at6native29vectorized_elementwise_kernelILi4ENS0_12_GLOBAL__N_114CompareFunctorIdEESt5arrayIPcLm3EEEEviT0_T1_
                                        ; -- End function
	.set _ZN2at6native29vectorized_elementwise_kernelILi4ENS0_12_GLOBAL__N_114CompareFunctorIdEESt5arrayIPcLm3EEEEviT0_T1_.num_vgpr, 70
	.set _ZN2at6native29vectorized_elementwise_kernelILi4ENS0_12_GLOBAL__N_114CompareFunctorIdEESt5arrayIPcLm3EEEEviT0_T1_.num_agpr, 0
	.set _ZN2at6native29vectorized_elementwise_kernelILi4ENS0_12_GLOBAL__N_114CompareFunctorIdEESt5arrayIPcLm3EEEEviT0_T1_.numbered_sgpr, 50
	.set _ZN2at6native29vectorized_elementwise_kernelILi4ENS0_12_GLOBAL__N_114CompareFunctorIdEESt5arrayIPcLm3EEEEviT0_T1_.num_named_barrier, 0
	.set _ZN2at6native29vectorized_elementwise_kernelILi4ENS0_12_GLOBAL__N_114CompareFunctorIdEESt5arrayIPcLm3EEEEviT0_T1_.private_seg_size, 0
	.set _ZN2at6native29vectorized_elementwise_kernelILi4ENS0_12_GLOBAL__N_114CompareFunctorIdEESt5arrayIPcLm3EEEEviT0_T1_.uses_vcc, 1
	.set _ZN2at6native29vectorized_elementwise_kernelILi4ENS0_12_GLOBAL__N_114CompareFunctorIdEESt5arrayIPcLm3EEEEviT0_T1_.uses_flat_scratch, 0
	.set _ZN2at6native29vectorized_elementwise_kernelILi4ENS0_12_GLOBAL__N_114CompareFunctorIdEESt5arrayIPcLm3EEEEviT0_T1_.has_dyn_sized_stack, 0
	.set _ZN2at6native29vectorized_elementwise_kernelILi4ENS0_12_GLOBAL__N_114CompareFunctorIdEESt5arrayIPcLm3EEEEviT0_T1_.has_recursion, 0
	.set _ZN2at6native29vectorized_elementwise_kernelILi4ENS0_12_GLOBAL__N_114CompareFunctorIdEESt5arrayIPcLm3EEEEviT0_T1_.has_indirect_call, 0
	.section	.AMDGPU.csdata,"",@progbits
; Kernel info:
; codeLenInByte = 9208
; TotalNumSgprs: 54
; NumVgprs: 70
; ScratchSize: 0
; MemoryBound: 1
; FloatMode: 240
; IeeeMode: 1
; LDSByteSize: 0 bytes/workgroup (compile time only)
; SGPRBlocks: 6
; VGPRBlocks: 17
; NumSGPRsForWavesPerEU: 54
; NumVGPRsForWavesPerEU: 70
; Occupancy: 3
; WaveLimiterHint : 1
; COMPUTE_PGM_RSRC2:SCRATCH_EN: 0
; COMPUTE_PGM_RSRC2:USER_SGPR: 6
; COMPUTE_PGM_RSRC2:TRAP_HANDLER: 0
; COMPUTE_PGM_RSRC2:TGID_X_EN: 1
; COMPUTE_PGM_RSRC2:TGID_Y_EN: 0
; COMPUTE_PGM_RSRC2:TGID_Z_EN: 0
; COMPUTE_PGM_RSRC2:TIDIG_COMP_CNT: 0
	.section	.text._ZN2at6native29vectorized_elementwise_kernelILi2ENS0_12_GLOBAL__N_114CompareFunctorIdEESt5arrayIPcLm3EEEEviT0_T1_,"axG",@progbits,_ZN2at6native29vectorized_elementwise_kernelILi2ENS0_12_GLOBAL__N_114CompareFunctorIdEESt5arrayIPcLm3EEEEviT0_T1_,comdat
	.globl	_ZN2at6native29vectorized_elementwise_kernelILi2ENS0_12_GLOBAL__N_114CompareFunctorIdEESt5arrayIPcLm3EEEEviT0_T1_ ; -- Begin function _ZN2at6native29vectorized_elementwise_kernelILi2ENS0_12_GLOBAL__N_114CompareFunctorIdEESt5arrayIPcLm3EEEEviT0_T1_
	.p2align	8
	.type	_ZN2at6native29vectorized_elementwise_kernelILi2ENS0_12_GLOBAL__N_114CompareFunctorIdEESt5arrayIPcLm3EEEEviT0_T1_,@function
_ZN2at6native29vectorized_elementwise_kernelILi2ENS0_12_GLOBAL__N_114CompareFunctorIdEESt5arrayIPcLm3EEEEviT0_T1_: ; @_ZN2at6native29vectorized_elementwise_kernelILi2ENS0_12_GLOBAL__N_114CompareFunctorIdEESt5arrayIPcLm3EEEEviT0_T1_
; %bb.0:
	s_load_dwordx2 s[12:13], s[4:5], 0x0
	s_load_dwordx4 s[8:11], s[4:5], 0x8
	s_load_dwordx2 s[14:15], s[4:5], 0x18
	s_lshl_b32 s2, s6, 12
	s_mov_b64 s[0:1], -1
	s_waitcnt lgkmcnt(0)
	s_sub_i32 s12, s12, s2
	s_cmpk_gt_i32 s12, 0xfff
	s_cbranch_scc0 .LBB91_211
; %bb.1:
	s_ashr_i32 s3, s2, 31
	s_lshl_b64 s[0:1], s[2:3], 3
	s_add_u32 s4, s10, s0
	s_addc_u32 s5, s11, s1
	v_lshlrev_b32_e32 v5, 4, v0
	v_mov_b32_e32 v1, s5
	v_add_co_u32_e32 v6, vcc, s4, v5
	v_addc_co_u32_e32 v7, vcc, 0, v1, vcc
	v_add_co_u32_e32 v1, vcc, 0x1000, v6
	v_addc_co_u32_e32 v2, vcc, 0, v7, vcc
	;; [unrolled: 2-line block ×3, first 2 shown]
	global_load_dwordx4 v[49:52], v[1:2], off
	global_load_dwordx4 v[41:44], v[3:4], off
	v_add_co_u32_e32 v1, vcc, 0x3000, v6
	v_addc_co_u32_e32 v2, vcc, 0, v7, vcc
	v_add_co_u32_e32 v3, vcc, 0x4000, v6
	v_addc_co_u32_e32 v4, vcc, 0, v7, vcc
	global_load_dwordx4 v[33:36], v[1:2], off
	global_load_dwordx4 v[25:28], v[3:4], off
	v_add_co_u32_e32 v1, vcc, 0x5000, v6
	v_addc_co_u32_e32 v2, vcc, 0, v7, vcc
	v_add_co_u32_e32 v3, vcc, 0x6000, v6
	v_addc_co_u32_e32 v4, vcc, 0, v7, vcc
	global_load_dwordx4 v[17:20], v[1:2], off
	global_load_dwordx4 v[9:12], v[3:4], off
	v_add_co_u32_e32 v1, vcc, 0x7000, v6
	s_add_u32 s0, s14, s0
	v_addc_co_u32_e32 v2, vcc, 0, v7, vcc
	s_addc_u32 s1, s15, s1
	v_mov_b32_e32 v6, s1
	v_add_co_u32_e32 v53, vcc, s0, v5
	s_movk_i32 s6, 0x2000
	v_addc_co_u32_e32 v54, vcc, 0, v6, vcc
	v_add_co_u32_e32 v65, vcc, s6, v53
	s_movk_i32 s7, 0x4000
	v_addc_co_u32_e32 v66, vcc, 0, v54, vcc
	global_load_dwordx4 v[1:4], v[1:2], off
	s_nop 0
	global_load_dwordx4 v[57:60], v5, s[4:5]
	global_load_dwordx4 v[61:64], v5, s[0:1]
	v_add_co_u32_e32 v5, vcc, s7, v53
	s_movk_i32 s16, 0x5000
	v_addc_co_u32_e32 v6, vcc, 0, v54, vcc
	global_load_dwordx4 v[45:48], v[65:66], off
	global_load_dwordx4 v[37:40], v[5:6], off offset:-4096
	global_load_dwordx4 v[29:32], v[5:6], off
	v_add_co_u32_e32 v5, vcc, s16, v53
	v_addc_co_u32_e32 v6, vcc, 0, v54, vcc
	v_add_co_u32_e32 v7, vcc, 0x6000, v53
	v_addc_co_u32_e32 v8, vcc, 0, v54, vcc
	v_add_co_u32_e32 v67, vcc, 0x7000, v53
	global_load_dwordx4 v[21:24], v[5:6], off
	global_load_dwordx4 v[13:16], v[7:8], off
	v_addc_co_u32_e32 v68, vcc, 0, v54, vcc
	global_load_dwordx4 v[53:56], v[65:66], off offset:-4096
	global_load_dwordx4 v[5:8], v[67:68], off
	s_cmp_lt_i32 s13, 1
	s_mov_b64 s[4:5], 0
	s_cbranch_scc1 .LBB91_5
; %bb.2:
	s_cmp_gt_i32 s13, 1
	s_cbranch_scc0 .LBB91_6
; %bb.3:
	s_cmp_eq_u32 s13, 2
	s_cbranch_scc0 .LBB91_7
; %bb.4:
	s_waitcnt vmcnt(7)
	v_cmp_le_f64_e64 s[0:1], v[57:58], v[61:62]
	s_mov_b64 s[6:7], 0
	s_branch .LBB91_8
.LBB91_5:
                                        ; implicit-def: $sgpr0_sgpr1
	s_mov_b64 s[6:7], 0
	s_cbranch_execnz .LBB91_11
	s_branch .LBB91_12
.LBB91_6:
	s_mov_b64 s[6:7], 0
                                        ; implicit-def: $sgpr0_sgpr1
	s_cbranch_execnz .LBB91_9
	s_branch .LBB91_10
.LBB91_7:
	s_mov_b64 s[6:7], -1
                                        ; implicit-def: $sgpr0_sgpr1
.LBB91_8:
	s_branch .LBB91_10
.LBB91_9:
	s_waitcnt vmcnt(7)
	v_cmp_gt_f64_e32 vcc, v[57:58], v[61:62]
	s_andn2_b64 s[0:1], s[0:1], exec
	s_and_b64 s[16:17], vcc, exec
	s_or_b64 s[0:1], s[0:1], s[16:17]
.LBB91_10:
	s_branch .LBB91_12
.LBB91_11:
	s_cmp_lg_u32 s13, 0
	s_mov_b64 s[4:5], -1
	s_cselect_b64 s[6:7], -1, 0
.LBB91_12:
	s_andn2_b64 vcc, exec, s[6:7]
	s_cbranch_vccz .LBB91_18
; %bb.13:
	s_andn2_b64 vcc, exec, s[4:5]
	s_cbranch_vccz .LBB91_19
.LBB91_14:
	s_cmp_lt_i32 s13, 1
	s_mov_b64 s[6:7], 0
	s_cbranch_scc1 .LBB91_20
.LBB91_15:
	s_cmp_gt_i32 s13, 1
	s_cbranch_scc0 .LBB91_21
; %bb.16:
	s_cmp_eq_u32 s13, 2
	s_cbranch_scc0 .LBB91_251
; %bb.17:
	s_waitcnt vmcnt(7)
	v_cmp_le_f64_e64 s[4:5], v[59:60], v[63:64]
	s_mov_b64 s[16:17], 0
	s_branch .LBB91_23
.LBB91_18:
	s_waitcnt vmcnt(7)
	v_cmp_lt_f64_e32 vcc, v[57:58], v[61:62]
	s_andn2_b64 s[0:1], s[0:1], exec
	s_and_b64 s[6:7], vcc, exec
	s_or_b64 s[0:1], s[0:1], s[6:7]
	s_cbranch_execnz .LBB91_14
.LBB91_19:
	s_waitcnt vmcnt(7)
	v_cmp_ge_f64_e32 vcc, v[57:58], v[61:62]
	s_andn2_b64 s[0:1], s[0:1], exec
	s_and_b64 s[4:5], vcc, exec
	s_or_b64 s[0:1], s[0:1], s[4:5]
	s_cmp_lt_i32 s13, 1
	s_mov_b64 s[6:7], 0
	s_cbranch_scc0 .LBB91_15
.LBB91_20:
                                        ; implicit-def: $sgpr4_sgpr5
	s_mov_b64 s[16:17], 0
	s_cbranch_execnz .LBB91_24
	s_branch .LBB91_25
.LBB91_21:
	s_mov_b64 s[16:17], 0
                                        ; implicit-def: $sgpr4_sgpr5
	s_cbranch_execz .LBB91_23
; %bb.22:
	s_waitcnt vmcnt(7)
	v_cmp_gt_f64_e32 vcc, v[59:60], v[63:64]
	s_andn2_b64 s[4:5], s[4:5], exec
	s_and_b64 s[18:19], vcc, exec
	s_or_b64 s[4:5], s[4:5], s[18:19]
.LBB91_23:
	s_branch .LBB91_25
.LBB91_24:
	s_cmp_lg_u32 s13, 0
	s_mov_b64 s[6:7], -1
	s_cselect_b64 s[16:17], -1, 0
.LBB91_25:
	s_andn2_b64 vcc, exec, s[16:17]
	s_cbranch_vccz .LBB91_31
; %bb.26:
	s_andn2_b64 vcc, exec, s[6:7]
	s_cbranch_vccz .LBB91_32
.LBB91_27:
	s_cmp_lt_i32 s13, 1
	s_mov_b64 s[16:17], 0
	s_cbranch_scc1 .LBB91_33
.LBB91_28:
	s_cmp_gt_i32 s13, 1
	s_cbranch_scc0 .LBB91_34
; %bb.29:
	s_cmp_eq_u32 s13, 2
	s_cbranch_scc0 .LBB91_252
; %bb.30:
	s_waitcnt vmcnt(1)
	v_cmp_le_f64_e64 s[6:7], v[49:50], v[53:54]
	s_mov_b64 s[18:19], 0
	s_branch .LBB91_36
.LBB91_31:
	s_waitcnt vmcnt(7)
	v_cmp_lt_f64_e32 vcc, v[59:60], v[63:64]
	s_andn2_b64 s[4:5], s[4:5], exec
	s_and_b64 s[16:17], vcc, exec
	s_or_b64 s[4:5], s[4:5], s[16:17]
	s_cbranch_execnz .LBB91_27
.LBB91_32:
	s_waitcnt vmcnt(7)
	v_cmp_ge_f64_e32 vcc, v[59:60], v[63:64]
	s_andn2_b64 s[4:5], s[4:5], exec
	s_and_b64 s[6:7], vcc, exec
	s_or_b64 s[4:5], s[4:5], s[6:7]
	s_cmp_lt_i32 s13, 1
	s_mov_b64 s[16:17], 0
	s_cbranch_scc0 .LBB91_28
.LBB91_33:
                                        ; implicit-def: $sgpr6_sgpr7
	s_mov_b64 s[18:19], 0
	s_cbranch_execnz .LBB91_37
	s_branch .LBB91_38
.LBB91_34:
	s_mov_b64 s[18:19], 0
                                        ; implicit-def: $sgpr6_sgpr7
	s_cbranch_execz .LBB91_36
; %bb.35:
	s_waitcnt vmcnt(1)
	v_cmp_gt_f64_e32 vcc, v[49:50], v[53:54]
	s_andn2_b64 s[6:7], s[6:7], exec
	s_and_b64 s[20:21], vcc, exec
	s_or_b64 s[6:7], s[6:7], s[20:21]
.LBB91_36:
	s_branch .LBB91_38
.LBB91_37:
	s_cmp_lg_u32 s13, 0
	s_mov_b64 s[16:17], -1
	s_cselect_b64 s[18:19], -1, 0
.LBB91_38:
	s_andn2_b64 vcc, exec, s[18:19]
	s_cbranch_vccz .LBB91_44
; %bb.39:
	s_andn2_b64 vcc, exec, s[16:17]
	s_cbranch_vccz .LBB91_45
.LBB91_40:
	s_cmp_lt_i32 s13, 1
	s_mov_b64 s[18:19], 0
	s_cbranch_scc1 .LBB91_46
.LBB91_41:
	s_cmp_gt_i32 s13, 1
	s_cbranch_scc0 .LBB91_47
; %bb.42:
	s_cmp_eq_u32 s13, 2
	s_cbranch_scc0 .LBB91_253
; %bb.43:
	s_waitcnt vmcnt(1)
	v_cmp_le_f64_e64 s[16:17], v[51:52], v[55:56]
	s_mov_b64 s[20:21], 0
	s_branch .LBB91_49
.LBB91_44:
	s_waitcnt vmcnt(1)
	v_cmp_lt_f64_e32 vcc, v[49:50], v[53:54]
	s_andn2_b64 s[6:7], s[6:7], exec
	s_and_b64 s[18:19], vcc, exec
	s_or_b64 s[6:7], s[6:7], s[18:19]
	s_cbranch_execnz .LBB91_40
.LBB91_45:
	s_waitcnt vmcnt(1)
	v_cmp_ge_f64_e32 vcc, v[49:50], v[53:54]
	s_andn2_b64 s[6:7], s[6:7], exec
	s_and_b64 s[16:17], vcc, exec
	s_or_b64 s[6:7], s[6:7], s[16:17]
	s_cmp_lt_i32 s13, 1
	s_mov_b64 s[18:19], 0
	s_cbranch_scc0 .LBB91_41
.LBB91_46:
                                        ; implicit-def: $sgpr16_sgpr17
	s_mov_b64 s[20:21], 0
	s_cbranch_execnz .LBB91_50
	s_branch .LBB91_51
.LBB91_47:
	s_mov_b64 s[20:21], 0
                                        ; implicit-def: $sgpr16_sgpr17
	s_cbranch_execz .LBB91_49
; %bb.48:
	s_waitcnt vmcnt(1)
	v_cmp_gt_f64_e32 vcc, v[51:52], v[55:56]
	s_andn2_b64 s[16:17], s[16:17], exec
	s_and_b64 s[22:23], vcc, exec
	s_or_b64 s[16:17], s[16:17], s[22:23]
.LBB91_49:
	s_branch .LBB91_51
.LBB91_50:
	s_cmp_lg_u32 s13, 0
	s_mov_b64 s[18:19], -1
	s_cselect_b64 s[20:21], -1, 0
.LBB91_51:
	s_andn2_b64 vcc, exec, s[20:21]
	s_cbranch_vccz .LBB91_57
; %bb.52:
	s_andn2_b64 vcc, exec, s[18:19]
	s_cbranch_vccz .LBB91_58
.LBB91_53:
	s_cmp_lt_i32 s13, 1
	s_mov_b64 s[20:21], 0
	s_cbranch_scc1 .LBB91_59
.LBB91_54:
	s_cmp_gt_i32 s13, 1
	s_cbranch_scc0 .LBB91_60
; %bb.55:
	s_cmp_eq_u32 s13, 2
	s_cbranch_scc0 .LBB91_254
; %bb.56:
	s_waitcnt vmcnt(6)
	v_cmp_le_f64_e64 s[18:19], v[41:42], v[45:46]
	s_mov_b64 s[22:23], 0
	s_branch .LBB91_62
.LBB91_57:
	s_waitcnt vmcnt(1)
	v_cmp_lt_f64_e32 vcc, v[51:52], v[55:56]
	s_andn2_b64 s[16:17], s[16:17], exec
	s_and_b64 s[20:21], vcc, exec
	s_or_b64 s[16:17], s[16:17], s[20:21]
	s_cbranch_execnz .LBB91_53
.LBB91_58:
	s_waitcnt vmcnt(1)
	v_cmp_ge_f64_e32 vcc, v[51:52], v[55:56]
	s_andn2_b64 s[16:17], s[16:17], exec
	s_and_b64 s[18:19], vcc, exec
	s_or_b64 s[16:17], s[16:17], s[18:19]
	s_cmp_lt_i32 s13, 1
	s_mov_b64 s[20:21], 0
	s_cbranch_scc0 .LBB91_54
.LBB91_59:
                                        ; implicit-def: $sgpr18_sgpr19
	s_mov_b64 s[22:23], 0
	s_cbranch_execnz .LBB91_63
	s_branch .LBB91_64
.LBB91_60:
	s_mov_b64 s[22:23], 0
                                        ; implicit-def: $sgpr18_sgpr19
	s_cbranch_execz .LBB91_62
; %bb.61:
	s_waitcnt vmcnt(6)
	v_cmp_gt_f64_e32 vcc, v[41:42], v[45:46]
	s_andn2_b64 s[18:19], s[18:19], exec
	s_and_b64 s[24:25], vcc, exec
	s_or_b64 s[18:19], s[18:19], s[24:25]
.LBB91_62:
	s_branch .LBB91_64
.LBB91_63:
	s_cmp_lg_u32 s13, 0
	s_mov_b64 s[20:21], -1
	s_cselect_b64 s[22:23], -1, 0
.LBB91_64:
	s_andn2_b64 vcc, exec, s[22:23]
	s_cbranch_vccz .LBB91_70
; %bb.65:
	s_andn2_b64 vcc, exec, s[20:21]
	s_cbranch_vccz .LBB91_71
.LBB91_66:
	s_cmp_lt_i32 s13, 1
	s_mov_b64 s[22:23], 0
	s_cbranch_scc1 .LBB91_72
.LBB91_67:
	s_cmp_gt_i32 s13, 1
	s_cbranch_scc0 .LBB91_73
; %bb.68:
	s_cmp_eq_u32 s13, 2
	s_cbranch_scc0 .LBB91_255
; %bb.69:
	s_waitcnt vmcnt(6)
	v_cmp_le_f64_e64 s[20:21], v[43:44], v[47:48]
	s_mov_b64 s[24:25], 0
	s_branch .LBB91_75
.LBB91_70:
	s_waitcnt vmcnt(6)
	v_cmp_lt_f64_e32 vcc, v[41:42], v[45:46]
	s_andn2_b64 s[18:19], s[18:19], exec
	s_and_b64 s[22:23], vcc, exec
	s_or_b64 s[18:19], s[18:19], s[22:23]
	s_cbranch_execnz .LBB91_66
.LBB91_71:
	s_waitcnt vmcnt(6)
	v_cmp_ge_f64_e32 vcc, v[41:42], v[45:46]
	s_andn2_b64 s[18:19], s[18:19], exec
	s_and_b64 s[20:21], vcc, exec
	s_or_b64 s[18:19], s[18:19], s[20:21]
	s_cmp_lt_i32 s13, 1
	s_mov_b64 s[22:23], 0
	s_cbranch_scc0 .LBB91_67
.LBB91_72:
                                        ; implicit-def: $sgpr20_sgpr21
	s_mov_b64 s[24:25], 0
	s_cbranch_execnz .LBB91_76
	s_branch .LBB91_77
.LBB91_73:
	s_mov_b64 s[24:25], 0
                                        ; implicit-def: $sgpr20_sgpr21
	s_cbranch_execz .LBB91_75
; %bb.74:
	s_waitcnt vmcnt(6)
	v_cmp_gt_f64_e32 vcc, v[43:44], v[47:48]
	s_andn2_b64 s[20:21], s[20:21], exec
	s_and_b64 s[26:27], vcc, exec
	s_or_b64 s[20:21], s[20:21], s[26:27]
.LBB91_75:
	s_branch .LBB91_77
.LBB91_76:
	s_cmp_lg_u32 s13, 0
	s_mov_b64 s[22:23], -1
	s_cselect_b64 s[24:25], -1, 0
.LBB91_77:
	s_andn2_b64 vcc, exec, s[24:25]
	s_cbranch_vccz .LBB91_83
; %bb.78:
	s_andn2_b64 vcc, exec, s[22:23]
	s_cbranch_vccz .LBB91_84
.LBB91_79:
	s_cmp_lt_i32 s13, 1
	s_mov_b64 s[24:25], 0
	s_cbranch_scc1 .LBB91_85
.LBB91_80:
	s_cmp_gt_i32 s13, 1
	s_cbranch_scc0 .LBB91_86
; %bb.81:
	s_cmp_eq_u32 s13, 2
	s_cbranch_scc0 .LBB91_256
; %bb.82:
	s_waitcnt vmcnt(5)
	v_cmp_le_f64_e64 s[22:23], v[33:34], v[37:38]
	s_mov_b64 s[26:27], 0
	s_branch .LBB91_88
.LBB91_83:
	s_waitcnt vmcnt(6)
	v_cmp_lt_f64_e32 vcc, v[43:44], v[47:48]
	s_andn2_b64 s[20:21], s[20:21], exec
	s_and_b64 s[24:25], vcc, exec
	s_or_b64 s[20:21], s[20:21], s[24:25]
	s_cbranch_execnz .LBB91_79
.LBB91_84:
	s_waitcnt vmcnt(6)
	v_cmp_ge_f64_e32 vcc, v[43:44], v[47:48]
	s_andn2_b64 s[20:21], s[20:21], exec
	s_and_b64 s[22:23], vcc, exec
	s_or_b64 s[20:21], s[20:21], s[22:23]
	s_cmp_lt_i32 s13, 1
	s_mov_b64 s[24:25], 0
	s_cbranch_scc0 .LBB91_80
.LBB91_85:
                                        ; implicit-def: $sgpr22_sgpr23
	s_mov_b64 s[26:27], 0
	s_cbranch_execnz .LBB91_89
	s_branch .LBB91_90
.LBB91_86:
	s_mov_b64 s[26:27], 0
                                        ; implicit-def: $sgpr22_sgpr23
	s_cbranch_execz .LBB91_88
; %bb.87:
	s_waitcnt vmcnt(5)
	v_cmp_gt_f64_e32 vcc, v[33:34], v[37:38]
	s_andn2_b64 s[22:23], s[22:23], exec
	s_and_b64 s[28:29], vcc, exec
	s_or_b64 s[22:23], s[22:23], s[28:29]
.LBB91_88:
	s_branch .LBB91_90
.LBB91_89:
	s_cmp_lg_u32 s13, 0
	s_mov_b64 s[24:25], -1
	s_cselect_b64 s[26:27], -1, 0
.LBB91_90:
	s_andn2_b64 vcc, exec, s[26:27]
	s_cbranch_vccz .LBB91_96
; %bb.91:
	s_andn2_b64 vcc, exec, s[24:25]
	s_cbranch_vccz .LBB91_97
.LBB91_92:
	s_cmp_lt_i32 s13, 1
	s_mov_b64 s[26:27], 0
	s_cbranch_scc1 .LBB91_98
.LBB91_93:
	s_cmp_gt_i32 s13, 1
	s_cbranch_scc0 .LBB91_99
; %bb.94:
	s_cmp_eq_u32 s13, 2
	s_cbranch_scc0 .LBB91_257
; %bb.95:
	s_waitcnt vmcnt(5)
	v_cmp_le_f64_e64 s[24:25], v[35:36], v[39:40]
	s_mov_b64 s[28:29], 0
	s_branch .LBB91_101
.LBB91_96:
	s_waitcnt vmcnt(5)
	v_cmp_lt_f64_e32 vcc, v[33:34], v[37:38]
	s_andn2_b64 s[22:23], s[22:23], exec
	s_and_b64 s[26:27], vcc, exec
	s_or_b64 s[22:23], s[22:23], s[26:27]
	s_cbranch_execnz .LBB91_92
.LBB91_97:
	s_waitcnt vmcnt(5)
	v_cmp_ge_f64_e32 vcc, v[33:34], v[37:38]
	s_andn2_b64 s[22:23], s[22:23], exec
	s_and_b64 s[24:25], vcc, exec
	s_or_b64 s[22:23], s[22:23], s[24:25]
	s_cmp_lt_i32 s13, 1
	s_mov_b64 s[26:27], 0
	s_cbranch_scc0 .LBB91_93
.LBB91_98:
                                        ; implicit-def: $sgpr24_sgpr25
	s_mov_b64 s[28:29], 0
	s_cbranch_execnz .LBB91_102
	s_branch .LBB91_103
.LBB91_99:
	s_mov_b64 s[28:29], 0
                                        ; implicit-def: $sgpr24_sgpr25
	s_cbranch_execz .LBB91_101
; %bb.100:
	s_waitcnt vmcnt(5)
	v_cmp_gt_f64_e32 vcc, v[35:36], v[39:40]
	s_andn2_b64 s[24:25], s[24:25], exec
	s_and_b64 s[30:31], vcc, exec
	s_or_b64 s[24:25], s[24:25], s[30:31]
.LBB91_101:
	s_branch .LBB91_103
.LBB91_102:
	s_cmp_lg_u32 s13, 0
	s_mov_b64 s[26:27], -1
	s_cselect_b64 s[28:29], -1, 0
.LBB91_103:
	s_andn2_b64 vcc, exec, s[28:29]
	s_cbranch_vccz .LBB91_109
; %bb.104:
	s_andn2_b64 vcc, exec, s[26:27]
	s_cbranch_vccz .LBB91_110
.LBB91_105:
	s_cmp_lt_i32 s13, 1
	s_mov_b64 s[28:29], 0
	s_cbranch_scc1 .LBB91_111
.LBB91_106:
	s_cmp_gt_i32 s13, 1
	s_cbranch_scc0 .LBB91_112
; %bb.107:
	s_cmp_eq_u32 s13, 2
	s_cbranch_scc0 .LBB91_258
; %bb.108:
	s_waitcnt vmcnt(4)
	v_cmp_le_f64_e64 s[26:27], v[25:26], v[29:30]
	s_mov_b64 s[30:31], 0
	s_branch .LBB91_114
.LBB91_109:
	s_waitcnt vmcnt(5)
	v_cmp_lt_f64_e32 vcc, v[35:36], v[39:40]
	s_andn2_b64 s[24:25], s[24:25], exec
	s_and_b64 s[28:29], vcc, exec
	s_or_b64 s[24:25], s[24:25], s[28:29]
	s_cbranch_execnz .LBB91_105
.LBB91_110:
	s_waitcnt vmcnt(5)
	v_cmp_ge_f64_e32 vcc, v[35:36], v[39:40]
	s_andn2_b64 s[24:25], s[24:25], exec
	s_and_b64 s[26:27], vcc, exec
	s_or_b64 s[24:25], s[24:25], s[26:27]
	s_cmp_lt_i32 s13, 1
	s_mov_b64 s[28:29], 0
	s_cbranch_scc0 .LBB91_106
.LBB91_111:
                                        ; implicit-def: $sgpr26_sgpr27
	s_mov_b64 s[30:31], 0
	s_cbranch_execnz .LBB91_115
	s_branch .LBB91_116
.LBB91_112:
	s_mov_b64 s[30:31], 0
                                        ; implicit-def: $sgpr26_sgpr27
	s_cbranch_execz .LBB91_114
; %bb.113:
	s_waitcnt vmcnt(4)
	v_cmp_gt_f64_e32 vcc, v[25:26], v[29:30]
	s_andn2_b64 s[26:27], s[26:27], exec
	s_and_b64 s[34:35], vcc, exec
	s_or_b64 s[26:27], s[26:27], s[34:35]
.LBB91_114:
	s_branch .LBB91_116
.LBB91_115:
	s_cmp_lg_u32 s13, 0
	s_mov_b64 s[28:29], -1
	s_cselect_b64 s[30:31], -1, 0
.LBB91_116:
	s_andn2_b64 vcc, exec, s[30:31]
	s_cbranch_vccz .LBB91_122
; %bb.117:
	s_andn2_b64 vcc, exec, s[28:29]
	s_cbranch_vccz .LBB91_123
.LBB91_118:
	s_cmp_lt_i32 s13, 1
	s_mov_b64 s[30:31], 0
	s_cbranch_scc1 .LBB91_124
.LBB91_119:
	s_cmp_gt_i32 s13, 1
	s_cbranch_scc0 .LBB91_125
; %bb.120:
	s_cmp_eq_u32 s13, 2
	s_cbranch_scc0 .LBB91_259
; %bb.121:
	s_waitcnt vmcnt(4)
	v_cmp_le_f64_e64 s[28:29], v[27:28], v[31:32]
	s_mov_b64 s[34:35], 0
	s_branch .LBB91_127
.LBB91_122:
	s_waitcnt vmcnt(4)
	v_cmp_lt_f64_e32 vcc, v[25:26], v[29:30]
	s_andn2_b64 s[26:27], s[26:27], exec
	s_and_b64 s[30:31], vcc, exec
	s_or_b64 s[26:27], s[26:27], s[30:31]
	s_cbranch_execnz .LBB91_118
.LBB91_123:
	s_waitcnt vmcnt(4)
	v_cmp_ge_f64_e32 vcc, v[25:26], v[29:30]
	s_andn2_b64 s[26:27], s[26:27], exec
	s_and_b64 s[28:29], vcc, exec
	s_or_b64 s[26:27], s[26:27], s[28:29]
	s_cmp_lt_i32 s13, 1
	s_mov_b64 s[30:31], 0
	s_cbranch_scc0 .LBB91_119
.LBB91_124:
                                        ; implicit-def: $sgpr28_sgpr29
	s_mov_b64 s[34:35], 0
	s_cbranch_execnz .LBB91_128
	s_branch .LBB91_129
.LBB91_125:
	s_mov_b64 s[34:35], 0
                                        ; implicit-def: $sgpr28_sgpr29
	s_cbranch_execz .LBB91_127
; %bb.126:
	s_waitcnt vmcnt(4)
	v_cmp_gt_f64_e32 vcc, v[27:28], v[31:32]
	s_andn2_b64 s[28:29], s[28:29], exec
	s_and_b64 s[36:37], vcc, exec
	s_or_b64 s[28:29], s[28:29], s[36:37]
.LBB91_127:
	s_branch .LBB91_129
.LBB91_128:
	s_cmp_lg_u32 s13, 0
	s_mov_b64 s[30:31], -1
	s_cselect_b64 s[34:35], -1, 0
.LBB91_129:
	s_andn2_b64 vcc, exec, s[34:35]
	s_cbranch_vccz .LBB91_135
; %bb.130:
	s_andn2_b64 vcc, exec, s[30:31]
	s_cbranch_vccz .LBB91_136
.LBB91_131:
	s_cmp_lt_i32 s13, 1
	s_mov_b64 s[34:35], 0
	s_cbranch_scc1 .LBB91_137
.LBB91_132:
	s_cmp_gt_i32 s13, 1
	s_cbranch_scc0 .LBB91_138
; %bb.133:
	s_cmp_eq_u32 s13, 2
	s_cbranch_scc0 .LBB91_260
; %bb.134:
	s_waitcnt vmcnt(3)
	v_cmp_le_f64_e64 s[30:31], v[17:18], v[21:22]
	s_mov_b64 s[36:37], 0
	s_branch .LBB91_140
.LBB91_135:
	s_waitcnt vmcnt(4)
	v_cmp_lt_f64_e32 vcc, v[27:28], v[31:32]
	s_andn2_b64 s[28:29], s[28:29], exec
	s_and_b64 s[34:35], vcc, exec
	s_or_b64 s[28:29], s[28:29], s[34:35]
	s_cbranch_execnz .LBB91_131
.LBB91_136:
	s_waitcnt vmcnt(4)
	v_cmp_ge_f64_e32 vcc, v[27:28], v[31:32]
	s_andn2_b64 s[28:29], s[28:29], exec
	s_and_b64 s[30:31], vcc, exec
	s_or_b64 s[28:29], s[28:29], s[30:31]
	s_cmp_lt_i32 s13, 1
	s_mov_b64 s[34:35], 0
	s_cbranch_scc0 .LBB91_132
.LBB91_137:
                                        ; implicit-def: $sgpr30_sgpr31
	s_mov_b64 s[36:37], 0
	s_cbranch_execnz .LBB91_141
	s_branch .LBB91_142
.LBB91_138:
	s_mov_b64 s[36:37], 0
                                        ; implicit-def: $sgpr30_sgpr31
	s_cbranch_execz .LBB91_140
; %bb.139:
	s_waitcnt vmcnt(3)
	v_cmp_gt_f64_e32 vcc, v[17:18], v[21:22]
	s_andn2_b64 s[30:31], s[30:31], exec
	s_and_b64 s[38:39], vcc, exec
	s_or_b64 s[30:31], s[30:31], s[38:39]
.LBB91_140:
	s_branch .LBB91_142
.LBB91_141:
	s_cmp_lg_u32 s13, 0
	s_mov_b64 s[34:35], -1
	s_cselect_b64 s[36:37], -1, 0
.LBB91_142:
	s_andn2_b64 vcc, exec, s[36:37]
	s_cbranch_vccz .LBB91_148
; %bb.143:
	s_andn2_b64 vcc, exec, s[34:35]
	s_cbranch_vccz .LBB91_149
.LBB91_144:
	s_cmp_lt_i32 s13, 1
	s_mov_b64 s[36:37], 0
	s_cbranch_scc1 .LBB91_150
.LBB91_145:
	s_cmp_gt_i32 s13, 1
	s_cbranch_scc0 .LBB91_151
; %bb.146:
	s_cmp_eq_u32 s13, 2
	s_cbranch_scc0 .LBB91_261
; %bb.147:
	s_waitcnt vmcnt(3)
	v_cmp_le_f64_e64 s[34:35], v[19:20], v[23:24]
	s_mov_b64 s[38:39], 0
	s_branch .LBB91_153
.LBB91_148:
	s_waitcnt vmcnt(3)
	v_cmp_lt_f64_e32 vcc, v[17:18], v[21:22]
	s_andn2_b64 s[30:31], s[30:31], exec
	s_and_b64 s[36:37], vcc, exec
	s_or_b64 s[30:31], s[30:31], s[36:37]
	s_cbranch_execnz .LBB91_144
.LBB91_149:
	s_waitcnt vmcnt(3)
	v_cmp_ge_f64_e32 vcc, v[17:18], v[21:22]
	s_andn2_b64 s[30:31], s[30:31], exec
	s_and_b64 s[34:35], vcc, exec
	s_or_b64 s[30:31], s[30:31], s[34:35]
	s_cmp_lt_i32 s13, 1
	s_mov_b64 s[36:37], 0
	s_cbranch_scc0 .LBB91_145
.LBB91_150:
                                        ; implicit-def: $sgpr34_sgpr35
	s_mov_b64 s[38:39], 0
	s_cbranch_execnz .LBB91_154
	s_branch .LBB91_155
.LBB91_151:
	s_mov_b64 s[38:39], 0
                                        ; implicit-def: $sgpr34_sgpr35
	s_cbranch_execz .LBB91_153
; %bb.152:
	s_waitcnt vmcnt(3)
	v_cmp_gt_f64_e32 vcc, v[19:20], v[23:24]
	s_andn2_b64 s[34:35], s[34:35], exec
	s_and_b64 s[40:41], vcc, exec
	s_or_b64 s[34:35], s[34:35], s[40:41]
.LBB91_153:
	s_branch .LBB91_155
.LBB91_154:
	s_cmp_lg_u32 s13, 0
	s_mov_b64 s[36:37], -1
	s_cselect_b64 s[38:39], -1, 0
.LBB91_155:
	s_andn2_b64 vcc, exec, s[38:39]
	s_cbranch_vccz .LBB91_161
; %bb.156:
	s_andn2_b64 vcc, exec, s[36:37]
	s_cbranch_vccz .LBB91_162
.LBB91_157:
	s_cmp_lt_i32 s13, 1
	s_mov_b64 s[38:39], 0
	s_cbranch_scc1 .LBB91_163
.LBB91_158:
	s_cmp_gt_i32 s13, 1
	s_cbranch_scc0 .LBB91_164
; %bb.159:
	s_cmp_eq_u32 s13, 2
	s_cbranch_scc0 .LBB91_262
; %bb.160:
	s_waitcnt vmcnt(2)
	v_cmp_le_f64_e64 s[36:37], v[9:10], v[13:14]
	s_mov_b64 s[40:41], 0
	s_branch .LBB91_166
.LBB91_161:
	s_waitcnt vmcnt(3)
	v_cmp_lt_f64_e32 vcc, v[19:20], v[23:24]
	s_andn2_b64 s[34:35], s[34:35], exec
	s_and_b64 s[38:39], vcc, exec
	s_or_b64 s[34:35], s[34:35], s[38:39]
	s_cbranch_execnz .LBB91_157
.LBB91_162:
	s_waitcnt vmcnt(3)
	v_cmp_ge_f64_e32 vcc, v[19:20], v[23:24]
	s_andn2_b64 s[34:35], s[34:35], exec
	s_and_b64 s[36:37], vcc, exec
	s_or_b64 s[34:35], s[34:35], s[36:37]
	s_cmp_lt_i32 s13, 1
	s_mov_b64 s[38:39], 0
	s_cbranch_scc0 .LBB91_158
.LBB91_163:
                                        ; implicit-def: $sgpr36_sgpr37
	s_mov_b64 s[40:41], 0
	s_cbranch_execnz .LBB91_167
	s_branch .LBB91_168
.LBB91_164:
	s_mov_b64 s[40:41], 0
                                        ; implicit-def: $sgpr36_sgpr37
	s_cbranch_execz .LBB91_166
; %bb.165:
	s_waitcnt vmcnt(2)
	v_cmp_gt_f64_e32 vcc, v[9:10], v[13:14]
	s_andn2_b64 s[36:37], s[36:37], exec
	s_and_b64 s[42:43], vcc, exec
	s_or_b64 s[36:37], s[36:37], s[42:43]
.LBB91_166:
	s_branch .LBB91_168
.LBB91_167:
	s_cmp_lg_u32 s13, 0
	s_mov_b64 s[38:39], -1
	s_cselect_b64 s[40:41], -1, 0
.LBB91_168:
	s_andn2_b64 vcc, exec, s[40:41]
	s_cbranch_vccz .LBB91_174
; %bb.169:
	s_andn2_b64 vcc, exec, s[38:39]
	s_cbranch_vccz .LBB91_175
.LBB91_170:
	s_cmp_lt_i32 s13, 1
	s_mov_b64 s[40:41], 0
	s_cbranch_scc1 .LBB91_176
.LBB91_171:
	s_cmp_gt_i32 s13, 1
	s_cbranch_scc0 .LBB91_177
; %bb.172:
	s_cmp_eq_u32 s13, 2
	s_cbranch_scc0 .LBB91_263
; %bb.173:
	s_waitcnt vmcnt(2)
	v_cmp_le_f64_e64 s[38:39], v[11:12], v[15:16]
	s_mov_b64 s[42:43], 0
	s_branch .LBB91_179
.LBB91_174:
	s_waitcnt vmcnt(2)
	v_cmp_lt_f64_e32 vcc, v[9:10], v[13:14]
	s_andn2_b64 s[36:37], s[36:37], exec
	s_and_b64 s[40:41], vcc, exec
	s_or_b64 s[36:37], s[36:37], s[40:41]
	s_cbranch_execnz .LBB91_170
.LBB91_175:
	s_waitcnt vmcnt(2)
	v_cmp_ge_f64_e32 vcc, v[9:10], v[13:14]
	s_andn2_b64 s[36:37], s[36:37], exec
	s_and_b64 s[38:39], vcc, exec
	s_or_b64 s[36:37], s[36:37], s[38:39]
	s_cmp_lt_i32 s13, 1
	s_mov_b64 s[40:41], 0
	s_cbranch_scc0 .LBB91_171
.LBB91_176:
                                        ; implicit-def: $sgpr38_sgpr39
	s_mov_b64 s[42:43], 0
	s_cbranch_execnz .LBB91_180
	s_branch .LBB91_181
.LBB91_177:
	s_mov_b64 s[42:43], 0
                                        ; implicit-def: $sgpr38_sgpr39
	s_cbranch_execz .LBB91_179
; %bb.178:
	s_waitcnt vmcnt(2)
	v_cmp_gt_f64_e32 vcc, v[11:12], v[15:16]
	s_andn2_b64 s[38:39], s[38:39], exec
	s_and_b64 s[44:45], vcc, exec
	s_or_b64 s[38:39], s[38:39], s[44:45]
.LBB91_179:
	s_branch .LBB91_181
.LBB91_180:
	s_cmp_lg_u32 s13, 0
	s_mov_b64 s[40:41], -1
	s_cselect_b64 s[42:43], -1, 0
.LBB91_181:
	s_andn2_b64 vcc, exec, s[42:43]
	s_cbranch_vccz .LBB91_187
; %bb.182:
	s_andn2_b64 vcc, exec, s[40:41]
	s_cbranch_vccz .LBB91_188
.LBB91_183:
	s_cmp_lt_i32 s13, 1
	s_mov_b64 s[42:43], 0
	s_cbranch_scc1 .LBB91_189
.LBB91_184:
	s_cmp_gt_i32 s13, 1
	s_cbranch_scc0 .LBB91_190
; %bb.185:
	s_cmp_eq_u32 s13, 2
	s_cbranch_scc0 .LBB91_264
; %bb.186:
	s_waitcnt vmcnt(0)
	v_cmp_le_f64_e64 s[40:41], v[1:2], v[5:6]
	s_mov_b64 s[44:45], 0
	s_branch .LBB91_192
.LBB91_187:
	s_waitcnt vmcnt(2)
	v_cmp_lt_f64_e32 vcc, v[11:12], v[15:16]
	s_andn2_b64 s[38:39], s[38:39], exec
	s_and_b64 s[42:43], vcc, exec
	s_or_b64 s[38:39], s[38:39], s[42:43]
	s_cbranch_execnz .LBB91_183
.LBB91_188:
	s_waitcnt vmcnt(2)
	v_cmp_ge_f64_e32 vcc, v[11:12], v[15:16]
	s_andn2_b64 s[38:39], s[38:39], exec
	s_and_b64 s[40:41], vcc, exec
	s_or_b64 s[38:39], s[38:39], s[40:41]
	s_cmp_lt_i32 s13, 1
	s_mov_b64 s[42:43], 0
	s_cbranch_scc0 .LBB91_184
.LBB91_189:
                                        ; implicit-def: $sgpr40_sgpr41
	s_mov_b64 s[44:45], 0
	s_cbranch_execnz .LBB91_193
	s_branch .LBB91_194
.LBB91_190:
	s_mov_b64 s[44:45], 0
                                        ; implicit-def: $sgpr40_sgpr41
	s_cbranch_execz .LBB91_192
; %bb.191:
	s_waitcnt vmcnt(0)
	v_cmp_gt_f64_e32 vcc, v[1:2], v[5:6]
	s_andn2_b64 s[40:41], s[40:41], exec
	s_and_b64 s[46:47], vcc, exec
	s_or_b64 s[40:41], s[40:41], s[46:47]
.LBB91_192:
	s_branch .LBB91_194
.LBB91_193:
	s_cmp_lg_u32 s13, 0
	s_mov_b64 s[42:43], -1
	s_cselect_b64 s[44:45], -1, 0
.LBB91_194:
	s_andn2_b64 vcc, exec, s[44:45]
	s_cbranch_vccz .LBB91_200
; %bb.195:
	s_andn2_b64 vcc, exec, s[42:43]
	s_cbranch_vccz .LBB91_201
.LBB91_196:
	s_cmp_lt_i32 s13, 1
	s_mov_b64 s[44:45], 0
	s_cbranch_scc1 .LBB91_202
.LBB91_197:
	s_cmp_gt_i32 s13, 1
	s_cbranch_scc0 .LBB91_203
; %bb.198:
	s_cmp_eq_u32 s13, 2
	s_cbranch_scc0 .LBB91_265
; %bb.199:
	s_waitcnt vmcnt(0)
	v_cmp_le_f64_e64 s[42:43], v[3:4], v[7:8]
	s_mov_b64 s[46:47], 0
	s_branch .LBB91_205
.LBB91_200:
	s_waitcnt vmcnt(0)
	v_cmp_lt_f64_e32 vcc, v[1:2], v[5:6]
	s_andn2_b64 s[40:41], s[40:41], exec
	s_and_b64 s[44:45], vcc, exec
	s_or_b64 s[40:41], s[40:41], s[44:45]
	s_cbranch_execnz .LBB91_196
.LBB91_201:
	s_waitcnt vmcnt(0)
	v_cmp_ge_f64_e32 vcc, v[1:2], v[5:6]
	s_andn2_b64 s[40:41], s[40:41], exec
	s_and_b64 s[42:43], vcc, exec
	s_or_b64 s[40:41], s[40:41], s[42:43]
	s_cmp_lt_i32 s13, 1
	s_mov_b64 s[44:45], 0
	s_cbranch_scc0 .LBB91_197
.LBB91_202:
                                        ; implicit-def: $sgpr42_sgpr43
	s_mov_b64 s[46:47], 0
	s_cbranch_execnz .LBB91_206
	s_branch .LBB91_207
.LBB91_203:
	s_mov_b64 s[46:47], 0
                                        ; implicit-def: $sgpr42_sgpr43
	s_cbranch_execz .LBB91_205
; %bb.204:
	s_waitcnt vmcnt(0)
	v_cmp_gt_f64_e32 vcc, v[3:4], v[7:8]
	s_andn2_b64 s[42:43], s[42:43], exec
	s_and_b64 s[48:49], vcc, exec
	s_or_b64 s[42:43], s[42:43], s[48:49]
.LBB91_205:
	s_branch .LBB91_207
.LBB91_206:
	s_cmp_lg_u32 s13, 0
	s_mov_b64 s[44:45], -1
	s_cselect_b64 s[46:47], -1, 0
.LBB91_207:
	s_andn2_b64 vcc, exec, s[46:47]
	s_cbranch_vccz .LBB91_249
; %bb.208:
	s_andn2_b64 vcc, exec, s[44:45]
	s_cbranch_vccnz .LBB91_210
.LBB91_209:
	s_waitcnt vmcnt(0)
	v_cmp_ge_f64_e32 vcc, v[3:4], v[7:8]
	s_andn2_b64 s[42:43], s[42:43], exec
	s_and_b64 s[44:45], vcc, exec
	s_or_b64 s[42:43], s[42:43], s[44:45]
.LBB91_210:
	s_waitcnt vmcnt(9)
	v_mov_b32_e32 v3, 0x100
	v_cndmask_b32_e64 v2, 0, 1, s[36:37]
	v_cndmask_b32_e64 v4, 0, v3, s[38:39]
	v_or_b32_e32 v2, v4, v2
	v_cndmask_b32_e64 v4, 0, 1, s[30:31]
	s_waitcnt vmcnt(0)
	v_cndmask_b32_e64 v5, 0, v3, s[34:35]
	v_or_b32_e32 v4, v5, v4
	v_cndmask_b32_e64 v5, 0, 1, s[26:27]
	v_cndmask_b32_e64 v6, 0, v3, s[28:29]
	v_or_b32_e32 v5, v6, v5
	v_cndmask_b32_e64 v6, 0, 1, s[22:23]
	;; [unrolled: 3-line block ×4, first 2 shown]
	v_cndmask_b32_e64 v9, 0, v3, s[16:17]
	v_cndmask_b32_e64 v1, 0, 1, s[40:41]
	v_or_b32_e32 v8, v9, v8
	v_cndmask_b32_e64 v9, 0, 1, s[0:1]
	v_cndmask_b32_e64 v10, 0, v3, s[4:5]
	;; [unrolled: 1-line block ×3, first 2 shown]
	s_add_u32 s0, s8, s2
	v_or_b32_e32 v9, v10, v9
	v_or_b32_e32 v1, v3, v1
	s_addc_u32 s1, s9, s3
	v_lshlrev_b32_e32 v3, 1, v0
	global_store_short v3, v9, s[0:1]
	global_store_short v3, v8, s[0:1] offset:512
	global_store_short v3, v7, s[0:1] offset:1024
	;; [unrolled: 1-line block ×7, first 2 shown]
	s_mov_b64 s[0:1], 0
.LBB91_211:
	s_and_b64 vcc, exec, s[0:1]
	s_cbranch_vccz .LBB91_519
; %bb.212:
	v_mov_b32_e32 v58, 0
	v_mov_b32_e32 v62, 0
	;; [unrolled: 1-line block ×3, first 2 shown]
	v_cmp_gt_i32_e64 s[0:1], s12, v0
	v_mov_b32_e32 v59, 0
	v_or_b32_e32 v1, s2, v0
	v_mov_b32_e32 v63, 0
	v_mov_b32_e32 v65, 0
	;; [unrolled: 1-line block ×3, first 2 shown]
	s_and_saveexec_b64 s[4:5], s[0:1]
	s_cbranch_execz .LBB91_214
; %bb.213:
	v_mov_b32_e32 v2, 0
	v_lshlrev_b64 v[2:3], 3, v[1:2]
	v_mov_b32_e32 v5, s15
	v_add_co_u32_e32 v4, vcc, s14, v2
	v_addc_co_u32_e32 v5, vcc, v5, v3, vcc
	v_mov_b32_e32 v6, s11
	v_add_co_u32_e32 v2, vcc, s10, v2
	v_addc_co_u32_e32 v3, vcc, v6, v3, vcc
	global_load_dwordx2 v[62:63], v[2:3], off
	global_load_dwordx2 v[64:65], v[4:5], off
	v_or_b32_e32 v66, 0x100, v0
.LBB91_214:
	s_or_b64 exec, exec, s[4:5]
	v_mov_b32_e32 v60, 0
	v_mov_b32_e32 v61, 0
	v_cmp_gt_i32_e32 vcc, s12, v66
	s_and_saveexec_b64 s[4:5], vcc
	s_cbranch_execz .LBB91_216
; %bb.215:
	v_add_u32_e32 v2, s2, v66
	v_mov_b32_e32 v3, 0
	v_lshlrev_b64 v[2:3], 3, v[2:3]
	v_mov_b32_e32 v5, s15
	v_add_co_u32_e32 v4, vcc, s14, v2
	v_addc_co_u32_e32 v5, vcc, v5, v3, vcc
	v_mov_b32_e32 v6, s11
	v_add_co_u32_e32 v2, vcc, s10, v2
	v_addc_co_u32_e32 v3, vcc, v6, v3, vcc
	global_load_dwordx2 v[58:59], v[2:3], off
	global_load_dwordx2 v[60:61], v[4:5], off
	v_add_u32_e32 v66, 0x100, v66
.LBB91_216:
	s_or_b64 exec, exec, s[4:5]
	v_mov_b32_e32 v50, 0
	v_mov_b32_e32 v54, 0
	v_mov_b32_e32 v56, 0
	v_mov_b32_e32 v51, 0
	v_mov_b32_e32 v55, 0
	v_mov_b32_e32 v57, 0
	v_cmp_gt_i32_e32 vcc, s12, v66
	s_and_saveexec_b64 s[4:5], vcc
	s_cbranch_execz .LBB91_218
; %bb.217:
	v_add_u32_e32 v2, s2, v66
	v_mov_b32_e32 v3, 0
	v_lshlrev_b64 v[2:3], 3, v[2:3]
	v_mov_b32_e32 v5, s15
	v_add_co_u32_e32 v4, vcc, s14, v2
	v_addc_co_u32_e32 v5, vcc, v5, v3, vcc
	v_mov_b32_e32 v6, s11
	v_add_co_u32_e32 v2, vcc, s10, v2
	v_addc_co_u32_e32 v3, vcc, v6, v3, vcc
	global_load_dwordx2 v[54:55], v[2:3], off
	global_load_dwordx2 v[56:57], v[4:5], off
	v_add_u32_e32 v66, 0x100, v66
.LBB91_218:
	s_or_b64 exec, exec, s[4:5]
	v_mov_b32_e32 v52, 0
	v_mov_b32_e32 v53, 0
	v_cmp_gt_i32_e32 vcc, s12, v66
	s_and_saveexec_b64 s[4:5], vcc
	s_cbranch_execz .LBB91_220
; %bb.219:
	v_add_u32_e32 v2, s2, v66
	v_mov_b32_e32 v3, 0
	v_lshlrev_b64 v[2:3], 3, v[2:3]
	v_mov_b32_e32 v5, s15
	v_add_co_u32_e32 v4, vcc, s14, v2
	v_addc_co_u32_e32 v5, vcc, v5, v3, vcc
	v_mov_b32_e32 v6, s11
	v_add_co_u32_e32 v2, vcc, s10, v2
	v_addc_co_u32_e32 v3, vcc, v6, v3, vcc
	global_load_dwordx2 v[50:51], v[2:3], off
	global_load_dwordx2 v[52:53], v[4:5], off
	v_add_u32_e32 v66, 0x100, v66
.LBB91_220:
	s_or_b64 exec, exec, s[4:5]
	v_mov_b32_e32 v42, 0
	v_mov_b32_e32 v46, 0
	v_mov_b32_e32 v48, 0
	v_mov_b32_e32 v43, 0
	v_mov_b32_e32 v47, 0
	v_mov_b32_e32 v49, 0
	v_cmp_gt_i32_e32 vcc, s12, v66
	s_and_saveexec_b64 s[4:5], vcc
	s_cbranch_execz .LBB91_222
; %bb.221:
	v_add_u32_e32 v2, s2, v66
	v_mov_b32_e32 v3, 0
	v_lshlrev_b64 v[2:3], 3, v[2:3]
	v_mov_b32_e32 v5, s15
	v_add_co_u32_e32 v4, vcc, s14, v2
	v_addc_co_u32_e32 v5, vcc, v5, v3, vcc
	v_mov_b32_e32 v6, s11
	v_add_co_u32_e32 v2, vcc, s10, v2
	v_addc_co_u32_e32 v3, vcc, v6, v3, vcc
	global_load_dwordx2 v[46:47], v[2:3], off
	global_load_dwordx2 v[48:49], v[4:5], off
	v_add_u32_e32 v66, 0x100, v66
.LBB91_222:
	;; [unrolled: 44-line block ×7, first 2 shown]
	s_or_b64 exec, exec, s[4:5]
	v_mov_b32_e32 v4, 0
	v_mov_b32_e32 v5, 0
	v_cmp_gt_i32_e32 vcc, s12, v66
	s_and_saveexec_b64 s[4:5], vcc
	s_cbranch_execz .LBB91_244
; %bb.243:
	v_add_u32_e32 v2, s2, v66
	v_mov_b32_e32 v3, 0
	v_lshlrev_b64 v[2:3], 3, v[2:3]
	v_mov_b32_e32 v4, s15
	v_add_co_u32_e32 v66, vcc, s14, v2
	v_addc_co_u32_e32 v67, vcc, v4, v3, vcc
	v_mov_b32_e32 v4, s11
	v_add_co_u32_e32 v68, vcc, s10, v2
	v_addc_co_u32_e32 v69, vcc, v4, v3, vcc
	global_load_dwordx2 v[2:3], v[68:69], off
	global_load_dwordx2 v[4:5], v[66:67], off
.LBB91_244:
	s_or_b64 exec, exec, s[4:5]
                                        ; implicit-def: $vgpr66
	s_and_saveexec_b64 s[4:5], s[0:1]
	s_cbranch_execz .LBB91_276
; %bb.245:
	s_cmp_lt_i32 s13, 1
	s_mov_b64 s[6:7], 0
	s_cbranch_scc1 .LBB91_250
; %bb.246:
	s_cmp_gt_i32 s13, 1
	s_cbranch_scc0 .LBB91_266
; %bb.247:
	s_cmp_eq_u32 s13, 2
	s_cbranch_scc0 .LBB91_267
; %bb.248:
	s_waitcnt vmcnt(0)
	v_cmp_le_f64_e64 s[10:11], v[62:63], v[64:65]
	s_mov_b64 s[14:15], 0
	s_branch .LBB91_268
.LBB91_249:
	s_waitcnt vmcnt(0)
	v_cmp_lt_f64_e32 vcc, v[3:4], v[7:8]
	s_andn2_b64 s[42:43], s[42:43], exec
	s_and_b64 s[46:47], vcc, exec
	s_or_b64 s[42:43], s[42:43], s[46:47]
	s_cbranch_execz .LBB91_209
	s_branch .LBB91_210
.LBB91_250:
                                        ; implicit-def: $sgpr10_sgpr11
	s_mov_b64 s[14:15], 0
	s_cbranch_execnz .LBB91_271
	s_branch .LBB91_272
.LBB91_251:
	s_mov_b64 s[16:17], -1
                                        ; implicit-def: $sgpr4_sgpr5
	s_branch .LBB91_23
.LBB91_252:
	s_mov_b64 s[18:19], -1
                                        ; implicit-def: $sgpr6_sgpr7
	s_branch .LBB91_36
.LBB91_253:
	s_mov_b64 s[20:21], -1
                                        ; implicit-def: $sgpr16_sgpr17
	s_branch .LBB91_49
.LBB91_254:
	s_mov_b64 s[22:23], -1
                                        ; implicit-def: $sgpr18_sgpr19
	s_branch .LBB91_62
.LBB91_255:
	s_mov_b64 s[24:25], -1
                                        ; implicit-def: $sgpr20_sgpr21
	s_branch .LBB91_75
.LBB91_256:
	s_mov_b64 s[26:27], -1
                                        ; implicit-def: $sgpr22_sgpr23
	s_branch .LBB91_88
.LBB91_257:
	s_mov_b64 s[28:29], -1
                                        ; implicit-def: $sgpr24_sgpr25
	s_branch .LBB91_101
.LBB91_258:
	s_mov_b64 s[30:31], -1
                                        ; implicit-def: $sgpr26_sgpr27
	s_branch .LBB91_114
.LBB91_259:
	s_mov_b64 s[34:35], -1
                                        ; implicit-def: $sgpr28_sgpr29
	s_branch .LBB91_127
.LBB91_260:
	s_mov_b64 s[36:37], -1
                                        ; implicit-def: $sgpr30_sgpr31
	s_branch .LBB91_140
.LBB91_261:
	s_mov_b64 s[38:39], -1
                                        ; implicit-def: $sgpr34_sgpr35
	s_branch .LBB91_153
.LBB91_262:
	s_mov_b64 s[40:41], -1
                                        ; implicit-def: $sgpr36_sgpr37
	s_branch .LBB91_166
.LBB91_263:
	s_mov_b64 s[42:43], -1
                                        ; implicit-def: $sgpr38_sgpr39
	s_branch .LBB91_179
.LBB91_264:
	s_mov_b64 s[44:45], -1
                                        ; implicit-def: $sgpr40_sgpr41
	s_branch .LBB91_192
.LBB91_265:
	s_mov_b64 s[46:47], -1
                                        ; implicit-def: $sgpr42_sgpr43
	s_branch .LBB91_205
.LBB91_266:
	s_mov_b64 s[14:15], 0
                                        ; implicit-def: $sgpr10_sgpr11
	s_cbranch_execnz .LBB91_269
	s_branch .LBB91_270
.LBB91_267:
	s_mov_b64 s[14:15], -1
                                        ; implicit-def: $sgpr10_sgpr11
.LBB91_268:
	s_branch .LBB91_270
.LBB91_269:
	s_waitcnt vmcnt(0)
	v_cmp_gt_f64_e32 vcc, v[62:63], v[64:65]
	s_andn2_b64 s[10:11], s[10:11], exec
	s_and_b64 s[16:17], vcc, exec
	s_or_b64 s[10:11], s[10:11], s[16:17]
.LBB91_270:
	s_branch .LBB91_272
.LBB91_271:
	s_cmp_lg_u32 s13, 0
	s_mov_b64 s[6:7], -1
	s_cselect_b64 s[14:15], -1, 0
.LBB91_272:
	s_andn2_b64 vcc, exec, s[14:15]
	s_cbranch_vccz .LBB91_281
; %bb.273:
	s_andn2_b64 vcc, exec, s[6:7]
	s_cbranch_vccnz .LBB91_275
.LBB91_274:
	s_waitcnt vmcnt(0)
	v_cmp_ge_f64_e32 vcc, v[62:63], v[64:65]
	s_andn2_b64 s[6:7], s[10:11], exec
	s_and_b64 s[10:11], vcc, exec
	s_or_b64 s[10:11], s[6:7], s[10:11]
.LBB91_275:
	v_cndmask_b32_e64 v66, 0, 1, s[10:11]
.LBB91_276:
	s_or_b64 exec, exec, s[4:5]
	s_waitcnt vmcnt(1)
	v_or_b32_e32 v62, 0x100, v0
	v_cmp_gt_i32_e32 vcc, s12, v62
                                        ; implicit-def: $vgpr63
	s_and_saveexec_b64 s[4:5], vcc
	s_cbranch_execz .LBB91_291
; %bb.277:
	s_cmp_lt_i32 s13, 1
	s_mov_b64 s[6:7], 0
	s_cbranch_scc1 .LBB91_282
; %bb.278:
	s_cmp_gt_i32 s13, 1
	s_cbranch_scc0 .LBB91_283
; %bb.279:
	s_cmp_eq_u32 s13, 2
	s_cbranch_scc0 .LBB91_535
; %bb.280:
	s_waitcnt vmcnt(0)
	v_cmp_le_f64_e64 s[10:11], v[58:59], v[60:61]
	s_mov_b64 s[14:15], 0
	s_branch .LBB91_285
.LBB91_281:
	s_waitcnt vmcnt(0)
	v_cmp_lt_f64_e32 vcc, v[62:63], v[64:65]
	s_andn2_b64 s[10:11], s[10:11], exec
	s_and_b64 s[14:15], vcc, exec
	s_or_b64 s[10:11], s[10:11], s[14:15]
	s_cbranch_execz .LBB91_274
	s_branch .LBB91_275
.LBB91_282:
                                        ; implicit-def: $sgpr10_sgpr11
	s_mov_b64 s[14:15], 0
	s_cbranch_execnz .LBB91_286
	s_branch .LBB91_287
.LBB91_283:
	s_mov_b64 s[14:15], 0
                                        ; implicit-def: $sgpr10_sgpr11
	s_cbranch_execz .LBB91_285
; %bb.284:
	s_waitcnt vmcnt(0)
	v_cmp_gt_f64_e32 vcc, v[58:59], v[60:61]
	s_andn2_b64 s[10:11], s[10:11], exec
	s_and_b64 s[16:17], vcc, exec
	s_or_b64 s[10:11], s[10:11], s[16:17]
.LBB91_285:
	s_branch .LBB91_287
.LBB91_286:
	s_cmp_lg_u32 s13, 0
	s_mov_b64 s[6:7], -1
	s_cselect_b64 s[14:15], -1, 0
.LBB91_287:
	s_andn2_b64 vcc, exec, s[14:15]
	s_cbranch_vccz .LBB91_296
; %bb.288:
	s_andn2_b64 vcc, exec, s[6:7]
	s_cbranch_vccnz .LBB91_290
.LBB91_289:
	s_waitcnt vmcnt(0)
	v_cmp_ge_f64_e32 vcc, v[58:59], v[60:61]
	s_andn2_b64 s[6:7], s[10:11], exec
	s_and_b64 s[10:11], vcc, exec
	s_or_b64 s[10:11], s[6:7], s[10:11]
.LBB91_290:
	v_cndmask_b32_e64 v63, 0, 1, s[10:11]
.LBB91_291:
	s_or_b64 exec, exec, s[4:5]
	v_or_b32_e32 v58, 0x200, v0
	v_cmp_gt_i32_e32 vcc, s12, v58
                                        ; implicit-def: $vgpr58
	s_and_saveexec_b64 s[4:5], vcc
	s_cbranch_execz .LBB91_306
; %bb.292:
	s_cmp_lt_i32 s13, 1
	s_mov_b64 s[6:7], 0
	s_cbranch_scc1 .LBB91_297
; %bb.293:
	s_cmp_gt_i32 s13, 1
	s_cbranch_scc0 .LBB91_298
; %bb.294:
	s_cmp_eq_u32 s13, 2
	s_cbranch_scc0 .LBB91_536
; %bb.295:
	s_waitcnt vmcnt(0)
	v_cmp_le_f64_e64 s[10:11], v[54:55], v[56:57]
	s_mov_b64 s[14:15], 0
	s_branch .LBB91_300
.LBB91_296:
	s_waitcnt vmcnt(0)
	v_cmp_lt_f64_e32 vcc, v[58:59], v[60:61]
	s_andn2_b64 s[10:11], s[10:11], exec
	s_and_b64 s[14:15], vcc, exec
	s_or_b64 s[10:11], s[10:11], s[14:15]
	s_cbranch_execz .LBB91_289
	s_branch .LBB91_290
.LBB91_297:
                                        ; implicit-def: $sgpr10_sgpr11
	s_mov_b64 s[14:15], 0
	s_cbranch_execnz .LBB91_301
	s_branch .LBB91_302
.LBB91_298:
	s_mov_b64 s[14:15], 0
                                        ; implicit-def: $sgpr10_sgpr11
	s_cbranch_execz .LBB91_300
; %bb.299:
	s_waitcnt vmcnt(0)
	v_cmp_gt_f64_e32 vcc, v[54:55], v[56:57]
	s_andn2_b64 s[10:11], s[10:11], exec
	s_and_b64 s[16:17], vcc, exec
	s_or_b64 s[10:11], s[10:11], s[16:17]
.LBB91_300:
	s_branch .LBB91_302
.LBB91_301:
	s_cmp_lg_u32 s13, 0
	s_mov_b64 s[6:7], -1
	s_cselect_b64 s[14:15], -1, 0
.LBB91_302:
	s_andn2_b64 vcc, exec, s[14:15]
	s_cbranch_vccz .LBB91_311
; %bb.303:
	s_andn2_b64 vcc, exec, s[6:7]
	s_cbranch_vccnz .LBB91_305
.LBB91_304:
	s_waitcnt vmcnt(0)
	v_cmp_ge_f64_e32 vcc, v[54:55], v[56:57]
	s_andn2_b64 s[6:7], s[10:11], exec
	s_and_b64 s[10:11], vcc, exec
	s_or_b64 s[10:11], s[6:7], s[10:11]
.LBB91_305:
	v_cndmask_b32_e64 v58, 0, 1, s[10:11]
.LBB91_306:
	s_or_b64 exec, exec, s[4:5]
	v_or_b32_e32 v54, 0x300, v0
	v_cmp_gt_i32_e32 vcc, s12, v54
                                        ; implicit-def: $vgpr54
	s_and_saveexec_b64 s[4:5], vcc
	s_cbranch_execz .LBB91_321
; %bb.307:
	s_cmp_lt_i32 s13, 1
	s_mov_b64 s[6:7], 0
	s_cbranch_scc1 .LBB91_312
; %bb.308:
	s_cmp_gt_i32 s13, 1
	s_cbranch_scc0 .LBB91_313
; %bb.309:
	s_cmp_eq_u32 s13, 2
	s_cbranch_scc0 .LBB91_537
; %bb.310:
	s_waitcnt vmcnt(0)
	v_cmp_le_f64_e64 s[10:11], v[50:51], v[52:53]
	s_mov_b64 s[14:15], 0
	s_branch .LBB91_315
.LBB91_311:
	s_waitcnt vmcnt(0)
	v_cmp_lt_f64_e32 vcc, v[54:55], v[56:57]
	s_andn2_b64 s[10:11], s[10:11], exec
	s_and_b64 s[14:15], vcc, exec
	s_or_b64 s[10:11], s[10:11], s[14:15]
	s_cbranch_execz .LBB91_304
	s_branch .LBB91_305
.LBB91_312:
                                        ; implicit-def: $sgpr10_sgpr11
	s_mov_b64 s[14:15], 0
	s_cbranch_execnz .LBB91_316
	s_branch .LBB91_317
.LBB91_313:
	s_mov_b64 s[14:15], 0
                                        ; implicit-def: $sgpr10_sgpr11
	s_cbranch_execz .LBB91_315
; %bb.314:
	s_waitcnt vmcnt(0)
	v_cmp_gt_f64_e32 vcc, v[50:51], v[52:53]
	s_andn2_b64 s[10:11], s[10:11], exec
	s_and_b64 s[16:17], vcc, exec
	s_or_b64 s[10:11], s[10:11], s[16:17]
.LBB91_315:
	s_branch .LBB91_317
.LBB91_316:
	s_cmp_lg_u32 s13, 0
	s_mov_b64 s[6:7], -1
	s_cselect_b64 s[14:15], -1, 0
.LBB91_317:
	s_andn2_b64 vcc, exec, s[14:15]
	s_cbranch_vccz .LBB91_326
; %bb.318:
	s_andn2_b64 vcc, exec, s[6:7]
	s_cbranch_vccnz .LBB91_320
.LBB91_319:
	s_waitcnt vmcnt(0)
	v_cmp_ge_f64_e32 vcc, v[50:51], v[52:53]
	s_andn2_b64 s[6:7], s[10:11], exec
	s_and_b64 s[10:11], vcc, exec
	s_or_b64 s[10:11], s[6:7], s[10:11]
.LBB91_320:
	v_cndmask_b32_e64 v54, 0, 1, s[10:11]
.LBB91_321:
	s_or_b64 exec, exec, s[4:5]
	v_or_b32_e32 v50, 0x400, v0
	v_cmp_gt_i32_e32 vcc, s12, v50
                                        ; implicit-def: $vgpr50
	s_and_saveexec_b64 s[4:5], vcc
	s_cbranch_execz .LBB91_336
; %bb.322:
	s_cmp_lt_i32 s13, 1
	s_mov_b64 s[6:7], 0
	s_cbranch_scc1 .LBB91_327
; %bb.323:
	s_cmp_gt_i32 s13, 1
	s_cbranch_scc0 .LBB91_328
; %bb.324:
	s_cmp_eq_u32 s13, 2
	s_cbranch_scc0 .LBB91_538
; %bb.325:
	s_waitcnt vmcnt(0)
	v_cmp_le_f64_e64 s[10:11], v[46:47], v[48:49]
	s_mov_b64 s[14:15], 0
	s_branch .LBB91_330
.LBB91_326:
	s_waitcnt vmcnt(0)
	v_cmp_lt_f64_e32 vcc, v[50:51], v[52:53]
	s_andn2_b64 s[10:11], s[10:11], exec
	s_and_b64 s[14:15], vcc, exec
	s_or_b64 s[10:11], s[10:11], s[14:15]
	s_cbranch_execz .LBB91_319
	s_branch .LBB91_320
.LBB91_327:
                                        ; implicit-def: $sgpr10_sgpr11
	s_mov_b64 s[14:15], 0
	s_cbranch_execnz .LBB91_331
	s_branch .LBB91_332
.LBB91_328:
	s_mov_b64 s[14:15], 0
                                        ; implicit-def: $sgpr10_sgpr11
	s_cbranch_execz .LBB91_330
; %bb.329:
	s_waitcnt vmcnt(0)
	v_cmp_gt_f64_e32 vcc, v[46:47], v[48:49]
	s_andn2_b64 s[10:11], s[10:11], exec
	s_and_b64 s[16:17], vcc, exec
	s_or_b64 s[10:11], s[10:11], s[16:17]
.LBB91_330:
	s_branch .LBB91_332
.LBB91_331:
	s_cmp_lg_u32 s13, 0
	s_mov_b64 s[6:7], -1
	s_cselect_b64 s[14:15], -1, 0
.LBB91_332:
	s_andn2_b64 vcc, exec, s[14:15]
	s_cbranch_vccz .LBB91_341
; %bb.333:
	s_andn2_b64 vcc, exec, s[6:7]
	s_cbranch_vccnz .LBB91_335
.LBB91_334:
	s_waitcnt vmcnt(0)
	v_cmp_ge_f64_e32 vcc, v[46:47], v[48:49]
	s_andn2_b64 s[6:7], s[10:11], exec
	s_and_b64 s[10:11], vcc, exec
	s_or_b64 s[10:11], s[6:7], s[10:11]
.LBB91_335:
	v_cndmask_b32_e64 v50, 0, 1, s[10:11]
.LBB91_336:
	s_or_b64 exec, exec, s[4:5]
	v_or_b32_e32 v46, 0x500, v0
	v_cmp_gt_i32_e32 vcc, s12, v46
                                        ; implicit-def: $vgpr46
	s_and_saveexec_b64 s[4:5], vcc
	s_cbranch_execz .LBB91_351
; %bb.337:
	s_cmp_lt_i32 s13, 1
	s_mov_b64 s[6:7], 0
	s_cbranch_scc1 .LBB91_342
; %bb.338:
	s_cmp_gt_i32 s13, 1
	s_cbranch_scc0 .LBB91_343
; %bb.339:
	s_cmp_eq_u32 s13, 2
	s_cbranch_scc0 .LBB91_539
; %bb.340:
	s_waitcnt vmcnt(0)
	v_cmp_le_f64_e64 s[10:11], v[42:43], v[44:45]
	s_mov_b64 s[14:15], 0
	s_branch .LBB91_345
.LBB91_341:
	s_waitcnt vmcnt(0)
	v_cmp_lt_f64_e32 vcc, v[46:47], v[48:49]
	s_andn2_b64 s[10:11], s[10:11], exec
	s_and_b64 s[14:15], vcc, exec
	s_or_b64 s[10:11], s[10:11], s[14:15]
	s_cbranch_execz .LBB91_334
	s_branch .LBB91_335
.LBB91_342:
                                        ; implicit-def: $sgpr10_sgpr11
	s_mov_b64 s[14:15], 0
	s_cbranch_execnz .LBB91_346
	s_branch .LBB91_347
.LBB91_343:
	s_mov_b64 s[14:15], 0
                                        ; implicit-def: $sgpr10_sgpr11
	s_cbranch_execz .LBB91_345
; %bb.344:
	s_waitcnt vmcnt(0)
	v_cmp_gt_f64_e32 vcc, v[42:43], v[44:45]
	s_andn2_b64 s[10:11], s[10:11], exec
	s_and_b64 s[16:17], vcc, exec
	s_or_b64 s[10:11], s[10:11], s[16:17]
.LBB91_345:
	s_branch .LBB91_347
.LBB91_346:
	s_cmp_lg_u32 s13, 0
	s_mov_b64 s[6:7], -1
	s_cselect_b64 s[14:15], -1, 0
.LBB91_347:
	s_andn2_b64 vcc, exec, s[14:15]
	s_cbranch_vccz .LBB91_356
; %bb.348:
	s_andn2_b64 vcc, exec, s[6:7]
	s_cbranch_vccnz .LBB91_350
.LBB91_349:
	s_waitcnt vmcnt(0)
	v_cmp_ge_f64_e32 vcc, v[42:43], v[44:45]
	s_andn2_b64 s[6:7], s[10:11], exec
	s_and_b64 s[10:11], vcc, exec
	s_or_b64 s[10:11], s[6:7], s[10:11]
.LBB91_350:
	v_cndmask_b32_e64 v46, 0, 1, s[10:11]
.LBB91_351:
	s_or_b64 exec, exec, s[4:5]
	v_or_b32_e32 v42, 0x600, v0
	v_cmp_gt_i32_e32 vcc, s12, v42
                                        ; implicit-def: $vgpr42
	s_and_saveexec_b64 s[4:5], vcc
	s_cbranch_execz .LBB91_366
; %bb.352:
	s_cmp_lt_i32 s13, 1
	s_mov_b64 s[6:7], 0
	s_cbranch_scc1 .LBB91_357
; %bb.353:
	s_cmp_gt_i32 s13, 1
	s_cbranch_scc0 .LBB91_358
; %bb.354:
	s_cmp_eq_u32 s13, 2
	s_cbranch_scc0 .LBB91_540
; %bb.355:
	s_waitcnt vmcnt(0)
	v_cmp_le_f64_e64 s[10:11], v[38:39], v[40:41]
	s_mov_b64 s[14:15], 0
	s_branch .LBB91_360
.LBB91_356:
	s_waitcnt vmcnt(0)
	v_cmp_lt_f64_e32 vcc, v[42:43], v[44:45]
	s_andn2_b64 s[10:11], s[10:11], exec
	s_and_b64 s[14:15], vcc, exec
	s_or_b64 s[10:11], s[10:11], s[14:15]
	s_cbranch_execz .LBB91_349
	s_branch .LBB91_350
.LBB91_357:
                                        ; implicit-def: $sgpr10_sgpr11
	s_mov_b64 s[14:15], 0
	s_cbranch_execnz .LBB91_361
	s_branch .LBB91_362
.LBB91_358:
	s_mov_b64 s[14:15], 0
                                        ; implicit-def: $sgpr10_sgpr11
	s_cbranch_execz .LBB91_360
; %bb.359:
	s_waitcnt vmcnt(0)
	v_cmp_gt_f64_e32 vcc, v[38:39], v[40:41]
	s_andn2_b64 s[10:11], s[10:11], exec
	s_and_b64 s[16:17], vcc, exec
	s_or_b64 s[10:11], s[10:11], s[16:17]
.LBB91_360:
	s_branch .LBB91_362
.LBB91_361:
	s_cmp_lg_u32 s13, 0
	s_mov_b64 s[6:7], -1
	s_cselect_b64 s[14:15], -1, 0
.LBB91_362:
	s_andn2_b64 vcc, exec, s[14:15]
	s_cbranch_vccz .LBB91_371
; %bb.363:
	s_andn2_b64 vcc, exec, s[6:7]
	s_cbranch_vccnz .LBB91_365
.LBB91_364:
	s_waitcnt vmcnt(0)
	v_cmp_ge_f64_e32 vcc, v[38:39], v[40:41]
	s_andn2_b64 s[6:7], s[10:11], exec
	s_and_b64 s[10:11], vcc, exec
	s_or_b64 s[10:11], s[6:7], s[10:11]
.LBB91_365:
	v_cndmask_b32_e64 v42, 0, 1, s[10:11]
.LBB91_366:
	s_or_b64 exec, exec, s[4:5]
	v_or_b32_e32 v38, 0x700, v0
	v_cmp_gt_i32_e32 vcc, s12, v38
                                        ; implicit-def: $vgpr38
	s_and_saveexec_b64 s[4:5], vcc
	s_cbranch_execz .LBB91_381
; %bb.367:
	s_cmp_lt_i32 s13, 1
	s_mov_b64 s[6:7], 0
	s_cbranch_scc1 .LBB91_372
; %bb.368:
	s_cmp_gt_i32 s13, 1
	s_cbranch_scc0 .LBB91_373
; %bb.369:
	s_cmp_eq_u32 s13, 2
	s_cbranch_scc0 .LBB91_541
; %bb.370:
	s_waitcnt vmcnt(0)
	v_cmp_le_f64_e64 s[10:11], v[34:35], v[36:37]
	s_mov_b64 s[14:15], 0
	s_branch .LBB91_375
.LBB91_371:
	s_waitcnt vmcnt(0)
	v_cmp_lt_f64_e32 vcc, v[38:39], v[40:41]
	s_andn2_b64 s[10:11], s[10:11], exec
	s_and_b64 s[14:15], vcc, exec
	s_or_b64 s[10:11], s[10:11], s[14:15]
	s_cbranch_execz .LBB91_364
	s_branch .LBB91_365
.LBB91_372:
                                        ; implicit-def: $sgpr10_sgpr11
	s_mov_b64 s[14:15], 0
	s_cbranch_execnz .LBB91_376
	s_branch .LBB91_377
.LBB91_373:
	s_mov_b64 s[14:15], 0
                                        ; implicit-def: $sgpr10_sgpr11
	s_cbranch_execz .LBB91_375
; %bb.374:
	s_waitcnt vmcnt(0)
	v_cmp_gt_f64_e32 vcc, v[34:35], v[36:37]
	s_andn2_b64 s[10:11], s[10:11], exec
	s_and_b64 s[16:17], vcc, exec
	s_or_b64 s[10:11], s[10:11], s[16:17]
.LBB91_375:
	s_branch .LBB91_377
.LBB91_376:
	s_cmp_lg_u32 s13, 0
	s_mov_b64 s[6:7], -1
	s_cselect_b64 s[14:15], -1, 0
.LBB91_377:
	s_andn2_b64 vcc, exec, s[14:15]
	s_cbranch_vccz .LBB91_386
; %bb.378:
	s_andn2_b64 vcc, exec, s[6:7]
	s_cbranch_vccnz .LBB91_380
.LBB91_379:
	s_waitcnt vmcnt(0)
	v_cmp_ge_f64_e32 vcc, v[34:35], v[36:37]
	s_andn2_b64 s[6:7], s[10:11], exec
	s_and_b64 s[10:11], vcc, exec
	s_or_b64 s[10:11], s[6:7], s[10:11]
.LBB91_380:
	v_cndmask_b32_e64 v38, 0, 1, s[10:11]
.LBB91_381:
	s_or_b64 exec, exec, s[4:5]
	v_or_b32_e32 v34, 0x800, v0
	v_cmp_gt_i32_e32 vcc, s12, v34
                                        ; implicit-def: $vgpr34
	s_and_saveexec_b64 s[4:5], vcc
	s_cbranch_execz .LBB91_396
; %bb.382:
	s_cmp_lt_i32 s13, 1
	s_mov_b64 s[6:7], 0
	s_cbranch_scc1 .LBB91_387
; %bb.383:
	s_cmp_gt_i32 s13, 1
	s_cbranch_scc0 .LBB91_388
; %bb.384:
	s_cmp_eq_u32 s13, 2
	s_cbranch_scc0 .LBB91_542
; %bb.385:
	s_waitcnt vmcnt(0)
	v_cmp_le_f64_e64 s[10:11], v[30:31], v[32:33]
	s_mov_b64 s[14:15], 0
	s_branch .LBB91_390
.LBB91_386:
	s_waitcnt vmcnt(0)
	v_cmp_lt_f64_e32 vcc, v[34:35], v[36:37]
	s_andn2_b64 s[10:11], s[10:11], exec
	s_and_b64 s[14:15], vcc, exec
	s_or_b64 s[10:11], s[10:11], s[14:15]
	s_cbranch_execz .LBB91_379
	s_branch .LBB91_380
.LBB91_387:
                                        ; implicit-def: $sgpr10_sgpr11
	s_mov_b64 s[14:15], 0
	s_cbranch_execnz .LBB91_391
	s_branch .LBB91_392
.LBB91_388:
	s_mov_b64 s[14:15], 0
                                        ; implicit-def: $sgpr10_sgpr11
	s_cbranch_execz .LBB91_390
; %bb.389:
	s_waitcnt vmcnt(0)
	v_cmp_gt_f64_e32 vcc, v[30:31], v[32:33]
	s_andn2_b64 s[10:11], s[10:11], exec
	s_and_b64 s[16:17], vcc, exec
	s_or_b64 s[10:11], s[10:11], s[16:17]
.LBB91_390:
	s_branch .LBB91_392
.LBB91_391:
	s_cmp_lg_u32 s13, 0
	s_mov_b64 s[6:7], -1
	s_cselect_b64 s[14:15], -1, 0
.LBB91_392:
	s_andn2_b64 vcc, exec, s[14:15]
	s_cbranch_vccz .LBB91_401
; %bb.393:
	s_andn2_b64 vcc, exec, s[6:7]
	s_cbranch_vccnz .LBB91_395
.LBB91_394:
	s_waitcnt vmcnt(0)
	v_cmp_ge_f64_e32 vcc, v[30:31], v[32:33]
	s_andn2_b64 s[6:7], s[10:11], exec
	s_and_b64 s[10:11], vcc, exec
	s_or_b64 s[10:11], s[6:7], s[10:11]
.LBB91_395:
	v_cndmask_b32_e64 v34, 0, 1, s[10:11]
.LBB91_396:
	s_or_b64 exec, exec, s[4:5]
	v_or_b32_e32 v30, 0x900, v0
	v_cmp_gt_i32_e32 vcc, s12, v30
                                        ; implicit-def: $vgpr30
	s_and_saveexec_b64 s[4:5], vcc
	s_cbranch_execz .LBB91_411
; %bb.397:
	s_cmp_lt_i32 s13, 1
	s_mov_b64 s[6:7], 0
	s_cbranch_scc1 .LBB91_402
; %bb.398:
	s_cmp_gt_i32 s13, 1
	s_cbranch_scc0 .LBB91_403
; %bb.399:
	s_cmp_eq_u32 s13, 2
	s_cbranch_scc0 .LBB91_543
; %bb.400:
	s_waitcnt vmcnt(0)
	v_cmp_le_f64_e64 s[10:11], v[26:27], v[28:29]
	s_mov_b64 s[14:15], 0
	s_branch .LBB91_405
.LBB91_401:
	s_waitcnt vmcnt(0)
	v_cmp_lt_f64_e32 vcc, v[30:31], v[32:33]
	s_andn2_b64 s[10:11], s[10:11], exec
	s_and_b64 s[14:15], vcc, exec
	s_or_b64 s[10:11], s[10:11], s[14:15]
	s_cbranch_execz .LBB91_394
	s_branch .LBB91_395
.LBB91_402:
                                        ; implicit-def: $sgpr10_sgpr11
	s_mov_b64 s[14:15], 0
	s_cbranch_execnz .LBB91_406
	s_branch .LBB91_407
.LBB91_403:
	s_mov_b64 s[14:15], 0
                                        ; implicit-def: $sgpr10_sgpr11
	s_cbranch_execz .LBB91_405
; %bb.404:
	s_waitcnt vmcnt(0)
	v_cmp_gt_f64_e32 vcc, v[26:27], v[28:29]
	s_andn2_b64 s[10:11], s[10:11], exec
	s_and_b64 s[16:17], vcc, exec
	s_or_b64 s[10:11], s[10:11], s[16:17]
.LBB91_405:
	s_branch .LBB91_407
.LBB91_406:
	s_cmp_lg_u32 s13, 0
	s_mov_b64 s[6:7], -1
	s_cselect_b64 s[14:15], -1, 0
.LBB91_407:
	s_andn2_b64 vcc, exec, s[14:15]
	s_cbranch_vccz .LBB91_416
; %bb.408:
	s_andn2_b64 vcc, exec, s[6:7]
	s_cbranch_vccnz .LBB91_410
.LBB91_409:
	s_waitcnt vmcnt(0)
	v_cmp_ge_f64_e32 vcc, v[26:27], v[28:29]
	s_andn2_b64 s[6:7], s[10:11], exec
	s_and_b64 s[10:11], vcc, exec
	s_or_b64 s[10:11], s[6:7], s[10:11]
.LBB91_410:
	v_cndmask_b32_e64 v30, 0, 1, s[10:11]
.LBB91_411:
	s_or_b64 exec, exec, s[4:5]
	v_or_b32_e32 v26, 0xa00, v0
	v_cmp_gt_i32_e32 vcc, s12, v26
                                        ; implicit-def: $vgpr26
	s_and_saveexec_b64 s[4:5], vcc
	s_cbranch_execz .LBB91_426
; %bb.412:
	s_cmp_lt_i32 s13, 1
	s_mov_b64 s[6:7], 0
	s_cbranch_scc1 .LBB91_417
; %bb.413:
	s_cmp_gt_i32 s13, 1
	s_cbranch_scc0 .LBB91_418
; %bb.414:
	s_cmp_eq_u32 s13, 2
	s_cbranch_scc0 .LBB91_544
; %bb.415:
	s_waitcnt vmcnt(0)
	v_cmp_le_f64_e64 s[10:11], v[22:23], v[24:25]
	s_mov_b64 s[14:15], 0
	s_branch .LBB91_420
.LBB91_416:
	s_waitcnt vmcnt(0)
	v_cmp_lt_f64_e32 vcc, v[26:27], v[28:29]
	s_andn2_b64 s[10:11], s[10:11], exec
	s_and_b64 s[14:15], vcc, exec
	s_or_b64 s[10:11], s[10:11], s[14:15]
	s_cbranch_execz .LBB91_409
	s_branch .LBB91_410
.LBB91_417:
                                        ; implicit-def: $sgpr10_sgpr11
	s_mov_b64 s[14:15], 0
	s_cbranch_execnz .LBB91_421
	s_branch .LBB91_422
.LBB91_418:
	s_mov_b64 s[14:15], 0
                                        ; implicit-def: $sgpr10_sgpr11
	s_cbranch_execz .LBB91_420
; %bb.419:
	s_waitcnt vmcnt(0)
	v_cmp_gt_f64_e32 vcc, v[22:23], v[24:25]
	s_andn2_b64 s[10:11], s[10:11], exec
	s_and_b64 s[16:17], vcc, exec
	s_or_b64 s[10:11], s[10:11], s[16:17]
.LBB91_420:
	s_branch .LBB91_422
.LBB91_421:
	s_cmp_lg_u32 s13, 0
	s_mov_b64 s[6:7], -1
	s_cselect_b64 s[14:15], -1, 0
.LBB91_422:
	s_andn2_b64 vcc, exec, s[14:15]
	s_cbranch_vccz .LBB91_431
; %bb.423:
	s_andn2_b64 vcc, exec, s[6:7]
	s_cbranch_vccnz .LBB91_425
.LBB91_424:
	s_waitcnt vmcnt(0)
	v_cmp_ge_f64_e32 vcc, v[22:23], v[24:25]
	s_andn2_b64 s[6:7], s[10:11], exec
	s_and_b64 s[10:11], vcc, exec
	s_or_b64 s[10:11], s[6:7], s[10:11]
.LBB91_425:
	v_cndmask_b32_e64 v26, 0, 1, s[10:11]
.LBB91_426:
	s_or_b64 exec, exec, s[4:5]
	v_or_b32_e32 v22, 0xb00, v0
	v_cmp_gt_i32_e32 vcc, s12, v22
                                        ; implicit-def: $vgpr22
	s_and_saveexec_b64 s[4:5], vcc
	s_cbranch_execz .LBB91_441
; %bb.427:
	s_cmp_lt_i32 s13, 1
	s_mov_b64 s[6:7], 0
	s_cbranch_scc1 .LBB91_432
; %bb.428:
	s_cmp_gt_i32 s13, 1
	s_cbranch_scc0 .LBB91_433
; %bb.429:
	s_cmp_eq_u32 s13, 2
	s_cbranch_scc0 .LBB91_545
; %bb.430:
	s_waitcnt vmcnt(0)
	v_cmp_le_f64_e64 s[10:11], v[18:19], v[20:21]
	s_mov_b64 s[14:15], 0
	s_branch .LBB91_435
.LBB91_431:
	s_waitcnt vmcnt(0)
	v_cmp_lt_f64_e32 vcc, v[22:23], v[24:25]
	s_andn2_b64 s[10:11], s[10:11], exec
	s_and_b64 s[14:15], vcc, exec
	s_or_b64 s[10:11], s[10:11], s[14:15]
	s_cbranch_execz .LBB91_424
	s_branch .LBB91_425
.LBB91_432:
                                        ; implicit-def: $sgpr10_sgpr11
	s_mov_b64 s[14:15], 0
	s_cbranch_execnz .LBB91_436
	s_branch .LBB91_437
.LBB91_433:
	s_mov_b64 s[14:15], 0
                                        ; implicit-def: $sgpr10_sgpr11
	s_cbranch_execz .LBB91_435
; %bb.434:
	s_waitcnt vmcnt(0)
	v_cmp_gt_f64_e32 vcc, v[18:19], v[20:21]
	s_andn2_b64 s[10:11], s[10:11], exec
	s_and_b64 s[16:17], vcc, exec
	s_or_b64 s[10:11], s[10:11], s[16:17]
.LBB91_435:
	s_branch .LBB91_437
.LBB91_436:
	s_cmp_lg_u32 s13, 0
	s_mov_b64 s[6:7], -1
	s_cselect_b64 s[14:15], -1, 0
.LBB91_437:
	s_andn2_b64 vcc, exec, s[14:15]
	s_cbranch_vccz .LBB91_446
; %bb.438:
	s_andn2_b64 vcc, exec, s[6:7]
	s_cbranch_vccnz .LBB91_440
.LBB91_439:
	s_waitcnt vmcnt(0)
	v_cmp_ge_f64_e32 vcc, v[18:19], v[20:21]
	s_andn2_b64 s[6:7], s[10:11], exec
	s_and_b64 s[10:11], vcc, exec
	s_or_b64 s[10:11], s[6:7], s[10:11]
.LBB91_440:
	v_cndmask_b32_e64 v22, 0, 1, s[10:11]
.LBB91_441:
	s_or_b64 exec, exec, s[4:5]
	v_or_b32_e32 v18, 0xc00, v0
	v_cmp_gt_i32_e32 vcc, s12, v18
                                        ; implicit-def: $vgpr18
	s_and_saveexec_b64 s[4:5], vcc
	s_cbranch_execz .LBB91_456
; %bb.442:
	s_cmp_lt_i32 s13, 1
	s_mov_b64 s[6:7], 0
	s_cbranch_scc1 .LBB91_447
; %bb.443:
	s_cmp_gt_i32 s13, 1
	s_cbranch_scc0 .LBB91_448
; %bb.444:
	s_cmp_eq_u32 s13, 2
	s_cbranch_scc0 .LBB91_546
; %bb.445:
	s_waitcnt vmcnt(0)
	v_cmp_le_f64_e64 s[10:11], v[14:15], v[16:17]
	s_mov_b64 s[14:15], 0
	s_branch .LBB91_450
.LBB91_446:
	s_waitcnt vmcnt(0)
	v_cmp_lt_f64_e32 vcc, v[18:19], v[20:21]
	s_andn2_b64 s[10:11], s[10:11], exec
	s_and_b64 s[14:15], vcc, exec
	s_or_b64 s[10:11], s[10:11], s[14:15]
	s_cbranch_execz .LBB91_439
	s_branch .LBB91_440
.LBB91_447:
                                        ; implicit-def: $sgpr10_sgpr11
	s_mov_b64 s[14:15], 0
	s_cbranch_execnz .LBB91_451
	s_branch .LBB91_452
.LBB91_448:
	s_mov_b64 s[14:15], 0
                                        ; implicit-def: $sgpr10_sgpr11
	s_cbranch_execz .LBB91_450
; %bb.449:
	s_waitcnt vmcnt(0)
	v_cmp_gt_f64_e32 vcc, v[14:15], v[16:17]
	s_andn2_b64 s[10:11], s[10:11], exec
	s_and_b64 s[16:17], vcc, exec
	s_or_b64 s[10:11], s[10:11], s[16:17]
.LBB91_450:
	s_branch .LBB91_452
.LBB91_451:
	s_cmp_lg_u32 s13, 0
	s_mov_b64 s[6:7], -1
	s_cselect_b64 s[14:15], -1, 0
.LBB91_452:
	s_andn2_b64 vcc, exec, s[14:15]
	s_cbranch_vccz .LBB91_461
; %bb.453:
	s_andn2_b64 vcc, exec, s[6:7]
	s_cbranch_vccnz .LBB91_455
.LBB91_454:
	s_waitcnt vmcnt(0)
	v_cmp_ge_f64_e32 vcc, v[14:15], v[16:17]
	s_andn2_b64 s[6:7], s[10:11], exec
	s_and_b64 s[10:11], vcc, exec
	s_or_b64 s[10:11], s[6:7], s[10:11]
.LBB91_455:
	v_cndmask_b32_e64 v18, 0, 1, s[10:11]
.LBB91_456:
	s_or_b64 exec, exec, s[4:5]
	v_or_b32_e32 v14, 0xd00, v0
	v_cmp_gt_i32_e32 vcc, s12, v14
                                        ; implicit-def: $vgpr14
	s_and_saveexec_b64 s[4:5], vcc
	s_cbranch_execz .LBB91_471
; %bb.457:
	s_cmp_lt_i32 s13, 1
	s_mov_b64 s[6:7], 0
	s_cbranch_scc1 .LBB91_462
; %bb.458:
	s_cmp_gt_i32 s13, 1
	s_cbranch_scc0 .LBB91_463
; %bb.459:
	s_cmp_eq_u32 s13, 2
	s_cbranch_scc0 .LBB91_547
; %bb.460:
	s_waitcnt vmcnt(0)
	v_cmp_le_f64_e64 s[10:11], v[10:11], v[12:13]
	s_mov_b64 s[14:15], 0
	s_branch .LBB91_465
.LBB91_461:
	s_waitcnt vmcnt(0)
	v_cmp_lt_f64_e32 vcc, v[14:15], v[16:17]
	s_andn2_b64 s[10:11], s[10:11], exec
	s_and_b64 s[14:15], vcc, exec
	s_or_b64 s[10:11], s[10:11], s[14:15]
	s_cbranch_execz .LBB91_454
	s_branch .LBB91_455
.LBB91_462:
                                        ; implicit-def: $sgpr10_sgpr11
	s_mov_b64 s[14:15], 0
	s_cbranch_execnz .LBB91_466
	s_branch .LBB91_467
.LBB91_463:
	s_mov_b64 s[14:15], 0
                                        ; implicit-def: $sgpr10_sgpr11
	s_cbranch_execz .LBB91_465
; %bb.464:
	s_waitcnt vmcnt(0)
	v_cmp_gt_f64_e32 vcc, v[10:11], v[12:13]
	s_andn2_b64 s[10:11], s[10:11], exec
	s_and_b64 s[16:17], vcc, exec
	s_or_b64 s[10:11], s[10:11], s[16:17]
.LBB91_465:
	s_branch .LBB91_467
.LBB91_466:
	s_cmp_lg_u32 s13, 0
	s_mov_b64 s[6:7], -1
	s_cselect_b64 s[14:15], -1, 0
.LBB91_467:
	s_andn2_b64 vcc, exec, s[14:15]
	s_cbranch_vccz .LBB91_476
; %bb.468:
	s_andn2_b64 vcc, exec, s[6:7]
	s_cbranch_vccnz .LBB91_470
.LBB91_469:
	s_waitcnt vmcnt(0)
	v_cmp_ge_f64_e32 vcc, v[10:11], v[12:13]
	s_andn2_b64 s[6:7], s[10:11], exec
	s_and_b64 s[10:11], vcc, exec
	s_or_b64 s[10:11], s[6:7], s[10:11]
.LBB91_470:
	v_cndmask_b32_e64 v14, 0, 1, s[10:11]
.LBB91_471:
	s_or_b64 exec, exec, s[4:5]
	v_or_b32_e32 v10, 0xe00, v0
	v_cmp_gt_i32_e32 vcc, s12, v10
                                        ; implicit-def: $vgpr10
	s_and_saveexec_b64 s[4:5], vcc
	s_cbranch_execz .LBB91_486
; %bb.472:
	s_cmp_lt_i32 s13, 1
	s_mov_b64 s[6:7], 0
	s_cbranch_scc1 .LBB91_477
; %bb.473:
	s_cmp_gt_i32 s13, 1
	s_cbranch_scc0 .LBB91_478
; %bb.474:
	s_cmp_eq_u32 s13, 2
	s_cbranch_scc0 .LBB91_548
; %bb.475:
	s_waitcnt vmcnt(0)
	v_cmp_le_f64_e64 s[10:11], v[6:7], v[8:9]
	s_mov_b64 s[14:15], 0
	s_branch .LBB91_480
.LBB91_476:
	s_waitcnt vmcnt(0)
	v_cmp_lt_f64_e32 vcc, v[10:11], v[12:13]
	s_andn2_b64 s[10:11], s[10:11], exec
	s_and_b64 s[14:15], vcc, exec
	s_or_b64 s[10:11], s[10:11], s[14:15]
	s_cbranch_execz .LBB91_469
	s_branch .LBB91_470
.LBB91_477:
                                        ; implicit-def: $sgpr10_sgpr11
	s_mov_b64 s[14:15], 0
	s_cbranch_execnz .LBB91_481
	s_branch .LBB91_482
.LBB91_478:
	s_mov_b64 s[14:15], 0
                                        ; implicit-def: $sgpr10_sgpr11
	s_cbranch_execz .LBB91_480
; %bb.479:
	s_waitcnt vmcnt(0)
	v_cmp_gt_f64_e32 vcc, v[6:7], v[8:9]
	s_andn2_b64 s[10:11], s[10:11], exec
	s_and_b64 s[16:17], vcc, exec
	s_or_b64 s[10:11], s[10:11], s[16:17]
.LBB91_480:
	s_branch .LBB91_482
.LBB91_481:
	s_cmp_lg_u32 s13, 0
	s_mov_b64 s[6:7], -1
	s_cselect_b64 s[14:15], -1, 0
.LBB91_482:
	s_andn2_b64 vcc, exec, s[14:15]
	s_cbranch_vccz .LBB91_491
; %bb.483:
	s_andn2_b64 vcc, exec, s[6:7]
	s_cbranch_vccnz .LBB91_485
.LBB91_484:
	s_waitcnt vmcnt(0)
	v_cmp_ge_f64_e32 vcc, v[6:7], v[8:9]
	s_andn2_b64 s[6:7], s[10:11], exec
	s_and_b64 s[10:11], vcc, exec
	s_or_b64 s[10:11], s[6:7], s[10:11]
.LBB91_485:
	v_cndmask_b32_e64 v10, 0, 1, s[10:11]
.LBB91_486:
	s_or_b64 exec, exec, s[4:5]
	v_or_b32_e32 v6, 0xf00, v0
	v_cmp_gt_i32_e32 vcc, s12, v6
                                        ; implicit-def: $vgpr6
	s_and_saveexec_b64 s[4:5], vcc
	s_cbranch_execz .LBB91_501
; %bb.487:
	s_cmp_lt_i32 s13, 1
	s_mov_b64 s[6:7], 0
	s_cbranch_scc1 .LBB91_492
; %bb.488:
	s_cmp_gt_i32 s13, 1
	s_cbranch_scc0 .LBB91_493
; %bb.489:
	s_cmp_eq_u32 s13, 2
	s_cbranch_scc0 .LBB91_549
; %bb.490:
	s_waitcnt vmcnt(0)
	v_cmp_le_f64_e64 s[10:11], v[2:3], v[4:5]
	s_mov_b64 s[14:15], 0
	s_branch .LBB91_495
.LBB91_491:
	s_waitcnt vmcnt(0)
	v_cmp_lt_f64_e32 vcc, v[6:7], v[8:9]
	s_andn2_b64 s[10:11], s[10:11], exec
	s_and_b64 s[14:15], vcc, exec
	s_or_b64 s[10:11], s[10:11], s[14:15]
	s_cbranch_execz .LBB91_484
	s_branch .LBB91_485
.LBB91_492:
                                        ; implicit-def: $sgpr10_sgpr11
	s_mov_b64 s[14:15], 0
	s_cbranch_execnz .LBB91_496
	s_branch .LBB91_497
.LBB91_493:
	s_mov_b64 s[14:15], 0
                                        ; implicit-def: $sgpr10_sgpr11
	s_cbranch_execz .LBB91_495
; %bb.494:
	s_waitcnt vmcnt(0)
	v_cmp_gt_f64_e32 vcc, v[2:3], v[4:5]
	s_andn2_b64 s[10:11], s[10:11], exec
	s_and_b64 s[16:17], vcc, exec
	s_or_b64 s[10:11], s[10:11], s[16:17]
.LBB91_495:
	s_branch .LBB91_497
.LBB91_496:
	s_cmp_lg_u32 s13, 0
	s_mov_b64 s[6:7], -1
	s_cselect_b64 s[14:15], -1, 0
.LBB91_497:
	s_andn2_b64 vcc, exec, s[14:15]
	s_cbranch_vccz .LBB91_534
; %bb.498:
	s_andn2_b64 vcc, exec, s[6:7]
	s_cbranch_vccnz .LBB91_500
.LBB91_499:
	s_waitcnt vmcnt(0)
	v_cmp_ge_f64_e32 vcc, v[2:3], v[4:5]
	s_andn2_b64 s[6:7], s[10:11], exec
	s_and_b64 s[10:11], vcc, exec
	s_or_b64 s[10:11], s[6:7], s[10:11]
.LBB91_500:
	v_cndmask_b32_e64 v6, 0, 1, s[10:11]
.LBB91_501:
	s_or_b64 exec, exec, s[4:5]
	s_and_saveexec_b64 s[4:5], s[0:1]
	s_xor_b64 s[0:1], exec, s[4:5]
	s_cbranch_execz .LBB91_503
; %bb.502:
	v_mov_b32_e32 v0, v62
	global_store_byte v1, v66, s[8:9]
.LBB91_503:
	s_or_b64 exec, exec, s[0:1]
	v_cmp_gt_i32_e32 vcc, s12, v0
	s_and_saveexec_b64 s[0:1], vcc
	s_cbranch_execnz .LBB91_520
; %bb.504:
	s_or_b64 exec, exec, s[0:1]
	v_cmp_gt_i32_e32 vcc, s12, v0
	s_and_saveexec_b64 s[0:1], vcc
	s_cbranch_execnz .LBB91_521
.LBB91_505:
	s_or_b64 exec, exec, s[0:1]
	v_cmp_gt_i32_e32 vcc, s12, v0
	s_and_saveexec_b64 s[0:1], vcc
	s_cbranch_execnz .LBB91_522
.LBB91_506:
	s_or_b64 exec, exec, s[0:1]
	v_cmp_gt_i32_e32 vcc, s12, v0
	s_and_saveexec_b64 s[0:1], vcc
	s_cbranch_execnz .LBB91_523
.LBB91_507:
	s_or_b64 exec, exec, s[0:1]
	v_cmp_gt_i32_e32 vcc, s12, v0
	s_and_saveexec_b64 s[0:1], vcc
	s_cbranch_execnz .LBB91_524
.LBB91_508:
	s_or_b64 exec, exec, s[0:1]
	v_cmp_gt_i32_e32 vcc, s12, v0
	s_and_saveexec_b64 s[0:1], vcc
	s_cbranch_execnz .LBB91_525
.LBB91_509:
	s_or_b64 exec, exec, s[0:1]
	v_cmp_gt_i32_e32 vcc, s12, v0
	s_and_saveexec_b64 s[0:1], vcc
	s_cbranch_execnz .LBB91_526
.LBB91_510:
	s_or_b64 exec, exec, s[0:1]
	v_cmp_gt_i32_e32 vcc, s12, v0
	s_and_saveexec_b64 s[0:1], vcc
	s_cbranch_execnz .LBB91_527
.LBB91_511:
	s_or_b64 exec, exec, s[0:1]
	v_cmp_gt_i32_e32 vcc, s12, v0
	s_and_saveexec_b64 s[0:1], vcc
	s_cbranch_execnz .LBB91_528
.LBB91_512:
	s_or_b64 exec, exec, s[0:1]
	v_cmp_gt_i32_e32 vcc, s12, v0
	s_and_saveexec_b64 s[0:1], vcc
	s_cbranch_execnz .LBB91_529
.LBB91_513:
	s_or_b64 exec, exec, s[0:1]
	v_cmp_gt_i32_e32 vcc, s12, v0
	s_and_saveexec_b64 s[0:1], vcc
	s_cbranch_execnz .LBB91_530
.LBB91_514:
	s_or_b64 exec, exec, s[0:1]
	v_cmp_gt_i32_e32 vcc, s12, v0
	s_and_saveexec_b64 s[0:1], vcc
	s_cbranch_execnz .LBB91_531
.LBB91_515:
	s_or_b64 exec, exec, s[0:1]
	v_cmp_gt_i32_e32 vcc, s12, v0
	s_and_saveexec_b64 s[0:1], vcc
	s_cbranch_execnz .LBB91_532
.LBB91_516:
	s_or_b64 exec, exec, s[0:1]
	v_cmp_gt_i32_e32 vcc, s12, v0
	s_and_saveexec_b64 s[0:1], vcc
	s_cbranch_execnz .LBB91_533
.LBB91_517:
	s_or_b64 exec, exec, s[0:1]
	v_cmp_gt_i32_e32 vcc, s12, v0
	s_and_saveexec_b64 s[0:1], vcc
	s_cbranch_execz .LBB91_519
.LBB91_518:
	v_add_u32_e32 v0, s2, v0
	global_store_byte v0, v6, s[8:9]
.LBB91_519:
	s_endpgm
.LBB91_520:
	v_add_u32_e32 v1, s2, v0
	v_add_u32_e32 v0, 0x100, v0
	global_store_byte v1, v63, s[8:9]
	s_or_b64 exec, exec, s[0:1]
	v_cmp_gt_i32_e32 vcc, s12, v0
	s_and_saveexec_b64 s[0:1], vcc
	s_cbranch_execz .LBB91_505
.LBB91_521:
	v_add_u32_e32 v1, s2, v0
	v_add_u32_e32 v0, 0x100, v0
	global_store_byte v1, v58, s[8:9]
	s_or_b64 exec, exec, s[0:1]
	v_cmp_gt_i32_e32 vcc, s12, v0
	s_and_saveexec_b64 s[0:1], vcc
	s_cbranch_execz .LBB91_506
.LBB91_522:
	v_add_u32_e32 v1, s2, v0
	v_add_u32_e32 v0, 0x100, v0
	global_store_byte v1, v54, s[8:9]
	s_or_b64 exec, exec, s[0:1]
	v_cmp_gt_i32_e32 vcc, s12, v0
	s_and_saveexec_b64 s[0:1], vcc
	s_cbranch_execz .LBB91_507
.LBB91_523:
	v_add_u32_e32 v1, s2, v0
	v_add_u32_e32 v0, 0x100, v0
	global_store_byte v1, v50, s[8:9]
	s_or_b64 exec, exec, s[0:1]
	v_cmp_gt_i32_e32 vcc, s12, v0
	s_and_saveexec_b64 s[0:1], vcc
	s_cbranch_execz .LBB91_508
.LBB91_524:
	v_add_u32_e32 v1, s2, v0
	v_add_u32_e32 v0, 0x100, v0
	global_store_byte v1, v46, s[8:9]
	s_or_b64 exec, exec, s[0:1]
	v_cmp_gt_i32_e32 vcc, s12, v0
	s_and_saveexec_b64 s[0:1], vcc
	s_cbranch_execz .LBB91_509
.LBB91_525:
	v_add_u32_e32 v1, s2, v0
	v_add_u32_e32 v0, 0x100, v0
	global_store_byte v1, v42, s[8:9]
	s_or_b64 exec, exec, s[0:1]
	v_cmp_gt_i32_e32 vcc, s12, v0
	s_and_saveexec_b64 s[0:1], vcc
	s_cbranch_execz .LBB91_510
.LBB91_526:
	v_add_u32_e32 v1, s2, v0
	v_add_u32_e32 v0, 0x100, v0
	global_store_byte v1, v38, s[8:9]
	s_or_b64 exec, exec, s[0:1]
	v_cmp_gt_i32_e32 vcc, s12, v0
	s_and_saveexec_b64 s[0:1], vcc
	s_cbranch_execz .LBB91_511
.LBB91_527:
	v_add_u32_e32 v1, s2, v0
	v_add_u32_e32 v0, 0x100, v0
	global_store_byte v1, v34, s[8:9]
	s_or_b64 exec, exec, s[0:1]
	v_cmp_gt_i32_e32 vcc, s12, v0
	s_and_saveexec_b64 s[0:1], vcc
	s_cbranch_execz .LBB91_512
.LBB91_528:
	v_add_u32_e32 v1, s2, v0
	v_add_u32_e32 v0, 0x100, v0
	global_store_byte v1, v30, s[8:9]
	s_or_b64 exec, exec, s[0:1]
	v_cmp_gt_i32_e32 vcc, s12, v0
	s_and_saveexec_b64 s[0:1], vcc
	s_cbranch_execz .LBB91_513
.LBB91_529:
	v_add_u32_e32 v1, s2, v0
	v_add_u32_e32 v0, 0x100, v0
	global_store_byte v1, v26, s[8:9]
	s_or_b64 exec, exec, s[0:1]
	v_cmp_gt_i32_e32 vcc, s12, v0
	s_and_saveexec_b64 s[0:1], vcc
	s_cbranch_execz .LBB91_514
.LBB91_530:
	v_add_u32_e32 v1, s2, v0
	v_add_u32_e32 v0, 0x100, v0
	global_store_byte v1, v22, s[8:9]
	s_or_b64 exec, exec, s[0:1]
	v_cmp_gt_i32_e32 vcc, s12, v0
	s_and_saveexec_b64 s[0:1], vcc
	s_cbranch_execz .LBB91_515
.LBB91_531:
	v_add_u32_e32 v1, s2, v0
	v_add_u32_e32 v0, 0x100, v0
	global_store_byte v1, v18, s[8:9]
	s_or_b64 exec, exec, s[0:1]
	v_cmp_gt_i32_e32 vcc, s12, v0
	s_and_saveexec_b64 s[0:1], vcc
	s_cbranch_execz .LBB91_516
.LBB91_532:
	v_add_u32_e32 v1, s2, v0
	v_add_u32_e32 v0, 0x100, v0
	global_store_byte v1, v14, s[8:9]
	s_or_b64 exec, exec, s[0:1]
	v_cmp_gt_i32_e32 vcc, s12, v0
	s_and_saveexec_b64 s[0:1], vcc
	s_cbranch_execz .LBB91_517
.LBB91_533:
	v_add_u32_e32 v1, s2, v0
	v_add_u32_e32 v0, 0x100, v0
	global_store_byte v1, v10, s[8:9]
	s_or_b64 exec, exec, s[0:1]
	v_cmp_gt_i32_e32 vcc, s12, v0
	s_and_saveexec_b64 s[0:1], vcc
	s_cbranch_execnz .LBB91_518
	s_branch .LBB91_519
.LBB91_534:
	s_waitcnt vmcnt(0)
	v_cmp_lt_f64_e32 vcc, v[2:3], v[4:5]
	s_andn2_b64 s[10:11], s[10:11], exec
	s_and_b64 s[14:15], vcc, exec
	s_or_b64 s[10:11], s[10:11], s[14:15]
	s_cbranch_execz .LBB91_499
	s_branch .LBB91_500
.LBB91_535:
	s_mov_b64 s[14:15], -1
                                        ; implicit-def: $sgpr10_sgpr11
	s_branch .LBB91_285
.LBB91_536:
	s_mov_b64 s[14:15], -1
                                        ; implicit-def: $sgpr10_sgpr11
	s_branch .LBB91_300
.LBB91_537:
	s_mov_b64 s[14:15], -1
                                        ; implicit-def: $sgpr10_sgpr11
	s_branch .LBB91_315
.LBB91_538:
	s_mov_b64 s[14:15], -1
                                        ; implicit-def: $sgpr10_sgpr11
	s_branch .LBB91_330
.LBB91_539:
	s_mov_b64 s[14:15], -1
                                        ; implicit-def: $sgpr10_sgpr11
	s_branch .LBB91_345
.LBB91_540:
	s_mov_b64 s[14:15], -1
                                        ; implicit-def: $sgpr10_sgpr11
	s_branch .LBB91_360
.LBB91_541:
	s_mov_b64 s[14:15], -1
                                        ; implicit-def: $sgpr10_sgpr11
	s_branch .LBB91_375
.LBB91_542:
	s_mov_b64 s[14:15], -1
                                        ; implicit-def: $sgpr10_sgpr11
	s_branch .LBB91_390
.LBB91_543:
	s_mov_b64 s[14:15], -1
                                        ; implicit-def: $sgpr10_sgpr11
	s_branch .LBB91_405
.LBB91_544:
	s_mov_b64 s[14:15], -1
                                        ; implicit-def: $sgpr10_sgpr11
	s_branch .LBB91_420
.LBB91_545:
	s_mov_b64 s[14:15], -1
                                        ; implicit-def: $sgpr10_sgpr11
	s_branch .LBB91_435
.LBB91_546:
	s_mov_b64 s[14:15], -1
                                        ; implicit-def: $sgpr10_sgpr11
	s_branch .LBB91_450
.LBB91_547:
	s_mov_b64 s[14:15], -1
                                        ; implicit-def: $sgpr10_sgpr11
	s_branch .LBB91_465
.LBB91_548:
	s_mov_b64 s[14:15], -1
                                        ; implicit-def: $sgpr10_sgpr11
	s_branch .LBB91_480
.LBB91_549:
	s_mov_b64 s[14:15], -1
                                        ; implicit-def: $sgpr10_sgpr11
	s_branch .LBB91_495
	.section	.rodata,"a",@progbits
	.p2align	6, 0x0
	.amdhsa_kernel _ZN2at6native29vectorized_elementwise_kernelILi2ENS0_12_GLOBAL__N_114CompareFunctorIdEESt5arrayIPcLm3EEEEviT0_T1_
		.amdhsa_group_segment_fixed_size 0
		.amdhsa_private_segment_fixed_size 0
		.amdhsa_kernarg_size 32
		.amdhsa_user_sgpr_count 6
		.amdhsa_user_sgpr_private_segment_buffer 1
		.amdhsa_user_sgpr_dispatch_ptr 0
		.amdhsa_user_sgpr_queue_ptr 0
		.amdhsa_user_sgpr_kernarg_segment_ptr 1
		.amdhsa_user_sgpr_dispatch_id 0
		.amdhsa_user_sgpr_flat_scratch_init 0
		.amdhsa_user_sgpr_private_segment_size 0
		.amdhsa_uses_dynamic_stack 0
		.amdhsa_system_sgpr_private_segment_wavefront_offset 0
		.amdhsa_system_sgpr_workgroup_id_x 1
		.amdhsa_system_sgpr_workgroup_id_y 0
		.amdhsa_system_sgpr_workgroup_id_z 0
		.amdhsa_system_sgpr_workgroup_info 0
		.amdhsa_system_vgpr_workitem_id 0
		.amdhsa_next_free_vgpr 70
		.amdhsa_next_free_sgpr 50
		.amdhsa_reserve_vcc 1
		.amdhsa_reserve_flat_scratch 0
		.amdhsa_float_round_mode_32 0
		.amdhsa_float_round_mode_16_64 0
		.amdhsa_float_denorm_mode_32 3
		.amdhsa_float_denorm_mode_16_64 3
		.amdhsa_dx10_clamp 1
		.amdhsa_ieee_mode 1
		.amdhsa_fp16_overflow 0
		.amdhsa_exception_fp_ieee_invalid_op 0
		.amdhsa_exception_fp_denorm_src 0
		.amdhsa_exception_fp_ieee_div_zero 0
		.amdhsa_exception_fp_ieee_overflow 0
		.amdhsa_exception_fp_ieee_underflow 0
		.amdhsa_exception_fp_ieee_inexact 0
		.amdhsa_exception_int_div_zero 0
	.end_amdhsa_kernel
	.section	.text._ZN2at6native29vectorized_elementwise_kernelILi2ENS0_12_GLOBAL__N_114CompareFunctorIdEESt5arrayIPcLm3EEEEviT0_T1_,"axG",@progbits,_ZN2at6native29vectorized_elementwise_kernelILi2ENS0_12_GLOBAL__N_114CompareFunctorIdEESt5arrayIPcLm3EEEEviT0_T1_,comdat
.Lfunc_end91:
	.size	_ZN2at6native29vectorized_elementwise_kernelILi2ENS0_12_GLOBAL__N_114CompareFunctorIdEESt5arrayIPcLm3EEEEviT0_T1_, .Lfunc_end91-_ZN2at6native29vectorized_elementwise_kernelILi2ENS0_12_GLOBAL__N_114CompareFunctorIdEESt5arrayIPcLm3EEEEviT0_T1_
                                        ; -- End function
	.set _ZN2at6native29vectorized_elementwise_kernelILi2ENS0_12_GLOBAL__N_114CompareFunctorIdEESt5arrayIPcLm3EEEEviT0_T1_.num_vgpr, 70
	.set _ZN2at6native29vectorized_elementwise_kernelILi2ENS0_12_GLOBAL__N_114CompareFunctorIdEESt5arrayIPcLm3EEEEviT0_T1_.num_agpr, 0
	.set _ZN2at6native29vectorized_elementwise_kernelILi2ENS0_12_GLOBAL__N_114CompareFunctorIdEESt5arrayIPcLm3EEEEviT0_T1_.numbered_sgpr, 50
	.set _ZN2at6native29vectorized_elementwise_kernelILi2ENS0_12_GLOBAL__N_114CompareFunctorIdEESt5arrayIPcLm3EEEEviT0_T1_.num_named_barrier, 0
	.set _ZN2at6native29vectorized_elementwise_kernelILi2ENS0_12_GLOBAL__N_114CompareFunctorIdEESt5arrayIPcLm3EEEEviT0_T1_.private_seg_size, 0
	.set _ZN2at6native29vectorized_elementwise_kernelILi2ENS0_12_GLOBAL__N_114CompareFunctorIdEESt5arrayIPcLm3EEEEviT0_T1_.uses_vcc, 1
	.set _ZN2at6native29vectorized_elementwise_kernelILi2ENS0_12_GLOBAL__N_114CompareFunctorIdEESt5arrayIPcLm3EEEEviT0_T1_.uses_flat_scratch, 0
	.set _ZN2at6native29vectorized_elementwise_kernelILi2ENS0_12_GLOBAL__N_114CompareFunctorIdEESt5arrayIPcLm3EEEEviT0_T1_.has_dyn_sized_stack, 0
	.set _ZN2at6native29vectorized_elementwise_kernelILi2ENS0_12_GLOBAL__N_114CompareFunctorIdEESt5arrayIPcLm3EEEEviT0_T1_.has_recursion, 0
	.set _ZN2at6native29vectorized_elementwise_kernelILi2ENS0_12_GLOBAL__N_114CompareFunctorIdEESt5arrayIPcLm3EEEEviT0_T1_.has_indirect_call, 0
	.section	.AMDGPU.csdata,"",@progbits
; Kernel info:
; codeLenInByte = 9228
; TotalNumSgprs: 54
; NumVgprs: 70
; ScratchSize: 0
; MemoryBound: 0
; FloatMode: 240
; IeeeMode: 1
; LDSByteSize: 0 bytes/workgroup (compile time only)
; SGPRBlocks: 6
; VGPRBlocks: 17
; NumSGPRsForWavesPerEU: 54
; NumVGPRsForWavesPerEU: 70
; Occupancy: 3
; WaveLimiterHint : 1
; COMPUTE_PGM_RSRC2:SCRATCH_EN: 0
; COMPUTE_PGM_RSRC2:USER_SGPR: 6
; COMPUTE_PGM_RSRC2:TRAP_HANDLER: 0
; COMPUTE_PGM_RSRC2:TGID_X_EN: 1
; COMPUTE_PGM_RSRC2:TGID_Y_EN: 0
; COMPUTE_PGM_RSRC2:TGID_Z_EN: 0
; COMPUTE_PGM_RSRC2:TIDIG_COMP_CNT: 0
	.section	.text._ZN2at6native27unrolled_elementwise_kernelINS0_12_GLOBAL__N_114CompareFunctorIdEESt5arrayIPcLm3EELi4E23TrivialOffsetCalculatorILi2EjES8_ILi1EjENS0_6memory15LoadWithoutCastENSB_16StoreWithoutCastEEEviT_T0_T2_T3_T4_T5_,"axG",@progbits,_ZN2at6native27unrolled_elementwise_kernelINS0_12_GLOBAL__N_114CompareFunctorIdEESt5arrayIPcLm3EELi4E23TrivialOffsetCalculatorILi2EjES8_ILi1EjENS0_6memory15LoadWithoutCastENSB_16StoreWithoutCastEEEviT_T0_T2_T3_T4_T5_,comdat
	.globl	_ZN2at6native27unrolled_elementwise_kernelINS0_12_GLOBAL__N_114CompareFunctorIdEESt5arrayIPcLm3EELi4E23TrivialOffsetCalculatorILi2EjES8_ILi1EjENS0_6memory15LoadWithoutCastENSB_16StoreWithoutCastEEEviT_T0_T2_T3_T4_T5_ ; -- Begin function _ZN2at6native27unrolled_elementwise_kernelINS0_12_GLOBAL__N_114CompareFunctorIdEESt5arrayIPcLm3EELi4E23TrivialOffsetCalculatorILi2EjES8_ILi1EjENS0_6memory15LoadWithoutCastENSB_16StoreWithoutCastEEEviT_T0_T2_T3_T4_T5_
	.p2align	8
	.type	_ZN2at6native27unrolled_elementwise_kernelINS0_12_GLOBAL__N_114CompareFunctorIdEESt5arrayIPcLm3EELi4E23TrivialOffsetCalculatorILi2EjES8_ILi1EjENS0_6memory15LoadWithoutCastENSB_16StoreWithoutCastEEEviT_T0_T2_T3_T4_T5_,@function
_ZN2at6native27unrolled_elementwise_kernelINS0_12_GLOBAL__N_114CompareFunctorIdEESt5arrayIPcLm3EELi4E23TrivialOffsetCalculatorILi2EjES8_ILi1EjENS0_6memory15LoadWithoutCastENSB_16StoreWithoutCastEEEviT_T0_T2_T3_T4_T5_: ; @_ZN2at6native27unrolled_elementwise_kernelINS0_12_GLOBAL__N_114CompareFunctorIdEESt5arrayIPcLm3EELi4E23TrivialOffsetCalculatorILi2EjES8_ILi1EjENS0_6memory15LoadWithoutCastENSB_16StoreWithoutCastEEEviT_T0_T2_T3_T4_T5_
; %bb.0:
	s_load_dwordx2 s[2:3], s[4:5], 0x0
	s_load_dwordx4 s[8:11], s[4:5], 0x8
	s_load_dwordx2 s[12:13], s[4:5], 0x18
	s_lshl_b32 s16, s6, 10
	v_mov_b32_e32 v10, 0
	s_waitcnt lgkmcnt(0)
	s_sub_i32 s2, s2, s16
	v_mov_b32_e32 v14, 0
	v_mov_b32_e32 v16, 0
	v_cmp_gt_i32_e64 s[0:1], s2, v0
	v_mov_b32_e32 v11, 0
	v_or_b32_e32 v1, s16, v0
	v_mov_b32_e32 v15, 0
	v_mov_b32_e32 v17, 0
	;; [unrolled: 1-line block ×3, first 2 shown]
	s_and_saveexec_b64 s[4:5], s[0:1]
	s_cbranch_execz .LBB92_2
; %bb.1:
	v_mov_b32_e32 v2, 0
	v_lshlrev_b64 v[2:3], 3, v[1:2]
	v_mov_b32_e32 v5, s11
	v_add_co_u32_e32 v4, vcc, s10, v2
	v_addc_co_u32_e32 v5, vcc, v5, v3, vcc
	v_mov_b32_e32 v6, s13
	v_add_co_u32_e32 v2, vcc, s12, v2
	v_addc_co_u32_e32 v3, vcc, v6, v3, vcc
	global_load_dwordx2 v[14:15], v[4:5], off
	global_load_dwordx2 v[16:17], v[2:3], off
	v_or_b32_e32 v18, 0x100, v0
.LBB92_2:
	s_or_b64 exec, exec, s[4:5]
	v_mov_b32_e32 v12, 0
	v_mov_b32_e32 v13, 0
	v_cmp_gt_i32_e32 vcc, s2, v18
	s_and_saveexec_b64 s[4:5], vcc
	s_cbranch_execz .LBB92_4
; %bb.3:
	v_add_u32_e32 v2, s16, v18
	v_mov_b32_e32 v3, 0
	v_lshlrev_b64 v[2:3], 3, v[2:3]
	v_mov_b32_e32 v5, s11
	v_add_co_u32_e32 v4, vcc, s10, v2
	v_addc_co_u32_e32 v5, vcc, v5, v3, vcc
	v_mov_b32_e32 v6, s13
	v_add_co_u32_e32 v2, vcc, s12, v2
	v_addc_co_u32_e32 v3, vcc, v6, v3, vcc
	global_load_dwordx2 v[10:11], v[4:5], off
	global_load_dwordx2 v[12:13], v[2:3], off
	v_add_u32_e32 v18, 0x100, v18
.LBB92_4:
	s_or_b64 exec, exec, s[4:5]
	v_mov_b32_e32 v2, 0
	v_mov_b32_e32 v6, 0
	;; [unrolled: 1-line block ×6, first 2 shown]
	v_cmp_gt_i32_e32 vcc, s2, v18
	s_and_saveexec_b64 s[4:5], vcc
	s_cbranch_execz .LBB92_6
; %bb.5:
	v_add_u32_e32 v4, s16, v18
	v_mov_b32_e32 v5, 0
	v_lshlrev_b64 v[4:5], 3, v[4:5]
	v_mov_b32_e32 v6, s11
	v_add_co_u32_e32 v19, vcc, s10, v4
	v_addc_co_u32_e32 v20, vcc, v6, v5, vcc
	v_mov_b32_e32 v6, s13
	v_add_co_u32_e32 v4, vcc, s12, v4
	v_addc_co_u32_e32 v5, vcc, v6, v5, vcc
	global_load_dwordx2 v[6:7], v[19:20], off
	global_load_dwordx2 v[8:9], v[4:5], off
	v_add_u32_e32 v18, 0x100, v18
.LBB92_6:
	s_or_b64 exec, exec, s[4:5]
	v_mov_b32_e32 v4, 0
	v_mov_b32_e32 v5, 0
	v_cmp_gt_i32_e32 vcc, s2, v18
	s_and_saveexec_b64 s[4:5], vcc
	s_cbranch_execz .LBB92_8
; %bb.7:
	v_add_u32_e32 v2, s16, v18
	v_mov_b32_e32 v3, 0
	v_lshlrev_b64 v[2:3], 3, v[2:3]
	v_mov_b32_e32 v4, s11
	v_add_co_u32_e32 v18, vcc, s10, v2
	v_addc_co_u32_e32 v19, vcc, v4, v3, vcc
	v_mov_b32_e32 v4, s13
	v_add_co_u32_e32 v20, vcc, s12, v2
	v_addc_co_u32_e32 v21, vcc, v4, v3, vcc
	global_load_dwordx2 v[2:3], v[18:19], off
	global_load_dwordx2 v[4:5], v[20:21], off
.LBB92_8:
	s_or_b64 exec, exec, s[4:5]
                                        ; implicit-def: $vgpr18
	s_and_saveexec_b64 s[4:5], s[0:1]
	s_cbranch_execz .LBB92_24
; %bb.9:
	s_cmp_lt_i32 s3, 1
	s_mov_b64 s[6:7], 0
	s_cbranch_scc1 .LBB92_13
; %bb.10:
	s_cmp_gt_i32 s3, 1
	s_cbranch_scc0 .LBB92_14
; %bb.11:
	s_cmp_eq_u32 s3, 2
	s_cbranch_scc0 .LBB92_15
; %bb.12:
	s_waitcnt vmcnt(0)
	v_cmp_le_f64_e64 s[10:11], v[14:15], v[16:17]
	s_mov_b64 s[12:13], 0
	s_branch .LBB92_16
.LBB92_13:
                                        ; implicit-def: $sgpr10_sgpr11
	s_mov_b64 s[12:13], 0
	s_cbranch_execnz .LBB92_19
	s_branch .LBB92_20
.LBB92_14:
	s_mov_b64 s[12:13], 0
                                        ; implicit-def: $sgpr10_sgpr11
	s_cbranch_execnz .LBB92_17
	s_branch .LBB92_18
.LBB92_15:
	s_mov_b64 s[12:13], -1
                                        ; implicit-def: $sgpr10_sgpr11
.LBB92_16:
	s_branch .LBB92_18
.LBB92_17:
	s_waitcnt vmcnt(0)
	v_cmp_gt_f64_e32 vcc, v[14:15], v[16:17]
	s_andn2_b64 s[10:11], s[10:11], exec
	s_and_b64 s[14:15], vcc, exec
	s_or_b64 s[10:11], s[10:11], s[14:15]
.LBB92_18:
	s_branch .LBB92_20
.LBB92_19:
	s_cmp_lg_u32 s3, 0
	s_mov_b64 s[6:7], -1
	s_cselect_b64 s[12:13], -1, 0
.LBB92_20:
	s_andn2_b64 vcc, exec, s[12:13]
	s_cbranch_vccz .LBB92_29
; %bb.21:
	s_andn2_b64 vcc, exec, s[6:7]
	s_cbranch_vccnz .LBB92_23
.LBB92_22:
	s_waitcnt vmcnt(0)
	v_cmp_ge_f64_e32 vcc, v[14:15], v[16:17]
	s_andn2_b64 s[6:7], s[10:11], exec
	s_and_b64 s[10:11], vcc, exec
	s_or_b64 s[10:11], s[6:7], s[10:11]
.LBB92_23:
	v_cndmask_b32_e64 v18, 0, 1, s[10:11]
.LBB92_24:
	s_or_b64 exec, exec, s[4:5]
	s_waitcnt vmcnt(1)
	v_or_b32_e32 v14, 0x100, v0
	v_cmp_gt_i32_e32 vcc, s2, v14
                                        ; implicit-def: $vgpr15
	s_and_saveexec_b64 s[4:5], vcc
	s_cbranch_execz .LBB92_39
; %bb.25:
	s_cmp_lt_i32 s3, 1
	s_mov_b64 s[6:7], 0
	s_cbranch_scc1 .LBB92_30
; %bb.26:
	s_cmp_gt_i32 s3, 1
	s_cbranch_scc0 .LBB92_31
; %bb.27:
	s_cmp_eq_u32 s3, 2
	s_cbranch_scc0 .LBB92_79
; %bb.28:
	s_waitcnt vmcnt(0)
	v_cmp_le_f64_e64 s[10:11], v[10:11], v[12:13]
	s_mov_b64 s[12:13], 0
	s_branch .LBB92_33
.LBB92_29:
	s_waitcnt vmcnt(0)
	v_cmp_lt_f64_e32 vcc, v[14:15], v[16:17]
	s_andn2_b64 s[10:11], s[10:11], exec
	s_and_b64 s[12:13], vcc, exec
	s_or_b64 s[10:11], s[10:11], s[12:13]
	s_cbranch_execz .LBB92_22
	s_branch .LBB92_23
.LBB92_30:
                                        ; implicit-def: $sgpr10_sgpr11
	s_mov_b64 s[12:13], 0
	s_cbranch_execnz .LBB92_34
	s_branch .LBB92_35
.LBB92_31:
	s_mov_b64 s[12:13], 0
                                        ; implicit-def: $sgpr10_sgpr11
	s_cbranch_execz .LBB92_33
; %bb.32:
	s_waitcnt vmcnt(0)
	v_cmp_gt_f64_e32 vcc, v[10:11], v[12:13]
	s_andn2_b64 s[10:11], s[10:11], exec
	s_and_b64 s[14:15], vcc, exec
	s_or_b64 s[10:11], s[10:11], s[14:15]
.LBB92_33:
	s_branch .LBB92_35
.LBB92_34:
	s_cmp_lg_u32 s3, 0
	s_mov_b64 s[6:7], -1
	s_cselect_b64 s[12:13], -1, 0
.LBB92_35:
	s_andn2_b64 vcc, exec, s[12:13]
	s_cbranch_vccz .LBB92_44
; %bb.36:
	s_andn2_b64 vcc, exec, s[6:7]
	s_cbranch_vccnz .LBB92_38
.LBB92_37:
	s_waitcnt vmcnt(0)
	v_cmp_ge_f64_e32 vcc, v[10:11], v[12:13]
	s_andn2_b64 s[6:7], s[10:11], exec
	s_and_b64 s[10:11], vcc, exec
	s_or_b64 s[10:11], s[6:7], s[10:11]
.LBB92_38:
	v_cndmask_b32_e64 v15, 0, 1, s[10:11]
.LBB92_39:
	s_or_b64 exec, exec, s[4:5]
	v_or_b32_e32 v10, 0x200, v0
	v_cmp_gt_i32_e32 vcc, s2, v10
                                        ; implicit-def: $vgpr10
	s_and_saveexec_b64 s[4:5], vcc
	s_cbranch_execz .LBB92_54
; %bb.40:
	s_cmp_lt_i32 s3, 1
	s_mov_b64 s[6:7], 0
	s_cbranch_scc1 .LBB92_45
; %bb.41:
	s_cmp_gt_i32 s3, 1
	s_cbranch_scc0 .LBB92_46
; %bb.42:
	s_cmp_eq_u32 s3, 2
	s_cbranch_scc0 .LBB92_80
; %bb.43:
	s_waitcnt vmcnt(0)
	v_cmp_le_f64_e64 s[10:11], v[6:7], v[8:9]
	s_mov_b64 s[12:13], 0
	s_branch .LBB92_48
.LBB92_44:
	s_waitcnt vmcnt(0)
	v_cmp_lt_f64_e32 vcc, v[10:11], v[12:13]
	s_andn2_b64 s[10:11], s[10:11], exec
	s_and_b64 s[12:13], vcc, exec
	s_or_b64 s[10:11], s[10:11], s[12:13]
	s_cbranch_execz .LBB92_37
	s_branch .LBB92_38
.LBB92_45:
                                        ; implicit-def: $sgpr10_sgpr11
	s_mov_b64 s[12:13], 0
	s_cbranch_execnz .LBB92_49
	s_branch .LBB92_50
.LBB92_46:
	s_mov_b64 s[12:13], 0
                                        ; implicit-def: $sgpr10_sgpr11
	s_cbranch_execz .LBB92_48
; %bb.47:
	s_waitcnt vmcnt(0)
	v_cmp_gt_f64_e32 vcc, v[6:7], v[8:9]
	s_andn2_b64 s[10:11], s[10:11], exec
	s_and_b64 s[14:15], vcc, exec
	s_or_b64 s[10:11], s[10:11], s[14:15]
.LBB92_48:
	s_branch .LBB92_50
.LBB92_49:
	s_cmp_lg_u32 s3, 0
	s_mov_b64 s[6:7], -1
	s_cselect_b64 s[12:13], -1, 0
.LBB92_50:
	s_andn2_b64 vcc, exec, s[12:13]
	s_cbranch_vccz .LBB92_59
; %bb.51:
	s_andn2_b64 vcc, exec, s[6:7]
	s_cbranch_vccnz .LBB92_53
.LBB92_52:
	s_waitcnt vmcnt(0)
	v_cmp_ge_f64_e32 vcc, v[6:7], v[8:9]
	s_andn2_b64 s[6:7], s[10:11], exec
	s_and_b64 s[10:11], vcc, exec
	s_or_b64 s[10:11], s[6:7], s[10:11]
.LBB92_53:
	v_cndmask_b32_e64 v10, 0, 1, s[10:11]
.LBB92_54:
	s_or_b64 exec, exec, s[4:5]
	v_or_b32_e32 v6, 0x300, v0
	v_cmp_gt_i32_e32 vcc, s2, v6
                                        ; implicit-def: $vgpr6
	s_and_saveexec_b64 s[4:5], vcc
	s_cbranch_execz .LBB92_69
; %bb.55:
	s_cmp_lt_i32 s3, 1
	s_mov_b64 s[6:7], 0
	s_cbranch_scc1 .LBB92_60
; %bb.56:
	s_cmp_gt_i32 s3, 1
	s_cbranch_scc0 .LBB92_61
; %bb.57:
	s_cmp_eq_u32 s3, 2
	s_cbranch_scc0 .LBB92_81
; %bb.58:
	s_waitcnt vmcnt(0)
	v_cmp_le_f64_e64 s[10:11], v[2:3], v[4:5]
	s_mov_b64 s[12:13], 0
	s_branch .LBB92_63
.LBB92_59:
	s_waitcnt vmcnt(0)
	v_cmp_lt_f64_e32 vcc, v[6:7], v[8:9]
	s_andn2_b64 s[10:11], s[10:11], exec
	s_and_b64 s[12:13], vcc, exec
	s_or_b64 s[10:11], s[10:11], s[12:13]
	s_cbranch_execz .LBB92_52
	s_branch .LBB92_53
.LBB92_60:
                                        ; implicit-def: $sgpr10_sgpr11
	s_mov_b64 s[12:13], 0
	s_cbranch_execnz .LBB92_64
	s_branch .LBB92_65
.LBB92_61:
	s_mov_b64 s[12:13], 0
                                        ; implicit-def: $sgpr10_sgpr11
	s_cbranch_execz .LBB92_63
; %bb.62:
	s_waitcnt vmcnt(0)
	v_cmp_gt_f64_e32 vcc, v[2:3], v[4:5]
	s_andn2_b64 s[10:11], s[10:11], exec
	s_and_b64 s[14:15], vcc, exec
	s_or_b64 s[10:11], s[10:11], s[14:15]
.LBB92_63:
	s_branch .LBB92_65
.LBB92_64:
	s_cmp_lg_u32 s3, 0
	s_mov_b64 s[6:7], -1
	s_cselect_b64 s[12:13], -1, 0
.LBB92_65:
	s_andn2_b64 vcc, exec, s[12:13]
	s_cbranch_vccz .LBB92_78
; %bb.66:
	s_andn2_b64 vcc, exec, s[6:7]
	s_cbranch_vccnz .LBB92_68
.LBB92_67:
	s_waitcnt vmcnt(0)
	v_cmp_ge_f64_e32 vcc, v[2:3], v[4:5]
	s_andn2_b64 s[6:7], s[10:11], exec
	s_and_b64 s[10:11], vcc, exec
	s_or_b64 s[10:11], s[6:7], s[10:11]
.LBB92_68:
	v_cndmask_b32_e64 v6, 0, 1, s[10:11]
.LBB92_69:
	s_or_b64 exec, exec, s[4:5]
	s_and_saveexec_b64 s[4:5], s[0:1]
	s_xor_b64 s[0:1], exec, s[4:5]
	s_cbranch_execz .LBB92_71
; %bb.70:
	v_mov_b32_e32 v0, v14
	global_store_byte v1, v18, s[8:9]
.LBB92_71:
	s_or_b64 exec, exec, s[0:1]
	v_cmp_gt_i32_e32 vcc, s2, v0
	s_and_saveexec_b64 s[0:1], vcc
	s_cbranch_execnz .LBB92_75
; %bb.72:
	s_or_b64 exec, exec, s[0:1]
	v_cmp_gt_i32_e32 vcc, s2, v0
	s_and_saveexec_b64 s[0:1], vcc
	s_cbranch_execnz .LBB92_76
.LBB92_73:
	s_or_b64 exec, exec, s[0:1]
	v_cmp_gt_i32_e32 vcc, s2, v0
	s_and_saveexec_b64 s[0:1], vcc
	s_cbranch_execnz .LBB92_77
.LBB92_74:
	s_endpgm
.LBB92_75:
	v_add_u32_e32 v1, 0x100, v0
	v_add_u32_e32 v0, s16, v0
	global_store_byte v0, v15, s[8:9]
	v_mov_b32_e32 v0, v1
	s_or_b64 exec, exec, s[0:1]
	v_cmp_gt_i32_e32 vcc, s2, v0
	s_and_saveexec_b64 s[0:1], vcc
	s_cbranch_execz .LBB92_73
.LBB92_76:
	v_add_u32_e32 v1, 0x100, v0
	v_add_u32_e32 v0, s16, v0
	global_store_byte v0, v10, s[8:9]
	v_mov_b32_e32 v0, v1
	s_or_b64 exec, exec, s[0:1]
	v_cmp_gt_i32_e32 vcc, s2, v0
	s_and_saveexec_b64 s[0:1], vcc
	s_cbranch_execz .LBB92_74
.LBB92_77:
	v_add_u32_e32 v0, s16, v0
	global_store_byte v0, v6, s[8:9]
	s_endpgm
.LBB92_78:
	s_waitcnt vmcnt(0)
	v_cmp_lt_f64_e32 vcc, v[2:3], v[4:5]
	s_andn2_b64 s[10:11], s[10:11], exec
	s_and_b64 s[12:13], vcc, exec
	s_or_b64 s[10:11], s[10:11], s[12:13]
	s_cbranch_execz .LBB92_67
	s_branch .LBB92_68
.LBB92_79:
	s_mov_b64 s[12:13], -1
                                        ; implicit-def: $sgpr10_sgpr11
	s_branch .LBB92_33
.LBB92_80:
	s_mov_b64 s[12:13], -1
                                        ; implicit-def: $sgpr10_sgpr11
	s_branch .LBB92_48
.LBB92_81:
	s_mov_b64 s[12:13], -1
                                        ; implicit-def: $sgpr10_sgpr11
	s_branch .LBB92_63
	.section	.rodata,"a",@progbits
	.p2align	6, 0x0
	.amdhsa_kernel _ZN2at6native27unrolled_elementwise_kernelINS0_12_GLOBAL__N_114CompareFunctorIdEESt5arrayIPcLm3EELi4E23TrivialOffsetCalculatorILi2EjES8_ILi1EjENS0_6memory15LoadWithoutCastENSB_16StoreWithoutCastEEEviT_T0_T2_T3_T4_T5_
		.amdhsa_group_segment_fixed_size 0
		.amdhsa_private_segment_fixed_size 0
		.amdhsa_kernarg_size 36
		.amdhsa_user_sgpr_count 6
		.amdhsa_user_sgpr_private_segment_buffer 1
		.amdhsa_user_sgpr_dispatch_ptr 0
		.amdhsa_user_sgpr_queue_ptr 0
		.amdhsa_user_sgpr_kernarg_segment_ptr 1
		.amdhsa_user_sgpr_dispatch_id 0
		.amdhsa_user_sgpr_flat_scratch_init 0
		.amdhsa_user_sgpr_private_segment_size 0
		.amdhsa_uses_dynamic_stack 0
		.amdhsa_system_sgpr_private_segment_wavefront_offset 0
		.amdhsa_system_sgpr_workgroup_id_x 1
		.amdhsa_system_sgpr_workgroup_id_y 0
		.amdhsa_system_sgpr_workgroup_id_z 0
		.amdhsa_system_sgpr_workgroup_info 0
		.amdhsa_system_vgpr_workitem_id 0
		.amdhsa_next_free_vgpr 22
		.amdhsa_next_free_sgpr 17
		.amdhsa_reserve_vcc 1
		.amdhsa_reserve_flat_scratch 0
		.amdhsa_float_round_mode_32 0
		.amdhsa_float_round_mode_16_64 0
		.amdhsa_float_denorm_mode_32 3
		.amdhsa_float_denorm_mode_16_64 3
		.amdhsa_dx10_clamp 1
		.amdhsa_ieee_mode 1
		.amdhsa_fp16_overflow 0
		.amdhsa_exception_fp_ieee_invalid_op 0
		.amdhsa_exception_fp_denorm_src 0
		.amdhsa_exception_fp_ieee_div_zero 0
		.amdhsa_exception_fp_ieee_overflow 0
		.amdhsa_exception_fp_ieee_underflow 0
		.amdhsa_exception_fp_ieee_inexact 0
		.amdhsa_exception_int_div_zero 0
	.end_amdhsa_kernel
	.section	.text._ZN2at6native27unrolled_elementwise_kernelINS0_12_GLOBAL__N_114CompareFunctorIdEESt5arrayIPcLm3EELi4E23TrivialOffsetCalculatorILi2EjES8_ILi1EjENS0_6memory15LoadWithoutCastENSB_16StoreWithoutCastEEEviT_T0_T2_T3_T4_T5_,"axG",@progbits,_ZN2at6native27unrolled_elementwise_kernelINS0_12_GLOBAL__N_114CompareFunctorIdEESt5arrayIPcLm3EELi4E23TrivialOffsetCalculatorILi2EjES8_ILi1EjENS0_6memory15LoadWithoutCastENSB_16StoreWithoutCastEEEviT_T0_T2_T3_T4_T5_,comdat
.Lfunc_end92:
	.size	_ZN2at6native27unrolled_elementwise_kernelINS0_12_GLOBAL__N_114CompareFunctorIdEESt5arrayIPcLm3EELi4E23TrivialOffsetCalculatorILi2EjES8_ILi1EjENS0_6memory15LoadWithoutCastENSB_16StoreWithoutCastEEEviT_T0_T2_T3_T4_T5_, .Lfunc_end92-_ZN2at6native27unrolled_elementwise_kernelINS0_12_GLOBAL__N_114CompareFunctorIdEESt5arrayIPcLm3EELi4E23TrivialOffsetCalculatorILi2EjES8_ILi1EjENS0_6memory15LoadWithoutCastENSB_16StoreWithoutCastEEEviT_T0_T2_T3_T4_T5_
                                        ; -- End function
	.set _ZN2at6native27unrolled_elementwise_kernelINS0_12_GLOBAL__N_114CompareFunctorIdEESt5arrayIPcLm3EELi4E23TrivialOffsetCalculatorILi2EjES8_ILi1EjENS0_6memory15LoadWithoutCastENSB_16StoreWithoutCastEEEviT_T0_T2_T3_T4_T5_.num_vgpr, 22
	.set _ZN2at6native27unrolled_elementwise_kernelINS0_12_GLOBAL__N_114CompareFunctorIdEESt5arrayIPcLm3EELi4E23TrivialOffsetCalculatorILi2EjES8_ILi1EjENS0_6memory15LoadWithoutCastENSB_16StoreWithoutCastEEEviT_T0_T2_T3_T4_T5_.num_agpr, 0
	.set _ZN2at6native27unrolled_elementwise_kernelINS0_12_GLOBAL__N_114CompareFunctorIdEESt5arrayIPcLm3EELi4E23TrivialOffsetCalculatorILi2EjES8_ILi1EjENS0_6memory15LoadWithoutCastENSB_16StoreWithoutCastEEEviT_T0_T2_T3_T4_T5_.numbered_sgpr, 17
	.set _ZN2at6native27unrolled_elementwise_kernelINS0_12_GLOBAL__N_114CompareFunctorIdEESt5arrayIPcLm3EELi4E23TrivialOffsetCalculatorILi2EjES8_ILi1EjENS0_6memory15LoadWithoutCastENSB_16StoreWithoutCastEEEviT_T0_T2_T3_T4_T5_.num_named_barrier, 0
	.set _ZN2at6native27unrolled_elementwise_kernelINS0_12_GLOBAL__N_114CompareFunctorIdEESt5arrayIPcLm3EELi4E23TrivialOffsetCalculatorILi2EjES8_ILi1EjENS0_6memory15LoadWithoutCastENSB_16StoreWithoutCastEEEviT_T0_T2_T3_T4_T5_.private_seg_size, 0
	.set _ZN2at6native27unrolled_elementwise_kernelINS0_12_GLOBAL__N_114CompareFunctorIdEESt5arrayIPcLm3EELi4E23TrivialOffsetCalculatorILi2EjES8_ILi1EjENS0_6memory15LoadWithoutCastENSB_16StoreWithoutCastEEEviT_T0_T2_T3_T4_T5_.uses_vcc, 1
	.set _ZN2at6native27unrolled_elementwise_kernelINS0_12_GLOBAL__N_114CompareFunctorIdEESt5arrayIPcLm3EELi4E23TrivialOffsetCalculatorILi2EjES8_ILi1EjENS0_6memory15LoadWithoutCastENSB_16StoreWithoutCastEEEviT_T0_T2_T3_T4_T5_.uses_flat_scratch, 0
	.set _ZN2at6native27unrolled_elementwise_kernelINS0_12_GLOBAL__N_114CompareFunctorIdEESt5arrayIPcLm3EELi4E23TrivialOffsetCalculatorILi2EjES8_ILi1EjENS0_6memory15LoadWithoutCastENSB_16StoreWithoutCastEEEviT_T0_T2_T3_T4_T5_.has_dyn_sized_stack, 0
	.set _ZN2at6native27unrolled_elementwise_kernelINS0_12_GLOBAL__N_114CompareFunctorIdEESt5arrayIPcLm3EELi4E23TrivialOffsetCalculatorILi2EjES8_ILi1EjENS0_6memory15LoadWithoutCastENSB_16StoreWithoutCastEEEviT_T0_T2_T3_T4_T5_.has_recursion, 0
	.set _ZN2at6native27unrolled_elementwise_kernelINS0_12_GLOBAL__N_114CompareFunctorIdEESt5arrayIPcLm3EELi4E23TrivialOffsetCalculatorILi2EjES8_ILi1EjENS0_6memory15LoadWithoutCastENSB_16StoreWithoutCastEEEviT_T0_T2_T3_T4_T5_.has_indirect_call, 0
	.section	.AMDGPU.csdata,"",@progbits
; Kernel info:
; codeLenInByte = 1420
; TotalNumSgprs: 21
; NumVgprs: 22
; ScratchSize: 0
; MemoryBound: 0
; FloatMode: 240
; IeeeMode: 1
; LDSByteSize: 0 bytes/workgroup (compile time only)
; SGPRBlocks: 2
; VGPRBlocks: 5
; NumSGPRsForWavesPerEU: 21
; NumVGPRsForWavesPerEU: 22
; Occupancy: 10
; WaveLimiterHint : 0
; COMPUTE_PGM_RSRC2:SCRATCH_EN: 0
; COMPUTE_PGM_RSRC2:USER_SGPR: 6
; COMPUTE_PGM_RSRC2:TRAP_HANDLER: 0
; COMPUTE_PGM_RSRC2:TGID_X_EN: 1
; COMPUTE_PGM_RSRC2:TGID_Y_EN: 0
; COMPUTE_PGM_RSRC2:TGID_Z_EN: 0
; COMPUTE_PGM_RSRC2:TIDIG_COMP_CNT: 0
	.section	.text._ZN2at6native32elementwise_kernel_manual_unrollILi128ELi8EZNS0_22gpu_kernel_impl_nocastINS0_12_GLOBAL__N_114CompareFunctorIdEEEEvRNS_18TensorIteratorBaseERKT_EUlibE_EEviT1_,"axG",@progbits,_ZN2at6native32elementwise_kernel_manual_unrollILi128ELi8EZNS0_22gpu_kernel_impl_nocastINS0_12_GLOBAL__N_114CompareFunctorIdEEEEvRNS_18TensorIteratorBaseERKT_EUlibE_EEviT1_,comdat
	.globl	_ZN2at6native32elementwise_kernel_manual_unrollILi128ELi8EZNS0_22gpu_kernel_impl_nocastINS0_12_GLOBAL__N_114CompareFunctorIdEEEEvRNS_18TensorIteratorBaseERKT_EUlibE_EEviT1_ ; -- Begin function _ZN2at6native32elementwise_kernel_manual_unrollILi128ELi8EZNS0_22gpu_kernel_impl_nocastINS0_12_GLOBAL__N_114CompareFunctorIdEEEEvRNS_18TensorIteratorBaseERKT_EUlibE_EEviT1_
	.p2align	8
	.type	_ZN2at6native32elementwise_kernel_manual_unrollILi128ELi8EZNS0_22gpu_kernel_impl_nocastINS0_12_GLOBAL__N_114CompareFunctorIdEEEEvRNS_18TensorIteratorBaseERKT_EUlibE_EEviT1_,@function
_ZN2at6native32elementwise_kernel_manual_unrollILi128ELi8EZNS0_22gpu_kernel_impl_nocastINS0_12_GLOBAL__N_114CompareFunctorIdEEEEvRNS_18TensorIteratorBaseERKT_EUlibE_EEviT1_: ; @_ZN2at6native32elementwise_kernel_manual_unrollILi128ELi8EZNS0_22gpu_kernel_impl_nocastINS0_12_GLOBAL__N_114CompareFunctorIdEEEEvRNS_18TensorIteratorBaseERKT_EUlibE_EEviT1_
; %bb.0:
	s_load_dword s43, s[4:5], 0x0
	s_load_dword s33, s[4:5], 0x8
	s_add_u32 s12, s4, 8
	s_addc_u32 s13, s5, 0
	v_lshl_or_b32 v21, s6, 10, v0
	v_or_b32_e32 v37, 0x380, v21
	s_waitcnt lgkmcnt(0)
	s_add_i32 s40, s33, -1
	s_cmp_gt_u32 s40, 1
	v_cmp_le_i32_e32 vcc, s43, v37
	s_cselect_b64 s[14:15], -1, 0
	s_and_saveexec_b64 s[0:1], vcc
	s_xor_b64 s[16:17], exec, s[0:1]
	s_cbranch_execz .LBB93_211
; %bb.1:
	s_load_dwordx4 s[8:11], s[12:13], 0x4
	s_load_dwordx2 s[22:23], s[12:13], 0x14
	s_load_dwordx4 s[4:7], s[12:13], 0xc4
	s_load_dwordx2 s[20:21], s[12:13], 0xd4
	s_load_dwordx2 s[18:19], s[12:13], 0x198
	s_load_dwordx4 s[0:3], s[12:13], 0x188
	s_load_dword s41, s[12:13], 0x1a0
	s_cmp_lg_u32 s33, 0
	s_cselect_b64 s[26:27], -1, 0
	s_min_u32 s42, s40, 15
	s_cmp_gt_u32 s33, 1
	s_cselect_b64 s[24:25], -1, 0
	v_cmp_gt_i32_e32 vcc, s43, v21
	s_and_saveexec_b64 s[28:29], vcc
	s_cbranch_execnz .LBB93_9
; %bb.2:
	s_or_b64 exec, exec, s[28:29]
	v_cmp_gt_i32_e32 vcc, s43, v21
	s_and_saveexec_b64 s[28:29], vcc
	s_cbranch_execnz .LBB93_35
.LBB93_3:
	s_or_b64 exec, exec, s[28:29]
	v_cmp_gt_i32_e32 vcc, s43, v21
	s_and_saveexec_b64 s[28:29], vcc
	s_cbranch_execnz .LBB93_60
.LBB93_4:
	s_or_b64 exec, exec, s[28:29]
	v_cmp_gt_i32_e32 vcc, s43, v21
	s_and_saveexec_b64 s[28:29], vcc
	s_cbranch_execnz .LBB93_85
.LBB93_5:
	s_or_b64 exec, exec, s[28:29]
	v_cmp_gt_i32_e32 vcc, s43, v21
	s_and_saveexec_b64 s[28:29], vcc
	s_cbranch_execnz .LBB93_110
.LBB93_6:
	s_or_b64 exec, exec, s[28:29]
	v_cmp_gt_i32_e32 vcc, s43, v21
	s_and_saveexec_b64 s[28:29], vcc
	s_cbranch_execnz .LBB93_135
.LBB93_7:
	s_or_b64 exec, exec, s[28:29]
	v_cmp_gt_i32_e32 vcc, s43, v21
	s_and_saveexec_b64 s[28:29], vcc
	s_cbranch_execnz .LBB93_160
.LBB93_8:
	s_or_b64 exec, exec, s[28:29]
	v_cmp_gt_i32_e32 vcc, s43, v21
	s_and_saveexec_b64 s[28:29], vcc
	s_cbranch_execnz .LBB93_185
	s_branch .LBB93_210
.LBB93_9:
	s_andn2_b64 vcc, exec, s[14:15]
	s_cbranch_vccnz .LBB93_15
; %bb.10:
	s_andn2_b64 vcc, exec, s[26:27]
	s_cbranch_vccnz .LBB93_16
; %bb.11:
	s_add_i32 s30, s42, 1
	s_and_b32 s34, s30, 30
	s_add_u32 s30, s12, 0xffffffe8
	s_addc_u32 s31, s13, -1
	v_mov_b32_e32 v2, 0
	v_mov_b32_e32 v4, 0
	v_mov_b32_e32 v0, 0
	v_mov_b32_e32 v1, v21
.LBB93_12:                              ; =>This Inner Loop Header: Depth=1
	s_load_dwordx4 s[36:39], s[30:31], 0x1c
	s_load_dwordx2 s[48:49], s[30:31], 0x2c
	s_load_dwordx2 s[50:51], s[30:31], 0xec
	s_load_dwordx4 s[44:47], s[30:31], 0xdc
	s_add_u32 s30, s30, 24
	s_waitcnt lgkmcnt(0)
	v_mul_hi_u32 v3, s37, v1
	s_addc_u32 s31, s31, 0
	s_add_i32 s34, s34, -2
	s_cmp_lg_u32 s34, 0
	v_add_u32_e32 v3, v1, v3
	v_lshrrev_b32_e32 v3, s38, v3
	v_mul_lo_u32 v5, v3, s36
	v_mul_hi_u32 v6, s48, v3
	v_sub_u32_e32 v5, v1, v5
	v_add_u32_e32 v1, v3, v6
	v_lshrrev_b32_e32 v1, s49, v1
	v_mul_lo_u32 v8, v1, s39
	v_mul_lo_u32 v6, v5, s44
	;; [unrolled: 1-line block ×4, first 2 shown]
	v_sub_u32_e32 v3, v3, v8
	v_mul_lo_u32 v8, v3, s47
	v_mul_lo_u32 v9, v3, s50
	v_mul_lo_u32 v3, v3, s51
	v_add3_u32 v0, v6, v0, v8
	v_add3_u32 v4, v7, v4, v9
	v_add3_u32 v2, v5, v2, v3
	s_cbranch_scc1 .LBB93_12
; %bb.13:
	s_bitcmp1_b32 s42, 0
	s_cselect_b64 s[34:35], -1, 0
	s_and_b64 vcc, exec, s[34:35]
	s_cbranch_vccnz .LBB93_17
; %bb.14:
	s_load_dwordx2 s[34:35], s[30:31], 0x1c
	s_load_dword s38, s[30:31], 0x24
	s_load_dwordx2 s[36:37], s[30:31], 0xdc
	s_waitcnt lgkmcnt(0)
	v_mul_hi_u32 v3, s35, v1
	v_add_u32_e32 v3, v1, v3
	v_lshrrev_b32_e32 v3, s38, v3
	v_mul_lo_u32 v3, v3, s34
	s_load_dword s34, s[30:31], 0xe4
	v_sub_u32_e32 v3, v1, v3
	v_mad_u64_u32 v[0:1], s[30:31], v3, s36, v[0:1]
	v_mad_u64_u32 v[4:5], s[30:31], v3, s37, v[4:5]
	s_waitcnt lgkmcnt(0)
	v_mad_u64_u32 v[2:3], s[30:31], v3, s34, v[2:3]
	s_cbranch_execz .LBB93_18
	s_branch .LBB93_20
.LBB93_15:
                                        ; implicit-def: $vgpr0
                                        ; implicit-def: $vgpr4
                                        ; implicit-def: $vgpr2
	s_branch .LBB93_18
.LBB93_16:
	v_mov_b32_e32 v0, 0
	v_mov_b32_e32 v4, 0
	;; [unrolled: 1-line block ×3, first 2 shown]
.LBB93_17:
	s_cbranch_execnz .LBB93_20
.LBB93_18:
	s_waitcnt lgkmcnt(0)
	v_mul_hi_u32 v0, s9, v21
	s_andn2_b64 vcc, exec, s[24:25]
	v_add_u32_e32 v0, v21, v0
	v_lshrrev_b32_e32 v1, s10, v0
	v_mul_lo_u32 v0, v1, s8
	v_sub_u32_e32 v2, v21, v0
	v_mul_lo_u32 v0, v2, s4
	v_mul_lo_u32 v4, v2, s5
	;; [unrolled: 1-line block ×3, first 2 shown]
	s_cbranch_vccnz .LBB93_20
; %bb.19:
	v_mul_hi_u32 v3, s22, v1
	v_add_u32_e32 v3, v1, v3
	v_lshrrev_b32_e32 v3, s23, v3
	v_mul_lo_u32 v3, v3, s11
	v_sub_u32_e32 v3, v1, v3
	v_mad_u64_u32 v[0:1], s[30:31], v3, s7, v[0:1]
	v_mad_u64_u32 v[4:5], s[30:31], v3, s20, v[4:5]
	;; [unrolled: 1-line block ×3, first 2 shown]
.LBB93_20:
	s_waitcnt lgkmcnt(0)
	global_load_dwordx2 v[5:6], v4, s[2:3]
	global_load_dwordx2 v[7:8], v2, s[18:19]
	s_cmp_lt_i32 s41, 1
	s_mov_b64 s[30:31], 0
	s_cbranch_scc1 .LBB93_24
; %bb.21:
	s_cmp_gt_i32 s41, 1
	s_cbranch_scc0 .LBB93_25
; %bb.22:
	s_cmp_eq_u32 s41, 2
	s_cbranch_scc0 .LBB93_26
; %bb.23:
	s_waitcnt vmcnt(0)
	v_cmp_le_f64_e64 s[34:35], v[5:6], v[7:8]
	s_mov_b64 s[36:37], 0
	s_branch .LBB93_27
.LBB93_24:
                                        ; implicit-def: $sgpr34_sgpr35
	s_mov_b64 s[36:37], 0
	s_cbranch_execnz .LBB93_30
	s_branch .LBB93_31
.LBB93_25:
	s_mov_b64 s[36:37], 0
                                        ; implicit-def: $sgpr34_sgpr35
	s_cbranch_execnz .LBB93_28
	s_branch .LBB93_29
.LBB93_26:
	s_mov_b64 s[36:37], -1
                                        ; implicit-def: $sgpr34_sgpr35
.LBB93_27:
	s_branch .LBB93_29
.LBB93_28:
	s_waitcnt vmcnt(0)
	v_cmp_gt_f64_e32 vcc, v[5:6], v[7:8]
	s_andn2_b64 s[34:35], s[34:35], exec
	s_and_b64 s[38:39], vcc, exec
	s_or_b64 s[34:35], s[34:35], s[38:39]
.LBB93_29:
	s_branch .LBB93_31
.LBB93_30:
	s_cmp_lg_u32 s41, 0
	s_mov_b64 s[30:31], -1
	s_cselect_b64 s[36:37], -1, 0
.LBB93_31:
	s_andn2_b64 vcc, exec, s[36:37]
	s_cbranch_vccz .LBB93_41
; %bb.32:
	s_andn2_b64 vcc, exec, s[30:31]
	s_cbranch_vccnz .LBB93_34
.LBB93_33:
	s_waitcnt vmcnt(0)
	v_cmp_ge_f64_e32 vcc, v[5:6], v[7:8]
	s_andn2_b64 s[30:31], s[34:35], exec
	s_and_b64 s[34:35], vcc, exec
	s_or_b64 s[34:35], s[30:31], s[34:35]
.LBB93_34:
	v_cndmask_b32_e64 v1, 0, 1, s[34:35]
	v_add_u32_e32 v21, 0x80, v21
	global_store_byte v0, v1, s[0:1]
	s_or_b64 exec, exec, s[28:29]
	v_cmp_gt_i32_e32 vcc, s43, v21
	s_and_saveexec_b64 s[28:29], vcc
	s_cbranch_execz .LBB93_3
.LBB93_35:
	s_andn2_b64 vcc, exec, s[14:15]
	s_cbranch_vccnz .LBB93_42
; %bb.36:
	s_andn2_b64 vcc, exec, s[26:27]
	s_cbranch_vccnz .LBB93_43
; %bb.37:
	s_add_i32 s30, s42, 1
	s_and_b32 s34, s30, 30
	s_add_u32 s30, s12, 0xffffffe8
	s_addc_u32 s31, s13, -1
	v_mov_b32_e32 v2, 0
	v_mov_b32_e32 v4, 0
	;; [unrolled: 1-line block ×4, first 2 shown]
.LBB93_38:                              ; =>This Inner Loop Header: Depth=1
	s_load_dwordx4 s[36:39], s[30:31], 0x1c
	s_load_dwordx2 s[48:49], s[30:31], 0x2c
	s_load_dwordx2 s[50:51], s[30:31], 0xec
	s_load_dwordx4 s[44:47], s[30:31], 0xdc
	s_add_u32 s30, s30, 24
	s_waitcnt lgkmcnt(0)
	v_mul_hi_u32 v3, s37, v1
	s_addc_u32 s31, s31, 0
	s_add_i32 s34, s34, -2
	s_cmp_eq_u32 s34, 0
	v_add_u32_e32 v3, v1, v3
	v_lshrrev_b32_e32 v3, s38, v3
	s_waitcnt vmcnt(2)
	v_mul_lo_u32 v5, v3, s36
	v_mul_hi_u32 v6, s48, v3
	v_sub_u32_e32 v5, v1, v5
	v_add_u32_e32 v1, v3, v6
	v_lshrrev_b32_e32 v1, s49, v1
	s_waitcnt vmcnt(1)
	v_mul_lo_u32 v8, v1, s39
	v_mul_lo_u32 v6, v5, s44
	;; [unrolled: 1-line block ×4, first 2 shown]
	v_sub_u32_e32 v3, v3, v8
	v_mul_lo_u32 v8, v3, s47
	v_mul_lo_u32 v9, v3, s50
	;; [unrolled: 1-line block ×3, first 2 shown]
	v_add3_u32 v0, v6, v0, v8
	v_add3_u32 v4, v7, v4, v9
	;; [unrolled: 1-line block ×3, first 2 shown]
	s_cbranch_scc0 .LBB93_38
; %bb.39:
	s_bitcmp1_b32 s42, 0
	s_cselect_b64 s[34:35], -1, 0
	s_and_b64 vcc, exec, s[34:35]
	s_cbranch_vccnz .LBB93_44
; %bb.40:
	s_load_dwordx2 s[34:35], s[30:31], 0x1c
	s_load_dword s38, s[30:31], 0x24
	s_load_dwordx2 s[36:37], s[30:31], 0xdc
	s_waitcnt lgkmcnt(0)
	v_mul_hi_u32 v3, s35, v1
	v_add_u32_e32 v3, v1, v3
	v_lshrrev_b32_e32 v3, s38, v3
	v_mul_lo_u32 v3, v3, s34
	s_load_dword s34, s[30:31], 0xe4
	v_sub_u32_e32 v3, v1, v3
	v_mad_u64_u32 v[0:1], s[30:31], v3, s36, v[0:1]
	v_mad_u64_u32 v[4:5], s[30:31], v3, s37, v[4:5]
	s_waitcnt lgkmcnt(0)
	v_mad_u64_u32 v[2:3], s[30:31], v3, s34, v[2:3]
	s_branch .LBB93_44
.LBB93_41:
	s_waitcnt vmcnt(0)
	v_cmp_lt_f64_e32 vcc, v[5:6], v[7:8]
	s_andn2_b64 s[34:35], s[34:35], exec
	s_and_b64 s[36:37], vcc, exec
	s_or_b64 s[34:35], s[34:35], s[36:37]
	s_cbranch_execz .LBB93_33
	s_branch .LBB93_34
.LBB93_42:
                                        ; implicit-def: $vgpr0
                                        ; implicit-def: $vgpr4
                                        ; implicit-def: $vgpr2
	s_branch .LBB93_45
.LBB93_43:
	v_mov_b32_e32 v0, 0
	v_mov_b32_e32 v4, 0
	;; [unrolled: 1-line block ×3, first 2 shown]
.LBB93_44:
	s_cbranch_execnz .LBB93_47
.LBB93_45:
	s_waitcnt lgkmcnt(0)
	v_mul_hi_u32 v0, s9, v21
	s_andn2_b64 vcc, exec, s[24:25]
	v_add_u32_e32 v0, v21, v0
	v_lshrrev_b32_e32 v1, s10, v0
	v_mul_lo_u32 v0, v1, s8
	v_sub_u32_e32 v2, v21, v0
	v_mul_lo_u32 v0, v2, s4
	v_mul_lo_u32 v4, v2, s5
	;; [unrolled: 1-line block ×3, first 2 shown]
	s_cbranch_vccnz .LBB93_47
; %bb.46:
	v_mul_hi_u32 v3, s22, v1
	v_add_u32_e32 v3, v1, v3
	v_lshrrev_b32_e32 v3, s23, v3
	v_mul_lo_u32 v3, v3, s11
	v_sub_u32_e32 v3, v1, v3
	v_mad_u64_u32 v[0:1], s[30:31], v3, s7, v[0:1]
	s_waitcnt vmcnt(2)
	v_mad_u64_u32 v[4:5], s[30:31], v3, s20, v[4:5]
	v_mad_u64_u32 v[2:3], s[30:31], v3, s21, v[2:3]
.LBB93_47:
	s_waitcnt lgkmcnt(0)
	global_load_dwordx2 v[5:6], v4, s[2:3]
	global_load_dwordx2 v[7:8], v2, s[18:19]
	s_cmp_lt_i32 s41, 1
	s_mov_b64 s[30:31], 0
	s_cbranch_scc1 .LBB93_51
; %bb.48:
	s_cmp_gt_i32 s41, 1
	s_cbranch_scc0 .LBB93_52
; %bb.49:
	s_cmp_eq_u32 s41, 2
	s_cbranch_scc0 .LBB93_423
; %bb.50:
	s_waitcnt vmcnt(0)
	v_cmp_le_f64_e64 s[34:35], v[5:6], v[7:8]
	s_mov_b64 s[36:37], 0
	s_branch .LBB93_54
.LBB93_51:
                                        ; implicit-def: $sgpr34_sgpr35
	s_mov_b64 s[36:37], 0
	s_cbranch_execnz .LBB93_55
	s_branch .LBB93_56
.LBB93_52:
	s_mov_b64 s[36:37], 0
                                        ; implicit-def: $sgpr34_sgpr35
	s_cbranch_execz .LBB93_54
; %bb.53:
	s_waitcnt vmcnt(0)
	v_cmp_gt_f64_e32 vcc, v[5:6], v[7:8]
	s_andn2_b64 s[34:35], s[34:35], exec
	s_and_b64 s[38:39], vcc, exec
	s_or_b64 s[34:35], s[34:35], s[38:39]
.LBB93_54:
	s_branch .LBB93_56
.LBB93_55:
	s_cmp_lg_u32 s41, 0
	s_mov_b64 s[30:31], -1
	s_cselect_b64 s[36:37], -1, 0
.LBB93_56:
	s_andn2_b64 vcc, exec, s[36:37]
	s_cbranch_vccz .LBB93_66
; %bb.57:
	s_andn2_b64 vcc, exec, s[30:31]
	s_cbranch_vccnz .LBB93_59
.LBB93_58:
	s_waitcnt vmcnt(0)
	v_cmp_ge_f64_e32 vcc, v[5:6], v[7:8]
	s_andn2_b64 s[30:31], s[34:35], exec
	s_and_b64 s[34:35], vcc, exec
	s_or_b64 s[34:35], s[30:31], s[34:35]
.LBB93_59:
	v_cndmask_b32_e64 v1, 0, 1, s[34:35]
	v_add_u32_e32 v21, 0x80, v21
	global_store_byte v0, v1, s[0:1]
	s_or_b64 exec, exec, s[28:29]
	v_cmp_gt_i32_e32 vcc, s43, v21
	s_and_saveexec_b64 s[28:29], vcc
	s_cbranch_execz .LBB93_4
.LBB93_60:
	s_andn2_b64 vcc, exec, s[14:15]
	s_cbranch_vccnz .LBB93_67
; %bb.61:
	s_andn2_b64 vcc, exec, s[26:27]
	s_cbranch_vccnz .LBB93_68
; %bb.62:
	s_add_i32 s30, s42, 1
	s_and_b32 s34, s30, 30
	s_add_u32 s30, s12, 0xffffffe8
	s_addc_u32 s31, s13, -1
	v_mov_b32_e32 v2, 0
	v_mov_b32_e32 v4, 0
	;; [unrolled: 1-line block ×4, first 2 shown]
.LBB93_63:                              ; =>This Inner Loop Header: Depth=1
	s_load_dwordx4 s[36:39], s[30:31], 0x1c
	s_load_dwordx2 s[48:49], s[30:31], 0x2c
	s_load_dwordx2 s[50:51], s[30:31], 0xec
	s_load_dwordx4 s[44:47], s[30:31], 0xdc
	s_add_u32 s30, s30, 24
	s_waitcnt lgkmcnt(0)
	v_mul_hi_u32 v3, s37, v1
	s_addc_u32 s31, s31, 0
	s_add_i32 s34, s34, -2
	s_cmp_eq_u32 s34, 0
	v_add_u32_e32 v3, v1, v3
	v_lshrrev_b32_e32 v3, s38, v3
	s_waitcnt vmcnt(2)
	v_mul_lo_u32 v5, v3, s36
	v_mul_hi_u32 v6, s48, v3
	v_sub_u32_e32 v5, v1, v5
	v_add_u32_e32 v1, v3, v6
	v_lshrrev_b32_e32 v1, s49, v1
	s_waitcnt vmcnt(1)
	v_mul_lo_u32 v8, v1, s39
	v_mul_lo_u32 v6, v5, s44
	;; [unrolled: 1-line block ×4, first 2 shown]
	v_sub_u32_e32 v3, v3, v8
	v_mul_lo_u32 v8, v3, s47
	v_mul_lo_u32 v9, v3, s50
	;; [unrolled: 1-line block ×3, first 2 shown]
	v_add3_u32 v0, v6, v0, v8
	v_add3_u32 v4, v7, v4, v9
	;; [unrolled: 1-line block ×3, first 2 shown]
	s_cbranch_scc0 .LBB93_63
; %bb.64:
	s_bitcmp1_b32 s42, 0
	s_cselect_b64 s[34:35], -1, 0
	s_and_b64 vcc, exec, s[34:35]
	s_cbranch_vccnz .LBB93_69
; %bb.65:
	s_load_dwordx2 s[34:35], s[30:31], 0x1c
	s_load_dword s38, s[30:31], 0x24
	s_load_dwordx2 s[36:37], s[30:31], 0xdc
	s_waitcnt lgkmcnt(0)
	v_mul_hi_u32 v3, s35, v1
	v_add_u32_e32 v3, v1, v3
	v_lshrrev_b32_e32 v3, s38, v3
	v_mul_lo_u32 v3, v3, s34
	s_load_dword s34, s[30:31], 0xe4
	v_sub_u32_e32 v3, v1, v3
	v_mad_u64_u32 v[0:1], s[30:31], v3, s36, v[0:1]
	v_mad_u64_u32 v[4:5], s[30:31], v3, s37, v[4:5]
	s_waitcnt lgkmcnt(0)
	v_mad_u64_u32 v[2:3], s[30:31], v3, s34, v[2:3]
	s_branch .LBB93_69
.LBB93_66:
	s_waitcnt vmcnt(0)
	v_cmp_lt_f64_e32 vcc, v[5:6], v[7:8]
	s_andn2_b64 s[34:35], s[34:35], exec
	s_and_b64 s[36:37], vcc, exec
	s_or_b64 s[34:35], s[34:35], s[36:37]
	s_cbranch_execz .LBB93_58
	s_branch .LBB93_59
.LBB93_67:
                                        ; implicit-def: $vgpr0
                                        ; implicit-def: $vgpr4
                                        ; implicit-def: $vgpr2
	s_branch .LBB93_70
.LBB93_68:
	v_mov_b32_e32 v0, 0
	v_mov_b32_e32 v4, 0
	;; [unrolled: 1-line block ×3, first 2 shown]
.LBB93_69:
	s_cbranch_execnz .LBB93_72
.LBB93_70:
	s_waitcnt lgkmcnt(0)
	v_mul_hi_u32 v0, s9, v21
	s_andn2_b64 vcc, exec, s[24:25]
	v_add_u32_e32 v0, v21, v0
	v_lshrrev_b32_e32 v1, s10, v0
	v_mul_lo_u32 v0, v1, s8
	v_sub_u32_e32 v2, v21, v0
	v_mul_lo_u32 v0, v2, s4
	v_mul_lo_u32 v4, v2, s5
	;; [unrolled: 1-line block ×3, first 2 shown]
	s_cbranch_vccnz .LBB93_72
; %bb.71:
	v_mul_hi_u32 v3, s22, v1
	v_add_u32_e32 v3, v1, v3
	v_lshrrev_b32_e32 v3, s23, v3
	v_mul_lo_u32 v3, v3, s11
	v_sub_u32_e32 v3, v1, v3
	v_mad_u64_u32 v[0:1], s[30:31], v3, s7, v[0:1]
	s_waitcnt vmcnt(2)
	v_mad_u64_u32 v[4:5], s[30:31], v3, s20, v[4:5]
	v_mad_u64_u32 v[2:3], s[30:31], v3, s21, v[2:3]
.LBB93_72:
	s_waitcnt lgkmcnt(0)
	global_load_dwordx2 v[5:6], v4, s[2:3]
	global_load_dwordx2 v[7:8], v2, s[18:19]
	s_cmp_lt_i32 s41, 1
	s_mov_b64 s[30:31], 0
	s_cbranch_scc1 .LBB93_76
; %bb.73:
	s_cmp_gt_i32 s41, 1
	s_cbranch_scc0 .LBB93_77
; %bb.74:
	s_cmp_eq_u32 s41, 2
	s_cbranch_scc0 .LBB93_424
; %bb.75:
	s_waitcnt vmcnt(0)
	v_cmp_le_f64_e64 s[34:35], v[5:6], v[7:8]
	s_mov_b64 s[36:37], 0
	s_branch .LBB93_79
.LBB93_76:
                                        ; implicit-def: $sgpr34_sgpr35
	s_mov_b64 s[36:37], 0
	s_cbranch_execnz .LBB93_80
	s_branch .LBB93_81
.LBB93_77:
	s_mov_b64 s[36:37], 0
                                        ; implicit-def: $sgpr34_sgpr35
	s_cbranch_execz .LBB93_79
; %bb.78:
	s_waitcnt vmcnt(0)
	v_cmp_gt_f64_e32 vcc, v[5:6], v[7:8]
	s_andn2_b64 s[34:35], s[34:35], exec
	s_and_b64 s[38:39], vcc, exec
	s_or_b64 s[34:35], s[34:35], s[38:39]
.LBB93_79:
	s_branch .LBB93_81
.LBB93_80:
	s_cmp_lg_u32 s41, 0
	s_mov_b64 s[30:31], -1
	s_cselect_b64 s[36:37], -1, 0
.LBB93_81:
	s_andn2_b64 vcc, exec, s[36:37]
	s_cbranch_vccz .LBB93_91
; %bb.82:
	s_andn2_b64 vcc, exec, s[30:31]
	s_cbranch_vccnz .LBB93_84
.LBB93_83:
	s_waitcnt vmcnt(0)
	v_cmp_ge_f64_e32 vcc, v[5:6], v[7:8]
	s_andn2_b64 s[30:31], s[34:35], exec
	s_and_b64 s[34:35], vcc, exec
	s_or_b64 s[34:35], s[30:31], s[34:35]
.LBB93_84:
	v_cndmask_b32_e64 v1, 0, 1, s[34:35]
	v_add_u32_e32 v21, 0x80, v21
	global_store_byte v0, v1, s[0:1]
	s_or_b64 exec, exec, s[28:29]
	v_cmp_gt_i32_e32 vcc, s43, v21
	s_and_saveexec_b64 s[28:29], vcc
	s_cbranch_execz .LBB93_5
.LBB93_85:
	s_andn2_b64 vcc, exec, s[14:15]
	s_cbranch_vccnz .LBB93_92
; %bb.86:
	s_andn2_b64 vcc, exec, s[26:27]
	s_cbranch_vccnz .LBB93_93
; %bb.87:
	s_add_i32 s30, s42, 1
	s_and_b32 s34, s30, 30
	s_add_u32 s30, s12, 0xffffffe8
	s_addc_u32 s31, s13, -1
	v_mov_b32_e32 v2, 0
	v_mov_b32_e32 v4, 0
	;; [unrolled: 1-line block ×4, first 2 shown]
.LBB93_88:                              ; =>This Inner Loop Header: Depth=1
	s_load_dwordx4 s[36:39], s[30:31], 0x1c
	s_load_dwordx2 s[48:49], s[30:31], 0x2c
	s_load_dwordx2 s[50:51], s[30:31], 0xec
	s_load_dwordx4 s[44:47], s[30:31], 0xdc
	s_add_u32 s30, s30, 24
	s_waitcnt lgkmcnt(0)
	v_mul_hi_u32 v3, s37, v1
	s_addc_u32 s31, s31, 0
	s_add_i32 s34, s34, -2
	s_cmp_eq_u32 s34, 0
	v_add_u32_e32 v3, v1, v3
	v_lshrrev_b32_e32 v3, s38, v3
	s_waitcnt vmcnt(2)
	v_mul_lo_u32 v5, v3, s36
	v_mul_hi_u32 v6, s48, v3
	v_sub_u32_e32 v5, v1, v5
	v_add_u32_e32 v1, v3, v6
	v_lshrrev_b32_e32 v1, s49, v1
	s_waitcnt vmcnt(1)
	v_mul_lo_u32 v8, v1, s39
	v_mul_lo_u32 v6, v5, s44
	v_mul_lo_u32 v7, v5, s45
	v_mul_lo_u32 v5, v5, s46
	v_sub_u32_e32 v3, v3, v8
	v_mul_lo_u32 v8, v3, s47
	v_mul_lo_u32 v9, v3, s50
	;; [unrolled: 1-line block ×3, first 2 shown]
	v_add3_u32 v0, v6, v0, v8
	v_add3_u32 v4, v7, v4, v9
	;; [unrolled: 1-line block ×3, first 2 shown]
	s_cbranch_scc0 .LBB93_88
; %bb.89:
	s_bitcmp1_b32 s42, 0
	s_cselect_b64 s[34:35], -1, 0
	s_and_b64 vcc, exec, s[34:35]
	s_cbranch_vccnz .LBB93_94
; %bb.90:
	s_load_dwordx2 s[34:35], s[30:31], 0x1c
	s_load_dword s38, s[30:31], 0x24
	s_load_dwordx2 s[36:37], s[30:31], 0xdc
	s_waitcnt lgkmcnt(0)
	v_mul_hi_u32 v3, s35, v1
	v_add_u32_e32 v3, v1, v3
	v_lshrrev_b32_e32 v3, s38, v3
	v_mul_lo_u32 v3, v3, s34
	s_load_dword s34, s[30:31], 0xe4
	v_sub_u32_e32 v3, v1, v3
	v_mad_u64_u32 v[0:1], s[30:31], v3, s36, v[0:1]
	v_mad_u64_u32 v[4:5], s[30:31], v3, s37, v[4:5]
	s_waitcnt lgkmcnt(0)
	v_mad_u64_u32 v[2:3], s[30:31], v3, s34, v[2:3]
	s_branch .LBB93_94
.LBB93_91:
	s_waitcnt vmcnt(0)
	v_cmp_lt_f64_e32 vcc, v[5:6], v[7:8]
	s_andn2_b64 s[34:35], s[34:35], exec
	s_and_b64 s[36:37], vcc, exec
	s_or_b64 s[34:35], s[34:35], s[36:37]
	s_cbranch_execz .LBB93_83
	s_branch .LBB93_84
.LBB93_92:
                                        ; implicit-def: $vgpr0
                                        ; implicit-def: $vgpr4
                                        ; implicit-def: $vgpr2
	s_branch .LBB93_95
.LBB93_93:
	v_mov_b32_e32 v0, 0
	v_mov_b32_e32 v4, 0
	;; [unrolled: 1-line block ×3, first 2 shown]
.LBB93_94:
	s_cbranch_execnz .LBB93_97
.LBB93_95:
	s_waitcnt lgkmcnt(0)
	v_mul_hi_u32 v0, s9, v21
	s_andn2_b64 vcc, exec, s[24:25]
	v_add_u32_e32 v0, v21, v0
	v_lshrrev_b32_e32 v1, s10, v0
	v_mul_lo_u32 v0, v1, s8
	v_sub_u32_e32 v2, v21, v0
	v_mul_lo_u32 v0, v2, s4
	v_mul_lo_u32 v4, v2, s5
	;; [unrolled: 1-line block ×3, first 2 shown]
	s_cbranch_vccnz .LBB93_97
; %bb.96:
	v_mul_hi_u32 v3, s22, v1
	v_add_u32_e32 v3, v1, v3
	v_lshrrev_b32_e32 v3, s23, v3
	v_mul_lo_u32 v3, v3, s11
	v_sub_u32_e32 v3, v1, v3
	v_mad_u64_u32 v[0:1], s[30:31], v3, s7, v[0:1]
	s_waitcnt vmcnt(2)
	v_mad_u64_u32 v[4:5], s[30:31], v3, s20, v[4:5]
	v_mad_u64_u32 v[2:3], s[30:31], v3, s21, v[2:3]
.LBB93_97:
	s_waitcnt lgkmcnt(0)
	global_load_dwordx2 v[5:6], v4, s[2:3]
	global_load_dwordx2 v[7:8], v2, s[18:19]
	s_cmp_lt_i32 s41, 1
	s_mov_b64 s[30:31], 0
	s_cbranch_scc1 .LBB93_101
; %bb.98:
	s_cmp_gt_i32 s41, 1
	s_cbranch_scc0 .LBB93_102
; %bb.99:
	s_cmp_eq_u32 s41, 2
	s_cbranch_scc0 .LBB93_425
; %bb.100:
	s_waitcnt vmcnt(0)
	v_cmp_le_f64_e64 s[34:35], v[5:6], v[7:8]
	s_mov_b64 s[36:37], 0
	s_branch .LBB93_104
.LBB93_101:
                                        ; implicit-def: $sgpr34_sgpr35
	s_mov_b64 s[36:37], 0
	s_cbranch_execnz .LBB93_105
	s_branch .LBB93_106
.LBB93_102:
	s_mov_b64 s[36:37], 0
                                        ; implicit-def: $sgpr34_sgpr35
	s_cbranch_execz .LBB93_104
; %bb.103:
	s_waitcnt vmcnt(0)
	v_cmp_gt_f64_e32 vcc, v[5:6], v[7:8]
	s_andn2_b64 s[34:35], s[34:35], exec
	s_and_b64 s[38:39], vcc, exec
	s_or_b64 s[34:35], s[34:35], s[38:39]
.LBB93_104:
	s_branch .LBB93_106
.LBB93_105:
	s_cmp_lg_u32 s41, 0
	s_mov_b64 s[30:31], -1
	s_cselect_b64 s[36:37], -1, 0
.LBB93_106:
	s_andn2_b64 vcc, exec, s[36:37]
	s_cbranch_vccz .LBB93_116
; %bb.107:
	s_andn2_b64 vcc, exec, s[30:31]
	s_cbranch_vccnz .LBB93_109
.LBB93_108:
	s_waitcnt vmcnt(0)
	v_cmp_ge_f64_e32 vcc, v[5:6], v[7:8]
	s_andn2_b64 s[30:31], s[34:35], exec
	s_and_b64 s[34:35], vcc, exec
	s_or_b64 s[34:35], s[30:31], s[34:35]
.LBB93_109:
	v_cndmask_b32_e64 v1, 0, 1, s[34:35]
	v_add_u32_e32 v21, 0x80, v21
	global_store_byte v0, v1, s[0:1]
	s_or_b64 exec, exec, s[28:29]
	v_cmp_gt_i32_e32 vcc, s43, v21
	s_and_saveexec_b64 s[28:29], vcc
	s_cbranch_execz .LBB93_6
.LBB93_110:
	s_andn2_b64 vcc, exec, s[14:15]
	s_cbranch_vccnz .LBB93_117
; %bb.111:
	s_andn2_b64 vcc, exec, s[26:27]
	s_cbranch_vccnz .LBB93_118
; %bb.112:
	s_add_i32 s30, s42, 1
	s_and_b32 s34, s30, 30
	s_add_u32 s30, s12, 0xffffffe8
	s_addc_u32 s31, s13, -1
	v_mov_b32_e32 v2, 0
	v_mov_b32_e32 v4, 0
	;; [unrolled: 1-line block ×4, first 2 shown]
.LBB93_113:                             ; =>This Inner Loop Header: Depth=1
	s_load_dwordx4 s[36:39], s[30:31], 0x1c
	s_load_dwordx2 s[48:49], s[30:31], 0x2c
	s_load_dwordx2 s[50:51], s[30:31], 0xec
	s_load_dwordx4 s[44:47], s[30:31], 0xdc
	s_add_u32 s30, s30, 24
	s_waitcnt lgkmcnt(0)
	v_mul_hi_u32 v3, s37, v1
	s_addc_u32 s31, s31, 0
	s_add_i32 s34, s34, -2
	s_cmp_eq_u32 s34, 0
	v_add_u32_e32 v3, v1, v3
	v_lshrrev_b32_e32 v3, s38, v3
	s_waitcnt vmcnt(2)
	v_mul_lo_u32 v5, v3, s36
	v_mul_hi_u32 v6, s48, v3
	v_sub_u32_e32 v5, v1, v5
	v_add_u32_e32 v1, v3, v6
	v_lshrrev_b32_e32 v1, s49, v1
	s_waitcnt vmcnt(1)
	v_mul_lo_u32 v8, v1, s39
	v_mul_lo_u32 v6, v5, s44
	;; [unrolled: 1-line block ×4, first 2 shown]
	v_sub_u32_e32 v3, v3, v8
	v_mul_lo_u32 v8, v3, s47
	v_mul_lo_u32 v9, v3, s50
	;; [unrolled: 1-line block ×3, first 2 shown]
	v_add3_u32 v0, v6, v0, v8
	v_add3_u32 v4, v7, v4, v9
	;; [unrolled: 1-line block ×3, first 2 shown]
	s_cbranch_scc0 .LBB93_113
; %bb.114:
	s_bitcmp1_b32 s42, 0
	s_cselect_b64 s[34:35], -1, 0
	s_and_b64 vcc, exec, s[34:35]
	s_cbranch_vccnz .LBB93_119
; %bb.115:
	s_load_dwordx2 s[34:35], s[30:31], 0x1c
	s_load_dword s38, s[30:31], 0x24
	s_load_dwordx2 s[36:37], s[30:31], 0xdc
	s_waitcnt lgkmcnt(0)
	v_mul_hi_u32 v3, s35, v1
	v_add_u32_e32 v3, v1, v3
	v_lshrrev_b32_e32 v3, s38, v3
	v_mul_lo_u32 v3, v3, s34
	s_load_dword s34, s[30:31], 0xe4
	v_sub_u32_e32 v3, v1, v3
	v_mad_u64_u32 v[0:1], s[30:31], v3, s36, v[0:1]
	v_mad_u64_u32 v[4:5], s[30:31], v3, s37, v[4:5]
	s_waitcnt lgkmcnt(0)
	v_mad_u64_u32 v[2:3], s[30:31], v3, s34, v[2:3]
	s_branch .LBB93_119
.LBB93_116:
	s_waitcnt vmcnt(0)
	v_cmp_lt_f64_e32 vcc, v[5:6], v[7:8]
	s_andn2_b64 s[34:35], s[34:35], exec
	s_and_b64 s[36:37], vcc, exec
	s_or_b64 s[34:35], s[34:35], s[36:37]
	s_cbranch_execz .LBB93_108
	s_branch .LBB93_109
.LBB93_117:
                                        ; implicit-def: $vgpr0
                                        ; implicit-def: $vgpr4
                                        ; implicit-def: $vgpr2
	s_branch .LBB93_120
.LBB93_118:
	v_mov_b32_e32 v0, 0
	v_mov_b32_e32 v4, 0
	;; [unrolled: 1-line block ×3, first 2 shown]
.LBB93_119:
	s_cbranch_execnz .LBB93_122
.LBB93_120:
	s_waitcnt lgkmcnt(0)
	v_mul_hi_u32 v0, s9, v21
	s_andn2_b64 vcc, exec, s[24:25]
	v_add_u32_e32 v0, v21, v0
	v_lshrrev_b32_e32 v1, s10, v0
	v_mul_lo_u32 v0, v1, s8
	v_sub_u32_e32 v2, v21, v0
	v_mul_lo_u32 v0, v2, s4
	v_mul_lo_u32 v4, v2, s5
	;; [unrolled: 1-line block ×3, first 2 shown]
	s_cbranch_vccnz .LBB93_122
; %bb.121:
	v_mul_hi_u32 v3, s22, v1
	v_add_u32_e32 v3, v1, v3
	v_lshrrev_b32_e32 v3, s23, v3
	v_mul_lo_u32 v3, v3, s11
	v_sub_u32_e32 v3, v1, v3
	v_mad_u64_u32 v[0:1], s[30:31], v3, s7, v[0:1]
	s_waitcnt vmcnt(2)
	v_mad_u64_u32 v[4:5], s[30:31], v3, s20, v[4:5]
	v_mad_u64_u32 v[2:3], s[30:31], v3, s21, v[2:3]
.LBB93_122:
	s_waitcnt lgkmcnt(0)
	global_load_dwordx2 v[5:6], v4, s[2:3]
	global_load_dwordx2 v[7:8], v2, s[18:19]
	s_cmp_lt_i32 s41, 1
	s_mov_b64 s[30:31], 0
	s_cbranch_scc1 .LBB93_126
; %bb.123:
	s_cmp_gt_i32 s41, 1
	s_cbranch_scc0 .LBB93_127
; %bb.124:
	s_cmp_eq_u32 s41, 2
	s_cbranch_scc0 .LBB93_426
; %bb.125:
	s_waitcnt vmcnt(0)
	v_cmp_le_f64_e64 s[34:35], v[5:6], v[7:8]
	s_mov_b64 s[36:37], 0
	s_branch .LBB93_129
.LBB93_126:
                                        ; implicit-def: $sgpr34_sgpr35
	s_mov_b64 s[36:37], 0
	s_cbranch_execnz .LBB93_130
	s_branch .LBB93_131
.LBB93_127:
	s_mov_b64 s[36:37], 0
                                        ; implicit-def: $sgpr34_sgpr35
	s_cbranch_execz .LBB93_129
; %bb.128:
	s_waitcnt vmcnt(0)
	v_cmp_gt_f64_e32 vcc, v[5:6], v[7:8]
	s_andn2_b64 s[34:35], s[34:35], exec
	s_and_b64 s[38:39], vcc, exec
	s_or_b64 s[34:35], s[34:35], s[38:39]
.LBB93_129:
	s_branch .LBB93_131
.LBB93_130:
	s_cmp_lg_u32 s41, 0
	s_mov_b64 s[30:31], -1
	s_cselect_b64 s[36:37], -1, 0
.LBB93_131:
	s_andn2_b64 vcc, exec, s[36:37]
	s_cbranch_vccz .LBB93_141
; %bb.132:
	s_andn2_b64 vcc, exec, s[30:31]
	s_cbranch_vccnz .LBB93_134
.LBB93_133:
	s_waitcnt vmcnt(0)
	v_cmp_ge_f64_e32 vcc, v[5:6], v[7:8]
	s_andn2_b64 s[30:31], s[34:35], exec
	s_and_b64 s[34:35], vcc, exec
	s_or_b64 s[34:35], s[30:31], s[34:35]
.LBB93_134:
	v_cndmask_b32_e64 v1, 0, 1, s[34:35]
	v_add_u32_e32 v21, 0x80, v21
	global_store_byte v0, v1, s[0:1]
	s_or_b64 exec, exec, s[28:29]
	v_cmp_gt_i32_e32 vcc, s43, v21
	s_and_saveexec_b64 s[28:29], vcc
	s_cbranch_execz .LBB93_7
.LBB93_135:
	s_andn2_b64 vcc, exec, s[14:15]
	s_cbranch_vccnz .LBB93_142
; %bb.136:
	s_andn2_b64 vcc, exec, s[26:27]
	s_cbranch_vccnz .LBB93_143
; %bb.137:
	s_add_i32 s30, s42, 1
	s_and_b32 s34, s30, 30
	s_add_u32 s30, s12, 0xffffffe8
	s_addc_u32 s31, s13, -1
	v_mov_b32_e32 v2, 0
	v_mov_b32_e32 v4, 0
	;; [unrolled: 1-line block ×4, first 2 shown]
.LBB93_138:                             ; =>This Inner Loop Header: Depth=1
	s_load_dwordx4 s[36:39], s[30:31], 0x1c
	s_load_dwordx2 s[48:49], s[30:31], 0x2c
	s_load_dwordx2 s[50:51], s[30:31], 0xec
	s_load_dwordx4 s[44:47], s[30:31], 0xdc
	s_add_u32 s30, s30, 24
	s_waitcnt lgkmcnt(0)
	v_mul_hi_u32 v3, s37, v1
	s_addc_u32 s31, s31, 0
	s_add_i32 s34, s34, -2
	s_cmp_eq_u32 s34, 0
	v_add_u32_e32 v3, v1, v3
	v_lshrrev_b32_e32 v3, s38, v3
	s_waitcnt vmcnt(2)
	v_mul_lo_u32 v5, v3, s36
	v_mul_hi_u32 v6, s48, v3
	v_sub_u32_e32 v5, v1, v5
	v_add_u32_e32 v1, v3, v6
	v_lshrrev_b32_e32 v1, s49, v1
	s_waitcnt vmcnt(1)
	v_mul_lo_u32 v8, v1, s39
	v_mul_lo_u32 v6, v5, s44
	;; [unrolled: 1-line block ×4, first 2 shown]
	v_sub_u32_e32 v3, v3, v8
	v_mul_lo_u32 v8, v3, s47
	v_mul_lo_u32 v9, v3, s50
	;; [unrolled: 1-line block ×3, first 2 shown]
	v_add3_u32 v0, v6, v0, v8
	v_add3_u32 v4, v7, v4, v9
	;; [unrolled: 1-line block ×3, first 2 shown]
	s_cbranch_scc0 .LBB93_138
; %bb.139:
	s_bitcmp1_b32 s42, 0
	s_cselect_b64 s[34:35], -1, 0
	s_and_b64 vcc, exec, s[34:35]
	s_cbranch_vccnz .LBB93_144
; %bb.140:
	s_load_dwordx2 s[34:35], s[30:31], 0x1c
	s_load_dword s38, s[30:31], 0x24
	s_load_dwordx2 s[36:37], s[30:31], 0xdc
	s_waitcnt lgkmcnt(0)
	v_mul_hi_u32 v3, s35, v1
	v_add_u32_e32 v3, v1, v3
	v_lshrrev_b32_e32 v3, s38, v3
	v_mul_lo_u32 v3, v3, s34
	s_load_dword s34, s[30:31], 0xe4
	v_sub_u32_e32 v3, v1, v3
	v_mad_u64_u32 v[0:1], s[30:31], v3, s36, v[0:1]
	v_mad_u64_u32 v[4:5], s[30:31], v3, s37, v[4:5]
	s_waitcnt lgkmcnt(0)
	v_mad_u64_u32 v[2:3], s[30:31], v3, s34, v[2:3]
	s_branch .LBB93_144
.LBB93_141:
	s_waitcnt vmcnt(0)
	v_cmp_lt_f64_e32 vcc, v[5:6], v[7:8]
	s_andn2_b64 s[34:35], s[34:35], exec
	s_and_b64 s[36:37], vcc, exec
	s_or_b64 s[34:35], s[34:35], s[36:37]
	s_cbranch_execz .LBB93_133
	s_branch .LBB93_134
.LBB93_142:
                                        ; implicit-def: $vgpr0
                                        ; implicit-def: $vgpr4
                                        ; implicit-def: $vgpr2
	s_branch .LBB93_145
.LBB93_143:
	v_mov_b32_e32 v0, 0
	v_mov_b32_e32 v4, 0
	;; [unrolled: 1-line block ×3, first 2 shown]
.LBB93_144:
	s_cbranch_execnz .LBB93_147
.LBB93_145:
	s_waitcnt lgkmcnt(0)
	v_mul_hi_u32 v0, s9, v21
	s_andn2_b64 vcc, exec, s[24:25]
	v_add_u32_e32 v0, v21, v0
	v_lshrrev_b32_e32 v1, s10, v0
	v_mul_lo_u32 v0, v1, s8
	v_sub_u32_e32 v2, v21, v0
	v_mul_lo_u32 v0, v2, s4
	v_mul_lo_u32 v4, v2, s5
	;; [unrolled: 1-line block ×3, first 2 shown]
	s_cbranch_vccnz .LBB93_147
; %bb.146:
	v_mul_hi_u32 v3, s22, v1
	v_add_u32_e32 v3, v1, v3
	v_lshrrev_b32_e32 v3, s23, v3
	v_mul_lo_u32 v3, v3, s11
	v_sub_u32_e32 v3, v1, v3
	v_mad_u64_u32 v[0:1], s[30:31], v3, s7, v[0:1]
	s_waitcnt vmcnt(2)
	v_mad_u64_u32 v[4:5], s[30:31], v3, s20, v[4:5]
	v_mad_u64_u32 v[2:3], s[30:31], v3, s21, v[2:3]
.LBB93_147:
	s_waitcnt lgkmcnt(0)
	global_load_dwordx2 v[5:6], v4, s[2:3]
	global_load_dwordx2 v[7:8], v2, s[18:19]
	s_cmp_lt_i32 s41, 1
	s_mov_b64 s[30:31], 0
	s_cbranch_scc1 .LBB93_151
; %bb.148:
	s_cmp_gt_i32 s41, 1
	s_cbranch_scc0 .LBB93_152
; %bb.149:
	s_cmp_eq_u32 s41, 2
	s_cbranch_scc0 .LBB93_427
; %bb.150:
	s_waitcnt vmcnt(0)
	v_cmp_le_f64_e64 s[34:35], v[5:6], v[7:8]
	s_mov_b64 s[36:37], 0
	s_branch .LBB93_154
.LBB93_151:
                                        ; implicit-def: $sgpr34_sgpr35
	s_mov_b64 s[36:37], 0
	s_cbranch_execnz .LBB93_155
	s_branch .LBB93_156
.LBB93_152:
	s_mov_b64 s[36:37], 0
                                        ; implicit-def: $sgpr34_sgpr35
	s_cbranch_execz .LBB93_154
; %bb.153:
	s_waitcnt vmcnt(0)
	v_cmp_gt_f64_e32 vcc, v[5:6], v[7:8]
	s_andn2_b64 s[34:35], s[34:35], exec
	s_and_b64 s[38:39], vcc, exec
	s_or_b64 s[34:35], s[34:35], s[38:39]
.LBB93_154:
	s_branch .LBB93_156
.LBB93_155:
	s_cmp_lg_u32 s41, 0
	s_mov_b64 s[30:31], -1
	s_cselect_b64 s[36:37], -1, 0
.LBB93_156:
	s_andn2_b64 vcc, exec, s[36:37]
	s_cbranch_vccz .LBB93_166
; %bb.157:
	s_andn2_b64 vcc, exec, s[30:31]
	s_cbranch_vccnz .LBB93_159
.LBB93_158:
	s_waitcnt vmcnt(0)
	v_cmp_ge_f64_e32 vcc, v[5:6], v[7:8]
	s_andn2_b64 s[30:31], s[34:35], exec
	s_and_b64 s[34:35], vcc, exec
	s_or_b64 s[34:35], s[30:31], s[34:35]
.LBB93_159:
	v_cndmask_b32_e64 v1, 0, 1, s[34:35]
	v_add_u32_e32 v21, 0x80, v21
	global_store_byte v0, v1, s[0:1]
	s_or_b64 exec, exec, s[28:29]
	v_cmp_gt_i32_e32 vcc, s43, v21
	s_and_saveexec_b64 s[28:29], vcc
	s_cbranch_execz .LBB93_8
.LBB93_160:
	s_andn2_b64 vcc, exec, s[14:15]
	s_cbranch_vccnz .LBB93_167
; %bb.161:
	s_andn2_b64 vcc, exec, s[26:27]
	s_cbranch_vccnz .LBB93_168
; %bb.162:
	s_add_i32 s30, s42, 1
	s_and_b32 s34, s30, 30
	s_add_u32 s30, s12, 0xffffffe8
	s_addc_u32 s31, s13, -1
	v_mov_b32_e32 v2, 0
	v_mov_b32_e32 v4, 0
	;; [unrolled: 1-line block ×4, first 2 shown]
.LBB93_163:                             ; =>This Inner Loop Header: Depth=1
	s_load_dwordx4 s[36:39], s[30:31], 0x1c
	s_load_dwordx2 s[48:49], s[30:31], 0x2c
	s_load_dwordx2 s[50:51], s[30:31], 0xec
	s_load_dwordx4 s[44:47], s[30:31], 0xdc
	s_add_u32 s30, s30, 24
	s_waitcnt lgkmcnt(0)
	v_mul_hi_u32 v3, s37, v1
	s_addc_u32 s31, s31, 0
	s_add_i32 s34, s34, -2
	s_cmp_eq_u32 s34, 0
	v_add_u32_e32 v3, v1, v3
	v_lshrrev_b32_e32 v3, s38, v3
	s_waitcnt vmcnt(2)
	v_mul_lo_u32 v5, v3, s36
	v_mul_hi_u32 v6, s48, v3
	v_sub_u32_e32 v5, v1, v5
	v_add_u32_e32 v1, v3, v6
	v_lshrrev_b32_e32 v1, s49, v1
	s_waitcnt vmcnt(1)
	v_mul_lo_u32 v8, v1, s39
	v_mul_lo_u32 v6, v5, s44
	;; [unrolled: 1-line block ×4, first 2 shown]
	v_sub_u32_e32 v3, v3, v8
	v_mul_lo_u32 v8, v3, s47
	v_mul_lo_u32 v9, v3, s50
	;; [unrolled: 1-line block ×3, first 2 shown]
	v_add3_u32 v0, v6, v0, v8
	v_add3_u32 v4, v7, v4, v9
	;; [unrolled: 1-line block ×3, first 2 shown]
	s_cbranch_scc0 .LBB93_163
; %bb.164:
	s_bitcmp1_b32 s42, 0
	s_cselect_b64 s[34:35], -1, 0
	s_and_b64 vcc, exec, s[34:35]
	s_cbranch_vccnz .LBB93_169
; %bb.165:
	s_load_dwordx2 s[34:35], s[30:31], 0x1c
	s_load_dword s38, s[30:31], 0x24
	s_load_dwordx2 s[36:37], s[30:31], 0xdc
	s_waitcnt lgkmcnt(0)
	v_mul_hi_u32 v3, s35, v1
	v_add_u32_e32 v3, v1, v3
	v_lshrrev_b32_e32 v3, s38, v3
	v_mul_lo_u32 v3, v3, s34
	s_load_dword s34, s[30:31], 0xe4
	v_sub_u32_e32 v3, v1, v3
	v_mad_u64_u32 v[0:1], s[30:31], v3, s36, v[0:1]
	v_mad_u64_u32 v[4:5], s[30:31], v3, s37, v[4:5]
	s_waitcnt lgkmcnt(0)
	v_mad_u64_u32 v[2:3], s[30:31], v3, s34, v[2:3]
	s_branch .LBB93_169
.LBB93_166:
	s_waitcnt vmcnt(0)
	v_cmp_lt_f64_e32 vcc, v[5:6], v[7:8]
	s_andn2_b64 s[34:35], s[34:35], exec
	s_and_b64 s[36:37], vcc, exec
	s_or_b64 s[34:35], s[34:35], s[36:37]
	s_cbranch_execz .LBB93_158
	s_branch .LBB93_159
.LBB93_167:
                                        ; implicit-def: $vgpr0
                                        ; implicit-def: $vgpr4
                                        ; implicit-def: $vgpr2
	s_branch .LBB93_170
.LBB93_168:
	v_mov_b32_e32 v0, 0
	v_mov_b32_e32 v4, 0
	;; [unrolled: 1-line block ×3, first 2 shown]
.LBB93_169:
	s_cbranch_execnz .LBB93_172
.LBB93_170:
	s_waitcnt lgkmcnt(0)
	v_mul_hi_u32 v0, s9, v21
	s_andn2_b64 vcc, exec, s[24:25]
	v_add_u32_e32 v0, v21, v0
	v_lshrrev_b32_e32 v1, s10, v0
	v_mul_lo_u32 v0, v1, s8
	v_sub_u32_e32 v2, v21, v0
	v_mul_lo_u32 v0, v2, s4
	v_mul_lo_u32 v4, v2, s5
	;; [unrolled: 1-line block ×3, first 2 shown]
	s_cbranch_vccnz .LBB93_172
; %bb.171:
	v_mul_hi_u32 v3, s22, v1
	v_add_u32_e32 v3, v1, v3
	v_lshrrev_b32_e32 v3, s23, v3
	v_mul_lo_u32 v3, v3, s11
	v_sub_u32_e32 v3, v1, v3
	v_mad_u64_u32 v[0:1], s[30:31], v3, s7, v[0:1]
	s_waitcnt vmcnt(2)
	v_mad_u64_u32 v[4:5], s[30:31], v3, s20, v[4:5]
	v_mad_u64_u32 v[2:3], s[30:31], v3, s21, v[2:3]
.LBB93_172:
	s_waitcnt lgkmcnt(0)
	global_load_dwordx2 v[5:6], v4, s[2:3]
	global_load_dwordx2 v[7:8], v2, s[18:19]
	s_cmp_lt_i32 s41, 1
	s_mov_b64 s[30:31], 0
	s_cbranch_scc1 .LBB93_176
; %bb.173:
	s_cmp_gt_i32 s41, 1
	s_cbranch_scc0 .LBB93_177
; %bb.174:
	s_cmp_eq_u32 s41, 2
	s_cbranch_scc0 .LBB93_428
; %bb.175:
	s_waitcnt vmcnt(0)
	v_cmp_le_f64_e64 s[34:35], v[5:6], v[7:8]
	s_mov_b64 s[36:37], 0
	s_branch .LBB93_179
.LBB93_176:
                                        ; implicit-def: $sgpr34_sgpr35
	s_mov_b64 s[36:37], 0
	s_cbranch_execnz .LBB93_180
	s_branch .LBB93_181
.LBB93_177:
	s_mov_b64 s[36:37], 0
                                        ; implicit-def: $sgpr34_sgpr35
	s_cbranch_execz .LBB93_179
; %bb.178:
	s_waitcnt vmcnt(0)
	v_cmp_gt_f64_e32 vcc, v[5:6], v[7:8]
	s_andn2_b64 s[34:35], s[34:35], exec
	s_and_b64 s[38:39], vcc, exec
	s_or_b64 s[34:35], s[34:35], s[38:39]
.LBB93_179:
	s_branch .LBB93_181
.LBB93_180:
	s_cmp_lg_u32 s41, 0
	s_mov_b64 s[30:31], -1
	s_cselect_b64 s[36:37], -1, 0
.LBB93_181:
	s_andn2_b64 vcc, exec, s[36:37]
	s_cbranch_vccz .LBB93_191
; %bb.182:
	s_andn2_b64 vcc, exec, s[30:31]
	s_cbranch_vccnz .LBB93_184
.LBB93_183:
	s_waitcnt vmcnt(0)
	v_cmp_ge_f64_e32 vcc, v[5:6], v[7:8]
	s_andn2_b64 s[30:31], s[34:35], exec
	s_and_b64 s[34:35], vcc, exec
	s_or_b64 s[34:35], s[30:31], s[34:35]
.LBB93_184:
	v_cndmask_b32_e64 v1, 0, 1, s[34:35]
	v_add_u32_e32 v21, 0x80, v21
	global_store_byte v0, v1, s[0:1]
	s_or_b64 exec, exec, s[28:29]
	v_cmp_gt_i32_e32 vcc, s43, v21
	s_and_saveexec_b64 s[28:29], vcc
	s_cbranch_execz .LBB93_210
.LBB93_185:
	s_andn2_b64 vcc, exec, s[14:15]
	s_cbranch_vccnz .LBB93_192
; %bb.186:
	s_andn2_b64 vcc, exec, s[26:27]
	s_cbranch_vccnz .LBB93_193
; %bb.187:
	s_add_i32 s26, s42, 1
	s_and_b32 s30, s26, 30
	s_add_u32 s26, s12, 0xffffffe8
	s_addc_u32 s27, s13, -1
	v_mov_b32_e32 v2, 0
	v_mov_b32_e32 v4, 0
	;; [unrolled: 1-line block ×4, first 2 shown]
.LBB93_188:                             ; =>This Inner Loop Header: Depth=1
	s_load_dwordx4 s[36:39], s[26:27], 0x1c
	s_load_dwordx2 s[34:35], s[26:27], 0x2c
	s_load_dwordx2 s[48:49], s[26:27], 0xec
	s_load_dwordx4 s[44:47], s[26:27], 0xdc
	s_add_u32 s26, s26, 24
	s_waitcnt lgkmcnt(0)
	v_mul_hi_u32 v3, s37, v1
	s_addc_u32 s27, s27, 0
	s_add_i32 s30, s30, -2
	s_cmp_eq_u32 s30, 0
	v_add_u32_e32 v3, v1, v3
	v_lshrrev_b32_e32 v3, s38, v3
	s_waitcnt vmcnt(2)
	v_mul_lo_u32 v5, v3, s36
	v_mul_hi_u32 v6, s34, v3
	v_sub_u32_e32 v5, v1, v5
	v_add_u32_e32 v1, v3, v6
	v_lshrrev_b32_e32 v1, s35, v1
	s_waitcnt vmcnt(1)
	v_mul_lo_u32 v8, v1, s39
	v_mul_lo_u32 v6, v5, s44
	;; [unrolled: 1-line block ×4, first 2 shown]
	v_sub_u32_e32 v3, v3, v8
	v_mul_lo_u32 v8, v3, s47
	v_mul_lo_u32 v9, v3, s48
	;; [unrolled: 1-line block ×3, first 2 shown]
	v_add3_u32 v0, v6, v0, v8
	v_add3_u32 v4, v7, v4, v9
	;; [unrolled: 1-line block ×3, first 2 shown]
	s_cbranch_scc0 .LBB93_188
; %bb.189:
	s_bitcmp1_b32 s42, 0
	s_cselect_b64 s[30:31], -1, 0
	s_and_b64 vcc, exec, s[30:31]
	s_cbranch_vccnz .LBB93_194
; %bb.190:
	s_load_dwordx2 s[30:31], s[26:27], 0x1c
	s_load_dword s36, s[26:27], 0x24
	s_load_dwordx2 s[34:35], s[26:27], 0xdc
	s_waitcnt lgkmcnt(0)
	v_mul_hi_u32 v3, s31, v1
	v_add_u32_e32 v3, v1, v3
	v_lshrrev_b32_e32 v3, s36, v3
	v_mul_lo_u32 v3, v3, s30
	s_load_dword s30, s[26:27], 0xe4
	v_sub_u32_e32 v3, v1, v3
	v_mad_u64_u32 v[0:1], s[26:27], v3, s34, v[0:1]
	v_mad_u64_u32 v[4:5], s[26:27], v3, s35, v[4:5]
	s_waitcnt lgkmcnt(0)
	v_mad_u64_u32 v[2:3], s[26:27], v3, s30, v[2:3]
	s_branch .LBB93_194
.LBB93_191:
	s_waitcnt vmcnt(0)
	v_cmp_lt_f64_e32 vcc, v[5:6], v[7:8]
	s_andn2_b64 s[34:35], s[34:35], exec
	s_and_b64 s[36:37], vcc, exec
	s_or_b64 s[34:35], s[34:35], s[36:37]
	s_cbranch_execz .LBB93_183
	s_branch .LBB93_184
.LBB93_192:
                                        ; implicit-def: $vgpr0
                                        ; implicit-def: $vgpr4
                                        ; implicit-def: $vgpr2
	s_branch .LBB93_195
.LBB93_193:
	v_mov_b32_e32 v0, 0
	v_mov_b32_e32 v4, 0
	;; [unrolled: 1-line block ×3, first 2 shown]
.LBB93_194:
	s_cbranch_execnz .LBB93_197
.LBB93_195:
	s_waitcnt lgkmcnt(0)
	v_mul_hi_u32 v0, s9, v21
	s_andn2_b64 vcc, exec, s[24:25]
	v_add_u32_e32 v0, v21, v0
	v_lshrrev_b32_e32 v1, s10, v0
	v_mul_lo_u32 v0, v1, s8
	v_sub_u32_e32 v2, v21, v0
	v_mul_lo_u32 v0, v2, s4
	v_mul_lo_u32 v4, v2, s5
	;; [unrolled: 1-line block ×3, first 2 shown]
	s_cbranch_vccnz .LBB93_197
; %bb.196:
	v_mul_hi_u32 v3, s22, v1
	v_add_u32_e32 v3, v1, v3
	v_lshrrev_b32_e32 v3, s23, v3
	v_mul_lo_u32 v3, v3, s11
	v_sub_u32_e32 v3, v1, v3
	v_mad_u64_u32 v[0:1], s[4:5], v3, s7, v[0:1]
	s_waitcnt vmcnt(2)
	v_mad_u64_u32 v[4:5], s[4:5], v3, s20, v[4:5]
	v_mad_u64_u32 v[2:3], s[4:5], v3, s21, v[2:3]
.LBB93_197:
	s_waitcnt lgkmcnt(0)
	global_load_dwordx2 v[5:6], v4, s[2:3]
	global_load_dwordx2 v[7:8], v2, s[18:19]
	s_cmp_lt_i32 s41, 1
	s_mov_b64 s[2:3], 0
	s_cbranch_scc1 .LBB93_201
; %bb.198:
	s_cmp_gt_i32 s41, 1
	s_cbranch_scc0 .LBB93_202
; %bb.199:
	s_cmp_eq_u32 s41, 2
	s_cbranch_scc0 .LBB93_429
; %bb.200:
	s_waitcnt vmcnt(0)
	v_cmp_le_f64_e64 s[4:5], v[5:6], v[7:8]
	s_mov_b64 s[6:7], 0
	s_branch .LBB93_204
.LBB93_201:
                                        ; implicit-def: $sgpr4_sgpr5
	s_mov_b64 s[6:7], 0
	s_cbranch_execnz .LBB93_205
	s_branch .LBB93_206
.LBB93_202:
	s_mov_b64 s[6:7], 0
                                        ; implicit-def: $sgpr4_sgpr5
	s_cbranch_execz .LBB93_204
; %bb.203:
	s_waitcnt vmcnt(0)
	v_cmp_gt_f64_e32 vcc, v[5:6], v[7:8]
	s_andn2_b64 s[4:5], s[4:5], exec
	s_and_b64 s[8:9], vcc, exec
	s_or_b64 s[4:5], s[4:5], s[8:9]
.LBB93_204:
	s_branch .LBB93_206
.LBB93_205:
	s_cmp_lg_u32 s41, 0
	s_mov_b64 s[2:3], -1
	s_cselect_b64 s[6:7], -1, 0
.LBB93_206:
	s_andn2_b64 vcc, exec, s[6:7]
	s_cbranch_vccz .LBB93_220
; %bb.207:
	s_andn2_b64 vcc, exec, s[2:3]
	s_cbranch_vccnz .LBB93_209
.LBB93_208:
	s_waitcnt vmcnt(0)
	v_cmp_ge_f64_e32 vcc, v[5:6], v[7:8]
	s_andn2_b64 s[2:3], s[4:5], exec
	s_and_b64 s[4:5], vcc, exec
	s_or_b64 s[4:5], s[2:3], s[4:5]
.LBB93_209:
	v_cndmask_b32_e64 v1, 0, 1, s[4:5]
	global_store_byte v0, v1, s[0:1]
.LBB93_210:
	s_or_b64 exec, exec, s[28:29]
                                        ; implicit-def: $vgpr37
                                        ; implicit-def: $vgpr21
.LBB93_211:
	s_waitcnt lgkmcnt(0)
	s_andn2_saveexec_b64 s[0:1], s[16:17]
	s_cbranch_execz .LBB93_218
; %bb.212:
	v_cndmask_b32_e64 v0, 0, 1, s[14:15]
	v_cmp_ne_u32_e64 s[0:1], 1, v0
	s_andn2_b64 vcc, exec, s[14:15]
	s_cbranch_vccnz .LBB93_219
; %bb.213:
	s_cmp_lg_u32 s33, 0
	s_cbranch_scc0 .LBB93_221
; %bb.214:
	s_min_u32 s4, s40, 15
	s_add_i32 s2, s4, 1
	s_and_b32 s5, s2, 30
	s_add_u32 s2, s12, 0xffffffe8
	s_addc_u32 s3, s13, -1
	s_waitcnt vmcnt(2)
	v_mov_b32_e32 v6, 0
	s_waitcnt vmcnt(1)
	v_mov_b32_e32 v8, 0
	v_mov_b32_e32 v0, 0
	;; [unrolled: 1-line block ×3, first 2 shown]
.LBB93_215:                             ; =>This Inner Loop Header: Depth=1
	s_load_dwordx4 s[8:11], s[2:3], 0x1c
	s_load_dwordx2 s[6:7], s[2:3], 0x2c
	s_load_dwordx2 s[14:15], s[2:3], 0xec
	s_load_dwordx4 s[16:19], s[2:3], 0xdc
	s_add_u32 s2, s2, 24
	s_waitcnt lgkmcnt(0)
	v_mul_hi_u32 v2, s9, v1
	s_addc_u32 s3, s3, 0
	s_add_i32 s5, s5, -2
	s_cmp_lg_u32 s5, 0
	v_add_u32_e32 v2, v1, v2
	v_lshrrev_b32_e32 v2, s10, v2
	v_mul_lo_u32 v3, v2, s8
	v_mul_hi_u32 v4, s6, v2
	v_sub_u32_e32 v3, v1, v3
	v_add_u32_e32 v1, v2, v4
	v_lshrrev_b32_e32 v1, s7, v1
	v_mul_lo_u32 v7, v1, s11
	v_mul_lo_u32 v4, v3, s16
	;; [unrolled: 1-line block ×4, first 2 shown]
	v_sub_u32_e32 v2, v2, v7
	v_mul_lo_u32 v7, v2, s19
	v_mul_lo_u32 v9, v2, s14
	;; [unrolled: 1-line block ×3, first 2 shown]
	v_add3_u32 v0, v4, v0, v7
	v_add3_u32 v8, v5, v8, v9
	;; [unrolled: 1-line block ×3, first 2 shown]
	s_cbranch_scc1 .LBB93_215
; %bb.216:
	s_bitcmp1_b32 s4, 0
	s_cselect_b64 s[4:5], -1, 0
	s_and_b64 vcc, exec, s[4:5]
	s_cbranch_vccnz .LBB93_222
; %bb.217:
	s_load_dwordx2 s[4:5], s[2:3], 0x1c
	s_load_dword s8, s[2:3], 0x24
	s_load_dwordx2 s[6:7], s[2:3], 0xdc
	s_waitcnt lgkmcnt(0)
	v_mul_hi_u32 v2, s5, v1
	v_add_u32_e32 v2, v1, v2
	v_lshrrev_b32_e32 v2, s8, v2
	v_mul_lo_u32 v2, v2, s4
	s_load_dword s4, s[2:3], 0xe4
	v_sub_u32_e32 v2, v1, v2
	v_mad_u64_u32 v[0:1], s[2:3], v2, s6, v[0:1]
	v_mad_u64_u32 v[8:9], s[2:3], v2, s7, v[8:9]
	s_waitcnt lgkmcnt(0)
	v_mad_u64_u32 v[6:7], s[2:3], v2, s4, v[6:7]
	s_cbranch_execz .LBB93_223
	s_branch .LBB93_225
.LBB93_218:
	s_endpgm
.LBB93_219:
                                        ; implicit-def: $vgpr0
                                        ; implicit-def: $vgpr8
                                        ; implicit-def: $vgpr6
	s_branch .LBB93_223
.LBB93_220:
	s_waitcnt vmcnt(0)
	v_cmp_lt_f64_e32 vcc, v[5:6], v[7:8]
	s_andn2_b64 s[4:5], s[4:5], exec
	s_and_b64 s[6:7], vcc, exec
	s_or_b64 s[4:5], s[4:5], s[6:7]
	s_cbranch_execz .LBB93_208
	s_branch .LBB93_209
.LBB93_221:
	v_mov_b32_e32 v0, 0
	s_waitcnt vmcnt(1)
	v_mov_b32_e32 v8, 0
	v_mov_b32_e32 v6, 0
.LBB93_222:
	s_cbranch_execnz .LBB93_225
.LBB93_223:
	s_load_dwordx4 s[4:7], s[12:13], 0x4
	s_load_dwordx4 s[8:11], s[12:13], 0xc4
	s_cmp_lt_u32 s33, 2
	s_waitcnt lgkmcnt(0)
	v_mul_hi_u32 v0, s5, v21
	v_add_u32_e32 v0, v21, v0
	v_lshrrev_b32_e32 v1, s6, v0
	v_mul_lo_u32 v0, v1, s4
	v_sub_u32_e32 v2, v21, v0
	v_mul_lo_u32 v0, v2, s8
	s_waitcnt vmcnt(1)
	v_mul_lo_u32 v8, v2, s9
	v_mul_lo_u32 v6, v2, s10
	s_cbranch_scc1 .LBB93_225
; %bb.224:
	s_load_dwordx4 s[4:7], s[12:13], 0x10
	s_load_dwordx4 s[8:11], s[12:13], 0xd0
	s_waitcnt lgkmcnt(0)
	v_mul_hi_u32 v2, s5, v1
	v_add_u32_e32 v2, v1, v2
	v_lshrrev_b32_e32 v2, s6, v2
	v_mul_lo_u32 v2, v2, s4
	v_sub_u32_e32 v2, v1, v2
	v_mad_u64_u32 v[0:1], s[2:3], v2, s8, v[0:1]
	v_mad_u64_u32 v[8:9], s[2:3], v2, s9, v[8:9]
	;; [unrolled: 1-line block ×3, first 2 shown]
.LBB93_225:
	s_and_b64 vcc, exec, s[0:1]
	v_add_u32_e32 v3, 0x80, v21
	s_cbranch_vccnz .LBB93_231
; %bb.226:
	s_cmp_lg_u32 s33, 0
	s_cbranch_scc0 .LBB93_232
; %bb.227:
	s_min_u32 s4, s40, 15
	s_add_i32 s2, s4, 1
	s_and_b32 s5, s2, 30
	s_add_u32 s2, s12, 0xffffffe8
	s_addc_u32 s3, s13, -1
	v_mov_b32_e32 v9, 0
	v_mov_b32_e32 v11, 0
	;; [unrolled: 1-line block ×4, first 2 shown]
.LBB93_228:                             ; =>This Inner Loop Header: Depth=1
	s_load_dwordx4 s[8:11], s[2:3], 0x1c
	s_load_dwordx2 s[6:7], s[2:3], 0x2c
	s_load_dwordx2 s[14:15], s[2:3], 0xec
	s_load_dwordx4 s[16:19], s[2:3], 0xdc
	s_add_u32 s2, s2, 24
	s_waitcnt lgkmcnt(0)
	v_mul_hi_u32 v4, s9, v2
	s_addc_u32 s3, s3, 0
	s_add_i32 s5, s5, -2
	s_cmp_lg_u32 s5, 0
	v_add_u32_e32 v4, v2, v4
	v_lshrrev_b32_e32 v4, s10, v4
	s_waitcnt vmcnt(2)
	v_mul_lo_u32 v5, v4, s8
	s_waitcnt vmcnt(1)
	v_mul_hi_u32 v7, s6, v4
	v_sub_u32_e32 v5, v2, v5
	v_add_u32_e32 v2, v4, v7
	v_lshrrev_b32_e32 v2, s7, v2
	v_mul_lo_u32 v12, v2, s11
	v_mul_lo_u32 v7, v5, s16
	;; [unrolled: 1-line block ×4, first 2 shown]
	v_sub_u32_e32 v4, v4, v12
	v_mul_lo_u32 v12, v4, s19
	v_mul_lo_u32 v13, v4, s14
	;; [unrolled: 1-line block ×3, first 2 shown]
	v_add3_u32 v1, v7, v1, v12
	v_add3_u32 v11, v10, v11, v13
	;; [unrolled: 1-line block ×3, first 2 shown]
	s_cbranch_scc1 .LBB93_228
; %bb.229:
	s_bitcmp1_b32 s4, 0
	s_cselect_b64 s[4:5], -1, 0
	s_and_b64 vcc, exec, s[4:5]
	s_cbranch_vccnz .LBB93_233
; %bb.230:
	s_load_dwordx2 s[4:5], s[2:3], 0x1c
	s_load_dword s8, s[2:3], 0x24
	s_load_dwordx2 s[6:7], s[2:3], 0xdc
	s_waitcnt lgkmcnt(0)
	v_mul_hi_u32 v4, s5, v2
	v_add_u32_e32 v4, v2, v4
	v_lshrrev_b32_e32 v4, s8, v4
	v_mul_lo_u32 v4, v4, s4
	s_load_dword s4, s[2:3], 0xe4
	v_sub_u32_e32 v4, v2, v4
	v_mad_u64_u32 v[1:2], s[2:3], v4, s6, v[1:2]
	v_mad_u64_u32 v[11:12], s[2:3], v4, s7, v[11:12]
	s_waitcnt lgkmcnt(0)
	v_mad_u64_u32 v[9:10], s[2:3], v4, s4, v[9:10]
	s_cbranch_execz .LBB93_234
	s_branch .LBB93_236
.LBB93_231:
                                        ; implicit-def: $vgpr1
                                        ; implicit-def: $vgpr11
                                        ; implicit-def: $vgpr9
	s_branch .LBB93_234
.LBB93_232:
	v_mov_b32_e32 v1, 0
	v_mov_b32_e32 v11, 0
	v_mov_b32_e32 v9, 0
.LBB93_233:
	s_cbranch_execnz .LBB93_236
.LBB93_234:
	s_load_dwordx4 s[4:7], s[12:13], 0x4
	s_load_dwordx4 s[8:11], s[12:13], 0xc4
	s_cmp_lt_u32 s33, 2
	s_waitcnt lgkmcnt(0)
	v_mul_hi_u32 v1, s5, v3
	v_add_u32_e32 v1, v3, v1
	v_lshrrev_b32_e32 v2, s6, v1
	v_mul_lo_u32 v1, v2, s4
	v_sub_u32_e32 v3, v3, v1
	v_mul_lo_u32 v1, v3, s8
	v_mul_lo_u32 v11, v3, s9
	;; [unrolled: 1-line block ×3, first 2 shown]
	s_cbranch_scc1 .LBB93_236
; %bb.235:
	s_load_dwordx4 s[4:7], s[12:13], 0x10
	s_load_dwordx4 s[8:11], s[12:13], 0xd0
	s_waitcnt lgkmcnt(0)
	v_mul_hi_u32 v3, s5, v2
	v_add_u32_e32 v3, v2, v3
	v_lshrrev_b32_e32 v3, s6, v3
	v_mul_lo_u32 v3, v3, s4
	v_sub_u32_e32 v3, v2, v3
	v_mad_u64_u32 v[1:2], s[2:3], v3, s8, v[1:2]
	v_mad_u64_u32 v[11:12], s[2:3], v3, s9, v[11:12]
	;; [unrolled: 1-line block ×3, first 2 shown]
.LBB93_236:
	s_and_b64 vcc, exec, s[0:1]
	v_add_u32_e32 v4, 0x100, v21
	s_cbranch_vccnz .LBB93_242
; %bb.237:
	s_cmp_lg_u32 s33, 0
	s_cbranch_scc0 .LBB93_243
; %bb.238:
	s_min_u32 s4, s40, 15
	s_add_i32 s2, s4, 1
	s_and_b32 s5, s2, 30
	s_add_u32 s2, s12, 0xffffffe8
	s_addc_u32 s3, s13, -1
	v_mov_b32_e32 v14, 0
	v_mov_b32_e32 v16, 0
	;; [unrolled: 1-line block ×4, first 2 shown]
.LBB93_239:                             ; =>This Inner Loop Header: Depth=1
	s_load_dwordx4 s[8:11], s[2:3], 0x1c
	s_load_dwordx2 s[6:7], s[2:3], 0x2c
	s_load_dwordx2 s[14:15], s[2:3], 0xec
	s_load_dwordx4 s[16:19], s[2:3], 0xdc
	s_add_u32 s2, s2, 24
	s_waitcnt vmcnt(2) lgkmcnt(0)
	v_mul_hi_u32 v5, s9, v3
	s_addc_u32 s3, s3, 0
	s_add_i32 s5, s5, -2
	s_cmp_lg_u32 s5, 0
	v_add_u32_e32 v5, v3, v5
	v_lshrrev_b32_e32 v5, s10, v5
	s_waitcnt vmcnt(1)
	v_mul_lo_u32 v7, v5, s8
	v_mul_hi_u32 v10, s6, v5
	v_sub_u32_e32 v7, v3, v7
	v_add_u32_e32 v3, v5, v10
	v_lshrrev_b32_e32 v3, s7, v3
	v_mul_lo_u32 v13, v3, s11
	v_mul_lo_u32 v10, v7, s16
	;; [unrolled: 1-line block ×4, first 2 shown]
	v_sub_u32_e32 v5, v5, v13
	v_mul_lo_u32 v13, v5, s19
	v_mul_lo_u32 v15, v5, s14
	;; [unrolled: 1-line block ×3, first 2 shown]
	v_add3_u32 v2, v10, v2, v13
	v_add3_u32 v16, v12, v16, v15
	;; [unrolled: 1-line block ×3, first 2 shown]
	s_cbranch_scc1 .LBB93_239
; %bb.240:
	s_bitcmp1_b32 s4, 0
	s_cselect_b64 s[4:5], -1, 0
	s_and_b64 vcc, exec, s[4:5]
	s_cbranch_vccnz .LBB93_244
; %bb.241:
	s_load_dwordx2 s[4:5], s[2:3], 0x1c
	s_load_dword s8, s[2:3], 0x24
	s_load_dwordx2 s[6:7], s[2:3], 0xdc
	s_waitcnt lgkmcnt(0)
	v_mul_hi_u32 v5, s5, v3
	v_add_u32_e32 v5, v3, v5
	v_lshrrev_b32_e32 v5, s8, v5
	v_mul_lo_u32 v5, v5, s4
	s_load_dword s4, s[2:3], 0xe4
	v_sub_u32_e32 v5, v3, v5
	v_mad_u64_u32 v[2:3], s[2:3], v5, s6, v[2:3]
	v_mad_u64_u32 v[16:17], s[2:3], v5, s7, v[16:17]
	s_waitcnt lgkmcnt(0)
	v_mad_u64_u32 v[14:15], s[2:3], v5, s4, v[14:15]
	s_cbranch_execz .LBB93_245
	s_branch .LBB93_247
.LBB93_242:
                                        ; implicit-def: $vgpr2
                                        ; implicit-def: $vgpr16
                                        ; implicit-def: $vgpr14
	s_branch .LBB93_245
.LBB93_243:
	v_mov_b32_e32 v2, 0
	v_mov_b32_e32 v16, 0
	;; [unrolled: 1-line block ×3, first 2 shown]
.LBB93_244:
	s_cbranch_execnz .LBB93_247
.LBB93_245:
	s_load_dwordx4 s[4:7], s[12:13], 0x4
	s_load_dwordx4 s[8:11], s[12:13], 0xc4
	s_cmp_lt_u32 s33, 2
	s_waitcnt lgkmcnt(0)
	v_mul_hi_u32 v2, s5, v4
	v_add_u32_e32 v2, v4, v2
	v_lshrrev_b32_e32 v3, s6, v2
	v_mul_lo_u32 v2, v3, s4
	v_sub_u32_e32 v4, v4, v2
	v_mul_lo_u32 v2, v4, s8
	v_mul_lo_u32 v16, v4, s9
	;; [unrolled: 1-line block ×3, first 2 shown]
	s_cbranch_scc1 .LBB93_247
; %bb.246:
	s_load_dwordx4 s[4:7], s[12:13], 0x10
	s_load_dwordx4 s[8:11], s[12:13], 0xd0
	s_waitcnt lgkmcnt(0)
	v_mul_hi_u32 v4, s5, v3
	v_add_u32_e32 v4, v3, v4
	v_lshrrev_b32_e32 v4, s6, v4
	v_mul_lo_u32 v4, v4, s4
	v_sub_u32_e32 v4, v3, v4
	v_mad_u64_u32 v[2:3], s[2:3], v4, s8, v[2:3]
	v_mad_u64_u32 v[16:17], s[2:3], v4, s9, v[16:17]
	;; [unrolled: 1-line block ×3, first 2 shown]
.LBB93_247:
	s_and_b64 vcc, exec, s[0:1]
	s_waitcnt vmcnt(2)
	v_add_u32_e32 v5, 0x180, v21
	s_cbranch_vccnz .LBB93_253
; %bb.248:
	s_cmp_lg_u32 s33, 0
	s_cbranch_scc0 .LBB93_254
; %bb.249:
	s_min_u32 s4, s40, 15
	s_add_i32 s2, s4, 1
	s_and_b32 s5, s2, 30
	s_add_u32 s2, s12, 0xffffffe8
	s_addc_u32 s3, s13, -1
	v_mov_b32_e32 v17, 0
	v_mov_b32_e32 v19, 0
	;; [unrolled: 1-line block ×4, first 2 shown]
.LBB93_250:                             ; =>This Inner Loop Header: Depth=1
	s_load_dwordx4 s[8:11], s[2:3], 0x1c
	s_load_dwordx2 s[6:7], s[2:3], 0x2c
	s_load_dwordx2 s[14:15], s[2:3], 0xec
	s_load_dwordx4 s[16:19], s[2:3], 0xdc
	s_add_u32 s2, s2, 24
	s_waitcnt vmcnt(1) lgkmcnt(0)
	v_mul_hi_u32 v7, s9, v4
	s_addc_u32 s3, s3, 0
	s_add_i32 s5, s5, -2
	s_cmp_lg_u32 s5, 0
	v_add_u32_e32 v7, v4, v7
	v_lshrrev_b32_e32 v7, s10, v7
	v_mul_lo_u32 v10, v7, s8
	v_mul_hi_u32 v12, s6, v7
	v_sub_u32_e32 v10, v4, v10
	v_add_u32_e32 v4, v7, v12
	v_lshrrev_b32_e32 v4, s7, v4
	v_mul_lo_u32 v15, v4, s11
	v_mul_lo_u32 v12, v10, s16
	;; [unrolled: 1-line block ×4, first 2 shown]
	v_sub_u32_e32 v7, v7, v15
	v_mul_lo_u32 v15, v7, s19
	v_mul_lo_u32 v18, v7, s14
	;; [unrolled: 1-line block ×3, first 2 shown]
	v_add3_u32 v3, v12, v3, v15
	v_add3_u32 v19, v13, v19, v18
	;; [unrolled: 1-line block ×3, first 2 shown]
	s_cbranch_scc1 .LBB93_250
; %bb.251:
	s_bitcmp1_b32 s4, 0
	s_cselect_b64 s[4:5], -1, 0
	s_and_b64 vcc, exec, s[4:5]
	s_cbranch_vccnz .LBB93_255
; %bb.252:
	s_load_dwordx2 s[4:5], s[2:3], 0x1c
	s_load_dword s8, s[2:3], 0x24
	s_load_dwordx2 s[6:7], s[2:3], 0xdc
	s_waitcnt lgkmcnt(0)
	v_mul_hi_u32 v7, s5, v4
	v_add_u32_e32 v7, v4, v7
	v_lshrrev_b32_e32 v7, s8, v7
	v_mul_lo_u32 v7, v7, s4
	s_load_dword s4, s[2:3], 0xe4
	v_sub_u32_e32 v7, v4, v7
	v_mad_u64_u32 v[3:4], s[2:3], v7, s6, v[3:4]
	v_mad_u64_u32 v[19:20], s[2:3], v7, s7, v[19:20]
	s_waitcnt lgkmcnt(0)
	v_mad_u64_u32 v[17:18], s[2:3], v7, s4, v[17:18]
	s_cbranch_execz .LBB93_256
	s_branch .LBB93_258
.LBB93_253:
                                        ; implicit-def: $vgpr3
                                        ; implicit-def: $vgpr19
                                        ; implicit-def: $vgpr17
	s_branch .LBB93_256
.LBB93_254:
	v_mov_b32_e32 v3, 0
	v_mov_b32_e32 v19, 0
	;; [unrolled: 1-line block ×3, first 2 shown]
.LBB93_255:
	s_cbranch_execnz .LBB93_258
.LBB93_256:
	s_load_dwordx4 s[4:7], s[12:13], 0x4
	s_load_dwordx4 s[8:11], s[12:13], 0xc4
	s_cmp_lt_u32 s33, 2
	s_waitcnt lgkmcnt(0)
	v_mul_hi_u32 v3, s5, v5
	v_add_u32_e32 v3, v5, v3
	v_lshrrev_b32_e32 v4, s6, v3
	v_mul_lo_u32 v3, v4, s4
	v_sub_u32_e32 v5, v5, v3
	v_mul_lo_u32 v3, v5, s8
	v_mul_lo_u32 v19, v5, s9
	;; [unrolled: 1-line block ×3, first 2 shown]
	s_cbranch_scc1 .LBB93_258
; %bb.257:
	s_load_dwordx4 s[4:7], s[12:13], 0x10
	s_load_dwordx4 s[8:11], s[12:13], 0xd0
	s_waitcnt lgkmcnt(0)
	v_mul_hi_u32 v5, s5, v4
	v_add_u32_e32 v5, v4, v5
	v_lshrrev_b32_e32 v5, s6, v5
	v_mul_lo_u32 v5, v5, s4
	v_sub_u32_e32 v5, v4, v5
	v_mad_u64_u32 v[3:4], s[2:3], v5, s8, v[3:4]
	v_mad_u64_u32 v[19:20], s[2:3], v5, s9, v[19:20]
	;; [unrolled: 1-line block ×3, first 2 shown]
.LBB93_258:
	s_and_b64 vcc, exec, s[0:1]
	s_waitcnt vmcnt(1)
	v_add_u32_e32 v7, 0x200, v21
	s_cbranch_vccnz .LBB93_264
; %bb.259:
	s_cmp_lg_u32 s33, 0
	s_cbranch_scc0 .LBB93_265
; %bb.260:
	s_min_u32 s4, s40, 15
	s_add_i32 s2, s4, 1
	s_and_b32 s5, s2, 30
	s_add_u32 s2, s12, 0xffffffe8
	s_addc_u32 s3, s13, -1
	v_mov_b32_e32 v22, 0
	v_mov_b32_e32 v24, 0
	;; [unrolled: 1-line block ×4, first 2 shown]
.LBB93_261:                             ; =>This Inner Loop Header: Depth=1
	s_load_dwordx4 s[8:11], s[2:3], 0x1c
	s_load_dwordx2 s[6:7], s[2:3], 0x2c
	s_load_dwordx2 s[14:15], s[2:3], 0xec
	s_load_dwordx4 s[16:19], s[2:3], 0xdc
	s_add_u32 s2, s2, 24
	s_waitcnt lgkmcnt(0)
	v_mul_hi_u32 v10, s9, v5
	s_addc_u32 s3, s3, 0
	s_add_i32 s5, s5, -2
	s_cmp_lg_u32 s5, 0
	v_add_u32_e32 v10, v5, v10
	v_lshrrev_b32_e32 v10, s10, v10
	v_mul_lo_u32 v12, v10, s8
	v_mul_hi_u32 v13, s6, v10
	v_sub_u32_e32 v12, v5, v12
	v_add_u32_e32 v5, v10, v13
	v_lshrrev_b32_e32 v5, s7, v5
	v_mul_lo_u32 v18, v5, s11
	v_mul_lo_u32 v13, v12, s16
	;; [unrolled: 1-line block ×4, first 2 shown]
	v_sub_u32_e32 v10, v10, v18
	v_mul_lo_u32 v18, v10, s19
	v_mul_lo_u32 v20, v10, s14
	;; [unrolled: 1-line block ×3, first 2 shown]
	v_add3_u32 v4, v13, v4, v18
	v_add3_u32 v24, v15, v24, v20
	;; [unrolled: 1-line block ×3, first 2 shown]
	s_cbranch_scc1 .LBB93_261
; %bb.262:
	s_bitcmp1_b32 s4, 0
	s_cselect_b64 s[4:5], -1, 0
	s_and_b64 vcc, exec, s[4:5]
	s_cbranch_vccnz .LBB93_266
; %bb.263:
	s_load_dwordx2 s[4:5], s[2:3], 0x1c
	s_load_dword s8, s[2:3], 0x24
	s_load_dwordx2 s[6:7], s[2:3], 0xdc
	s_waitcnt lgkmcnt(0)
	v_mul_hi_u32 v10, s5, v5
	v_add_u32_e32 v10, v5, v10
	v_lshrrev_b32_e32 v10, s8, v10
	v_mul_lo_u32 v10, v10, s4
	s_load_dword s4, s[2:3], 0xe4
	v_sub_u32_e32 v10, v5, v10
	v_mad_u64_u32 v[4:5], s[2:3], v10, s6, v[4:5]
	v_mad_u64_u32 v[24:25], s[2:3], v10, s7, v[24:25]
	s_waitcnt lgkmcnt(0)
	v_mad_u64_u32 v[22:23], s[2:3], v10, s4, v[22:23]
	s_cbranch_execz .LBB93_267
	s_branch .LBB93_269
.LBB93_264:
                                        ; implicit-def: $vgpr4
                                        ; implicit-def: $vgpr24
                                        ; implicit-def: $vgpr22
	s_branch .LBB93_267
.LBB93_265:
	v_mov_b32_e32 v4, 0
	v_mov_b32_e32 v24, 0
	;; [unrolled: 1-line block ×3, first 2 shown]
.LBB93_266:
	s_cbranch_execnz .LBB93_269
.LBB93_267:
	s_load_dwordx4 s[4:7], s[12:13], 0x4
	s_load_dwordx4 s[8:11], s[12:13], 0xc4
	s_cmp_lt_u32 s33, 2
	s_waitcnt lgkmcnt(0)
	v_mul_hi_u32 v4, s5, v7
	v_add_u32_e32 v4, v7, v4
	v_lshrrev_b32_e32 v5, s6, v4
	v_mul_lo_u32 v4, v5, s4
	v_sub_u32_e32 v7, v7, v4
	v_mul_lo_u32 v4, v7, s8
	v_mul_lo_u32 v24, v7, s9
	;; [unrolled: 1-line block ×3, first 2 shown]
	s_cbranch_scc1 .LBB93_269
; %bb.268:
	s_load_dwordx4 s[4:7], s[12:13], 0x10
	s_load_dwordx4 s[8:11], s[12:13], 0xd0
	s_waitcnt lgkmcnt(0)
	v_mul_hi_u32 v7, s5, v5
	v_add_u32_e32 v7, v5, v7
	v_lshrrev_b32_e32 v7, s6, v7
	v_mul_lo_u32 v7, v7, s4
	v_sub_u32_e32 v7, v5, v7
	v_mad_u64_u32 v[4:5], s[2:3], v7, s8, v[4:5]
	v_mad_u64_u32 v[24:25], s[2:3], v7, s9, v[24:25]
	;; [unrolled: 1-line block ×3, first 2 shown]
.LBB93_269:
	s_and_b64 vcc, exec, s[0:1]
	v_add_u32_e32 v5, 0x280, v21
	s_cbranch_vccnz .LBB93_275
; %bb.270:
	s_cmp_lg_u32 s33, 0
	s_cbranch_scc0 .LBB93_276
; %bb.271:
	s_min_u32 s4, s40, 15
	s_add_i32 s2, s4, 1
	s_and_b32 s5, s2, 30
	s_add_u32 s2, s12, 0xffffffe8
	s_addc_u32 s3, s13, -1
	v_mov_b32_e32 v25, 0
	v_mov_b32_e32 v27, 0
	v_mov_b32_e32 v12, 0
	v_mov_b32_e32 v7, v5
.LBB93_272:                             ; =>This Inner Loop Header: Depth=1
	s_load_dwordx4 s[8:11], s[2:3], 0x1c
	s_load_dwordx2 s[6:7], s[2:3], 0x2c
	s_load_dwordx2 s[14:15], s[2:3], 0xec
	s_load_dwordx4 s[16:19], s[2:3], 0xdc
	s_add_u32 s2, s2, 24
	s_waitcnt lgkmcnt(0)
	v_mul_hi_u32 v10, s9, v7
	s_addc_u32 s3, s3, 0
	s_add_i32 s5, s5, -2
	s_cmp_lg_u32 s5, 0
	v_add_u32_e32 v10, v7, v10
	v_lshrrev_b32_e32 v10, s10, v10
	v_mul_lo_u32 v13, v10, s8
	v_mul_hi_u32 v15, s6, v10
	v_sub_u32_e32 v13, v7, v13
	v_add_u32_e32 v7, v10, v15
	v_lshrrev_b32_e32 v7, s7, v7
	v_mul_lo_u32 v20, v7, s11
	v_mul_lo_u32 v15, v13, s16
	;; [unrolled: 1-line block ×4, first 2 shown]
	v_sub_u32_e32 v10, v10, v20
	v_mul_lo_u32 v20, v10, s19
	v_mul_lo_u32 v23, v10, s14
	;; [unrolled: 1-line block ×3, first 2 shown]
	v_add3_u32 v12, v15, v12, v20
	v_add3_u32 v27, v18, v27, v23
	;; [unrolled: 1-line block ×3, first 2 shown]
	s_cbranch_scc1 .LBB93_272
; %bb.273:
	s_bitcmp1_b32 s4, 0
	s_cselect_b64 s[4:5], -1, 0
	s_and_b64 vcc, exec, s[4:5]
	s_cbranch_vccnz .LBB93_277
; %bb.274:
	s_load_dwordx2 s[4:5], s[2:3], 0x1c
	s_load_dword s8, s[2:3], 0x24
	s_load_dwordx2 s[6:7], s[2:3], 0xdc
	s_waitcnt lgkmcnt(0)
	v_mul_hi_u32 v10, s5, v7
	v_add_u32_e32 v10, v7, v10
	v_lshrrev_b32_e32 v10, s8, v10
	v_mul_lo_u32 v10, v10, s4
	s_load_dword s4, s[2:3], 0xe4
	v_sub_u32_e32 v7, v7, v10
	v_mad_u64_u32 v[12:13], s[2:3], v7, s6, v[12:13]
	v_mad_u64_u32 v[27:28], s[2:3], v7, s7, v[27:28]
	s_waitcnt lgkmcnt(0)
	v_mad_u64_u32 v[25:26], s[2:3], v7, s4, v[25:26]
	s_cbranch_execz .LBB93_278
	s_branch .LBB93_280
.LBB93_275:
                                        ; implicit-def: $vgpr12
                                        ; implicit-def: $vgpr27
                                        ; implicit-def: $vgpr25
	s_branch .LBB93_278
.LBB93_276:
	v_mov_b32_e32 v12, 0
	v_mov_b32_e32 v27, 0
	;; [unrolled: 1-line block ×3, first 2 shown]
.LBB93_277:
	s_cbranch_execnz .LBB93_280
.LBB93_278:
	s_load_dwordx4 s[4:7], s[12:13], 0x4
	s_load_dwordx4 s[8:11], s[12:13], 0xc4
	s_cmp_lt_u32 s33, 2
	s_waitcnt lgkmcnt(0)
	v_mul_hi_u32 v7, s5, v5
	v_add_u32_e32 v7, v5, v7
	v_lshrrev_b32_e32 v7, s6, v7
	v_mul_lo_u32 v10, v7, s4
	v_sub_u32_e32 v5, v5, v10
	v_mul_lo_u32 v12, v5, s8
	v_mul_lo_u32 v27, v5, s9
	;; [unrolled: 1-line block ×3, first 2 shown]
	s_cbranch_scc1 .LBB93_280
; %bb.279:
	s_load_dwordx4 s[4:7], s[12:13], 0x10
	s_load_dwordx4 s[8:11], s[12:13], 0xd0
	s_waitcnt lgkmcnt(0)
	v_mul_hi_u32 v5, s5, v7
	v_add_u32_e32 v5, v7, v5
	v_lshrrev_b32_e32 v5, s6, v5
	v_mul_lo_u32 v5, v5, s4
	v_sub_u32_e32 v5, v7, v5
	v_mad_u64_u32 v[12:13], s[2:3], v5, s8, v[12:13]
	v_mad_u64_u32 v[27:28], s[2:3], v5, s9, v[27:28]
	;; [unrolled: 1-line block ×3, first 2 shown]
.LBB93_280:
	s_and_b64 vcc, exec, s[0:1]
	v_add_u32_e32 v5, 0x300, v21
	s_cbranch_vccnz .LBB93_286
; %bb.281:
	s_cmp_lg_u32 s33, 0
	s_cbranch_scc0 .LBB93_287
; %bb.282:
	s_min_u32 s4, s40, 15
	s_add_i32 s2, s4, 1
	s_and_b32 s5, s2, 30
	s_add_u32 s2, s12, 0xffffffe8
	s_addc_u32 s3, s13, -1
	v_mov_b32_e32 v30, 0
	v_mov_b32_e32 v32, 0
	;; [unrolled: 1-line block ×4, first 2 shown]
.LBB93_283:                             ; =>This Inner Loop Header: Depth=1
	s_load_dwordx4 s[8:11], s[2:3], 0x1c
	s_load_dwordx2 s[6:7], s[2:3], 0x2c
	s_load_dwordx2 s[14:15], s[2:3], 0xec
	s_load_dwordx4 s[16:19], s[2:3], 0xdc
	s_add_u32 s2, s2, 24
	s_waitcnt lgkmcnt(0)
	v_mul_hi_u32 v10, s9, v7
	s_addc_u32 s3, s3, 0
	s_add_i32 s5, s5, -2
	s_cmp_lg_u32 s5, 0
	v_add_u32_e32 v10, v7, v10
	v_lshrrev_b32_e32 v10, s10, v10
	v_mul_lo_u32 v13, v10, s8
	v_mul_hi_u32 v15, s6, v10
	v_sub_u32_e32 v13, v7, v13
	v_add_u32_e32 v7, v10, v15
	v_lshrrev_b32_e32 v7, s7, v7
	v_mul_lo_u32 v21, v7, s11
	v_mul_lo_u32 v15, v13, s16
	;; [unrolled: 1-line block ×4, first 2 shown]
	v_sub_u32_e32 v10, v10, v21
	v_mul_lo_u32 v21, v10, s19
	v_mul_lo_u32 v23, v10, s14
	;; [unrolled: 1-line block ×3, first 2 shown]
	v_add3_u32 v20, v15, v20, v21
	v_add3_u32 v32, v18, v32, v23
	;; [unrolled: 1-line block ×3, first 2 shown]
	s_cbranch_scc1 .LBB93_283
; %bb.284:
	s_bitcmp1_b32 s4, 0
	s_cselect_b64 s[4:5], -1, 0
	s_and_b64 vcc, exec, s[4:5]
	s_cbranch_vccnz .LBB93_288
; %bb.285:
	s_load_dwordx2 s[4:5], s[2:3], 0x1c
	s_load_dword s8, s[2:3], 0x24
	s_load_dwordx2 s[6:7], s[2:3], 0xdc
	s_waitcnt lgkmcnt(0)
	v_mul_hi_u32 v10, s5, v7
	v_add_u32_e32 v10, v7, v10
	v_lshrrev_b32_e32 v10, s8, v10
	v_mul_lo_u32 v10, v10, s4
	s_load_dword s4, s[2:3], 0xe4
	v_sub_u32_e32 v7, v7, v10
	v_mad_u64_u32 v[20:21], s[2:3], v7, s6, v[20:21]
	v_mad_u64_u32 v[32:33], s[2:3], v7, s7, v[32:33]
	s_waitcnt lgkmcnt(0)
	v_mad_u64_u32 v[30:31], s[2:3], v7, s4, v[30:31]
	s_cbranch_execz .LBB93_289
	s_branch .LBB93_291
.LBB93_286:
                                        ; implicit-def: $vgpr20
                                        ; implicit-def: $vgpr32
                                        ; implicit-def: $vgpr30
	s_branch .LBB93_289
.LBB93_287:
	v_mov_b32_e32 v20, 0
	v_mov_b32_e32 v32, 0
	;; [unrolled: 1-line block ×3, first 2 shown]
.LBB93_288:
	s_cbranch_execnz .LBB93_291
.LBB93_289:
	s_load_dwordx4 s[4:7], s[12:13], 0x4
	s_load_dwordx4 s[8:11], s[12:13], 0xc4
	s_cmp_lt_u32 s33, 2
	s_waitcnt lgkmcnt(0)
	v_mul_hi_u32 v7, s5, v5
	v_add_u32_e32 v7, v5, v7
	v_lshrrev_b32_e32 v7, s6, v7
	v_mul_lo_u32 v10, v7, s4
	v_sub_u32_e32 v5, v5, v10
	v_mul_lo_u32 v20, v5, s8
	v_mul_lo_u32 v32, v5, s9
	;; [unrolled: 1-line block ×3, first 2 shown]
	s_cbranch_scc1 .LBB93_291
; %bb.290:
	s_load_dwordx4 s[4:7], s[12:13], 0x10
	s_load_dwordx4 s[8:11], s[12:13], 0xd0
	s_waitcnt lgkmcnt(0)
	v_mul_hi_u32 v5, s5, v7
	v_add_u32_e32 v5, v7, v5
	v_lshrrev_b32_e32 v5, s6, v5
	v_mul_lo_u32 v5, v5, s4
	v_sub_u32_e32 v5, v7, v5
	v_mad_u64_u32 v[20:21], s[2:3], v5, s8, v[20:21]
	v_mad_u64_u32 v[32:33], s[2:3], v5, s9, v[32:33]
	;; [unrolled: 1-line block ×3, first 2 shown]
.LBB93_291:
	s_and_b64 vcc, exec, s[0:1]
	s_cbranch_vccnz .LBB93_297
; %bb.292:
	s_cmp_lg_u32 s33, 0
	s_cbranch_scc0 .LBB93_298
; %bb.293:
	s_min_u32 s2, s40, 15
	s_add_i32 s0, s2, 1
	s_and_b32 s3, s0, 30
	s_add_u32 s0, s12, 0xffffffe8
	s_addc_u32 s1, s13, -1
	v_mov_b32_e32 v35, 0
	v_mov_b32_e32 v33, 0
	;; [unrolled: 1-line block ×4, first 2 shown]
.LBB93_294:                             ; =>This Inner Loop Header: Depth=1
	s_load_dwordx4 s[4:7], s[0:1], 0x1c
	s_load_dwordx2 s[14:15], s[0:1], 0x2c
	s_load_dwordx2 s[16:17], s[0:1], 0xec
	s_load_dwordx4 s[8:11], s[0:1], 0xdc
	s_add_u32 s0, s0, 24
	s_waitcnt lgkmcnt(0)
	v_mul_hi_u32 v7, s5, v5
	s_addc_u32 s1, s1, 0
	s_add_i32 s3, s3, -2
	s_cmp_lg_u32 s3, 0
	v_add_u32_e32 v7, v5, v7
	v_lshrrev_b32_e32 v7, s6, v7
	v_mul_lo_u32 v10, v7, s4
	v_mul_hi_u32 v13, s14, v7
	v_sub_u32_e32 v10, v5, v10
	v_add_u32_e32 v5, v7, v13
	v_lshrrev_b32_e32 v5, s15, v5
	v_mul_lo_u32 v18, v5, s7
	v_mul_lo_u32 v13, v10, s8
	;; [unrolled: 1-line block ×4, first 2 shown]
	v_sub_u32_e32 v7, v7, v18
	v_mul_lo_u32 v18, v7, s11
	v_mul_lo_u32 v21, v7, s16
	v_mul_lo_u32 v7, v7, s17
	v_add3_u32 v28, v13, v28, v18
	v_add3_u32 v33, v15, v33, v21
	;; [unrolled: 1-line block ×3, first 2 shown]
	s_cbranch_scc1 .LBB93_294
; %bb.295:
	s_bitcmp1_b32 s2, 0
	s_cselect_b64 s[2:3], -1, 0
	s_and_b64 vcc, exec, s[2:3]
	s_cbranch_vccnz .LBB93_299
; %bb.296:
	s_load_dwordx2 s[2:3], s[0:1], 0x1c
	s_load_dword s6, s[0:1], 0x24
	s_load_dwordx2 s[4:5], s[0:1], 0xdc
	s_waitcnt lgkmcnt(0)
	v_mul_hi_u32 v7, s3, v5
	v_add_u32_e32 v7, v5, v7
	v_lshrrev_b32_e32 v7, s6, v7
	v_mul_lo_u32 v7, v7, s2
	s_load_dword s2, s[0:1], 0xe4
	v_sub_u32_e32 v5, v5, v7
	v_mad_u64_u32 v[28:29], s[0:1], v5, s4, v[28:29]
	v_mad_u64_u32 v[33:34], s[0:1], v5, s5, v[33:34]
	s_waitcnt lgkmcnt(0)
	v_mad_u64_u32 v[35:36], s[0:1], v5, s2, v[35:36]
	s_cbranch_execz .LBB93_300
	s_branch .LBB93_302
.LBB93_297:
                                        ; implicit-def: $vgpr28
                                        ; implicit-def: $vgpr33
                                        ; implicit-def: $vgpr35
	s_branch .LBB93_300
.LBB93_298:
	v_mov_b32_e32 v28, 0
	v_mov_b32_e32 v33, 0
	;; [unrolled: 1-line block ×3, first 2 shown]
.LBB93_299:
	s_cbranch_execnz .LBB93_302
.LBB93_300:
	s_load_dwordx4 s[0:3], s[12:13], 0x4
	s_load_dwordx4 s[4:7], s[12:13], 0xc4
	s_cmp_lt_u32 s33, 2
	s_waitcnt lgkmcnt(0)
	v_mul_hi_u32 v5, s1, v37
	v_add_u32_e32 v5, v37, v5
	v_lshrrev_b32_e32 v5, s2, v5
	v_mul_lo_u32 v7, v5, s0
	v_sub_u32_e32 v7, v37, v7
	v_mul_lo_u32 v28, v7, s4
	v_mul_lo_u32 v33, v7, s5
	;; [unrolled: 1-line block ×3, first 2 shown]
	s_cbranch_scc1 .LBB93_302
; %bb.301:
	s_load_dwordx4 s[0:3], s[12:13], 0x10
	s_load_dwordx4 s[4:7], s[12:13], 0xd0
	s_waitcnt lgkmcnt(0)
	v_mul_hi_u32 v7, s1, v5
	v_add_u32_e32 v7, v5, v7
	v_lshrrev_b32_e32 v7, s2, v7
	v_mul_lo_u32 v7, v7, s0
	v_sub_u32_e32 v5, v5, v7
	v_mad_u64_u32 v[28:29], s[0:1], v5, s4, v[28:29]
	v_mad_u64_u32 v[33:34], s[0:1], v5, s5, v[33:34]
	;; [unrolled: 1-line block ×3, first 2 shown]
.LBB93_302:
	s_load_dwordx4 s[0:3], s[12:13], 0x188
	s_load_dwordx2 s[6:7], s[12:13], 0x198
	s_load_dword s26, s[12:13], 0x1a0
	s_mov_b64 s[8:9], 0
	s_waitcnt lgkmcnt(0)
	global_load_dwordx2 v[36:37], v8, s[2:3]
	global_load_dwordx2 v[38:39], v6, s[6:7]
	s_cmp_lt_i32 s26, 1
	s_cbranch_scc1 .LBB93_306
; %bb.303:
	s_cmp_gt_i32 s26, 1
	s_cbranch_scc0 .LBB93_307
; %bb.304:
	s_cmp_eq_u32 s26, 2
	s_cbranch_scc0 .LBB93_308
; %bb.305:
	s_waitcnt vmcnt(0)
	v_cmp_le_f64_e64 s[4:5], v[36:37], v[38:39]
	s_mov_b64 s[10:11], 0
	s_branch .LBB93_309
.LBB93_306:
                                        ; implicit-def: $sgpr4_sgpr5
	s_mov_b64 s[10:11], 0
	s_cbranch_execnz .LBB93_312
	s_branch .LBB93_313
.LBB93_307:
	s_mov_b64 s[10:11], 0
                                        ; implicit-def: $sgpr4_sgpr5
	s_cbranch_execnz .LBB93_310
	s_branch .LBB93_311
.LBB93_308:
	s_mov_b64 s[10:11], -1
                                        ; implicit-def: $sgpr4_sgpr5
.LBB93_309:
	s_branch .LBB93_311
.LBB93_310:
	s_waitcnt vmcnt(0)
	v_cmp_gt_f64_e32 vcc, v[36:37], v[38:39]
	s_andn2_b64 s[4:5], s[4:5], exec
	s_and_b64 s[12:13], vcc, exec
	s_or_b64 s[4:5], s[4:5], s[12:13]
.LBB93_311:
	s_branch .LBB93_313
.LBB93_312:
	s_cmp_lg_u32 s26, 0
	s_mov_b64 s[8:9], -1
	s_cselect_b64 s[10:11], -1, 0
.LBB93_313:
	s_andn2_b64 vcc, exec, s[10:11]
	s_cbranch_vccz .LBB93_320
; %bb.314:
	s_andn2_b64 vcc, exec, s[8:9]
	s_cbranch_vccnz .LBB93_316
.LBB93_315:
	s_waitcnt vmcnt(0)
	v_cmp_ge_f64_e32 vcc, v[36:37], v[38:39]
	s_andn2_b64 s[4:5], s[4:5], exec
	s_and_b64 s[8:9], vcc, exec
	s_or_b64 s[4:5], s[4:5], s[8:9]
.LBB93_316:
	global_load_dwordx2 v[5:6], v11, s[2:3]
	global_load_dwordx2 v[7:8], v9, s[6:7]
	s_cmp_lt_i32 s26, 1
	s_mov_b64 s[10:11], 0
	s_cbranch_scc1 .LBB93_321
; %bb.317:
	s_cmp_gt_i32 s26, 1
	s_cbranch_scc0 .LBB93_322
; %bb.318:
	s_cmp_eq_u32 s26, 2
	s_cbranch_scc0 .LBB93_323
; %bb.319:
	s_waitcnt vmcnt(0)
	v_cmp_le_f64_e64 s[8:9], v[5:6], v[7:8]
	s_mov_b64 s[12:13], 0
	s_branch .LBB93_324
.LBB93_320:
	s_waitcnt vmcnt(0)
	v_cmp_lt_f64_e32 vcc, v[36:37], v[38:39]
	s_andn2_b64 s[4:5], s[4:5], exec
	s_and_b64 s[10:11], vcc, exec
	s_or_b64 s[4:5], s[4:5], s[10:11]
	s_cbranch_execz .LBB93_315
	s_branch .LBB93_316
.LBB93_321:
                                        ; implicit-def: $sgpr8_sgpr9
	s_mov_b64 s[12:13], 0
	s_cbranch_execnz .LBB93_327
	s_branch .LBB93_328
.LBB93_322:
	s_mov_b64 s[12:13], 0
                                        ; implicit-def: $sgpr8_sgpr9
	s_cbranch_execnz .LBB93_325
	s_branch .LBB93_326
.LBB93_323:
	s_mov_b64 s[12:13], -1
                                        ; implicit-def: $sgpr8_sgpr9
.LBB93_324:
	s_branch .LBB93_326
.LBB93_325:
	s_waitcnt vmcnt(0)
	v_cmp_gt_f64_e32 vcc, v[5:6], v[7:8]
	s_andn2_b64 s[8:9], s[8:9], exec
	s_and_b64 s[14:15], vcc, exec
	s_or_b64 s[8:9], s[8:9], s[14:15]
.LBB93_326:
	s_branch .LBB93_328
.LBB93_327:
	s_cmp_lg_u32 s26, 0
	s_mov_b64 s[10:11], -1
	s_cselect_b64 s[12:13], -1, 0
.LBB93_328:
	s_andn2_b64 vcc, exec, s[12:13]
	s_cbranch_vccz .LBB93_335
; %bb.329:
	s_andn2_b64 vcc, exec, s[10:11]
	s_cbranch_vccnz .LBB93_331
.LBB93_330:
	s_waitcnt vmcnt(0)
	v_cmp_ge_f64_e32 vcc, v[5:6], v[7:8]
	s_andn2_b64 s[8:9], s[8:9], exec
	s_and_b64 s[10:11], vcc, exec
	s_or_b64 s[8:9], s[8:9], s[10:11]
.LBB93_331:
	global_load_dwordx2 v[5:6], v16, s[2:3]
	global_load_dwordx2 v[7:8], v14, s[6:7]
	s_cmp_lt_i32 s26, 1
	s_mov_b64 s[12:13], 0
	s_cbranch_scc1 .LBB93_336
; %bb.332:
	s_cmp_gt_i32 s26, 1
	s_cbranch_scc0 .LBB93_337
; %bb.333:
	s_cmp_eq_u32 s26, 2
	s_cbranch_scc0 .LBB93_338
; %bb.334:
	s_waitcnt vmcnt(0)
	v_cmp_le_f64_e64 s[10:11], v[5:6], v[7:8]
	s_mov_b64 s[14:15], 0
	s_branch .LBB93_339
.LBB93_335:
	s_waitcnt vmcnt(0)
	v_cmp_lt_f64_e32 vcc, v[5:6], v[7:8]
	s_andn2_b64 s[8:9], s[8:9], exec
	s_and_b64 s[12:13], vcc, exec
	s_or_b64 s[8:9], s[8:9], s[12:13]
	s_cbranch_execz .LBB93_330
	s_branch .LBB93_331
.LBB93_336:
                                        ; implicit-def: $sgpr10_sgpr11
	s_mov_b64 s[14:15], 0
	s_cbranch_execnz .LBB93_342
	s_branch .LBB93_343
.LBB93_337:
	s_mov_b64 s[14:15], 0
                                        ; implicit-def: $sgpr10_sgpr11
	s_cbranch_execnz .LBB93_340
	s_branch .LBB93_341
.LBB93_338:
	s_mov_b64 s[14:15], -1
                                        ; implicit-def: $sgpr10_sgpr11
.LBB93_339:
	s_branch .LBB93_341
.LBB93_340:
	s_waitcnt vmcnt(0)
	v_cmp_gt_f64_e32 vcc, v[5:6], v[7:8]
	s_andn2_b64 s[10:11], s[10:11], exec
	s_and_b64 s[16:17], vcc, exec
	s_or_b64 s[10:11], s[10:11], s[16:17]
.LBB93_341:
	s_branch .LBB93_343
.LBB93_342:
	s_cmp_lg_u32 s26, 0
	s_mov_b64 s[12:13], -1
	s_cselect_b64 s[14:15], -1, 0
.LBB93_343:
	s_andn2_b64 vcc, exec, s[14:15]
	s_cbranch_vccz .LBB93_350
; %bb.344:
	s_andn2_b64 vcc, exec, s[12:13]
	s_cbranch_vccnz .LBB93_346
.LBB93_345:
	s_waitcnt vmcnt(0)
	v_cmp_ge_f64_e32 vcc, v[5:6], v[7:8]
	s_andn2_b64 s[10:11], s[10:11], exec
	s_and_b64 s[12:13], vcc, exec
	s_or_b64 s[10:11], s[10:11], s[12:13]
.LBB93_346:
	global_load_dwordx2 v[5:6], v19, s[2:3]
	global_load_dwordx2 v[7:8], v17, s[6:7]
	s_cmp_lt_i32 s26, 1
	s_mov_b64 s[14:15], 0
	s_cbranch_scc1 .LBB93_351
; %bb.347:
	s_cmp_gt_i32 s26, 1
	s_cbranch_scc0 .LBB93_352
; %bb.348:
	s_cmp_eq_u32 s26, 2
	s_cbranch_scc0 .LBB93_353
; %bb.349:
	s_waitcnt vmcnt(0)
	v_cmp_le_f64_e64 s[12:13], v[5:6], v[7:8]
	s_mov_b64 s[16:17], 0
	s_branch .LBB93_354
.LBB93_350:
	s_waitcnt vmcnt(0)
	v_cmp_lt_f64_e32 vcc, v[5:6], v[7:8]
	s_andn2_b64 s[10:11], s[10:11], exec
	s_and_b64 s[14:15], vcc, exec
	s_or_b64 s[10:11], s[10:11], s[14:15]
	s_cbranch_execz .LBB93_345
	s_branch .LBB93_346
.LBB93_351:
                                        ; implicit-def: $sgpr12_sgpr13
	s_mov_b64 s[16:17], 0
	s_cbranch_execnz .LBB93_357
	s_branch .LBB93_358
.LBB93_352:
	s_mov_b64 s[16:17], 0
                                        ; implicit-def: $sgpr12_sgpr13
	s_cbranch_execnz .LBB93_355
	s_branch .LBB93_356
.LBB93_353:
	s_mov_b64 s[16:17], -1
                                        ; implicit-def: $sgpr12_sgpr13
.LBB93_354:
	s_branch .LBB93_356
.LBB93_355:
	s_waitcnt vmcnt(0)
	v_cmp_gt_f64_e32 vcc, v[5:6], v[7:8]
	s_andn2_b64 s[12:13], s[12:13], exec
	s_and_b64 s[18:19], vcc, exec
	s_or_b64 s[12:13], s[12:13], s[18:19]
.LBB93_356:
	s_branch .LBB93_358
.LBB93_357:
	s_cmp_lg_u32 s26, 0
	s_mov_b64 s[14:15], -1
	s_cselect_b64 s[16:17], -1, 0
.LBB93_358:
	s_andn2_b64 vcc, exec, s[16:17]
	s_cbranch_vccz .LBB93_365
; %bb.359:
	s_andn2_b64 vcc, exec, s[14:15]
	s_cbranch_vccnz .LBB93_361
.LBB93_360:
	s_waitcnt vmcnt(0)
	v_cmp_ge_f64_e32 vcc, v[5:6], v[7:8]
	s_andn2_b64 s[12:13], s[12:13], exec
	s_and_b64 s[14:15], vcc, exec
	s_or_b64 s[12:13], s[12:13], s[14:15]
.LBB93_361:
	global_load_dwordx2 v[5:6], v24, s[2:3]
	global_load_dwordx2 v[7:8], v22, s[6:7]
	s_cmp_lt_i32 s26, 1
	s_mov_b64 s[16:17], 0
	s_cbranch_scc1 .LBB93_366
; %bb.362:
	s_cmp_gt_i32 s26, 1
	s_cbranch_scc0 .LBB93_367
; %bb.363:
	s_cmp_eq_u32 s26, 2
	s_cbranch_scc0 .LBB93_368
; %bb.364:
	s_waitcnt vmcnt(0)
	v_cmp_le_f64_e64 s[14:15], v[5:6], v[7:8]
	s_mov_b64 s[18:19], 0
	s_branch .LBB93_369
.LBB93_365:
	s_waitcnt vmcnt(0)
	v_cmp_lt_f64_e32 vcc, v[5:6], v[7:8]
	s_andn2_b64 s[12:13], s[12:13], exec
	s_and_b64 s[16:17], vcc, exec
	s_or_b64 s[12:13], s[12:13], s[16:17]
	s_cbranch_execz .LBB93_360
	s_branch .LBB93_361
.LBB93_366:
                                        ; implicit-def: $sgpr14_sgpr15
	s_mov_b64 s[18:19], 0
	s_cbranch_execnz .LBB93_372
	s_branch .LBB93_373
.LBB93_367:
	s_mov_b64 s[18:19], 0
                                        ; implicit-def: $sgpr14_sgpr15
	s_cbranch_execnz .LBB93_370
	s_branch .LBB93_371
.LBB93_368:
	s_mov_b64 s[18:19], -1
                                        ; implicit-def: $sgpr14_sgpr15
.LBB93_369:
	s_branch .LBB93_371
.LBB93_370:
	s_waitcnt vmcnt(0)
	v_cmp_gt_f64_e32 vcc, v[5:6], v[7:8]
	s_andn2_b64 s[14:15], s[14:15], exec
	s_and_b64 s[20:21], vcc, exec
	s_or_b64 s[14:15], s[14:15], s[20:21]
.LBB93_371:
	s_branch .LBB93_373
.LBB93_372:
	s_cmp_lg_u32 s26, 0
	s_mov_b64 s[16:17], -1
	s_cselect_b64 s[18:19], -1, 0
.LBB93_373:
	s_andn2_b64 vcc, exec, s[18:19]
	s_cbranch_vccz .LBB93_380
; %bb.374:
	s_andn2_b64 vcc, exec, s[16:17]
	s_cbranch_vccnz .LBB93_376
.LBB93_375:
	s_waitcnt vmcnt(0)
	v_cmp_ge_f64_e32 vcc, v[5:6], v[7:8]
	s_andn2_b64 s[14:15], s[14:15], exec
	s_and_b64 s[16:17], vcc, exec
	s_or_b64 s[14:15], s[14:15], s[16:17]
.LBB93_376:
	global_load_dwordx2 v[5:6], v27, s[2:3]
	global_load_dwordx2 v[7:8], v25, s[6:7]
	s_cmp_lt_i32 s26, 1
	s_mov_b64 s[18:19], 0
	s_cbranch_scc1 .LBB93_381
; %bb.377:
	s_cmp_gt_i32 s26, 1
	s_cbranch_scc0 .LBB93_382
; %bb.378:
	s_cmp_eq_u32 s26, 2
	s_cbranch_scc0 .LBB93_383
; %bb.379:
	s_waitcnt vmcnt(0)
	v_cmp_le_f64_e64 s[16:17], v[5:6], v[7:8]
	s_mov_b64 s[20:21], 0
	s_branch .LBB93_384
.LBB93_380:
	s_waitcnt vmcnt(0)
	v_cmp_lt_f64_e32 vcc, v[5:6], v[7:8]
	s_andn2_b64 s[14:15], s[14:15], exec
	s_and_b64 s[18:19], vcc, exec
	s_or_b64 s[14:15], s[14:15], s[18:19]
	s_cbranch_execz .LBB93_375
	s_branch .LBB93_376
.LBB93_381:
                                        ; implicit-def: $sgpr16_sgpr17
	s_mov_b64 s[20:21], 0
	s_cbranch_execnz .LBB93_387
	s_branch .LBB93_388
.LBB93_382:
	s_mov_b64 s[20:21], 0
                                        ; implicit-def: $sgpr16_sgpr17
	s_cbranch_execnz .LBB93_385
	s_branch .LBB93_386
.LBB93_383:
	s_mov_b64 s[20:21], -1
                                        ; implicit-def: $sgpr16_sgpr17
.LBB93_384:
	s_branch .LBB93_386
.LBB93_385:
	s_waitcnt vmcnt(0)
	v_cmp_gt_f64_e32 vcc, v[5:6], v[7:8]
	s_andn2_b64 s[16:17], s[16:17], exec
	s_and_b64 s[22:23], vcc, exec
	s_or_b64 s[16:17], s[16:17], s[22:23]
.LBB93_386:
	s_branch .LBB93_388
.LBB93_387:
	s_cmp_lg_u32 s26, 0
	s_mov_b64 s[18:19], -1
	s_cselect_b64 s[20:21], -1, 0
.LBB93_388:
	s_andn2_b64 vcc, exec, s[20:21]
	s_cbranch_vccz .LBB93_395
; %bb.389:
	s_andn2_b64 vcc, exec, s[18:19]
	s_cbranch_vccnz .LBB93_391
.LBB93_390:
	s_waitcnt vmcnt(0)
	v_cmp_ge_f64_e32 vcc, v[5:6], v[7:8]
	s_andn2_b64 s[16:17], s[16:17], exec
	s_and_b64 s[18:19], vcc, exec
	s_or_b64 s[16:17], s[16:17], s[18:19]
.LBB93_391:
	global_load_dwordx2 v[5:6], v32, s[2:3]
	global_load_dwordx2 v[7:8], v30, s[6:7]
	s_cmp_lt_i32 s26, 1
	s_mov_b64 s[20:21], 0
	s_cbranch_scc1 .LBB93_396
; %bb.392:
	s_cmp_gt_i32 s26, 1
	s_cbranch_scc0 .LBB93_397
; %bb.393:
	s_cmp_eq_u32 s26, 2
	s_cbranch_scc0 .LBB93_398
; %bb.394:
	s_waitcnt vmcnt(0)
	v_cmp_le_f64_e64 s[18:19], v[5:6], v[7:8]
	s_mov_b64 s[22:23], 0
	s_branch .LBB93_399
.LBB93_395:
	s_waitcnt vmcnt(0)
	v_cmp_lt_f64_e32 vcc, v[5:6], v[7:8]
	s_andn2_b64 s[16:17], s[16:17], exec
	s_and_b64 s[20:21], vcc, exec
	s_or_b64 s[16:17], s[16:17], s[20:21]
	s_cbranch_execz .LBB93_390
	s_branch .LBB93_391
.LBB93_396:
                                        ; implicit-def: $sgpr18_sgpr19
	s_mov_b64 s[22:23], 0
	s_cbranch_execnz .LBB93_402
	s_branch .LBB93_403
.LBB93_397:
	s_mov_b64 s[22:23], 0
                                        ; implicit-def: $sgpr18_sgpr19
	s_cbranch_execnz .LBB93_400
	s_branch .LBB93_401
.LBB93_398:
	s_mov_b64 s[22:23], -1
                                        ; implicit-def: $sgpr18_sgpr19
.LBB93_399:
	s_branch .LBB93_401
.LBB93_400:
	s_waitcnt vmcnt(0)
	v_cmp_gt_f64_e32 vcc, v[5:6], v[7:8]
	s_andn2_b64 s[18:19], s[18:19], exec
	s_and_b64 s[24:25], vcc, exec
	s_or_b64 s[18:19], s[18:19], s[24:25]
.LBB93_401:
	s_branch .LBB93_403
.LBB93_402:
	s_cmp_lg_u32 s26, 0
	s_mov_b64 s[20:21], -1
	s_cselect_b64 s[22:23], -1, 0
.LBB93_403:
	s_andn2_b64 vcc, exec, s[22:23]
	s_cbranch_vccz .LBB93_410
; %bb.404:
	s_andn2_b64 vcc, exec, s[20:21]
	s_cbranch_vccnz .LBB93_406
.LBB93_405:
	s_waitcnt vmcnt(0)
	v_cmp_ge_f64_e32 vcc, v[5:6], v[7:8]
	s_andn2_b64 s[18:19], s[18:19], exec
	s_and_b64 s[20:21], vcc, exec
	s_or_b64 s[18:19], s[18:19], s[20:21]
.LBB93_406:
	global_load_dwordx2 v[5:6], v33, s[2:3]
	global_load_dwordx2 v[7:8], v35, s[6:7]
	s_cmp_lt_i32 s26, 1
	s_mov_b64 s[6:7], 0
	s_cbranch_scc1 .LBB93_411
; %bb.407:
	s_cmp_gt_i32 s26, 1
	s_cbranch_scc0 .LBB93_412
; %bb.408:
	s_cmp_eq_u32 s26, 2
	s_cbranch_scc0 .LBB93_413
; %bb.409:
	s_waitcnt vmcnt(0)
	v_cmp_le_f64_e64 s[2:3], v[5:6], v[7:8]
	s_mov_b64 s[20:21], 0
	s_branch .LBB93_414
.LBB93_410:
	s_waitcnt vmcnt(0)
	v_cmp_lt_f64_e32 vcc, v[5:6], v[7:8]
	s_andn2_b64 s[18:19], s[18:19], exec
	s_and_b64 s[22:23], vcc, exec
	s_or_b64 s[18:19], s[18:19], s[22:23]
	s_cbranch_execz .LBB93_405
	s_branch .LBB93_406
.LBB93_411:
                                        ; implicit-def: $sgpr2_sgpr3
	s_mov_b64 s[20:21], 0
	s_cbranch_execnz .LBB93_417
	s_branch .LBB93_418
.LBB93_412:
	s_mov_b64 s[20:21], 0
                                        ; implicit-def: $sgpr2_sgpr3
	s_cbranch_execnz .LBB93_415
	s_branch .LBB93_416
.LBB93_413:
	s_mov_b64 s[20:21], -1
                                        ; implicit-def: $sgpr2_sgpr3
.LBB93_414:
	s_branch .LBB93_416
.LBB93_415:
	s_waitcnt vmcnt(0)
	v_cmp_gt_f64_e32 vcc, v[5:6], v[7:8]
	s_andn2_b64 s[2:3], s[2:3], exec
	s_and_b64 s[22:23], vcc, exec
	s_or_b64 s[2:3], s[2:3], s[22:23]
.LBB93_416:
	s_branch .LBB93_418
.LBB93_417:
	s_cmp_lg_u32 s26, 0
	s_mov_b64 s[6:7], -1
	s_cselect_b64 s[20:21], -1, 0
.LBB93_418:
	s_andn2_b64 vcc, exec, s[20:21]
	s_cbranch_vccz .LBB93_422
; %bb.419:
	s_andn2_b64 vcc, exec, s[6:7]
	s_cbranch_vccnz .LBB93_421
.LBB93_420:
	s_waitcnt vmcnt(0)
	v_cmp_ge_f64_e32 vcc, v[5:6], v[7:8]
	s_andn2_b64 s[2:3], s[2:3], exec
	s_and_b64 s[6:7], vcc, exec
	s_or_b64 s[2:3], s[2:3], s[6:7]
.LBB93_421:
	v_cndmask_b32_e64 v11, 0, 1, s[4:5]
	s_waitcnt vmcnt(1)
	v_cndmask_b32_e64 v5, 0, 1, s[18:19]
	v_cndmask_b32_e64 v6, 0, 1, s[16:17]
	s_waitcnt vmcnt(0)
	v_cndmask_b32_e64 v7, 0, 1, s[14:15]
	v_cndmask_b32_e64 v8, 0, 1, s[12:13]
	;; [unrolled: 1-line block ×5, first 2 shown]
	global_store_byte v0, v11, s[0:1]
	global_store_byte v1, v10, s[0:1]
	;; [unrolled: 1-line block ×8, first 2 shown]
	s_endpgm
.LBB93_422:
	s_waitcnt vmcnt(0)
	v_cmp_lt_f64_e32 vcc, v[5:6], v[7:8]
	s_andn2_b64 s[2:3], s[2:3], exec
	s_and_b64 s[20:21], vcc, exec
	s_or_b64 s[2:3], s[2:3], s[20:21]
	s_cbranch_execz .LBB93_420
	s_branch .LBB93_421
.LBB93_423:
	s_mov_b64 s[36:37], -1
                                        ; implicit-def: $sgpr34_sgpr35
	s_branch .LBB93_54
.LBB93_424:
	s_mov_b64 s[36:37], -1
                                        ; implicit-def: $sgpr34_sgpr35
	s_branch .LBB93_79
.LBB93_425:
	s_mov_b64 s[36:37], -1
                                        ; implicit-def: $sgpr34_sgpr35
	s_branch .LBB93_104
.LBB93_426:
	s_mov_b64 s[36:37], -1
                                        ; implicit-def: $sgpr34_sgpr35
	s_branch .LBB93_129
.LBB93_427:
	s_mov_b64 s[36:37], -1
                                        ; implicit-def: $sgpr34_sgpr35
	s_branch .LBB93_154
.LBB93_428:
	s_mov_b64 s[36:37], -1
                                        ; implicit-def: $sgpr34_sgpr35
	s_branch .LBB93_179
.LBB93_429:
	s_mov_b64 s[6:7], -1
                                        ; implicit-def: $sgpr4_sgpr5
	s_branch .LBB93_204
	.section	.rodata,"a",@progbits
	.p2align	6, 0x0
	.amdhsa_kernel _ZN2at6native32elementwise_kernel_manual_unrollILi128ELi8EZNS0_22gpu_kernel_impl_nocastINS0_12_GLOBAL__N_114CompareFunctorIdEEEEvRNS_18TensorIteratorBaseERKT_EUlibE_EEviT1_
		.amdhsa_group_segment_fixed_size 0
		.amdhsa_private_segment_fixed_size 0
		.amdhsa_kernarg_size 432
		.amdhsa_user_sgpr_count 6
		.amdhsa_user_sgpr_private_segment_buffer 1
		.amdhsa_user_sgpr_dispatch_ptr 0
		.amdhsa_user_sgpr_queue_ptr 0
		.amdhsa_user_sgpr_kernarg_segment_ptr 1
		.amdhsa_user_sgpr_dispatch_id 0
		.amdhsa_user_sgpr_flat_scratch_init 0
		.amdhsa_user_sgpr_private_segment_size 0
		.amdhsa_uses_dynamic_stack 0
		.amdhsa_system_sgpr_private_segment_wavefront_offset 0
		.amdhsa_system_sgpr_workgroup_id_x 1
		.amdhsa_system_sgpr_workgroup_id_y 0
		.amdhsa_system_sgpr_workgroup_id_z 0
		.amdhsa_system_sgpr_workgroup_info 0
		.amdhsa_system_vgpr_workitem_id 0
		.amdhsa_next_free_vgpr 40
		.amdhsa_next_free_sgpr 52
		.amdhsa_reserve_vcc 1
		.amdhsa_reserve_flat_scratch 0
		.amdhsa_float_round_mode_32 0
		.amdhsa_float_round_mode_16_64 0
		.amdhsa_float_denorm_mode_32 3
		.amdhsa_float_denorm_mode_16_64 3
		.amdhsa_dx10_clamp 1
		.amdhsa_ieee_mode 1
		.amdhsa_fp16_overflow 0
		.amdhsa_exception_fp_ieee_invalid_op 0
		.amdhsa_exception_fp_denorm_src 0
		.amdhsa_exception_fp_ieee_div_zero 0
		.amdhsa_exception_fp_ieee_overflow 0
		.amdhsa_exception_fp_ieee_underflow 0
		.amdhsa_exception_fp_ieee_inexact 0
		.amdhsa_exception_int_div_zero 0
	.end_amdhsa_kernel
	.section	.text._ZN2at6native32elementwise_kernel_manual_unrollILi128ELi8EZNS0_22gpu_kernel_impl_nocastINS0_12_GLOBAL__N_114CompareFunctorIdEEEEvRNS_18TensorIteratorBaseERKT_EUlibE_EEviT1_,"axG",@progbits,_ZN2at6native32elementwise_kernel_manual_unrollILi128ELi8EZNS0_22gpu_kernel_impl_nocastINS0_12_GLOBAL__N_114CompareFunctorIdEEEEvRNS_18TensorIteratorBaseERKT_EUlibE_EEviT1_,comdat
.Lfunc_end93:
	.size	_ZN2at6native32elementwise_kernel_manual_unrollILi128ELi8EZNS0_22gpu_kernel_impl_nocastINS0_12_GLOBAL__N_114CompareFunctorIdEEEEvRNS_18TensorIteratorBaseERKT_EUlibE_EEviT1_, .Lfunc_end93-_ZN2at6native32elementwise_kernel_manual_unrollILi128ELi8EZNS0_22gpu_kernel_impl_nocastINS0_12_GLOBAL__N_114CompareFunctorIdEEEEvRNS_18TensorIteratorBaseERKT_EUlibE_EEviT1_
                                        ; -- End function
	.set _ZN2at6native32elementwise_kernel_manual_unrollILi128ELi8EZNS0_22gpu_kernel_impl_nocastINS0_12_GLOBAL__N_114CompareFunctorIdEEEEvRNS_18TensorIteratorBaseERKT_EUlibE_EEviT1_.num_vgpr, 40
	.set _ZN2at6native32elementwise_kernel_manual_unrollILi128ELi8EZNS0_22gpu_kernel_impl_nocastINS0_12_GLOBAL__N_114CompareFunctorIdEEEEvRNS_18TensorIteratorBaseERKT_EUlibE_EEviT1_.num_agpr, 0
	.set _ZN2at6native32elementwise_kernel_manual_unrollILi128ELi8EZNS0_22gpu_kernel_impl_nocastINS0_12_GLOBAL__N_114CompareFunctorIdEEEEvRNS_18TensorIteratorBaseERKT_EUlibE_EEviT1_.numbered_sgpr, 52
	.set _ZN2at6native32elementwise_kernel_manual_unrollILi128ELi8EZNS0_22gpu_kernel_impl_nocastINS0_12_GLOBAL__N_114CompareFunctorIdEEEEvRNS_18TensorIteratorBaseERKT_EUlibE_EEviT1_.num_named_barrier, 0
	.set _ZN2at6native32elementwise_kernel_manual_unrollILi128ELi8EZNS0_22gpu_kernel_impl_nocastINS0_12_GLOBAL__N_114CompareFunctorIdEEEEvRNS_18TensorIteratorBaseERKT_EUlibE_EEviT1_.private_seg_size, 0
	.set _ZN2at6native32elementwise_kernel_manual_unrollILi128ELi8EZNS0_22gpu_kernel_impl_nocastINS0_12_GLOBAL__N_114CompareFunctorIdEEEEvRNS_18TensorIteratorBaseERKT_EUlibE_EEviT1_.uses_vcc, 1
	.set _ZN2at6native32elementwise_kernel_manual_unrollILi128ELi8EZNS0_22gpu_kernel_impl_nocastINS0_12_GLOBAL__N_114CompareFunctorIdEEEEvRNS_18TensorIteratorBaseERKT_EUlibE_EEviT1_.uses_flat_scratch, 0
	.set _ZN2at6native32elementwise_kernel_manual_unrollILi128ELi8EZNS0_22gpu_kernel_impl_nocastINS0_12_GLOBAL__N_114CompareFunctorIdEEEEvRNS_18TensorIteratorBaseERKT_EUlibE_EEviT1_.has_dyn_sized_stack, 0
	.set _ZN2at6native32elementwise_kernel_manual_unrollILi128ELi8EZNS0_22gpu_kernel_impl_nocastINS0_12_GLOBAL__N_114CompareFunctorIdEEEEvRNS_18TensorIteratorBaseERKT_EUlibE_EEviT1_.has_recursion, 0
	.set _ZN2at6native32elementwise_kernel_manual_unrollILi128ELi8EZNS0_22gpu_kernel_impl_nocastINS0_12_GLOBAL__N_114CompareFunctorIdEEEEvRNS_18TensorIteratorBaseERKT_EUlibE_EEviT1_.has_indirect_call, 0
	.section	.AMDGPU.csdata,"",@progbits
; Kernel info:
; codeLenInByte = 12184
; TotalNumSgprs: 56
; NumVgprs: 40
; ScratchSize: 0
; MemoryBound: 0
; FloatMode: 240
; IeeeMode: 1
; LDSByteSize: 0 bytes/workgroup (compile time only)
; SGPRBlocks: 6
; VGPRBlocks: 9
; NumSGPRsForWavesPerEU: 56
; NumVGPRsForWavesPerEU: 40
; Occupancy: 6
; WaveLimiterHint : 1
; COMPUTE_PGM_RSRC2:SCRATCH_EN: 0
; COMPUTE_PGM_RSRC2:USER_SGPR: 6
; COMPUTE_PGM_RSRC2:TRAP_HANDLER: 0
; COMPUTE_PGM_RSRC2:TGID_X_EN: 1
; COMPUTE_PGM_RSRC2:TGID_Y_EN: 0
; COMPUTE_PGM_RSRC2:TGID_Z_EN: 0
; COMPUTE_PGM_RSRC2:TIDIG_COMP_CNT: 0
	.section	.text._ZN2at6native32elementwise_kernel_manual_unrollILi128ELi4EZNS0_15gpu_kernel_implINS0_12_GLOBAL__N_114CompareFunctorIdEEEEvRNS_18TensorIteratorBaseERKT_EUlibE_EEviT1_,"axG",@progbits,_ZN2at6native32elementwise_kernel_manual_unrollILi128ELi4EZNS0_15gpu_kernel_implINS0_12_GLOBAL__N_114CompareFunctorIdEEEEvRNS_18TensorIteratorBaseERKT_EUlibE_EEviT1_,comdat
	.globl	_ZN2at6native32elementwise_kernel_manual_unrollILi128ELi4EZNS0_15gpu_kernel_implINS0_12_GLOBAL__N_114CompareFunctorIdEEEEvRNS_18TensorIteratorBaseERKT_EUlibE_EEviT1_ ; -- Begin function _ZN2at6native32elementwise_kernel_manual_unrollILi128ELi4EZNS0_15gpu_kernel_implINS0_12_GLOBAL__N_114CompareFunctorIdEEEEvRNS_18TensorIteratorBaseERKT_EUlibE_EEviT1_
	.p2align	8
	.type	_ZN2at6native32elementwise_kernel_manual_unrollILi128ELi4EZNS0_15gpu_kernel_implINS0_12_GLOBAL__N_114CompareFunctorIdEEEEvRNS_18TensorIteratorBaseERKT_EUlibE_EEviT1_,@function
_ZN2at6native32elementwise_kernel_manual_unrollILi128ELi4EZNS0_15gpu_kernel_implINS0_12_GLOBAL__N_114CompareFunctorIdEEEEvRNS_18TensorIteratorBaseERKT_EUlibE_EEviT1_: ; @_ZN2at6native32elementwise_kernel_manual_unrollILi128ELi4EZNS0_15gpu_kernel_implINS0_12_GLOBAL__N_114CompareFunctorIdEEEEvRNS_18TensorIteratorBaseERKT_EUlibE_EEviT1_
; %bb.0:
	s_load_dword s33, s[4:5], 0x30
	s_load_dword s48, s[4:5], 0x0
	s_load_dwordx4 s[8:11], s[4:5], 0x8
	s_load_dwordx2 s[2:3], s[4:5], 0x18
	s_load_dwordx4 s[12:15], s[4:5], 0x20
	v_lshl_or_b32 v6, s6, 9, v0
	v_or_b32_e32 v0, 0x180, v6
	s_waitcnt lgkmcnt(0)
	s_lshr_b32 s55, s33, 8
	s_lshr_b32 s54, s33, 16
	v_cmp_le_i32_e32 vcc, s48, v0
	s_mov_b64 s[4:5], 0
	s_mov_b64 s[16:17], 0
	s_and_saveexec_b64 s[0:1], vcc
	s_xor_b64 s[6:7], exec, s[0:1]
	s_cbranch_execz .LBB94_1607
; %bb.1:
	v_cmp_gt_i32_e32 vcc, s48, v6
	s_mov_b64 s[0:1], -1
	s_mov_b64 s[26:27], 0
	s_mov_b64 s[20:21], 0
	;; [unrolled: 1-line block ×3, first 2 shown]
	s_and_saveexec_b64 s[22:23], vcc
	s_cbranch_execz .LBB94_399
; %bb.2:
	v_mul_lo_u32 v0, v6, s13
	v_mov_b32_e32 v1, s11
	s_and_b32 s24, s55, 0xff
	s_cmp_lt_i32 s24, 11
	v_ashrrev_i32_e32 v3, 31, v0
	v_add_co_u32_e32 v2, vcc, s10, v0
	v_addc_co_u32_e32 v3, vcc, v1, v3, vcc
	s_cbranch_scc1 .LBB94_9
; %bb.3:
	s_and_b32 s25, 0xffff, s24
	s_cmp_gt_i32 s25, 25
	s_cbranch_scc0 .LBB94_18
; %bb.4:
	s_cmp_gt_i32 s25, 28
	s_cbranch_scc0 .LBB94_25
; %bb.5:
	s_cmp_gt_i32 s25, 43
	s_cbranch_scc0 .LBB94_30
; %bb.6:
	s_cmp_gt_i32 s25, 45
	s_cbranch_scc0 .LBB94_33
; %bb.7:
	s_cmp_eq_u32 s25, 46
	s_cbranch_scc0 .LBB94_53
; %bb.8:
	global_load_dword v0, v[2:3], off
	s_waitcnt vmcnt(0)
	v_lshlrev_b32_e32 v0, 16, v0
	v_cvt_f64_f32_e32 v[0:1], v0
	s_branch .LBB94_55
.LBB94_9:
                                        ; implicit-def: $vgpr0_vgpr1
	s_mov_b64 s[0:1], 0
	s_cbranch_execnz .LBB94_121
.LBB94_10:
	s_andn2_b64 vcc, exec, s[0:1]
	s_cbranch_vccnz .LBB94_168
.LBB94_11:
	v_mul_lo_u32 v2, v6, s14
	v_mov_b32_e32 v3, s3
	s_and_b32 s28, s54, 0xff
	s_cmp_lt_i32 s28, 11
	v_ashrrev_i32_e32 v4, 31, v2
	v_add_co_u32_e32 v2, vcc, s2, v2
	v_addc_co_u32_e32 v3, vcc, v3, v4, vcc
	s_cbranch_scc1 .LBB94_19
; %bb.12:
	s_and_b32 s29, 0xffff, s28
	s_cmp_gt_i32 s29, 25
	s_cbranch_scc0 .LBB94_26
; %bb.13:
	s_cmp_gt_i32 s29, 28
	s_cbranch_scc0 .LBB94_31
; %bb.14:
	s_cmp_gt_i32 s29, 43
	s_cbranch_scc0 .LBB94_34
; %bb.15:
	s_cmp_gt_i32 s29, 45
	s_cbranch_scc0 .LBB94_58
; %bb.16:
	s_cmp_eq_u32 s29, 46
	s_mov_b64 s[16:17], 0
	s_cbranch_scc0 .LBB94_169
; %bb.17:
	global_load_dword v4, v[2:3], off
	s_mov_b64 s[0:1], -1
	s_mov_b64 s[18:19], 0
	s_waitcnt vmcnt(0)
	v_lshlrev_b32_e32 v4, 16, v4
	v_cvt_f64_f32_e32 v[4:5], v4
	s_branch .LBB94_171
.LBB94_18:
	s_mov_b64 s[0:1], 0
                                        ; implicit-def: $vgpr0_vgpr1
	s_cbranch_execnz .LBB94_88
	s_branch .LBB94_120
.LBB94_19:
	s_mov_b64 s[18:19], 0
                                        ; implicit-def: $vgpr4_vgpr5
	s_mov_b64 s[0:1], 0
	s_cbranch_execnz .LBB94_348
.LBB94_20:
	s_andn2_b64 vcc, exec, s[0:1]
	s_cbranch_vccnz .LBB94_396
.LBB94_21:
	s_cmp_lt_i32 s15, 1
	s_mov_b64 s[0:1], 0
	s_cbranch_scc1 .LBB94_27
; %bb.22:
	s_cmp_gt_i32 s15, 1
	s_cbranch_scc0 .LBB94_32
; %bb.23:
	s_cmp_eq_u32 s15, 2
	s_cbranch_scc0 .LBB94_35
; %bb.24:
	s_waitcnt vmcnt(0)
	v_cmp_le_f64_e64 s[16:17], v[0:1], v[4:5]
	s_mov_b64 s[24:25], 0
	s_branch .LBB94_36
.LBB94_25:
	s_mov_b64 s[16:17], -1
	s_mov_b64 s[0:1], 0
                                        ; implicit-def: $vgpr0_vgpr1
	s_branch .LBB94_67
.LBB94_26:
	s_mov_b64 s[16:17], -1
	s_mov_b64 s[18:19], 0
	s_mov_b64 s[0:1], 0
                                        ; implicit-def: $vgpr4_vgpr5
	s_branch .LBB94_314
.LBB94_27:
                                        ; implicit-def: $sgpr16_sgpr17
	s_mov_b64 s[24:25], 0
	s_cbranch_execnz .LBB94_40
.LBB94_28:
	s_andn2_b64 vcc, exec, s[24:25]
	s_cbranch_vccnz .LBB94_41
.LBB94_29:
	s_waitcnt vmcnt(0)
	v_cmp_lt_f64_e32 vcc, v[0:1], v[4:5]
	s_andn2_b64 s[16:17], s[16:17], exec
	s_and_b64 s[24:25], vcc, exec
	s_or_b64 s[16:17], s[16:17], s[24:25]
	s_cbranch_execz .LBB94_42
	s_branch .LBB94_43
.LBB94_30:
	s_mov_b64 s[16:17], -1
	s_mov_b64 s[0:1], 0
                                        ; implicit-def: $vgpr0_vgpr1
	s_branch .LBB94_62
.LBB94_31:
	s_mov_b64 s[16:17], -1
	s_mov_b64 s[18:19], 0
	s_mov_b64 s[0:1], 0
                                        ; implicit-def: $vgpr4_vgpr5
	s_branch .LBB94_293
.LBB94_32:
	s_mov_b64 s[28:29], -1
	s_mov_b64 s[24:25], 0
                                        ; implicit-def: $sgpr16_sgpr17
	s_branch .LBB94_37
.LBB94_33:
	s_mov_b64 s[16:17], -1
	s_branch .LBB94_54
.LBB94_34:
	s_mov_b64 s[16:17], -1
	s_mov_b64 s[18:19], 0
	s_mov_b64 s[0:1], 0
                                        ; implicit-def: $vgpr4_vgpr5
	s_branch .LBB94_288
.LBB94_35:
	s_mov_b64 s[24:25], -1
                                        ; implicit-def: $sgpr16_sgpr17
.LBB94_36:
	s_mov_b64 s[28:29], 0
.LBB94_37:
	s_and_b64 vcc, exec, s[28:29]
	s_cbranch_vccz .LBB94_39
; %bb.38:
	s_waitcnt vmcnt(0)
	v_cmp_gt_f64_e32 vcc, v[0:1], v[4:5]
	s_andn2_b64 s[16:17], s[16:17], exec
	s_and_b64 s[28:29], vcc, exec
	s_or_b64 s[16:17], s[16:17], s[28:29]
.LBB94_39:
	s_branch .LBB94_28
.LBB94_40:
	s_cmp_lg_u32 s15, 0
	s_mov_b64 s[0:1], -1
	s_cselect_b64 s[24:25], -1, 0
	s_andn2_b64 vcc, exec, s[24:25]
	s_cbranch_vccz .LBB94_29
.LBB94_41:
	s_andn2_b64 vcc, exec, s[0:1]
	s_cbranch_vccnz .LBB94_43
.LBB94_42:
	s_waitcnt vmcnt(0)
	v_cmp_ge_f64_e32 vcc, v[0:1], v[4:5]
	s_andn2_b64 s[0:1], s[16:17], exec
	s_and_b64 s[16:17], vcc, exec
	s_or_b64 s[16:17], s[0:1], s[16:17]
.LBB94_43:
	s_waitcnt vmcnt(0)
	v_mul_lo_u32 v0, v6, s12
	v_mov_b32_e32 v1, s9
	s_and_b32 s34, s33, 0xff
	s_cmp_lt_i32 s34, 11
	v_ashrrev_i32_e32 v2, 31, v0
	v_add_co_u32_e32 v0, vcc, s8, v0
	v_addc_co_u32_e32 v1, vcc, v1, v2, vcc
	s_cbranch_scc1 .LBB94_50
; %bb.44:
	s_and_b32 s35, 0xffff, s34
	s_cmp_gt_i32 s35, 25
	s_cbranch_scc0 .LBB94_51
; %bb.45:
	s_cmp_gt_i32 s35, 28
	s_cbranch_scc0 .LBB94_52
; %bb.46:
	;; [unrolled: 3-line block ×4, first 2 shown]
	s_mov_b64 s[28:29], 0
	s_mov_b64 s[0:1], -1
	s_cmp_eq_u32 s35, 46
	s_mov_b64 s[24:25], 0
	s_cbranch_scc0 .LBB94_175
; %bb.49:
	v_cndmask_b32_e64 v2, 0, 1.0, s[16:17]
	v_bfe_u32 v3, v2, 16, 1
	s_movk_i32 s0, 0x7fff
	v_add3_u32 v2, v2, v3, s0
	v_lshrrev_b32_e32 v2, 16, v2
	global_store_dword v[0:1], v2, off
	s_mov_b64 s[24:25], -1
	s_mov_b64 s[0:1], 0
	s_branch .LBB94_175
.LBB94_50:
	s_mov_b64 s[28:29], -1
	s_mov_b64 s[0:1], 0
	s_mov_b64 s[24:25], 0
	s_branch .LBB94_244
.LBB94_51:
	s_mov_b64 s[28:29], -1
	s_mov_b64 s[0:1], 0
	s_mov_b64 s[24:25], 0
	s_branch .LBB94_202
.LBB94_52:
	s_mov_b64 s[28:29], -1
	s_mov_b64 s[0:1], 0
	s_mov_b64 s[24:25], 0
	s_branch .LBB94_185
.LBB94_53:
	s_mov_b64 s[20:21], -1
.LBB94_54:
	s_mov_b64 s[0:1], 0
                                        ; implicit-def: $vgpr0_vgpr1
.LBB94_55:
	s_and_b64 vcc, exec, s[16:17]
	s_cbranch_vccz .LBB94_61
; %bb.56:
	s_cmp_eq_u32 s25, 44
	s_cbranch_scc0 .LBB94_60
; %bb.57:
	global_load_ubyte v4, v[2:3], off
	s_movk_i32 s16, 0xff
	v_bfrev_b32_e32 v5, 4
	v_mov_b32_e32 v7, 0x7ff80000
	v_bfrev_b32_e32 v8, 28
	s_mov_b64 s[0:1], -1
	s_mov_b64 s[20:21], 0
	s_waitcnt vmcnt(0)
	v_lshlrev_b32_e32 v0, 23, v4
	v_cvt_f64_f32_e32 v[0:1], v0
	v_cmp_ne_u32_e32 vcc, s16, v4
	v_cndmask_b32_e32 v0, v5, v0, vcc
	v_cndmask_b32_e32 v1, v7, v1, vcc
	v_cmp_ne_u32_e32 vcc, 0, v4
	v_cndmask_b32_e32 v1, v8, v1, vcc
	v_cndmask_b32_e32 v0, 0, v0, vcc
	s_branch .LBB94_61
.LBB94_58:
	s_mov_b64 s[16:17], -1
	s_mov_b64 s[18:19], 0
	s_branch .LBB94_170
.LBB94_59:
	s_mov_b64 s[28:29], -1
	s_mov_b64 s[0:1], 0
	s_mov_b64 s[24:25], 0
	s_branch .LBB94_181
.LBB94_60:
	s_mov_b64 s[20:21], -1
                                        ; implicit-def: $vgpr0_vgpr1
.LBB94_61:
	s_mov_b64 s[16:17], 0
.LBB94_62:
	s_and_b64 vcc, exec, s[16:17]
	s_cbranch_vccz .LBB94_66
; %bb.63:
	s_cmp_eq_u32 s25, 29
	s_cbranch_scc0 .LBB94_65
; %bb.64:
	global_load_dwordx2 v[0:1], v[2:3], off
	s_mov_b64 s[0:1], -1
	s_mov_b64 s[20:21], 0
	s_mov_b64 s[16:17], 0
	s_waitcnt vmcnt(0)
	v_cvt_f64_u32_e32 v[4:5], v1
	v_cvt_f64_u32_e32 v[0:1], v0
	v_ldexp_f64 v[4:5], v[4:5], 32
	v_add_f64 v[0:1], v[4:5], v[0:1]
	s_branch .LBB94_67
.LBB94_65:
	s_mov_b64 s[20:21], -1
                                        ; implicit-def: $vgpr0_vgpr1
.LBB94_66:
	s_mov_b64 s[16:17], 0
.LBB94_67:
	s_and_b64 vcc, exec, s[16:17]
	s_cbranch_vccz .LBB94_87
; %bb.68:
	s_cmp_lt_i32 s25, 27
	s_cbranch_scc1 .LBB94_71
; %bb.69:
	s_cmp_gt_i32 s25, 27
	s_cbranch_scc0 .LBB94_72
; %bb.70:
	global_load_dword v0, v[2:3], off
	s_mov_b64 s[0:1], 0
	s_waitcnt vmcnt(0)
	v_cvt_f64_u32_e32 v[0:1], v0
	s_branch .LBB94_73
.LBB94_71:
	s_mov_b64 s[0:1], -1
                                        ; implicit-def: $vgpr0_vgpr1
	s_branch .LBB94_76
.LBB94_72:
	s_mov_b64 s[0:1], -1
                                        ; implicit-def: $vgpr0_vgpr1
.LBB94_73:
	s_andn2_b64 vcc, exec, s[0:1]
	s_cbranch_vccnz .LBB94_75
; %bb.74:
	global_load_ushort v0, v[2:3], off
	s_waitcnt vmcnt(0)
	v_cvt_f64_u32_e32 v[0:1], v0
.LBB94_75:
	s_mov_b64 s[0:1], 0
.LBB94_76:
	s_andn2_b64 vcc, exec, s[0:1]
	s_cbranch_vccnz .LBB94_86
; %bb.77:
	global_load_ubyte v4, v[2:3], off
	s_movk_i32 s0, 0x7f
	s_waitcnt vmcnt(0)
	v_cmp_lt_i16_e32 vcc, s0, v4
	s_mov_b64 s[0:1], 0
	s_and_saveexec_b64 s[16:17], vcc
	s_xor_b64 s[16:17], exec, s[16:17]
	s_cbranch_execz .LBB94_81
; %bb.78:
	s_movk_i32 s0, 0x80
	v_cmp_eq_u16_e32 vcc, s0, v4
	s_mov_b64 s[0:1], -1
	s_and_saveexec_b64 s[18:19], vcc
; %bb.79:
	s_xor_b64 s[0:1], exec, -1
; %bb.80:
	s_or_b64 exec, exec, s[18:19]
	s_and_b64 s[0:1], s[0:1], exec
.LBB94_81:
	s_or_saveexec_b64 s[16:17], s[16:17]
	v_bfrev_b32_e32 v0, 4
	v_mov_b32_e32 v1, 0x7ff80000
	s_xor_b64 exec, exec, s[16:17]
; %bb.82:
	v_cmp_ne_u16_e32 vcc, 0, v4
	v_mov_b32_e32 v0, 0
	s_andn2_b64 s[0:1], s[0:1], exec
	s_and_b64 s[18:19], vcc, exec
	v_mov_b32_e32 v1, 0
	s_or_b64 s[0:1], s[0:1], s[18:19]
; %bb.83:
	s_or_b64 exec, exec, s[16:17]
	s_and_saveexec_b64 s[16:17], s[0:1]
	s_cbranch_execz .LBB94_85
; %bb.84:
	v_and_b32_e32 v1, 0xffff, v4
	v_lshlrev_b32_e32 v0, 24, v4
	v_and_b32_e32 v4, 7, v1
	v_ffbh_u32_e32 v7, v4
	v_min_u32_e32 v7, 32, v7
	v_subrev_u32_e32 v8, 28, v7
	v_bfe_u32 v5, v1, 3, 4
	v_lshlrev_b32_e32 v1, v8, v1
	v_sub_u32_e32 v7, 29, v7
	v_and_b32_e32 v1, 7, v1
	v_cmp_eq_u32_e32 vcc, 0, v5
	v_cndmask_b32_e32 v5, v5, v7, vcc
	v_cndmask_b32_e32 v1, v4, v1, vcc
	v_mov_b32_e32 v4, 0x3b800000
	v_lshlrev_b32_e32 v1, 20, v1
	v_and_b32_e32 v0, 0x80000000, v0
	v_lshl_add_u32 v4, v5, 23, v4
	v_or3_b32 v0, v0, v4, v1
	v_cvt_f64_f32_e32 v[0:1], v0
.LBB94_85:
	s_or_b64 exec, exec, s[16:17]
.LBB94_86:
	s_mov_b64 s[0:1], -1
.LBB94_87:
	s_branch .LBB94_120
.LBB94_88:
	s_cmp_gt_i32 s25, 22
	s_cbranch_scc0 .LBB94_100
; %bb.89:
	s_cmp_lt_i32 s25, 24
	s_cbranch_scc1 .LBB94_101
; %bb.90:
	s_cmp_gt_i32 s25, 24
	s_cbranch_scc0 .LBB94_102
; %bb.91:
	global_load_ubyte v4, v[2:3], off
	s_movk_i32 s0, 0x7f
	s_waitcnt vmcnt(0)
	v_cmp_lt_i16_e32 vcc, s0, v4
	s_mov_b64 s[0:1], 0
	s_and_saveexec_b64 s[16:17], vcc
	s_xor_b64 s[16:17], exec, s[16:17]
	s_cbranch_execz .LBB94_95
; %bb.92:
	s_movk_i32 s0, 0x80
	v_cmp_eq_u16_e32 vcc, s0, v4
	s_mov_b64 s[0:1], -1
	s_and_saveexec_b64 s[18:19], vcc
; %bb.93:
	s_xor_b64 s[0:1], exec, -1
; %bb.94:
	s_or_b64 exec, exec, s[18:19]
	s_and_b64 s[0:1], s[0:1], exec
.LBB94_95:
	s_or_saveexec_b64 s[16:17], s[16:17]
	v_bfrev_b32_e32 v0, 4
	v_mov_b32_e32 v1, 0x7ff80000
	s_xor_b64 exec, exec, s[16:17]
; %bb.96:
	v_cmp_ne_u16_e32 vcc, 0, v4
	v_mov_b32_e32 v0, 0
	s_andn2_b64 s[0:1], s[0:1], exec
	s_and_b64 s[18:19], vcc, exec
	v_mov_b32_e32 v1, 0
	s_or_b64 s[0:1], s[0:1], s[18:19]
; %bb.97:
	s_or_b64 exec, exec, s[16:17]
	s_and_saveexec_b64 s[16:17], s[0:1]
	s_cbranch_execz .LBB94_99
; %bb.98:
	v_and_b32_e32 v1, 0xffff, v4
	v_lshlrev_b32_e32 v0, 24, v4
	v_and_b32_e32 v4, 3, v1
	v_ffbh_u32_e32 v7, v4
	v_min_u32_e32 v7, 32, v7
	v_subrev_u32_e32 v8, 29, v7
	v_bfe_u32 v5, v1, 2, 5
	v_lshlrev_b32_e32 v1, v8, v1
	v_sub_u32_e32 v7, 30, v7
	v_and_b32_e32 v1, 3, v1
	v_cmp_eq_u32_e32 vcc, 0, v5
	v_cndmask_b32_e32 v5, v5, v7, vcc
	v_cndmask_b32_e32 v1, v4, v1, vcc
	v_mov_b32_e32 v4, 0x37800000
	v_lshlrev_b32_e32 v1, 21, v1
	v_and_b32_e32 v0, 0x80000000, v0
	v_lshl_add_u32 v4, v5, 23, v4
	v_or3_b32 v0, v0, v4, v1
	v_cvt_f64_f32_e32 v[0:1], v0
.LBB94_99:
	s_or_b64 exec, exec, s[16:17]
	s_mov_b64 s[0:1], 0
	s_branch .LBB94_103
.LBB94_100:
	s_mov_b64 s[16:17], -1
                                        ; implicit-def: $vgpr0_vgpr1
	s_branch .LBB94_109
.LBB94_101:
	s_mov_b64 s[0:1], -1
                                        ; implicit-def: $vgpr0_vgpr1
	s_branch .LBB94_106
.LBB94_102:
	s_mov_b64 s[0:1], -1
                                        ; implicit-def: $vgpr0_vgpr1
.LBB94_103:
	s_and_b64 vcc, exec, s[0:1]
	s_cbranch_vccz .LBB94_105
; %bb.104:
	global_load_ubyte v0, v[2:3], off
	s_mov_b32 s0, 0x7f800000
	s_waitcnt vmcnt(0)
	v_lshlrev_b32_e32 v0, 24, v0
	v_and_b32_e32 v1, 0x7f000000, v0
	v_ffbh_u32_e32 v4, v1
	v_min_u32_e32 v4, 32, v4
	v_sub_u32_e64 v4, v4, 4 clamp
	v_lshlrev_b32_e32 v7, v4, v1
	v_lshlrev_b32_e32 v4, 23, v4
	v_lshrrev_b32_e32 v7, 4, v7
	v_add_u32_e32 v5, 0x1000000, v1
	v_sub_u32_e32 v4, v7, v4
	v_ashrrev_i32_e32 v5, 8, v5
	v_add_u32_e32 v4, 0x3c000000, v4
	v_and_or_b32 v4, v5, s0, v4
	v_cmp_ne_u32_e32 vcc, 0, v1
	v_cndmask_b32_e32 v1, 0, v4, vcc
	s_brev_b32 s0, 1
	v_and_or_b32 v0, v0, s0, v1
	v_cvt_f64_f32_e32 v[0:1], v0
.LBB94_105:
	s_mov_b64 s[0:1], 0
.LBB94_106:
	s_andn2_b64 vcc, exec, s[0:1]
	s_cbranch_vccnz .LBB94_108
; %bb.107:
	global_load_ubyte v0, v[2:3], off
	s_movk_i32 s0, 0x7f00
	s_brev_b32 s1, 16
	s_waitcnt vmcnt(0)
	v_lshlrev_b16_e32 v1, 8, v0
	v_lshlrev_b32_e32 v0, 25, v0
	v_lshrrev_b32_e32 v4, 4, v0
	v_and_or_b32 v5, v1, s0, 0.5
	v_or_b32_e32 v4, 0x70000000, v4
	v_add_f32_e32 v5, -0.5, v5
	v_mul_f32_e32 v4, 0x7800000, v4
	v_cmp_gt_u32_e32 vcc, s1, v0
	v_bfe_i32 v1, v1, 0, 16
	v_cndmask_b32_e32 v0, v4, v5, vcc
	s_brev_b32 s0, 1
	v_and_or_b32 v0, v1, s0, v0
	v_cvt_f64_f32_e32 v[0:1], v0
.LBB94_108:
	s_mov_b64 s[16:17], 0
	s_mov_b64 s[0:1], -1
.LBB94_109:
	s_andn2_b64 vcc, exec, s[16:17]
	s_cbranch_vccnz .LBB94_120
; %bb.110:
	s_cmp_gt_i32 s25, 14
	s_cbranch_scc0 .LBB94_113
; %bb.111:
	s_cmp_eq_u32 s25, 15
	s_cbranch_scc0 .LBB94_114
; %bb.112:
	global_load_ushort v0, v[2:3], off
	s_mov_b64 s[0:1], -1
	s_mov_b64 s[20:21], 0
	s_waitcnt vmcnt(0)
	v_lshlrev_b32_e32 v0, 16, v0
	v_cvt_f64_f32_e32 v[0:1], v0
	s_branch .LBB94_115
.LBB94_113:
	s_mov_b64 s[16:17], -1
                                        ; implicit-def: $vgpr0_vgpr1
	s_branch .LBB94_116
.LBB94_114:
	s_mov_b64 s[20:21], -1
                                        ; implicit-def: $vgpr0_vgpr1
.LBB94_115:
	s_mov_b64 s[16:17], 0
.LBB94_116:
	s_and_b64 vcc, exec, s[16:17]
	s_cbranch_vccz .LBB94_120
; %bb.117:
	s_cmp_eq_u32 s25, 11
	s_cbranch_scc0 .LBB94_119
; %bb.118:
	global_load_ubyte v1, v[2:3], off
	v_mov_b32_e32 v4, 0x3ff00000
	v_mov_b32_e32 v0, 0
	s_mov_b64 s[0:1], -1
	s_mov_b64 s[20:21], 0
	s_waitcnt vmcnt(0)
	v_cmp_ne_u16_e32 vcc, 0, v1
	v_cndmask_b32_e32 v1, 0, v4, vcc
	s_branch .LBB94_120
.LBB94_119:
	s_mov_b64 s[20:21], -1
                                        ; implicit-def: $vgpr0_vgpr1
.LBB94_120:
	s_branch .LBB94_10
.LBB94_121:
	s_and_b32 s16, 0xffff, s24
	s_cmp_lt_i32 s16, 5
	s_cbranch_scc1 .LBB94_126
; %bb.122:
	s_cmp_lt_i32 s16, 8
	s_cbranch_scc1 .LBB94_127
; %bb.123:
	;; [unrolled: 3-line block ×3, first 2 shown]
	s_cmp_gt_i32 s16, 9
	s_cbranch_scc0 .LBB94_129
; %bb.125:
	global_load_dwordx2 v[0:1], v[2:3], off
	s_mov_b64 s[0:1], 0
	s_branch .LBB94_130
.LBB94_126:
                                        ; implicit-def: $vgpr0_vgpr1
	s_branch .LBB94_148
.LBB94_127:
	s_mov_b64 s[0:1], -1
                                        ; implicit-def: $vgpr0_vgpr1
	s_branch .LBB94_136
.LBB94_128:
	s_mov_b64 s[0:1], -1
                                        ; implicit-def: $vgpr0_vgpr1
	s_branch .LBB94_133
.LBB94_129:
	s_mov_b64 s[0:1], -1
                                        ; implicit-def: $vgpr0_vgpr1
.LBB94_130:
	s_andn2_b64 vcc, exec, s[0:1]
	s_cbranch_vccnz .LBB94_132
; %bb.131:
	global_load_dword v0, v[2:3], off
	s_waitcnt vmcnt(0)
	v_cvt_f64_f32_e32 v[0:1], v0
.LBB94_132:
	s_mov_b64 s[0:1], 0
.LBB94_133:
	s_andn2_b64 vcc, exec, s[0:1]
	s_cbranch_vccnz .LBB94_135
; %bb.134:
	global_load_dword v0, v[2:3], off
	s_waitcnt vmcnt(0)
	v_cvt_f32_f16_e32 v0, v0
	v_cvt_f64_f32_e32 v[0:1], v0
.LBB94_135:
	s_mov_b64 s[0:1], 0
.LBB94_136:
	s_andn2_b64 vcc, exec, s[0:1]
	s_cbranch_vccnz .LBB94_147
; %bb.137:
	s_cmp_lt_i32 s16, 6
	s_cbranch_scc1 .LBB94_140
; %bb.138:
	s_cmp_gt_i32 s16, 6
	s_cbranch_scc0 .LBB94_141
; %bb.139:
	global_load_dwordx2 v[0:1], v[2:3], off
	s_mov_b64 s[0:1], 0
	s_branch .LBB94_142
.LBB94_140:
	s_mov_b64 s[0:1], -1
                                        ; implicit-def: $vgpr0_vgpr1
	s_branch .LBB94_145
.LBB94_141:
	s_mov_b64 s[0:1], -1
                                        ; implicit-def: $vgpr0_vgpr1
.LBB94_142:
	s_andn2_b64 vcc, exec, s[0:1]
	s_cbranch_vccnz .LBB94_144
; %bb.143:
	global_load_dword v0, v[2:3], off
	s_waitcnt vmcnt(0)
	v_cvt_f64_f32_e32 v[0:1], v0
.LBB94_144:
	s_mov_b64 s[0:1], 0
.LBB94_145:
	s_andn2_b64 vcc, exec, s[0:1]
	s_cbranch_vccnz .LBB94_147
; %bb.146:
	global_load_ushort v0, v[2:3], off
	s_waitcnt vmcnt(0)
	v_cvt_f32_f16_e32 v0, v0
	v_cvt_f64_f32_e32 v[0:1], v0
.LBB94_147:
	s_cbranch_execnz .LBB94_167
.LBB94_148:
	s_cmp_lt_i32 s16, 2
	s_cbranch_scc1 .LBB94_152
; %bb.149:
	s_cmp_lt_i32 s16, 3
	s_cbranch_scc1 .LBB94_153
; %bb.150:
	s_cmp_gt_i32 s16, 3
	s_cbranch_scc0 .LBB94_154
; %bb.151:
	global_load_dwordx2 v[0:1], v[2:3], off
	s_mov_b64 s[0:1], 0
	s_waitcnt vmcnt(0)
	v_cvt_f64_i32_e32 v[4:5], v1
	v_cvt_f64_u32_e32 v[0:1], v0
	v_ldexp_f64 v[4:5], v[4:5], 32
	v_add_f64 v[0:1], v[4:5], v[0:1]
	s_branch .LBB94_155
.LBB94_152:
	s_mov_b64 s[0:1], -1
                                        ; implicit-def: $vgpr0_vgpr1
	s_branch .LBB94_161
.LBB94_153:
	s_mov_b64 s[0:1], -1
                                        ; implicit-def: $vgpr0_vgpr1
	s_branch .LBB94_158
.LBB94_154:
	s_mov_b64 s[0:1], -1
                                        ; implicit-def: $vgpr0_vgpr1
.LBB94_155:
	s_andn2_b64 vcc, exec, s[0:1]
	s_cbranch_vccnz .LBB94_157
; %bb.156:
	global_load_dword v0, v[2:3], off
	s_waitcnt vmcnt(0)
	v_cvt_f64_i32_e32 v[0:1], v0
.LBB94_157:
	s_mov_b64 s[0:1], 0
.LBB94_158:
	s_andn2_b64 vcc, exec, s[0:1]
	s_cbranch_vccnz .LBB94_160
; %bb.159:
	global_load_sshort v0, v[2:3], off
	s_waitcnt vmcnt(0)
	v_cvt_f64_i32_e32 v[0:1], v0
.LBB94_160:
	s_mov_b64 s[0:1], 0
.LBB94_161:
	s_andn2_b64 vcc, exec, s[0:1]
	s_cbranch_vccnz .LBB94_167
; %bb.162:
	s_cmp_gt_i32 s16, 0
	s_cbranch_scc0 .LBB94_164
; %bb.163:
	global_load_sbyte v0, v[2:3], off
	s_mov_b64 s[0:1], 0
	s_waitcnt vmcnt(0)
	v_cvt_f64_i32_e32 v[0:1], v0
	s_branch .LBB94_165
.LBB94_164:
	s_mov_b64 s[0:1], -1
                                        ; implicit-def: $vgpr0_vgpr1
.LBB94_165:
	s_andn2_b64 vcc, exec, s[0:1]
	s_cbranch_vccnz .LBB94_167
; %bb.166:
	global_load_ubyte v0, v[2:3], off
	s_waitcnt vmcnt(0)
	v_cvt_f64_u32_e32 v[0:1], v0
.LBB94_167:
	s_branch .LBB94_11
.LBB94_168:
	s_mov_b64 s[0:1], 0
	s_mov_b64 s[18:19], 0
	s_branch .LBB94_397
.LBB94_169:
	s_mov_b64 s[18:19], -1
.LBB94_170:
	s_mov_b64 s[0:1], 0
                                        ; implicit-def: $vgpr4_vgpr5
.LBB94_171:
	s_and_b64 vcc, exec, s[16:17]
	s_cbranch_vccz .LBB94_287
; %bb.172:
	s_cmp_eq_u32 s29, 44
	s_cbranch_scc0 .LBB94_286
; %bb.173:
	global_load_ubyte v7, v[2:3], off
	s_movk_i32 s16, 0xff
	v_bfrev_b32_e32 v8, 4
	v_mov_b32_e32 v9, 0x7ff80000
	v_bfrev_b32_e32 v10, 28
	s_mov_b64 s[0:1], -1
	s_mov_b64 s[18:19], 0
	s_waitcnt vmcnt(0)
	v_lshlrev_b32_e32 v4, 23, v7
	v_cvt_f64_f32_e32 v[4:5], v4
	v_cmp_ne_u32_e32 vcc, s16, v7
	v_cndmask_b32_e32 v4, v8, v4, vcc
	v_cndmask_b32_e32 v5, v9, v5, vcc
	v_cmp_ne_u32_e32 vcc, 0, v7
	v_cndmask_b32_e32 v5, v10, v5, vcc
	v_cndmask_b32_e32 v4, 0, v4, vcc
	s_branch .LBB94_287
.LBB94_174:
	s_mov_b64 s[28:29], -1
	s_mov_b64 s[0:1], 0
	s_mov_b64 s[24:25], 0
.LBB94_175:
	s_and_b64 vcc, exec, s[28:29]
	s_cbranch_vccz .LBB94_180
; %bb.176:
	s_cmp_eq_u32 s35, 44
	s_mov_b64 s[0:1], -1
	s_cbranch_scc0 .LBB94_180
; %bb.177:
	v_cndmask_b32_e64 v3, 0, 1.0, s[16:17]
	v_lshrrev_b32_e32 v2, 23, v3
	s_movk_i32 s0, 0xff
	v_cmp_ne_u32_e32 vcc, s0, v2
	v_mov_b32_e32 v4, 0xff
	s_and_saveexec_b64 s[24:25], vcc
; %bb.178:
	s_mov_b32 s0, 0x3fffff
	v_and_b32_e32 v4, 0x400000, v3
	v_and_or_b32 v3, v3, s0, v2
	v_cmp_ne_u32_e32 vcc, 0, v4
	v_cmp_ne_u32_e64 s[0:1], 0, v3
	s_and_b64 s[0:1], vcc, s[0:1]
	v_cndmask_b32_e64 v3, 0, 1, s[0:1]
	v_add_u32_e32 v4, v2, v3
; %bb.179:
	s_or_b64 exec, exec, s[24:25]
	s_mov_b64 s[24:25], -1
	s_mov_b64 s[0:1], 0
	global_store_byte v[0:1], v4, off
.LBB94_180:
	s_mov_b64 s[28:29], 0
.LBB94_181:
	s_and_b64 vcc, exec, s[28:29]
	s_cbranch_vccz .LBB94_184
; %bb.182:
	s_cmp_eq_u32 s35, 29
	s_mov_b64 s[0:1], -1
	s_cbranch_scc0 .LBB94_184
; %bb.183:
	s_mov_b32 s0, 0
	v_cndmask_b32_e64 v2, 0, 1, s[16:17]
	v_mov_b32_e32 v3, s0
	global_store_dwordx2 v[0:1], v[2:3], off
	s_mov_b64 s[24:25], -1
	s_mov_b64 s[0:1], 0
.LBB94_184:
	s_mov_b64 s[28:29], 0
.LBB94_185:
	s_and_b64 vcc, exec, s[28:29]
	s_cbranch_vccz .LBB94_201
; %bb.186:
	s_cmp_lt_i32 s35, 27
	s_mov_b64 s[24:25], -1
	s_cbranch_scc1 .LBB94_192
; %bb.187:
	s_cmp_gt_i32 s35, 27
	s_cbranch_scc0 .LBB94_189
; %bb.188:
	v_cndmask_b32_e64 v2, 0, 1, s[16:17]
	s_mov_b64 s[24:25], 0
	global_store_dword v[0:1], v2, off
.LBB94_189:
	s_andn2_b64 vcc, exec, s[24:25]
	s_cbranch_vccnz .LBB94_191
; %bb.190:
	v_cndmask_b32_e64 v2, 0, 1, s[16:17]
	global_store_short v[0:1], v2, off
.LBB94_191:
	s_mov_b64 s[24:25], 0
.LBB94_192:
	s_andn2_b64 vcc, exec, s[24:25]
	s_cbranch_vccnz .LBB94_200
; %bb.193:
	v_cndmask_b32_e64 v3, 0, 1.0, s[16:17]
	s_mov_b32 s24, 0x43800000
	v_cmp_gt_u32_e32 vcc, s24, v3
	v_mov_b32_e32 v4, 0x80
	s_and_saveexec_b64 s[24:25], vcc
	s_cbranch_execz .LBB94_199
; %bb.194:
	s_mov_b32 s28, 0x3bffffff
	v_cmp_lt_u32_e32 vcc, s28, v3
	s_mov_b64 s[28:29], 0
                                        ; implicit-def: $vgpr2
	s_and_saveexec_b64 s[30:31], vcc
	s_xor_b64 s[30:31], exec, s[30:31]
	s_cbranch_execz .LBB94_428
; %bb.195:
	v_bfe_u32 v2, v3, 20, 1
	s_mov_b32 s36, 0x487ffff
	v_add3_u32 v2, v3, v2, s36
	s_mov_b64 s[28:29], exec
	v_lshrrev_b32_e32 v2, 20, v2
                                        ; implicit-def: $vgpr3
	s_andn2_saveexec_b64 s[30:31], s[30:31]
	s_cbranch_execnz .LBB94_429
.LBB94_196:
	s_or_b64 exec, exec, s[30:31]
	v_mov_b32_e32 v4, 0
	s_and_saveexec_b64 s[30:31], s[28:29]
.LBB94_197:
	v_mov_b32_e32 v4, v2
.LBB94_198:
	s_or_b64 exec, exec, s[30:31]
.LBB94_199:
	s_or_b64 exec, exec, s[24:25]
	global_store_byte v[0:1], v4, off
.LBB94_200:
	s_mov_b64 s[24:25], -1
.LBB94_201:
	s_mov_b64 s[28:29], 0
.LBB94_202:
	s_and_b64 vcc, exec, s[28:29]
	s_cbranch_vccz .LBB94_243
; %bb.203:
	s_cmp_gt_i32 s35, 22
	s_mov_b64 s[28:29], -1
	s_cbranch_scc0 .LBB94_235
; %bb.204:
	s_cmp_lt_i32 s35, 24
	s_mov_b64 s[24:25], -1
	s_cbranch_scc1 .LBB94_224
; %bb.205:
	s_cmp_gt_i32 s35, 24
	s_cbranch_scc0 .LBB94_213
; %bb.206:
	v_cndmask_b32_e64 v3, 0, 1.0, s[16:17]
	s_mov_b32 s24, 0x47800000
	v_cmp_gt_u32_e32 vcc, s24, v3
	v_mov_b32_e32 v4, 0x80
	s_and_saveexec_b64 s[24:25], vcc
	s_cbranch_execz .LBB94_212
; %bb.207:
	s_mov_b32 s28, 0x37ffffff
	v_cmp_lt_u32_e32 vcc, s28, v3
	s_mov_b64 s[28:29], 0
                                        ; implicit-def: $vgpr2
	s_and_saveexec_b64 s[30:31], vcc
	s_xor_b64 s[30:31], exec, s[30:31]
	s_cbranch_execz .LBB94_547
; %bb.208:
	v_bfe_u32 v2, v3, 21, 1
	s_mov_b32 s36, 0x88fffff
	v_add3_u32 v2, v3, v2, s36
	s_mov_b64 s[28:29], exec
	v_lshrrev_b32_e32 v2, 21, v2
                                        ; implicit-def: $vgpr3
	s_andn2_saveexec_b64 s[30:31], s[30:31]
	s_cbranch_execnz .LBB94_548
.LBB94_209:
	s_or_b64 exec, exec, s[30:31]
	v_mov_b32_e32 v4, 0
	s_and_saveexec_b64 s[30:31], s[28:29]
.LBB94_210:
	v_mov_b32_e32 v4, v2
.LBB94_211:
	s_or_b64 exec, exec, s[30:31]
.LBB94_212:
	s_or_b64 exec, exec, s[24:25]
	s_mov_b64 s[24:25], 0
	global_store_byte v[0:1], v4, off
.LBB94_213:
	s_and_b64 vcc, exec, s[24:25]
	s_cbranch_vccz .LBB94_223
; %bb.214:
	v_cndmask_b32_e64 v2, 0, 1.0, s[16:17]
	s_mov_b32 s24, 0x43f00000
	v_cmp_gt_u32_e32 vcc, s24, v2
                                        ; implicit-def: $vgpr3
	s_and_saveexec_b64 s[24:25], vcc
	s_xor_b64 s[24:25], exec, s[24:25]
	s_cbranch_execz .LBB94_220
; %bb.215:
	s_mov_b32 s28, 0x3c7fffff
	v_cmp_lt_u32_e32 vcc, s28, v2
                                        ; implicit-def: $vgpr3
	s_and_saveexec_b64 s[28:29], vcc
	s_xor_b64 s[28:29], exec, s[28:29]
; %bb.216:
	v_bfe_u32 v3, v2, 20, 1
	s_mov_b32 s30, 0x407ffff
	v_add3_u32 v2, v2, v3, s30
	v_lshrrev_b32_e32 v3, 20, v2
	v_and_b32_e32 v2, 0xff00000, v2
	s_mov_b32 s30, 0x7f00000
	v_mov_b32_e32 v4, 0x7e
	v_cmp_ne_u32_e32 vcc, s30, v2
	v_cndmask_b32_e32 v3, v4, v3, vcc
                                        ; implicit-def: $vgpr2
; %bb.217:
	s_andn2_saveexec_b64 s[28:29], s[28:29]
; %bb.218:
	v_add_f32_e32 v3, 0x46800000, v2
; %bb.219:
	s_or_b64 exec, exec, s[28:29]
                                        ; implicit-def: $vgpr2
.LBB94_220:
	s_andn2_saveexec_b64 s[24:25], s[24:25]
; %bb.221:
	s_mov_b32 s28, 0x7f800000
	v_mov_b32_e32 v3, 0x7e
	v_mov_b32_e32 v4, 0x7f
	v_cmp_lt_u32_e32 vcc, s28, v2
	v_cndmask_b32_e32 v3, v3, v4, vcc
; %bb.222:
	s_or_b64 exec, exec, s[24:25]
	global_store_byte v[0:1], v3, off
.LBB94_223:
	s_mov_b64 s[24:25], 0
.LBB94_224:
	s_andn2_b64 vcc, exec, s[24:25]
	s_cbranch_vccnz .LBB94_234
; %bb.225:
	v_cndmask_b32_e64 v2, 0, 1.0, s[16:17]
	s_mov_b32 s24, 0x47800000
	v_cmp_gt_u32_e32 vcc, s24, v2
                                        ; implicit-def: $vgpr3
	s_and_saveexec_b64 s[24:25], vcc
	s_xor_b64 s[24:25], exec, s[24:25]
	s_cbranch_execz .LBB94_231
; %bb.226:
	s_mov_b32 s28, 0x387fffff
	v_cmp_lt_u32_e32 vcc, s28, v2
                                        ; implicit-def: $vgpr3
	s_and_saveexec_b64 s[28:29], vcc
	s_xor_b64 s[28:29], exec, s[28:29]
; %bb.227:
	v_bfe_u32 v3, v2, 21, 1
	s_mov_b32 s30, 0x80fffff
	v_add3_u32 v2, v2, v3, s30
	v_lshrrev_b32_e32 v3, 21, v2
                                        ; implicit-def: $vgpr2
; %bb.228:
	s_andn2_saveexec_b64 s[28:29], s[28:29]
; %bb.229:
	v_add_f32_e32 v3, 0x43000000, v2
; %bb.230:
	s_or_b64 exec, exec, s[28:29]
                                        ; implicit-def: $vgpr2
.LBB94_231:
	s_andn2_saveexec_b64 s[24:25], s[24:25]
; %bb.232:
	s_mov_b32 s28, 0x7f800000
	v_mov_b32_e32 v3, 0x7c
	v_mov_b32_e32 v4, 0x7f
	v_cmp_lt_u32_e32 vcc, s28, v2
	v_cndmask_b32_e32 v3, v3, v4, vcc
; %bb.233:
	s_or_b64 exec, exec, s[24:25]
	global_store_byte v[0:1], v3, off
.LBB94_234:
	s_mov_b64 s[28:29], 0
	s_mov_b64 s[24:25], -1
.LBB94_235:
	s_andn2_b64 vcc, exec, s[28:29]
	s_cbranch_vccnz .LBB94_243
; %bb.236:
	s_cmp_gt_i32 s35, 14
	s_mov_b64 s[28:29], -1
	s_cbranch_scc0 .LBB94_240
; %bb.237:
	s_cmp_eq_u32 s35, 15
	s_mov_b64 s[0:1], -1
	s_cbranch_scc0 .LBB94_239
; %bb.238:
	v_cndmask_b32_e64 v2, 0, 1.0, s[16:17]
	v_bfe_u32 v3, v2, 16, 1
	s_movk_i32 s0, 0x7fff
	v_add3_u32 v2, v2, v3, s0
	global_store_short_d16_hi v[0:1], v2, off
	s_mov_b64 s[24:25], -1
	s_mov_b64 s[0:1], 0
.LBB94_239:
	s_mov_b64 s[28:29], 0
.LBB94_240:
	s_and_b64 vcc, exec, s[28:29]
	s_cbranch_vccz .LBB94_243
; %bb.241:
	s_cmp_eq_u32 s35, 11
	s_mov_b64 s[0:1], -1
	s_cbranch_scc0 .LBB94_243
; %bb.242:
	v_cndmask_b32_e64 v2, 0, 1, s[16:17]
	s_mov_b64 s[24:25], -1
	s_mov_b64 s[0:1], 0
	global_store_byte v[0:1], v2, off
.LBB94_243:
	s_mov_b64 s[28:29], 0
.LBB94_244:
	s_and_b64 vcc, exec, s[28:29]
	s_cbranch_vccz .LBB94_283
; %bb.245:
	s_and_b32 s28, 0xffff, s34
	s_cmp_lt_i32 s28, 5
	s_mov_b64 s[24:25], -1
	s_cbranch_scc1 .LBB94_266
; %bb.246:
	s_cmp_lt_i32 s28, 8
	s_cbranch_scc1 .LBB94_256
; %bb.247:
	s_cmp_lt_i32 s28, 9
	s_cbranch_scc1 .LBB94_253
; %bb.248:
	s_cmp_gt_i32 s28, 9
	s_cbranch_scc0 .LBB94_250
; %bb.249:
	v_cndmask_b32_e64 v2, 0, 1, s[16:17]
	v_cvt_f64_u32_e32 v[2:3], v2
	v_mov_b32_e32 v4, 0
	v_mov_b32_e32 v5, v4
	s_mov_b64 s[24:25], 0
	global_store_dwordx4 v[0:1], v[2:5], off
.LBB94_250:
	s_andn2_b64 vcc, exec, s[24:25]
	s_cbranch_vccnz .LBB94_252
; %bb.251:
	v_cndmask_b32_e64 v2, 0, 1.0, s[16:17]
	v_mov_b32_e32 v3, 0
	global_store_dwordx2 v[0:1], v[2:3], off
.LBB94_252:
	s_mov_b64 s[24:25], 0
.LBB94_253:
	s_andn2_b64 vcc, exec, s[24:25]
	s_cbranch_vccnz .LBB94_255
; %bb.254:
	v_cndmask_b32_e64 v2, 0, 1.0, s[16:17]
	v_cvt_f16_f32_e32 v2, v2
	global_store_dword v[0:1], v2, off
.LBB94_255:
	s_mov_b64 s[24:25], 0
.LBB94_256:
	s_andn2_b64 vcc, exec, s[24:25]
	s_cbranch_vccnz .LBB94_265
; %bb.257:
	s_cmp_lt_i32 s28, 6
	s_mov_b64 s[24:25], -1
	s_cbranch_scc1 .LBB94_263
; %bb.258:
	s_cmp_gt_i32 s28, 6
	s_cbranch_scc0 .LBB94_260
; %bb.259:
	v_cndmask_b32_e64 v2, 0, 1, s[16:17]
	v_cvt_f64_u32_e32 v[2:3], v2
	s_mov_b64 s[24:25], 0
	global_store_dwordx2 v[0:1], v[2:3], off
.LBB94_260:
	s_andn2_b64 vcc, exec, s[24:25]
	s_cbranch_vccnz .LBB94_262
; %bb.261:
	v_cndmask_b32_e64 v2, 0, 1.0, s[16:17]
	global_store_dword v[0:1], v2, off
.LBB94_262:
	s_mov_b64 s[24:25], 0
.LBB94_263:
	s_andn2_b64 vcc, exec, s[24:25]
	s_cbranch_vccnz .LBB94_265
; %bb.264:
	v_cndmask_b32_e64 v2, 0, 1.0, s[16:17]
	v_cvt_f16_f32_e32 v2, v2
	global_store_short v[0:1], v2, off
.LBB94_265:
	s_mov_b64 s[24:25], 0
.LBB94_266:
	s_andn2_b64 vcc, exec, s[24:25]
	s_cbranch_vccnz .LBB94_282
; %bb.267:
	s_cmp_lt_i32 s28, 2
	s_mov_b64 s[24:25], -1
	s_cbranch_scc1 .LBB94_277
; %bb.268:
	s_cmp_lt_i32 s28, 3
	s_cbranch_scc1 .LBB94_274
; %bb.269:
	s_cmp_gt_i32 s28, 3
	s_cbranch_scc0 .LBB94_271
; %bb.270:
	s_mov_b32 s24, 0
	v_cndmask_b32_e64 v2, 0, 1, s[16:17]
	v_mov_b32_e32 v3, s24
	global_store_dwordx2 v[0:1], v[2:3], off
	s_mov_b64 s[24:25], 0
.LBB94_271:
	s_andn2_b64 vcc, exec, s[24:25]
	s_cbranch_vccnz .LBB94_273
; %bb.272:
	v_cndmask_b32_e64 v2, 0, 1, s[16:17]
	global_store_dword v[0:1], v2, off
.LBB94_273:
	s_mov_b64 s[24:25], 0
.LBB94_274:
	s_andn2_b64 vcc, exec, s[24:25]
	s_cbranch_vccnz .LBB94_276
; %bb.275:
	v_cndmask_b32_e64 v2, 0, 1, s[16:17]
	global_store_short v[0:1], v2, off
.LBB94_276:
	s_mov_b64 s[24:25], 0
.LBB94_277:
	s_andn2_b64 vcc, exec, s[24:25]
	s_cbranch_vccnz .LBB94_282
; %bb.278:
	s_mov_b64 s[24:25], -1
	s_cmp_gt_i32 s28, 0
	v_cndmask_b32_e64 v2, 0, 1, s[16:17]
	s_cbranch_scc0 .LBB94_280
; %bb.279:
	global_store_byte v[0:1], v2, off
	s_mov_b64 s[24:25], 0
.LBB94_280:
	s_andn2_b64 vcc, exec, s[24:25]
	s_cbranch_vccnz .LBB94_282
; %bb.281:
	global_store_byte v[0:1], v2, off
.LBB94_282:
	s_mov_b64 s[24:25], -1
.LBB94_283:
	s_andn2_b64 vcc, exec, s[24:25]
	s_cbranch_vccnz .LBB94_285
; %bb.284:
	v_add_u32_e32 v6, 0x80, v6
	s_mov_b64 s[24:25], -1
	s_branch .LBB94_398
.LBB94_285:
	s_mov_b64 s[24:25], 0
                                        ; implicit-def: $vgpr6
	s_branch .LBB94_398
.LBB94_286:
	s_mov_b64 s[18:19], -1
                                        ; implicit-def: $vgpr4_vgpr5
.LBB94_287:
	s_mov_b64 s[16:17], 0
.LBB94_288:
	s_and_b64 vcc, exec, s[16:17]
	s_cbranch_vccz .LBB94_292
; %bb.289:
	s_cmp_eq_u32 s29, 29
	s_cbranch_scc0 .LBB94_291
; %bb.290:
	global_load_dwordx2 v[4:5], v[2:3], off
	s_mov_b64 s[0:1], -1
	s_mov_b64 s[18:19], 0
	s_mov_b64 s[16:17], 0
	s_waitcnt vmcnt(0)
	v_cvt_f64_u32_e32 v[7:8], v5
	v_cvt_f64_u32_e32 v[4:5], v4
	v_ldexp_f64 v[7:8], v[7:8], 32
	v_add_f64 v[4:5], v[7:8], v[4:5]
	s_branch .LBB94_293
.LBB94_291:
	s_mov_b64 s[18:19], -1
                                        ; implicit-def: $vgpr4_vgpr5
.LBB94_292:
	s_mov_b64 s[16:17], 0
.LBB94_293:
	s_and_b64 vcc, exec, s[16:17]
	s_cbranch_vccz .LBB94_313
; %bb.294:
	s_cmp_lt_i32 s29, 27
	s_cbranch_scc1 .LBB94_297
; %bb.295:
	s_cmp_gt_i32 s29, 27
	s_cbranch_scc0 .LBB94_298
; %bb.296:
	global_load_dword v4, v[2:3], off
	s_mov_b64 s[0:1], 0
	s_waitcnt vmcnt(0)
	v_cvt_f64_u32_e32 v[4:5], v4
	s_branch .LBB94_299
.LBB94_297:
	s_mov_b64 s[0:1], -1
                                        ; implicit-def: $vgpr4_vgpr5
	s_branch .LBB94_302
.LBB94_298:
	s_mov_b64 s[0:1], -1
                                        ; implicit-def: $vgpr4_vgpr5
.LBB94_299:
	s_andn2_b64 vcc, exec, s[0:1]
	s_cbranch_vccnz .LBB94_301
; %bb.300:
	global_load_ushort v4, v[2:3], off
	s_waitcnt vmcnt(0)
	v_cvt_f64_u32_e32 v[4:5], v4
.LBB94_301:
	s_mov_b64 s[0:1], 0
.LBB94_302:
	s_andn2_b64 vcc, exec, s[0:1]
	s_cbranch_vccnz .LBB94_312
; %bb.303:
	global_load_ubyte v7, v[2:3], off
	s_movk_i32 s0, 0x7f
	s_waitcnt vmcnt(0)
	v_cmp_lt_i16_e32 vcc, s0, v7
	s_mov_b64 s[0:1], 0
	s_and_saveexec_b64 s[16:17], vcc
	s_xor_b64 s[16:17], exec, s[16:17]
	s_cbranch_execz .LBB94_307
; %bb.304:
	s_movk_i32 s0, 0x80
	v_cmp_eq_u16_e32 vcc, s0, v7
	s_mov_b64 s[0:1], -1
	s_and_saveexec_b64 s[24:25], vcc
; %bb.305:
	s_xor_b64 s[0:1], exec, -1
; %bb.306:
	s_or_b64 exec, exec, s[24:25]
	s_and_b64 s[0:1], s[0:1], exec
.LBB94_307:
	s_or_saveexec_b64 s[16:17], s[16:17]
	v_bfrev_b32_e32 v4, 4
	v_mov_b32_e32 v5, 0x7ff80000
	s_xor_b64 exec, exec, s[16:17]
; %bb.308:
	v_cmp_ne_u16_e32 vcc, 0, v7
	v_mov_b32_e32 v4, 0
	s_andn2_b64 s[0:1], s[0:1], exec
	s_and_b64 s[24:25], vcc, exec
	v_mov_b32_e32 v5, 0
	s_or_b64 s[0:1], s[0:1], s[24:25]
; %bb.309:
	s_or_b64 exec, exec, s[16:17]
	s_and_saveexec_b64 s[16:17], s[0:1]
	s_cbranch_execz .LBB94_311
; %bb.310:
	v_and_b32_e32 v5, 0xffff, v7
	v_lshlrev_b32_e32 v4, 24, v7
	v_and_b32_e32 v7, 7, v5
	v_ffbh_u32_e32 v9, v7
	v_min_u32_e32 v9, 32, v9
	v_subrev_u32_e32 v10, 28, v9
	v_bfe_u32 v8, v5, 3, 4
	v_lshlrev_b32_e32 v5, v10, v5
	v_sub_u32_e32 v9, 29, v9
	v_and_b32_e32 v5, 7, v5
	v_cmp_eq_u32_e32 vcc, 0, v8
	v_cndmask_b32_e32 v8, v8, v9, vcc
	v_cndmask_b32_e32 v5, v7, v5, vcc
	v_mov_b32_e32 v7, 0x3b800000
	v_lshlrev_b32_e32 v5, 20, v5
	v_and_b32_e32 v4, 0x80000000, v4
	v_lshl_add_u32 v7, v8, 23, v7
	v_or3_b32 v4, v4, v7, v5
	v_cvt_f64_f32_e32 v[4:5], v4
.LBB94_311:
	s_or_b64 exec, exec, s[16:17]
.LBB94_312:
	s_mov_b64 s[0:1], -1
.LBB94_313:
	s_mov_b64 s[16:17], 0
.LBB94_314:
	s_and_b64 vcc, exec, s[16:17]
	s_cbranch_vccz .LBB94_347
; %bb.315:
	s_cmp_gt_i32 s29, 22
	s_cbranch_scc0 .LBB94_327
; %bb.316:
	s_cmp_lt_i32 s29, 24
	s_cbranch_scc1 .LBB94_328
; %bb.317:
	s_cmp_gt_i32 s29, 24
	s_cbranch_scc0 .LBB94_329
; %bb.318:
	global_load_ubyte v7, v[2:3], off
	s_movk_i32 s0, 0x7f
	s_waitcnt vmcnt(0)
	v_cmp_lt_i16_e32 vcc, s0, v7
	s_mov_b64 s[0:1], 0
	s_and_saveexec_b64 s[16:17], vcc
	s_xor_b64 s[16:17], exec, s[16:17]
	s_cbranch_execz .LBB94_322
; %bb.319:
	s_movk_i32 s0, 0x80
	v_cmp_eq_u16_e32 vcc, s0, v7
	s_mov_b64 s[0:1], -1
	s_and_saveexec_b64 s[24:25], vcc
; %bb.320:
	s_xor_b64 s[0:1], exec, -1
; %bb.321:
	s_or_b64 exec, exec, s[24:25]
	s_and_b64 s[0:1], s[0:1], exec
.LBB94_322:
	s_or_saveexec_b64 s[16:17], s[16:17]
	v_bfrev_b32_e32 v4, 4
	v_mov_b32_e32 v5, 0x7ff80000
	s_xor_b64 exec, exec, s[16:17]
; %bb.323:
	v_cmp_ne_u16_e32 vcc, 0, v7
	v_mov_b32_e32 v4, 0
	s_andn2_b64 s[0:1], s[0:1], exec
	s_and_b64 s[24:25], vcc, exec
	v_mov_b32_e32 v5, 0
	s_or_b64 s[0:1], s[0:1], s[24:25]
; %bb.324:
	s_or_b64 exec, exec, s[16:17]
	s_and_saveexec_b64 s[16:17], s[0:1]
	s_cbranch_execz .LBB94_326
; %bb.325:
	v_and_b32_e32 v5, 0xffff, v7
	v_lshlrev_b32_e32 v4, 24, v7
	v_and_b32_e32 v7, 3, v5
	v_ffbh_u32_e32 v9, v7
	v_min_u32_e32 v9, 32, v9
	v_subrev_u32_e32 v10, 29, v9
	v_bfe_u32 v8, v5, 2, 5
	v_lshlrev_b32_e32 v5, v10, v5
	v_sub_u32_e32 v9, 30, v9
	v_and_b32_e32 v5, 3, v5
	v_cmp_eq_u32_e32 vcc, 0, v8
	v_cndmask_b32_e32 v8, v8, v9, vcc
	v_cndmask_b32_e32 v5, v7, v5, vcc
	v_mov_b32_e32 v7, 0x37800000
	v_lshlrev_b32_e32 v5, 21, v5
	v_and_b32_e32 v4, 0x80000000, v4
	v_lshl_add_u32 v7, v8, 23, v7
	v_or3_b32 v4, v4, v7, v5
	v_cvt_f64_f32_e32 v[4:5], v4
.LBB94_326:
	s_or_b64 exec, exec, s[16:17]
	s_mov_b64 s[0:1], 0
	s_branch .LBB94_330
.LBB94_327:
	s_mov_b64 s[16:17], -1
                                        ; implicit-def: $vgpr4_vgpr5
	s_branch .LBB94_336
.LBB94_328:
	s_mov_b64 s[0:1], -1
                                        ; implicit-def: $vgpr4_vgpr5
	s_branch .LBB94_333
.LBB94_329:
	s_mov_b64 s[0:1], -1
                                        ; implicit-def: $vgpr4_vgpr5
.LBB94_330:
	s_and_b64 vcc, exec, s[0:1]
	s_cbranch_vccz .LBB94_332
; %bb.331:
	global_load_ubyte v4, v[2:3], off
	s_mov_b32 s0, 0x7f800000
	s_waitcnt vmcnt(0)
	v_lshlrev_b32_e32 v4, 24, v4
	v_and_b32_e32 v5, 0x7f000000, v4
	v_ffbh_u32_e32 v7, v5
	v_min_u32_e32 v7, 32, v7
	v_sub_u32_e64 v7, v7, 4 clamp
	v_lshlrev_b32_e32 v9, v7, v5
	v_lshlrev_b32_e32 v7, 23, v7
	v_lshrrev_b32_e32 v9, 4, v9
	v_add_u32_e32 v8, 0x1000000, v5
	v_sub_u32_e32 v7, v9, v7
	v_ashrrev_i32_e32 v8, 8, v8
	v_add_u32_e32 v7, 0x3c000000, v7
	v_and_or_b32 v7, v8, s0, v7
	v_cmp_ne_u32_e32 vcc, 0, v5
	v_cndmask_b32_e32 v5, 0, v7, vcc
	s_brev_b32 s0, 1
	v_and_or_b32 v4, v4, s0, v5
	v_cvt_f64_f32_e32 v[4:5], v4
.LBB94_332:
	s_mov_b64 s[0:1], 0
.LBB94_333:
	s_andn2_b64 vcc, exec, s[0:1]
	s_cbranch_vccnz .LBB94_335
; %bb.334:
	global_load_ubyte v4, v[2:3], off
	s_movk_i32 s0, 0x7f00
	s_brev_b32 s1, 16
	s_waitcnt vmcnt(0)
	v_lshlrev_b16_e32 v5, 8, v4
	v_lshlrev_b32_e32 v4, 25, v4
	v_lshrrev_b32_e32 v7, 4, v4
	v_and_or_b32 v8, v5, s0, 0.5
	v_or_b32_e32 v7, 0x70000000, v7
	v_add_f32_e32 v8, -0.5, v8
	v_mul_f32_e32 v7, 0x7800000, v7
	v_cmp_gt_u32_e32 vcc, s1, v4
	v_bfe_i32 v5, v5, 0, 16
	v_cndmask_b32_e32 v4, v7, v8, vcc
	s_brev_b32 s0, 1
	v_and_or_b32 v4, v5, s0, v4
	v_cvt_f64_f32_e32 v[4:5], v4
.LBB94_335:
	s_mov_b64 s[16:17], 0
	s_mov_b64 s[0:1], -1
.LBB94_336:
	s_andn2_b64 vcc, exec, s[16:17]
	s_cbranch_vccnz .LBB94_347
; %bb.337:
	s_cmp_gt_i32 s29, 14
	s_cbranch_scc0 .LBB94_340
; %bb.338:
	s_cmp_eq_u32 s29, 15
	s_cbranch_scc0 .LBB94_341
; %bb.339:
	global_load_ushort v4, v[2:3], off
	s_mov_b64 s[0:1], -1
	s_mov_b64 s[18:19], 0
	s_waitcnt vmcnt(0)
	v_lshlrev_b32_e32 v4, 16, v4
	v_cvt_f64_f32_e32 v[4:5], v4
	s_branch .LBB94_342
.LBB94_340:
	s_mov_b64 s[16:17], -1
                                        ; implicit-def: $vgpr4_vgpr5
	s_branch .LBB94_343
.LBB94_341:
	s_mov_b64 s[18:19], -1
                                        ; implicit-def: $vgpr4_vgpr5
.LBB94_342:
	s_mov_b64 s[16:17], 0
.LBB94_343:
	s_and_b64 vcc, exec, s[16:17]
	s_cbranch_vccz .LBB94_347
; %bb.344:
	s_cmp_eq_u32 s29, 11
	s_cbranch_scc0 .LBB94_346
; %bb.345:
	global_load_ubyte v5, v[2:3], off
	v_mov_b32_e32 v7, 0x3ff00000
	v_mov_b32_e32 v4, 0
	s_mov_b64 s[0:1], -1
	s_mov_b64 s[18:19], 0
	s_waitcnt vmcnt(0)
	v_cmp_ne_u16_e32 vcc, 0, v5
	v_cndmask_b32_e32 v5, 0, v7, vcc
	s_branch .LBB94_347
.LBB94_346:
	s_mov_b64 s[18:19], -1
                                        ; implicit-def: $vgpr4_vgpr5
.LBB94_347:
	s_branch .LBB94_20
.LBB94_348:
	s_and_b32 s16, 0xffff, s28
	s_cmp_lt_i32 s16, 5
	s_cbranch_scc1 .LBB94_353
; %bb.349:
	s_cmp_lt_i32 s16, 8
	s_cbranch_scc1 .LBB94_354
; %bb.350:
	;; [unrolled: 3-line block ×3, first 2 shown]
	s_cmp_gt_i32 s16, 9
	s_cbranch_scc0 .LBB94_356
; %bb.352:
	global_load_dwordx2 v[4:5], v[2:3], off
	s_mov_b64 s[0:1], 0
	s_branch .LBB94_357
.LBB94_353:
	s_mov_b64 s[0:1], -1
                                        ; implicit-def: $vgpr4_vgpr5
	s_branch .LBB94_375
.LBB94_354:
	s_mov_b64 s[0:1], -1
                                        ; implicit-def: $vgpr4_vgpr5
	s_branch .LBB94_363
.LBB94_355:
	s_mov_b64 s[0:1], -1
                                        ; implicit-def: $vgpr4_vgpr5
	s_branch .LBB94_360
.LBB94_356:
	s_mov_b64 s[0:1], -1
                                        ; implicit-def: $vgpr4_vgpr5
.LBB94_357:
	s_andn2_b64 vcc, exec, s[0:1]
	s_cbranch_vccnz .LBB94_359
; %bb.358:
	global_load_dword v4, v[2:3], off
	s_waitcnt vmcnt(0)
	v_cvt_f64_f32_e32 v[4:5], v4
.LBB94_359:
	s_mov_b64 s[0:1], 0
.LBB94_360:
	s_andn2_b64 vcc, exec, s[0:1]
	s_cbranch_vccnz .LBB94_362
; %bb.361:
	global_load_dword v4, v[2:3], off
	s_waitcnt vmcnt(0)
	v_cvt_f32_f16_e32 v4, v4
	v_cvt_f64_f32_e32 v[4:5], v4
.LBB94_362:
	s_mov_b64 s[0:1], 0
.LBB94_363:
	s_andn2_b64 vcc, exec, s[0:1]
	s_cbranch_vccnz .LBB94_374
; %bb.364:
	s_cmp_lt_i32 s16, 6
	s_cbranch_scc1 .LBB94_367
; %bb.365:
	s_cmp_gt_i32 s16, 6
	s_cbranch_scc0 .LBB94_368
; %bb.366:
	global_load_dwordx2 v[4:5], v[2:3], off
	s_mov_b64 s[0:1], 0
	s_branch .LBB94_369
.LBB94_367:
	s_mov_b64 s[0:1], -1
                                        ; implicit-def: $vgpr4_vgpr5
	s_branch .LBB94_372
.LBB94_368:
	s_mov_b64 s[0:1], -1
                                        ; implicit-def: $vgpr4_vgpr5
.LBB94_369:
	s_andn2_b64 vcc, exec, s[0:1]
	s_cbranch_vccnz .LBB94_371
; %bb.370:
	global_load_dword v4, v[2:3], off
	s_waitcnt vmcnt(0)
	v_cvt_f64_f32_e32 v[4:5], v4
.LBB94_371:
	s_mov_b64 s[0:1], 0
.LBB94_372:
	s_andn2_b64 vcc, exec, s[0:1]
	s_cbranch_vccnz .LBB94_374
; %bb.373:
	global_load_ushort v4, v[2:3], off
	s_waitcnt vmcnt(0)
	v_cvt_f32_f16_e32 v4, v4
	v_cvt_f64_f32_e32 v[4:5], v4
.LBB94_374:
	s_mov_b64 s[0:1], 0
.LBB94_375:
	s_andn2_b64 vcc, exec, s[0:1]
	s_cbranch_vccnz .LBB94_395
; %bb.376:
	s_cmp_lt_i32 s16, 2
	s_cbranch_scc1 .LBB94_380
; %bb.377:
	s_cmp_lt_i32 s16, 3
	s_cbranch_scc1 .LBB94_381
; %bb.378:
	s_cmp_gt_i32 s16, 3
	s_cbranch_scc0 .LBB94_382
; %bb.379:
	global_load_dwordx2 v[4:5], v[2:3], off
	s_mov_b64 s[0:1], 0
	s_waitcnt vmcnt(0)
	v_cvt_f64_i32_e32 v[7:8], v5
	v_cvt_f64_u32_e32 v[4:5], v4
	v_ldexp_f64 v[7:8], v[7:8], 32
	v_add_f64 v[4:5], v[7:8], v[4:5]
	s_branch .LBB94_383
.LBB94_380:
	s_mov_b64 s[0:1], -1
                                        ; implicit-def: $vgpr4_vgpr5
	s_branch .LBB94_389
.LBB94_381:
	s_mov_b64 s[0:1], -1
                                        ; implicit-def: $vgpr4_vgpr5
	s_branch .LBB94_386
.LBB94_382:
	s_mov_b64 s[0:1], -1
                                        ; implicit-def: $vgpr4_vgpr5
.LBB94_383:
	s_andn2_b64 vcc, exec, s[0:1]
	s_cbranch_vccnz .LBB94_385
; %bb.384:
	global_load_dword v4, v[2:3], off
	s_waitcnt vmcnt(0)
	v_cvt_f64_i32_e32 v[4:5], v4
.LBB94_385:
	s_mov_b64 s[0:1], 0
.LBB94_386:
	s_andn2_b64 vcc, exec, s[0:1]
	s_cbranch_vccnz .LBB94_388
; %bb.387:
	global_load_sshort v4, v[2:3], off
	s_waitcnt vmcnt(0)
	v_cvt_f64_i32_e32 v[4:5], v4
.LBB94_388:
	s_mov_b64 s[0:1], 0
.LBB94_389:
	s_andn2_b64 vcc, exec, s[0:1]
	s_cbranch_vccnz .LBB94_395
; %bb.390:
	s_cmp_gt_i32 s16, 0
	s_cbranch_scc0 .LBB94_392
; %bb.391:
	global_load_sbyte v4, v[2:3], off
	s_mov_b64 s[0:1], 0
	s_waitcnt vmcnt(0)
	v_cvt_f64_i32_e32 v[4:5], v4
	s_branch .LBB94_393
.LBB94_392:
	s_mov_b64 s[0:1], -1
                                        ; implicit-def: $vgpr4_vgpr5
.LBB94_393:
	s_andn2_b64 vcc, exec, s[0:1]
	s_cbranch_vccnz .LBB94_395
; %bb.394:
	global_load_ubyte v2, v[2:3], off
	s_waitcnt vmcnt(0)
	v_cvt_f64_u32_e32 v[4:5], v2
.LBB94_395:
	s_branch .LBB94_21
.LBB94_396:
	s_mov_b64 s[0:1], 0
.LBB94_397:
                                        ; implicit-def: $vgpr6
	s_mov_b64 s[24:25], 0
.LBB94_398:
	s_and_b64 s[16:17], s[0:1], exec
	s_and_b64 s[18:19], s[18:19], exec
	;; [unrolled: 1-line block ×3, first 2 shown]
	s_orn2_b64 s[0:1], s[24:25], exec
.LBB94_399:
	s_or_b64 exec, exec, s[22:23]
	s_mov_b64 s[30:31], 0
	s_mov_b64 s[28:29], 0
                                        ; implicit-def: $sgpr56
                                        ; implicit-def: $vgpr2_vgpr3
                                        ; implicit-def: $vgpr0_vgpr1
	s_and_saveexec_b64 s[22:23], s[0:1]
	s_cbranch_execz .LBB94_408
; %bb.400:
	v_cmp_gt_i32_e32 vcc, s48, v6
	s_mov_b64 s[0:1], -1
	s_mov_b64 s[24:25], s[20:21]
	s_mov_b64 s[26:27], s[18:19]
	;; [unrolled: 1-line block ×3, first 2 shown]
	s_and_saveexec_b64 s[30:31], vcc
	s_cbranch_execz .LBB94_806
; %bb.401:
	s_waitcnt vmcnt(0)
	v_mul_lo_u32 v0, v6, s13
	v_mov_b32_e32 v1, s11
	s_and_b32 s34, s55, 0xff
	s_cmp_lt_i32 s34, 11
	v_ashrrev_i32_e32 v3, 31, v0
	v_add_co_u32_e32 v2, vcc, s10, v0
	v_addc_co_u32_e32 v3, vcc, v1, v3, vcc
	s_cbranch_scc1 .LBB94_411
; %bb.402:
	s_and_b32 s35, 0xffff, s34
	s_cmp_gt_i32 s35, 25
	s_cbranch_scc0 .LBB94_420
; %bb.403:
	s_cmp_gt_i32 s35, 28
	s_cbranch_scc0 .LBB94_422
; %bb.404:
	;; [unrolled: 3-line block ×4, first 2 shown]
	s_cmp_eq_u32 s35, 46
	s_mov_b64 s[26:27], 0
	s_cbranch_scc0 .LBB94_430
; %bb.407:
	global_load_dword v0, v[2:3], off
	s_mov_b64 s[24:25], 0
	s_waitcnt vmcnt(0)
	v_lshlrev_b32_e32 v0, 16, v0
	v_cvt_f64_f32_e32 v[0:1], v0
	s_branch .LBB94_431
.LBB94_408:
	s_or_b64 exec, exec, s[22:23]
	s_mov_b64 s[22:23], 0
	s_and_saveexec_b64 s[0:1], s[20:21]
	s_cbranch_execnz .LBB94_1298
.LBB94_409:
	s_or_b64 exec, exec, s[0:1]
	s_and_saveexec_b64 s[0:1], s[26:27]
	s_xor_b64 s[0:1], exec, s[0:1]
	s_cbranch_execz .LBB94_1299
.LBB94_410:
	global_load_ubyte v1, v[2:3], off
	s_waitcnt vmcnt(1)
	v_mov_b32_e32 v4, 0x3ff00000
	v_mov_b32_e32 v0, 0
	s_or_b64 s[28:29], s[28:29], exec
	s_waitcnt vmcnt(0)
	v_cmp_ne_u16_e32 vcc, 0, v1
	v_cndmask_b32_e32 v1, 0, v4, vcc
	s_or_b64 exec, exec, s[0:1]
	s_and_saveexec_b64 s[0:1], s[30:31]
	s_cbranch_execz .LBB94_1345
	s_branch .LBB94_1300
.LBB94_411:
	s_mov_b64 s[0:1], 0
                                        ; implicit-def: $vgpr0_vgpr1
	s_mov_b64 s[24:25], s[20:21]
	s_cbranch_execnz .LBB94_497
.LBB94_412:
	s_andn2_b64 vcc, exec, s[0:1]
	s_cbranch_vccnz .LBB94_545
.LBB94_413:
	v_mul_lo_u32 v2, v6, s14
	v_mov_b32_e32 v3, s3
	s_and_b32 s36, s54, 0xff
	s_cmp_lt_i32 s36, 11
	v_ashrrev_i32_e32 v4, 31, v2
	v_add_co_u32_e32 v2, vcc, s2, v2
	v_addc_co_u32_e32 v3, vcc, v3, v4, vcc
	s_cbranch_scc1 .LBB94_421
; %bb.414:
	s_and_b32 s37, 0xffff, s36
	s_cmp_gt_i32 s37, 25
	s_cbranch_scc0 .LBB94_423
; %bb.415:
	s_cmp_gt_i32 s37, 28
	s_cbranch_scc0 .LBB94_425
; %bb.416:
	;; [unrolled: 3-line block ×4, first 2 shown]
	s_cmp_eq_u32 s37, 46
	s_mov_b64 s[28:29], 0
	s_cbranch_scc0 .LBB94_549
; %bb.419:
	global_load_dword v4, v[2:3], off
	s_mov_b64 s[0:1], -1
	s_mov_b64 s[26:27], 0
	s_waitcnt vmcnt(0)
	v_lshlrev_b32_e32 v4, 16, v4
	v_cvt_f64_f32_e32 v[4:5], v4
	s_branch .LBB94_550
.LBB94_420:
	s_mov_b64 s[26:27], -1
	s_mov_b64 s[0:1], 0
	s_mov_b64 s[24:25], s[20:21]
                                        ; implicit-def: $vgpr0_vgpr1
	s_branch .LBB94_463
.LBB94_421:
	s_mov_b64 s[28:29], -1
	s_mov_b64 s[0:1], 0
                                        ; implicit-def: $vgpr4_vgpr5
	s_mov_b64 s[26:27], s[18:19]
	s_branch .LBB94_615
.LBB94_422:
	s_mov_b64 s[26:27], -1
	s_mov_b64 s[0:1], 0
	s_mov_b64 s[24:25], s[20:21]
                                        ; implicit-def: $vgpr0_vgpr1
	s_branch .LBB94_442
.LBB94_423:
	s_mov_b64 s[28:29], -1
	s_mov_b64 s[0:1], 0
	s_mov_b64 s[26:27], s[18:19]
                                        ; implicit-def: $vgpr4_vgpr5
	s_branch .LBB94_581
.LBB94_424:
	s_mov_b64 s[26:27], -1
	s_mov_b64 s[0:1], 0
	s_mov_b64 s[24:25], s[20:21]
                                        ; implicit-def: $vgpr0_vgpr1
	s_branch .LBB94_437
.LBB94_425:
	s_mov_b64 s[28:29], -1
	s_mov_b64 s[0:1], 0
	s_mov_b64 s[26:27], s[18:19]
                                        ; implicit-def: $vgpr4_vgpr5
	s_branch .LBB94_560
.LBB94_426:
	s_mov_b64 s[26:27], -1
	s_mov_b64 s[0:1], 0
	s_mov_b64 s[24:25], s[20:21]
                                        ; implicit-def: $vgpr0_vgpr1
	s_branch .LBB94_431
.LBB94_427:
	s_mov_b64 s[28:29], -1
	s_mov_b64 s[0:1], 0
	s_mov_b64 s[26:27], s[18:19]
                                        ; implicit-def: $vgpr4_vgpr5
	s_branch .LBB94_555
.LBB94_428:
	s_andn2_saveexec_b64 s[30:31], s[30:31]
	s_cbranch_execz .LBB94_196
.LBB94_429:
	v_add_f32_e32 v2, 0x46000000, v3
	v_and_b32_e32 v2, 0xff, v2
	v_cmp_ne_u32_e32 vcc, 0, v2
	s_andn2_b64 s[28:29], s[28:29], exec
	s_and_b64 s[36:37], vcc, exec
	s_or_b64 s[28:29], s[28:29], s[36:37]
	s_or_b64 exec, exec, s[30:31]
	v_mov_b32_e32 v4, 0
	s_and_saveexec_b64 s[30:31], s[28:29]
	s_cbranch_execnz .LBB94_197
	s_branch .LBB94_198
.LBB94_430:
	s_mov_b64 s[24:25], -1
                                        ; implicit-def: $vgpr0_vgpr1
	s_mov_b64 s[0:1], 0
.LBB94_431:
	s_and_b64 vcc, exec, s[26:27]
	s_cbranch_vccz .LBB94_436
; %bb.432:
	s_cmp_eq_u32 s35, 44
	s_cbranch_scc0 .LBB94_435
; %bb.433:
	global_load_ubyte v4, v[2:3], off
	s_movk_i32 s24, 0xff
	v_bfrev_b32_e32 v5, 4
	v_mov_b32_e32 v7, 0x7ff80000
	v_bfrev_b32_e32 v8, 28
	s_mov_b64 s[0:1], -1
	s_waitcnt vmcnt(0)
	v_lshlrev_b32_e32 v0, 23, v4
	v_cvt_f64_f32_e32 v[0:1], v0
	v_cmp_ne_u32_e32 vcc, s24, v4
	s_mov_b64 s[24:25], 0
	v_cndmask_b32_e32 v0, v5, v0, vcc
	v_cndmask_b32_e32 v1, v7, v1, vcc
	v_cmp_ne_u32_e32 vcc, 0, v4
	v_cndmask_b32_e32 v1, v8, v1, vcc
	v_cndmask_b32_e32 v0, 0, v0, vcc
	s_branch .LBB94_436
.LBB94_434:
	s_mov_b64 s[28:29], -1
	s_mov_b64 s[0:1], 0
	s_mov_b64 s[26:27], s[18:19]
                                        ; implicit-def: $vgpr4_vgpr5
	s_branch .LBB94_550
.LBB94_435:
	s_mov_b64 s[24:25], -1
                                        ; implicit-def: $vgpr0_vgpr1
.LBB94_436:
	s_mov_b64 s[26:27], 0
.LBB94_437:
	s_and_b64 vcc, exec, s[26:27]
	s_cbranch_vccz .LBB94_441
; %bb.438:
	s_cmp_eq_u32 s35, 29
	s_cbranch_scc0 .LBB94_440
; %bb.439:
	global_load_dwordx2 v[0:1], v[2:3], off
	s_mov_b64 s[0:1], -1
	s_mov_b64 s[24:25], 0
	s_mov_b64 s[26:27], 0
	s_waitcnt vmcnt(0)
	v_cvt_f64_u32_e32 v[4:5], v1
	v_cvt_f64_u32_e32 v[0:1], v0
	v_ldexp_f64 v[4:5], v[4:5], 32
	v_add_f64 v[0:1], v[4:5], v[0:1]
	s_branch .LBB94_442
.LBB94_440:
	s_mov_b64 s[24:25], -1
                                        ; implicit-def: $vgpr0_vgpr1
.LBB94_441:
	s_mov_b64 s[26:27], 0
.LBB94_442:
	s_and_b64 vcc, exec, s[26:27]
	s_cbranch_vccz .LBB94_462
; %bb.443:
	s_cmp_lt_i32 s35, 27
	s_cbranch_scc1 .LBB94_446
; %bb.444:
	s_cmp_gt_i32 s35, 27
	s_cbranch_scc0 .LBB94_447
; %bb.445:
	global_load_dword v0, v[2:3], off
	s_mov_b64 s[0:1], 0
	s_waitcnt vmcnt(0)
	v_cvt_f64_u32_e32 v[0:1], v0
	s_branch .LBB94_448
.LBB94_446:
	s_mov_b64 s[0:1], -1
                                        ; implicit-def: $vgpr0_vgpr1
	s_branch .LBB94_451
.LBB94_447:
	s_mov_b64 s[0:1], -1
                                        ; implicit-def: $vgpr0_vgpr1
.LBB94_448:
	s_andn2_b64 vcc, exec, s[0:1]
	s_cbranch_vccnz .LBB94_450
; %bb.449:
	global_load_ushort v0, v[2:3], off
	s_waitcnt vmcnt(0)
	v_cvt_f64_u32_e32 v[0:1], v0
.LBB94_450:
	s_mov_b64 s[0:1], 0
.LBB94_451:
	s_andn2_b64 vcc, exec, s[0:1]
	s_cbranch_vccnz .LBB94_461
; %bb.452:
	global_load_ubyte v4, v[2:3], off
	s_movk_i32 s0, 0x7f
	s_waitcnt vmcnt(0)
	v_cmp_lt_i16_e32 vcc, s0, v4
	s_mov_b64 s[0:1], 0
	s_and_saveexec_b64 s[26:27], vcc
	s_xor_b64 s[26:27], exec, s[26:27]
	s_cbranch_execz .LBB94_456
; %bb.453:
	s_movk_i32 s0, 0x80
	v_cmp_eq_u16_e32 vcc, s0, v4
	s_mov_b64 s[0:1], -1
	s_and_saveexec_b64 s[28:29], vcc
; %bb.454:
	s_xor_b64 s[0:1], exec, -1
; %bb.455:
	s_or_b64 exec, exec, s[28:29]
	s_and_b64 s[0:1], s[0:1], exec
.LBB94_456:
	s_or_saveexec_b64 s[26:27], s[26:27]
	v_bfrev_b32_e32 v0, 4
	v_mov_b32_e32 v1, 0x7ff80000
	s_xor_b64 exec, exec, s[26:27]
; %bb.457:
	v_cmp_ne_u16_e32 vcc, 0, v4
	v_mov_b32_e32 v0, 0
	s_andn2_b64 s[0:1], s[0:1], exec
	s_and_b64 s[28:29], vcc, exec
	v_mov_b32_e32 v1, 0
	s_or_b64 s[0:1], s[0:1], s[28:29]
; %bb.458:
	s_or_b64 exec, exec, s[26:27]
	s_and_saveexec_b64 s[26:27], s[0:1]
	s_cbranch_execz .LBB94_460
; %bb.459:
	v_and_b32_e32 v1, 0xffff, v4
	v_lshlrev_b32_e32 v0, 24, v4
	v_and_b32_e32 v4, 7, v1
	v_ffbh_u32_e32 v7, v4
	v_min_u32_e32 v7, 32, v7
	v_subrev_u32_e32 v8, 28, v7
	v_bfe_u32 v5, v1, 3, 4
	v_lshlrev_b32_e32 v1, v8, v1
	v_sub_u32_e32 v7, 29, v7
	v_and_b32_e32 v1, 7, v1
	v_cmp_eq_u32_e32 vcc, 0, v5
	v_cndmask_b32_e32 v5, v5, v7, vcc
	v_cndmask_b32_e32 v1, v4, v1, vcc
	v_mov_b32_e32 v4, 0x3b800000
	v_lshlrev_b32_e32 v1, 20, v1
	v_and_b32_e32 v0, 0x80000000, v0
	v_lshl_add_u32 v4, v5, 23, v4
	v_or3_b32 v0, v0, v4, v1
	v_cvt_f64_f32_e32 v[0:1], v0
.LBB94_460:
	s_or_b64 exec, exec, s[26:27]
.LBB94_461:
	s_mov_b64 s[0:1], -1
.LBB94_462:
	s_mov_b64 s[26:27], 0
.LBB94_463:
	s_and_b64 vcc, exec, s[26:27]
	s_cbranch_vccz .LBB94_496
; %bb.464:
	s_cmp_gt_i32 s35, 22
	s_cbranch_scc0 .LBB94_476
; %bb.465:
	s_cmp_lt_i32 s35, 24
	s_cbranch_scc1 .LBB94_477
; %bb.466:
	s_cmp_gt_i32 s35, 24
	s_cbranch_scc0 .LBB94_478
; %bb.467:
	global_load_ubyte v4, v[2:3], off
	s_movk_i32 s0, 0x7f
	s_waitcnt vmcnt(0)
	v_cmp_lt_i16_e32 vcc, s0, v4
	s_mov_b64 s[0:1], 0
	s_and_saveexec_b64 s[26:27], vcc
	s_xor_b64 s[26:27], exec, s[26:27]
	s_cbranch_execz .LBB94_471
; %bb.468:
	s_movk_i32 s0, 0x80
	v_cmp_eq_u16_e32 vcc, s0, v4
	s_mov_b64 s[0:1], -1
	s_and_saveexec_b64 s[28:29], vcc
; %bb.469:
	s_xor_b64 s[0:1], exec, -1
; %bb.470:
	s_or_b64 exec, exec, s[28:29]
	s_and_b64 s[0:1], s[0:1], exec
.LBB94_471:
	s_or_saveexec_b64 s[26:27], s[26:27]
	v_bfrev_b32_e32 v0, 4
	v_mov_b32_e32 v1, 0x7ff80000
	s_xor_b64 exec, exec, s[26:27]
; %bb.472:
	v_cmp_ne_u16_e32 vcc, 0, v4
	v_mov_b32_e32 v0, 0
	s_andn2_b64 s[0:1], s[0:1], exec
	s_and_b64 s[28:29], vcc, exec
	v_mov_b32_e32 v1, 0
	s_or_b64 s[0:1], s[0:1], s[28:29]
; %bb.473:
	s_or_b64 exec, exec, s[26:27]
	s_and_saveexec_b64 s[26:27], s[0:1]
	s_cbranch_execz .LBB94_475
; %bb.474:
	v_and_b32_e32 v1, 0xffff, v4
	v_lshlrev_b32_e32 v0, 24, v4
	v_and_b32_e32 v4, 3, v1
	v_ffbh_u32_e32 v7, v4
	v_min_u32_e32 v7, 32, v7
	v_subrev_u32_e32 v8, 29, v7
	v_bfe_u32 v5, v1, 2, 5
	v_lshlrev_b32_e32 v1, v8, v1
	v_sub_u32_e32 v7, 30, v7
	v_and_b32_e32 v1, 3, v1
	v_cmp_eq_u32_e32 vcc, 0, v5
	v_cndmask_b32_e32 v5, v5, v7, vcc
	v_cndmask_b32_e32 v1, v4, v1, vcc
	v_mov_b32_e32 v4, 0x37800000
	v_lshlrev_b32_e32 v1, 21, v1
	v_and_b32_e32 v0, 0x80000000, v0
	v_lshl_add_u32 v4, v5, 23, v4
	v_or3_b32 v0, v0, v4, v1
	v_cvt_f64_f32_e32 v[0:1], v0
.LBB94_475:
	s_or_b64 exec, exec, s[26:27]
	s_mov_b64 s[0:1], 0
	s_branch .LBB94_479
.LBB94_476:
	s_mov_b64 s[26:27], -1
                                        ; implicit-def: $vgpr0_vgpr1
	s_branch .LBB94_485
.LBB94_477:
	s_mov_b64 s[0:1], -1
                                        ; implicit-def: $vgpr0_vgpr1
	s_branch .LBB94_482
.LBB94_478:
	s_mov_b64 s[0:1], -1
                                        ; implicit-def: $vgpr0_vgpr1
.LBB94_479:
	s_and_b64 vcc, exec, s[0:1]
	s_cbranch_vccz .LBB94_481
; %bb.480:
	global_load_ubyte v0, v[2:3], off
	s_mov_b32 s0, 0x7f800000
	s_waitcnt vmcnt(0)
	v_lshlrev_b32_e32 v0, 24, v0
	v_and_b32_e32 v1, 0x7f000000, v0
	v_ffbh_u32_e32 v4, v1
	v_min_u32_e32 v4, 32, v4
	v_sub_u32_e64 v4, v4, 4 clamp
	v_lshlrev_b32_e32 v7, v4, v1
	v_lshlrev_b32_e32 v4, 23, v4
	v_lshrrev_b32_e32 v7, 4, v7
	v_add_u32_e32 v5, 0x1000000, v1
	v_sub_u32_e32 v4, v7, v4
	v_ashrrev_i32_e32 v5, 8, v5
	v_add_u32_e32 v4, 0x3c000000, v4
	v_and_or_b32 v4, v5, s0, v4
	v_cmp_ne_u32_e32 vcc, 0, v1
	v_cndmask_b32_e32 v1, 0, v4, vcc
	s_brev_b32 s0, 1
	v_and_or_b32 v0, v0, s0, v1
	v_cvt_f64_f32_e32 v[0:1], v0
.LBB94_481:
	s_mov_b64 s[0:1], 0
.LBB94_482:
	s_andn2_b64 vcc, exec, s[0:1]
	s_cbranch_vccnz .LBB94_484
; %bb.483:
	global_load_ubyte v0, v[2:3], off
	s_movk_i32 s0, 0x7f00
	s_brev_b32 s1, 16
	s_waitcnt vmcnt(0)
	v_lshlrev_b16_e32 v1, 8, v0
	v_lshlrev_b32_e32 v0, 25, v0
	v_lshrrev_b32_e32 v4, 4, v0
	v_and_or_b32 v5, v1, s0, 0.5
	v_or_b32_e32 v4, 0x70000000, v4
	v_add_f32_e32 v5, -0.5, v5
	v_mul_f32_e32 v4, 0x7800000, v4
	v_cmp_gt_u32_e32 vcc, s1, v0
	v_bfe_i32 v1, v1, 0, 16
	v_cndmask_b32_e32 v0, v4, v5, vcc
	s_brev_b32 s0, 1
	v_and_or_b32 v0, v1, s0, v0
	v_cvt_f64_f32_e32 v[0:1], v0
.LBB94_484:
	s_mov_b64 s[26:27], 0
	s_mov_b64 s[0:1], -1
.LBB94_485:
	s_andn2_b64 vcc, exec, s[26:27]
	s_cbranch_vccnz .LBB94_496
; %bb.486:
	s_cmp_gt_i32 s35, 14
	s_cbranch_scc0 .LBB94_489
; %bb.487:
	s_cmp_eq_u32 s35, 15
	s_cbranch_scc0 .LBB94_490
; %bb.488:
	global_load_ushort v0, v[2:3], off
	s_mov_b64 s[0:1], -1
	s_mov_b64 s[24:25], 0
	s_waitcnt vmcnt(0)
	v_lshlrev_b32_e32 v0, 16, v0
	v_cvt_f64_f32_e32 v[0:1], v0
	s_branch .LBB94_491
.LBB94_489:
	s_mov_b64 s[26:27], -1
                                        ; implicit-def: $vgpr0_vgpr1
	s_branch .LBB94_492
.LBB94_490:
	s_mov_b64 s[24:25], -1
                                        ; implicit-def: $vgpr0_vgpr1
.LBB94_491:
	s_mov_b64 s[26:27], 0
.LBB94_492:
	s_and_b64 vcc, exec, s[26:27]
	s_cbranch_vccz .LBB94_496
; %bb.493:
	s_cmp_eq_u32 s35, 11
	s_cbranch_scc0 .LBB94_495
; %bb.494:
	global_load_ubyte v1, v[2:3], off
	v_mov_b32_e32 v4, 0x3ff00000
	v_mov_b32_e32 v0, 0
	s_mov_b64 s[0:1], -1
	s_mov_b64 s[24:25], 0
	s_waitcnt vmcnt(0)
	v_cmp_ne_u16_e32 vcc, 0, v1
	v_cndmask_b32_e32 v1, 0, v4, vcc
	s_branch .LBB94_496
.LBB94_495:
	s_mov_b64 s[24:25], -1
                                        ; implicit-def: $vgpr0_vgpr1
.LBB94_496:
	s_branch .LBB94_412
.LBB94_497:
	s_and_b32 s26, 0xffff, s34
	s_cmp_lt_i32 s26, 5
	s_cbranch_scc1 .LBB94_502
; %bb.498:
	s_cmp_lt_i32 s26, 8
	s_cbranch_scc1 .LBB94_503
; %bb.499:
	;; [unrolled: 3-line block ×3, first 2 shown]
	s_cmp_gt_i32 s26, 9
	s_cbranch_scc0 .LBB94_505
; %bb.501:
	global_load_dwordx2 v[0:1], v[2:3], off
	s_mov_b64 s[0:1], 0
	s_branch .LBB94_506
.LBB94_502:
	s_mov_b64 s[0:1], -1
                                        ; implicit-def: $vgpr0_vgpr1
	s_branch .LBB94_524
.LBB94_503:
	s_mov_b64 s[0:1], -1
                                        ; implicit-def: $vgpr0_vgpr1
	s_branch .LBB94_512
.LBB94_504:
	s_mov_b64 s[0:1], -1
                                        ; implicit-def: $vgpr0_vgpr1
	s_branch .LBB94_509
.LBB94_505:
	s_mov_b64 s[0:1], -1
                                        ; implicit-def: $vgpr0_vgpr1
.LBB94_506:
	s_andn2_b64 vcc, exec, s[0:1]
	s_cbranch_vccnz .LBB94_508
; %bb.507:
	global_load_dword v0, v[2:3], off
	s_waitcnt vmcnt(0)
	v_cvt_f64_f32_e32 v[0:1], v0
.LBB94_508:
	s_mov_b64 s[0:1], 0
.LBB94_509:
	s_andn2_b64 vcc, exec, s[0:1]
	s_cbranch_vccnz .LBB94_511
; %bb.510:
	global_load_dword v0, v[2:3], off
	s_waitcnt vmcnt(0)
	v_cvt_f32_f16_e32 v0, v0
	v_cvt_f64_f32_e32 v[0:1], v0
.LBB94_511:
	s_mov_b64 s[0:1], 0
.LBB94_512:
	s_andn2_b64 vcc, exec, s[0:1]
	s_cbranch_vccnz .LBB94_523
; %bb.513:
	s_cmp_lt_i32 s26, 6
	s_cbranch_scc1 .LBB94_516
; %bb.514:
	s_cmp_gt_i32 s26, 6
	s_cbranch_scc0 .LBB94_517
; %bb.515:
	global_load_dwordx2 v[0:1], v[2:3], off
	s_mov_b64 s[0:1], 0
	s_branch .LBB94_518
.LBB94_516:
	s_mov_b64 s[0:1], -1
                                        ; implicit-def: $vgpr0_vgpr1
	s_branch .LBB94_521
.LBB94_517:
	s_mov_b64 s[0:1], -1
                                        ; implicit-def: $vgpr0_vgpr1
.LBB94_518:
	s_andn2_b64 vcc, exec, s[0:1]
	s_cbranch_vccnz .LBB94_520
; %bb.519:
	global_load_dword v0, v[2:3], off
	s_waitcnt vmcnt(0)
	v_cvt_f64_f32_e32 v[0:1], v0
.LBB94_520:
	s_mov_b64 s[0:1], 0
.LBB94_521:
	s_andn2_b64 vcc, exec, s[0:1]
	s_cbranch_vccnz .LBB94_523
; %bb.522:
	global_load_ushort v0, v[2:3], off
	s_waitcnt vmcnt(0)
	v_cvt_f32_f16_e32 v0, v0
	v_cvt_f64_f32_e32 v[0:1], v0
.LBB94_523:
	s_mov_b64 s[0:1], 0
.LBB94_524:
	s_andn2_b64 vcc, exec, s[0:1]
	s_cbranch_vccnz .LBB94_544
; %bb.525:
	s_cmp_lt_i32 s26, 2
	s_cbranch_scc1 .LBB94_529
; %bb.526:
	s_cmp_lt_i32 s26, 3
	s_cbranch_scc1 .LBB94_530
; %bb.527:
	s_cmp_gt_i32 s26, 3
	s_cbranch_scc0 .LBB94_531
; %bb.528:
	global_load_dwordx2 v[0:1], v[2:3], off
	s_mov_b64 s[0:1], 0
	s_waitcnt vmcnt(0)
	v_cvt_f64_i32_e32 v[4:5], v1
	v_cvt_f64_u32_e32 v[0:1], v0
	v_ldexp_f64 v[4:5], v[4:5], 32
	v_add_f64 v[0:1], v[4:5], v[0:1]
	s_branch .LBB94_532
.LBB94_529:
	s_mov_b64 s[0:1], -1
                                        ; implicit-def: $vgpr0_vgpr1
	s_branch .LBB94_538
.LBB94_530:
	s_mov_b64 s[0:1], -1
                                        ; implicit-def: $vgpr0_vgpr1
	s_branch .LBB94_535
.LBB94_531:
	s_mov_b64 s[0:1], -1
                                        ; implicit-def: $vgpr0_vgpr1
.LBB94_532:
	s_andn2_b64 vcc, exec, s[0:1]
	s_cbranch_vccnz .LBB94_534
; %bb.533:
	global_load_dword v0, v[2:3], off
	s_waitcnt vmcnt(0)
	v_cvt_f64_i32_e32 v[0:1], v0
.LBB94_534:
	s_mov_b64 s[0:1], 0
.LBB94_535:
	s_andn2_b64 vcc, exec, s[0:1]
	s_cbranch_vccnz .LBB94_537
; %bb.536:
	global_load_sshort v0, v[2:3], off
	s_waitcnt vmcnt(0)
	v_cvt_f64_i32_e32 v[0:1], v0
.LBB94_537:
	s_mov_b64 s[0:1], 0
.LBB94_538:
	s_andn2_b64 vcc, exec, s[0:1]
	s_cbranch_vccnz .LBB94_544
; %bb.539:
	s_cmp_gt_i32 s26, 0
	s_cbranch_scc0 .LBB94_541
; %bb.540:
	global_load_sbyte v0, v[2:3], off
	s_mov_b64 s[0:1], 0
	s_waitcnt vmcnt(0)
	v_cvt_f64_i32_e32 v[0:1], v0
	s_branch .LBB94_542
.LBB94_541:
	s_mov_b64 s[0:1], -1
                                        ; implicit-def: $vgpr0_vgpr1
.LBB94_542:
	s_andn2_b64 vcc, exec, s[0:1]
	s_cbranch_vccnz .LBB94_544
; %bb.543:
	global_load_ubyte v0, v[2:3], off
	s_waitcnt vmcnt(0)
	v_cvt_f64_u32_e32 v[0:1], v0
.LBB94_544:
	s_branch .LBB94_413
.LBB94_545:
	s_mov_b64 s[34:35], 0
	s_mov_b64 s[0:1], s[16:17]
	;; [unrolled: 1-line block ×3, first 2 shown]
.LBB94_546:
                                        ; implicit-def: $vgpr6
	s_branch .LBB94_805
.LBB94_547:
	s_andn2_saveexec_b64 s[30:31], s[30:31]
	s_cbranch_execz .LBB94_209
.LBB94_548:
	v_add_f32_e32 v2, 0x42800000, v3
	v_and_b32_e32 v2, 0xff, v2
	v_cmp_ne_u32_e32 vcc, 0, v2
	s_andn2_b64 s[28:29], s[28:29], exec
	s_and_b64 s[36:37], vcc, exec
	s_or_b64 s[28:29], s[28:29], s[36:37]
	s_or_b64 exec, exec, s[30:31]
	v_mov_b32_e32 v4, 0
	s_and_saveexec_b64 s[30:31], s[28:29]
	s_cbranch_execnz .LBB94_210
	s_branch .LBB94_211
.LBB94_549:
	s_mov_b64 s[26:27], -1
                                        ; implicit-def: $vgpr4_vgpr5
	s_mov_b64 s[0:1], 0
.LBB94_550:
	s_and_b64 vcc, exec, s[28:29]
	s_cbranch_vccz .LBB94_554
; %bb.551:
	s_cmp_eq_u32 s37, 44
	s_cbranch_scc0 .LBB94_553
; %bb.552:
	global_load_ubyte v7, v[2:3], off
	s_movk_i32 s26, 0xff
	v_bfrev_b32_e32 v8, 4
	v_mov_b32_e32 v9, 0x7ff80000
	v_bfrev_b32_e32 v10, 28
	s_mov_b64 s[0:1], -1
	s_waitcnt vmcnt(0)
	v_lshlrev_b32_e32 v4, 23, v7
	v_cvt_f64_f32_e32 v[4:5], v4
	v_cmp_ne_u32_e32 vcc, s26, v7
	s_mov_b64 s[26:27], 0
	v_cndmask_b32_e32 v4, v8, v4, vcc
	v_cndmask_b32_e32 v5, v9, v5, vcc
	v_cmp_ne_u32_e32 vcc, 0, v7
	v_cndmask_b32_e32 v5, v10, v5, vcc
	v_cndmask_b32_e32 v4, 0, v4, vcc
	s_branch .LBB94_554
.LBB94_553:
	s_mov_b64 s[26:27], -1
                                        ; implicit-def: $vgpr4_vgpr5
.LBB94_554:
	s_mov_b64 s[28:29], 0
.LBB94_555:
	s_and_b64 vcc, exec, s[28:29]
	s_cbranch_vccz .LBB94_559
; %bb.556:
	s_cmp_eq_u32 s37, 29
	s_cbranch_scc0 .LBB94_558
; %bb.557:
	global_load_dwordx2 v[4:5], v[2:3], off
	s_mov_b64 s[0:1], -1
	s_mov_b64 s[26:27], 0
	s_mov_b64 s[28:29], 0
	s_waitcnt vmcnt(0)
	v_cvt_f64_u32_e32 v[7:8], v5
	v_cvt_f64_u32_e32 v[4:5], v4
	v_ldexp_f64 v[7:8], v[7:8], 32
	v_add_f64 v[4:5], v[7:8], v[4:5]
	s_branch .LBB94_560
.LBB94_558:
	s_mov_b64 s[26:27], -1
                                        ; implicit-def: $vgpr4_vgpr5
.LBB94_559:
	s_mov_b64 s[28:29], 0
.LBB94_560:
	s_and_b64 vcc, exec, s[28:29]
	s_cbranch_vccz .LBB94_580
; %bb.561:
	s_cmp_lt_i32 s37, 27
	s_cbranch_scc1 .LBB94_564
; %bb.562:
	s_cmp_gt_i32 s37, 27
	s_cbranch_scc0 .LBB94_565
; %bb.563:
	global_load_dword v4, v[2:3], off
	s_mov_b64 s[0:1], 0
	s_waitcnt vmcnt(0)
	v_cvt_f64_u32_e32 v[4:5], v4
	s_branch .LBB94_566
.LBB94_564:
	s_mov_b64 s[0:1], -1
                                        ; implicit-def: $vgpr4_vgpr5
	s_branch .LBB94_569
.LBB94_565:
	s_mov_b64 s[0:1], -1
                                        ; implicit-def: $vgpr4_vgpr5
.LBB94_566:
	s_andn2_b64 vcc, exec, s[0:1]
	s_cbranch_vccnz .LBB94_568
; %bb.567:
	global_load_ushort v4, v[2:3], off
	s_waitcnt vmcnt(0)
	v_cvt_f64_u32_e32 v[4:5], v4
.LBB94_568:
	s_mov_b64 s[0:1], 0
.LBB94_569:
	s_andn2_b64 vcc, exec, s[0:1]
	s_cbranch_vccnz .LBB94_579
; %bb.570:
	global_load_ubyte v7, v[2:3], off
	s_movk_i32 s0, 0x7f
	s_waitcnt vmcnt(0)
	v_cmp_lt_i16_e32 vcc, s0, v7
	s_mov_b64 s[0:1], 0
	s_and_saveexec_b64 s[28:29], vcc
	s_xor_b64 s[28:29], exec, s[28:29]
	s_cbranch_execz .LBB94_574
; %bb.571:
	s_movk_i32 s0, 0x80
	v_cmp_eq_u16_e32 vcc, s0, v7
	s_mov_b64 s[0:1], -1
	s_and_saveexec_b64 s[34:35], vcc
; %bb.572:
	s_xor_b64 s[0:1], exec, -1
; %bb.573:
	s_or_b64 exec, exec, s[34:35]
	s_and_b64 s[0:1], s[0:1], exec
.LBB94_574:
	s_or_saveexec_b64 s[28:29], s[28:29]
	v_bfrev_b32_e32 v4, 4
	v_mov_b32_e32 v5, 0x7ff80000
	s_xor_b64 exec, exec, s[28:29]
; %bb.575:
	v_cmp_ne_u16_e32 vcc, 0, v7
	v_mov_b32_e32 v4, 0
	s_andn2_b64 s[0:1], s[0:1], exec
	s_and_b64 s[34:35], vcc, exec
	v_mov_b32_e32 v5, 0
	s_or_b64 s[0:1], s[0:1], s[34:35]
; %bb.576:
	s_or_b64 exec, exec, s[28:29]
	s_and_saveexec_b64 s[28:29], s[0:1]
	s_cbranch_execz .LBB94_578
; %bb.577:
	v_and_b32_e32 v5, 0xffff, v7
	v_lshlrev_b32_e32 v4, 24, v7
	v_and_b32_e32 v7, 7, v5
	v_ffbh_u32_e32 v9, v7
	v_min_u32_e32 v9, 32, v9
	v_subrev_u32_e32 v10, 28, v9
	v_bfe_u32 v8, v5, 3, 4
	v_lshlrev_b32_e32 v5, v10, v5
	v_sub_u32_e32 v9, 29, v9
	v_and_b32_e32 v5, 7, v5
	v_cmp_eq_u32_e32 vcc, 0, v8
	v_cndmask_b32_e32 v8, v8, v9, vcc
	v_cndmask_b32_e32 v5, v7, v5, vcc
	v_mov_b32_e32 v7, 0x3b800000
	v_lshlrev_b32_e32 v5, 20, v5
	v_and_b32_e32 v4, 0x80000000, v4
	v_lshl_add_u32 v7, v8, 23, v7
	v_or3_b32 v4, v4, v7, v5
	v_cvt_f64_f32_e32 v[4:5], v4
.LBB94_578:
	s_or_b64 exec, exec, s[28:29]
.LBB94_579:
	s_mov_b64 s[0:1], -1
.LBB94_580:
	s_mov_b64 s[28:29], 0
.LBB94_581:
	s_and_b64 vcc, exec, s[28:29]
	s_cbranch_vccz .LBB94_614
; %bb.582:
	s_cmp_gt_i32 s37, 22
	s_cbranch_scc0 .LBB94_594
; %bb.583:
	s_cmp_lt_i32 s37, 24
	s_cbranch_scc1 .LBB94_595
; %bb.584:
	s_cmp_gt_i32 s37, 24
	s_cbranch_scc0 .LBB94_596
; %bb.585:
	global_load_ubyte v7, v[2:3], off
	s_movk_i32 s0, 0x7f
	s_waitcnt vmcnt(0)
	v_cmp_lt_i16_e32 vcc, s0, v7
	s_mov_b64 s[0:1], 0
	s_and_saveexec_b64 s[28:29], vcc
	s_xor_b64 s[28:29], exec, s[28:29]
	s_cbranch_execz .LBB94_589
; %bb.586:
	s_movk_i32 s0, 0x80
	v_cmp_eq_u16_e32 vcc, s0, v7
	s_mov_b64 s[0:1], -1
	s_and_saveexec_b64 s[34:35], vcc
; %bb.587:
	s_xor_b64 s[0:1], exec, -1
; %bb.588:
	s_or_b64 exec, exec, s[34:35]
	s_and_b64 s[0:1], s[0:1], exec
.LBB94_589:
	s_or_saveexec_b64 s[28:29], s[28:29]
	v_bfrev_b32_e32 v4, 4
	v_mov_b32_e32 v5, 0x7ff80000
	s_xor_b64 exec, exec, s[28:29]
; %bb.590:
	v_cmp_ne_u16_e32 vcc, 0, v7
	v_mov_b32_e32 v4, 0
	s_andn2_b64 s[0:1], s[0:1], exec
	s_and_b64 s[34:35], vcc, exec
	v_mov_b32_e32 v5, 0
	s_or_b64 s[0:1], s[0:1], s[34:35]
; %bb.591:
	s_or_b64 exec, exec, s[28:29]
	s_and_saveexec_b64 s[28:29], s[0:1]
	s_cbranch_execz .LBB94_593
; %bb.592:
	v_and_b32_e32 v5, 0xffff, v7
	v_lshlrev_b32_e32 v4, 24, v7
	v_and_b32_e32 v7, 3, v5
	v_ffbh_u32_e32 v9, v7
	v_min_u32_e32 v9, 32, v9
	v_subrev_u32_e32 v10, 29, v9
	v_bfe_u32 v8, v5, 2, 5
	v_lshlrev_b32_e32 v5, v10, v5
	v_sub_u32_e32 v9, 30, v9
	v_and_b32_e32 v5, 3, v5
	v_cmp_eq_u32_e32 vcc, 0, v8
	v_cndmask_b32_e32 v8, v8, v9, vcc
	v_cndmask_b32_e32 v5, v7, v5, vcc
	v_mov_b32_e32 v7, 0x37800000
	v_lshlrev_b32_e32 v5, 21, v5
	v_and_b32_e32 v4, 0x80000000, v4
	v_lshl_add_u32 v7, v8, 23, v7
	v_or3_b32 v4, v4, v7, v5
	v_cvt_f64_f32_e32 v[4:5], v4
.LBB94_593:
	s_or_b64 exec, exec, s[28:29]
	s_mov_b64 s[0:1], 0
	s_branch .LBB94_597
.LBB94_594:
	s_mov_b64 s[28:29], -1
                                        ; implicit-def: $vgpr4_vgpr5
	s_branch .LBB94_603
.LBB94_595:
	s_mov_b64 s[0:1], -1
                                        ; implicit-def: $vgpr4_vgpr5
	s_branch .LBB94_600
.LBB94_596:
	s_mov_b64 s[0:1], -1
                                        ; implicit-def: $vgpr4_vgpr5
.LBB94_597:
	s_and_b64 vcc, exec, s[0:1]
	s_cbranch_vccz .LBB94_599
; %bb.598:
	global_load_ubyte v4, v[2:3], off
	s_mov_b32 s0, 0x7f800000
	s_waitcnt vmcnt(0)
	v_lshlrev_b32_e32 v4, 24, v4
	v_and_b32_e32 v5, 0x7f000000, v4
	v_ffbh_u32_e32 v7, v5
	v_min_u32_e32 v7, 32, v7
	v_sub_u32_e64 v7, v7, 4 clamp
	v_lshlrev_b32_e32 v9, v7, v5
	v_lshlrev_b32_e32 v7, 23, v7
	v_lshrrev_b32_e32 v9, 4, v9
	v_add_u32_e32 v8, 0x1000000, v5
	v_sub_u32_e32 v7, v9, v7
	v_ashrrev_i32_e32 v8, 8, v8
	v_add_u32_e32 v7, 0x3c000000, v7
	v_and_or_b32 v7, v8, s0, v7
	v_cmp_ne_u32_e32 vcc, 0, v5
	v_cndmask_b32_e32 v5, 0, v7, vcc
	s_brev_b32 s0, 1
	v_and_or_b32 v4, v4, s0, v5
	v_cvt_f64_f32_e32 v[4:5], v4
.LBB94_599:
	s_mov_b64 s[0:1], 0
.LBB94_600:
	s_andn2_b64 vcc, exec, s[0:1]
	s_cbranch_vccnz .LBB94_602
; %bb.601:
	global_load_ubyte v4, v[2:3], off
	s_movk_i32 s0, 0x7f00
	s_brev_b32 s1, 16
	s_waitcnt vmcnt(0)
	v_lshlrev_b16_e32 v5, 8, v4
	v_lshlrev_b32_e32 v4, 25, v4
	v_lshrrev_b32_e32 v7, 4, v4
	v_and_or_b32 v8, v5, s0, 0.5
	v_or_b32_e32 v7, 0x70000000, v7
	v_add_f32_e32 v8, -0.5, v8
	v_mul_f32_e32 v7, 0x7800000, v7
	v_cmp_gt_u32_e32 vcc, s1, v4
	v_bfe_i32 v5, v5, 0, 16
	v_cndmask_b32_e32 v4, v7, v8, vcc
	s_brev_b32 s0, 1
	v_and_or_b32 v4, v5, s0, v4
	v_cvt_f64_f32_e32 v[4:5], v4
.LBB94_602:
	s_mov_b64 s[28:29], 0
	s_mov_b64 s[0:1], -1
.LBB94_603:
	s_andn2_b64 vcc, exec, s[28:29]
	s_cbranch_vccnz .LBB94_614
; %bb.604:
	s_cmp_gt_i32 s37, 14
	s_cbranch_scc0 .LBB94_607
; %bb.605:
	s_cmp_eq_u32 s37, 15
	s_cbranch_scc0 .LBB94_608
; %bb.606:
	global_load_ushort v4, v[2:3], off
	s_mov_b64 s[0:1], -1
	s_mov_b64 s[26:27], 0
	s_waitcnt vmcnt(0)
	v_lshlrev_b32_e32 v4, 16, v4
	v_cvt_f64_f32_e32 v[4:5], v4
	s_branch .LBB94_609
.LBB94_607:
	s_mov_b64 s[28:29], -1
                                        ; implicit-def: $vgpr4_vgpr5
	s_branch .LBB94_610
.LBB94_608:
	s_mov_b64 s[26:27], -1
                                        ; implicit-def: $vgpr4_vgpr5
.LBB94_609:
	s_mov_b64 s[28:29], 0
.LBB94_610:
	s_and_b64 vcc, exec, s[28:29]
	s_cbranch_vccz .LBB94_614
; %bb.611:
	s_cmp_eq_u32 s37, 11
	s_cbranch_scc0 .LBB94_613
; %bb.612:
	global_load_ubyte v5, v[2:3], off
	v_mov_b32_e32 v7, 0x3ff00000
	v_mov_b32_e32 v4, 0
	s_mov_b64 s[0:1], -1
	s_mov_b64 s[26:27], 0
	s_waitcnt vmcnt(0)
	v_cmp_ne_u16_e32 vcc, 0, v5
	v_cndmask_b32_e32 v5, 0, v7, vcc
	s_branch .LBB94_614
.LBB94_613:
	s_mov_b64 s[26:27], -1
                                        ; implicit-def: $vgpr4_vgpr5
.LBB94_614:
	s_mov_b64 s[28:29], 0
.LBB94_615:
	s_and_b64 vcc, exec, s[28:29]
	s_cbranch_vccz .LBB94_664
; %bb.616:
	s_and_b32 s28, 0xffff, s36
	s_cmp_lt_i32 s28, 5
	s_cbranch_scc1 .LBB94_621
; %bb.617:
	s_cmp_lt_i32 s28, 8
	s_cbranch_scc1 .LBB94_622
; %bb.618:
	;; [unrolled: 3-line block ×3, first 2 shown]
	s_cmp_gt_i32 s28, 9
	s_cbranch_scc0 .LBB94_624
; %bb.620:
	global_load_dwordx2 v[4:5], v[2:3], off
	s_mov_b64 s[0:1], 0
	s_branch .LBB94_625
.LBB94_621:
	s_mov_b64 s[0:1], -1
                                        ; implicit-def: $vgpr4_vgpr5
	s_branch .LBB94_643
.LBB94_622:
	s_mov_b64 s[0:1], -1
                                        ; implicit-def: $vgpr4_vgpr5
	s_branch .LBB94_631
.LBB94_623:
	s_mov_b64 s[0:1], -1
                                        ; implicit-def: $vgpr4_vgpr5
	s_branch .LBB94_628
.LBB94_624:
	s_mov_b64 s[0:1], -1
                                        ; implicit-def: $vgpr4_vgpr5
.LBB94_625:
	s_andn2_b64 vcc, exec, s[0:1]
	s_cbranch_vccnz .LBB94_627
; %bb.626:
	global_load_dword v4, v[2:3], off
	s_waitcnt vmcnt(0)
	v_cvt_f64_f32_e32 v[4:5], v4
.LBB94_627:
	s_mov_b64 s[0:1], 0
.LBB94_628:
	s_andn2_b64 vcc, exec, s[0:1]
	s_cbranch_vccnz .LBB94_630
; %bb.629:
	global_load_dword v4, v[2:3], off
	s_waitcnt vmcnt(0)
	v_cvt_f32_f16_e32 v4, v4
	v_cvt_f64_f32_e32 v[4:5], v4
.LBB94_630:
	s_mov_b64 s[0:1], 0
.LBB94_631:
	s_andn2_b64 vcc, exec, s[0:1]
	s_cbranch_vccnz .LBB94_642
; %bb.632:
	s_cmp_lt_i32 s28, 6
	s_cbranch_scc1 .LBB94_635
; %bb.633:
	s_cmp_gt_i32 s28, 6
	s_cbranch_scc0 .LBB94_636
; %bb.634:
	global_load_dwordx2 v[4:5], v[2:3], off
	s_mov_b64 s[0:1], 0
	s_branch .LBB94_637
.LBB94_635:
	s_mov_b64 s[0:1], -1
                                        ; implicit-def: $vgpr4_vgpr5
	s_branch .LBB94_640
.LBB94_636:
	s_mov_b64 s[0:1], -1
                                        ; implicit-def: $vgpr4_vgpr5
.LBB94_637:
	s_andn2_b64 vcc, exec, s[0:1]
	s_cbranch_vccnz .LBB94_639
; %bb.638:
	global_load_dword v4, v[2:3], off
	s_waitcnt vmcnt(0)
	v_cvt_f64_f32_e32 v[4:5], v4
.LBB94_639:
	s_mov_b64 s[0:1], 0
.LBB94_640:
	s_andn2_b64 vcc, exec, s[0:1]
	s_cbranch_vccnz .LBB94_642
; %bb.641:
	global_load_ushort v4, v[2:3], off
	s_waitcnt vmcnt(0)
	v_cvt_f32_f16_e32 v4, v4
	v_cvt_f64_f32_e32 v[4:5], v4
.LBB94_642:
	s_mov_b64 s[0:1], 0
.LBB94_643:
	s_andn2_b64 vcc, exec, s[0:1]
	s_cbranch_vccnz .LBB94_663
; %bb.644:
	s_cmp_lt_i32 s28, 2
	s_cbranch_scc1 .LBB94_648
; %bb.645:
	s_cmp_lt_i32 s28, 3
	s_cbranch_scc1 .LBB94_649
; %bb.646:
	s_cmp_gt_i32 s28, 3
	s_cbranch_scc0 .LBB94_650
; %bb.647:
	global_load_dwordx2 v[4:5], v[2:3], off
	s_mov_b64 s[0:1], 0
	s_waitcnt vmcnt(0)
	v_cvt_f64_i32_e32 v[7:8], v5
	v_cvt_f64_u32_e32 v[4:5], v4
	v_ldexp_f64 v[7:8], v[7:8], 32
	v_add_f64 v[4:5], v[7:8], v[4:5]
	s_branch .LBB94_651
.LBB94_648:
	s_mov_b64 s[0:1], -1
                                        ; implicit-def: $vgpr4_vgpr5
	s_branch .LBB94_657
.LBB94_649:
	s_mov_b64 s[0:1], -1
                                        ; implicit-def: $vgpr4_vgpr5
	s_branch .LBB94_654
.LBB94_650:
	s_mov_b64 s[0:1], -1
                                        ; implicit-def: $vgpr4_vgpr5
.LBB94_651:
	s_andn2_b64 vcc, exec, s[0:1]
	s_cbranch_vccnz .LBB94_653
; %bb.652:
	global_load_dword v4, v[2:3], off
	s_waitcnt vmcnt(0)
	v_cvt_f64_i32_e32 v[4:5], v4
.LBB94_653:
	s_mov_b64 s[0:1], 0
.LBB94_654:
	s_andn2_b64 vcc, exec, s[0:1]
	s_cbranch_vccnz .LBB94_656
; %bb.655:
	global_load_sshort v4, v[2:3], off
	s_waitcnt vmcnt(0)
	v_cvt_f64_i32_e32 v[4:5], v4
.LBB94_656:
	s_mov_b64 s[0:1], 0
.LBB94_657:
	s_andn2_b64 vcc, exec, s[0:1]
	s_cbranch_vccnz .LBB94_663
; %bb.658:
	s_cmp_gt_i32 s28, 0
	s_cbranch_scc0 .LBB94_660
; %bb.659:
	global_load_sbyte v4, v[2:3], off
	s_mov_b64 s[0:1], 0
	s_waitcnt vmcnt(0)
	v_cvt_f64_i32_e32 v[4:5], v4
	s_branch .LBB94_661
.LBB94_660:
	s_mov_b64 s[0:1], -1
                                        ; implicit-def: $vgpr4_vgpr5
.LBB94_661:
	s_andn2_b64 vcc, exec, s[0:1]
	s_cbranch_vccnz .LBB94_663
; %bb.662:
	global_load_ubyte v2, v[2:3], off
	s_waitcnt vmcnt(0)
	v_cvt_f64_u32_e32 v[4:5], v2
.LBB94_663:
	s_mov_b64 s[0:1], -1
.LBB94_664:
	s_andn2_b64 vcc, exec, s[0:1]
	s_cbranch_vccnz .LBB94_669
; %bb.665:
	s_cmp_lt_i32 s15, 1
	s_mov_b64 s[0:1], 0
	s_cbranch_scc1 .LBB94_670
; %bb.666:
	s_cmp_gt_i32 s15, 1
	s_cbranch_scc0 .LBB94_671
; %bb.667:
	s_cmp_eq_u32 s15, 2
	s_cbranch_scc0 .LBB94_672
; %bb.668:
	s_waitcnt vmcnt(0)
	v_cmp_le_f64_e64 s[28:29], v[0:1], v[4:5]
	s_mov_b64 s[34:35], 0
	s_branch .LBB94_673
.LBB94_669:
	s_mov_b64 s[34:35], 0
                                        ; implicit-def: $vgpr6
	s_mov_b64 s[0:1], s[16:17]
	s_branch .LBB94_805
.LBB94_670:
	s_mov_b64 s[36:37], -1
                                        ; implicit-def: $sgpr28_sgpr29
	s_mov_b64 s[34:35], 0
	s_branch .LBB94_677
.LBB94_671:
	s_mov_b64 s[36:37], -1
	s_mov_b64 s[34:35], 0
                                        ; implicit-def: $sgpr28_sgpr29
	s_branch .LBB94_674
.LBB94_672:
	s_mov_b64 s[34:35], -1
                                        ; implicit-def: $sgpr28_sgpr29
.LBB94_673:
	s_mov_b64 s[36:37], 0
.LBB94_674:
	s_and_b64 vcc, exec, s[36:37]
	s_cbranch_vccz .LBB94_676
; %bb.675:
	s_waitcnt vmcnt(0)
	v_cmp_gt_f64_e32 vcc, v[0:1], v[4:5]
	s_andn2_b64 s[28:29], s[28:29], exec
	s_and_b64 s[36:37], vcc, exec
	s_or_b64 s[28:29], s[28:29], s[36:37]
.LBB94_676:
	s_mov_b64 s[36:37], 0
.LBB94_677:
	s_and_b64 vcc, exec, s[36:37]
	s_cbranch_vccz .LBB94_688
; %bb.678:
	s_cmp_lg_u32 s15, 0
	s_mov_b64 s[0:1], -1
	s_cselect_b64 s[34:35], -1, 0
	s_andn2_b64 vcc, exec, s[34:35]
	s_cbranch_vccz .LBB94_689
.LBB94_679:
	s_andn2_b64 vcc, exec, s[0:1]
	s_cbranch_vccnz .LBB94_681
.LBB94_680:
	s_waitcnt vmcnt(0)
	v_cmp_ge_f64_e32 vcc, v[0:1], v[4:5]
	s_andn2_b64 s[0:1], s[28:29], exec
	s_and_b64 s[28:29], vcc, exec
	s_or_b64 s[28:29], s[0:1], s[28:29]
.LBB94_681:
	s_waitcnt vmcnt(0)
	v_mul_lo_u32 v0, v6, s12
	v_mov_b32_e32 v1, s9
	s_and_b32 s40, s33, 0xff
	s_cmp_lt_i32 s40, 11
	v_ashrrev_i32_e32 v2, 31, v0
	v_add_co_u32_e32 v0, vcc, s8, v0
	v_addc_co_u32_e32 v1, vcc, v1, v2, vcc
	s_cbranch_scc1 .LBB94_690
; %bb.682:
	s_and_b32 s41, 0xffff, s40
	s_cmp_gt_i32 s41, 25
	s_cbranch_scc0 .LBB94_691
; %bb.683:
	s_cmp_gt_i32 s41, 28
	s_cbranch_scc0 .LBB94_692
; %bb.684:
	;; [unrolled: 3-line block ×4, first 2 shown]
	s_mov_b64 s[36:37], 0
	s_mov_b64 s[0:1], -1
	s_cmp_eq_u32 s41, 46
	s_mov_b64 s[34:35], 0
	s_cbranch_scc0 .LBB94_695
; %bb.687:
	v_cndmask_b32_e64 v2, 0, 1.0, s[28:29]
	v_bfe_u32 v3, v2, 16, 1
	s_movk_i32 s0, 0x7fff
	v_add3_u32 v2, v2, v3, s0
	v_lshrrev_b32_e32 v2, 16, v2
	global_store_dword v[0:1], v2, off
	s_mov_b64 s[34:35], -1
	s_mov_b64 s[0:1], 0
	s_branch .LBB94_695
.LBB94_688:
	s_andn2_b64 vcc, exec, s[34:35]
	s_cbranch_vccnz .LBB94_679
.LBB94_689:
	s_waitcnt vmcnt(0)
	v_cmp_lt_f64_e32 vcc, v[0:1], v[4:5]
	s_andn2_b64 s[28:29], s[28:29], exec
	s_and_b64 s[34:35], vcc, exec
	s_or_b64 s[28:29], s[28:29], s[34:35]
	s_cbranch_execz .LBB94_680
	s_branch .LBB94_681
.LBB94_690:
	s_mov_b64 s[36:37], -1
	s_mov_b64 s[34:35], 0
	s_mov_b64 s[0:1], s[16:17]
	s_branch .LBB94_764
.LBB94_691:
	s_mov_b64 s[36:37], -1
	s_mov_b64 s[34:35], 0
	s_mov_b64 s[0:1], s[16:17]
	s_branch .LBB94_722
.LBB94_692:
	s_mov_b64 s[36:37], -1
	s_mov_b64 s[34:35], 0
	s_mov_b64 s[0:1], s[16:17]
	s_branch .LBB94_705
.LBB94_693:
	s_mov_b64 s[36:37], -1
	s_mov_b64 s[34:35], 0
	s_mov_b64 s[0:1], s[16:17]
	s_branch .LBB94_701
.LBB94_694:
	s_mov_b64 s[36:37], -1
	s_mov_b64 s[34:35], 0
	s_mov_b64 s[0:1], s[16:17]
.LBB94_695:
	s_and_b64 vcc, exec, s[36:37]
	s_cbranch_vccz .LBB94_700
; %bb.696:
	s_cmp_eq_u32 s41, 44
	s_mov_b64 s[0:1], -1
	s_cbranch_scc0 .LBB94_700
; %bb.697:
	v_cndmask_b32_e64 v3, 0, 1.0, s[28:29]
	v_lshrrev_b32_e32 v2, 23, v3
	s_movk_i32 s0, 0xff
	v_cmp_ne_u32_e32 vcc, s0, v2
	v_mov_b32_e32 v4, 0xff
	s_and_saveexec_b64 s[34:35], vcc
; %bb.698:
	s_mov_b32 s0, 0x3fffff
	v_and_b32_e32 v4, 0x400000, v3
	v_and_or_b32 v3, v3, s0, v2
	v_cmp_ne_u32_e32 vcc, 0, v4
	v_cmp_ne_u32_e64 s[0:1], 0, v3
	s_and_b64 s[0:1], vcc, s[0:1]
	v_cndmask_b32_e64 v3, 0, 1, s[0:1]
	v_add_u32_e32 v4, v2, v3
; %bb.699:
	s_or_b64 exec, exec, s[34:35]
	s_mov_b64 s[34:35], -1
	s_mov_b64 s[0:1], 0
	global_store_byte v[0:1], v4, off
.LBB94_700:
	s_mov_b64 s[36:37], 0
.LBB94_701:
	s_and_b64 vcc, exec, s[36:37]
	s_cbranch_vccz .LBB94_704
; %bb.702:
	s_cmp_eq_u32 s41, 29
	s_mov_b64 s[0:1], -1
	s_cbranch_scc0 .LBB94_704
; %bb.703:
	s_mov_b32 s0, 0
	v_cndmask_b32_e64 v2, 0, 1, s[28:29]
	v_mov_b32_e32 v3, s0
	global_store_dwordx2 v[0:1], v[2:3], off
	s_mov_b64 s[34:35], -1
	s_mov_b64 s[0:1], 0
.LBB94_704:
	s_mov_b64 s[36:37], 0
.LBB94_705:
	s_and_b64 vcc, exec, s[36:37]
	s_cbranch_vccz .LBB94_721
; %bb.706:
	s_cmp_lt_i32 s41, 27
	s_mov_b64 s[34:35], -1
	s_cbranch_scc1 .LBB94_712
; %bb.707:
	s_cmp_gt_i32 s41, 27
	s_cbranch_scc0 .LBB94_709
; %bb.708:
	v_cndmask_b32_e64 v2, 0, 1, s[28:29]
	s_mov_b64 s[34:35], 0
	global_store_dword v[0:1], v2, off
.LBB94_709:
	s_andn2_b64 vcc, exec, s[34:35]
	s_cbranch_vccnz .LBB94_711
; %bb.710:
	v_cndmask_b32_e64 v2, 0, 1, s[28:29]
	global_store_short v[0:1], v2, off
.LBB94_711:
	s_mov_b64 s[34:35], 0
.LBB94_712:
	s_andn2_b64 vcc, exec, s[34:35]
	s_cbranch_vccnz .LBB94_720
; %bb.713:
	v_cndmask_b32_e64 v3, 0, 1.0, s[28:29]
	s_mov_b32 s34, 0x43800000
	v_cmp_gt_u32_e32 vcc, s34, v3
	v_mov_b32_e32 v4, 0x80
	s_and_saveexec_b64 s[34:35], vcc
	s_cbranch_execz .LBB94_719
; %bb.714:
	s_mov_b32 s36, 0x3bffffff
	v_cmp_lt_u32_e32 vcc, s36, v3
	s_mov_b64 s[36:37], 0
                                        ; implicit-def: $vgpr2
	s_and_saveexec_b64 s[38:39], vcc
	s_xor_b64 s[38:39], exec, s[38:39]
	s_cbranch_execz .LBB94_821
; %bb.715:
	v_bfe_u32 v2, v3, 20, 1
	s_mov_b32 s42, 0x487ffff
	v_add3_u32 v2, v3, v2, s42
	s_mov_b64 s[36:37], exec
	v_lshrrev_b32_e32 v2, 20, v2
                                        ; implicit-def: $vgpr3
	s_andn2_saveexec_b64 s[38:39], s[38:39]
	s_cbranch_execnz .LBB94_822
.LBB94_716:
	s_or_b64 exec, exec, s[38:39]
	v_mov_b32_e32 v4, 0
	s_and_saveexec_b64 s[38:39], s[36:37]
.LBB94_717:
	v_mov_b32_e32 v4, v2
.LBB94_718:
	s_or_b64 exec, exec, s[38:39]
.LBB94_719:
	s_or_b64 exec, exec, s[34:35]
	global_store_byte v[0:1], v4, off
.LBB94_720:
	s_mov_b64 s[34:35], -1
.LBB94_721:
	s_mov_b64 s[36:37], 0
.LBB94_722:
	s_and_b64 vcc, exec, s[36:37]
	s_cbranch_vccz .LBB94_763
; %bb.723:
	s_cmp_gt_i32 s41, 22
	s_mov_b64 s[36:37], -1
	s_cbranch_scc0 .LBB94_755
; %bb.724:
	s_cmp_lt_i32 s41, 24
	s_mov_b64 s[34:35], -1
	s_cbranch_scc1 .LBB94_744
; %bb.725:
	s_cmp_gt_i32 s41, 24
	s_cbranch_scc0 .LBB94_733
; %bb.726:
	v_cndmask_b32_e64 v3, 0, 1.0, s[28:29]
	s_mov_b32 s34, 0x47800000
	v_cmp_gt_u32_e32 vcc, s34, v3
	v_mov_b32_e32 v4, 0x80
	s_and_saveexec_b64 s[34:35], vcc
	s_cbranch_execz .LBB94_732
; %bb.727:
	s_mov_b32 s36, 0x37ffffff
	v_cmp_lt_u32_e32 vcc, s36, v3
	s_mov_b64 s[36:37], 0
                                        ; implicit-def: $vgpr2
	s_and_saveexec_b64 s[38:39], vcc
	s_xor_b64 s[38:39], exec, s[38:39]
	s_cbranch_execz .LBB94_953
; %bb.728:
	v_bfe_u32 v2, v3, 21, 1
	s_mov_b32 s42, 0x88fffff
	v_add3_u32 v2, v3, v2, s42
	s_mov_b64 s[36:37], exec
	v_lshrrev_b32_e32 v2, 21, v2
                                        ; implicit-def: $vgpr3
	s_andn2_saveexec_b64 s[38:39], s[38:39]
	s_cbranch_execnz .LBB94_954
.LBB94_729:
	s_or_b64 exec, exec, s[38:39]
	v_mov_b32_e32 v4, 0
	s_and_saveexec_b64 s[38:39], s[36:37]
.LBB94_730:
	v_mov_b32_e32 v4, v2
.LBB94_731:
	s_or_b64 exec, exec, s[38:39]
.LBB94_732:
	s_or_b64 exec, exec, s[34:35]
	s_mov_b64 s[34:35], 0
	global_store_byte v[0:1], v4, off
.LBB94_733:
	s_and_b64 vcc, exec, s[34:35]
	s_cbranch_vccz .LBB94_743
; %bb.734:
	v_cndmask_b32_e64 v2, 0, 1.0, s[28:29]
	s_mov_b32 s34, 0x43f00000
	v_cmp_gt_u32_e32 vcc, s34, v2
                                        ; implicit-def: $vgpr3
	s_and_saveexec_b64 s[34:35], vcc
	s_xor_b64 s[34:35], exec, s[34:35]
	s_cbranch_execz .LBB94_740
; %bb.735:
	s_mov_b32 s36, 0x3c7fffff
	v_cmp_lt_u32_e32 vcc, s36, v2
                                        ; implicit-def: $vgpr3
	s_and_saveexec_b64 s[36:37], vcc
	s_xor_b64 s[36:37], exec, s[36:37]
; %bb.736:
	v_bfe_u32 v3, v2, 20, 1
	s_mov_b32 s38, 0x407ffff
	v_add3_u32 v2, v2, v3, s38
	v_lshrrev_b32_e32 v3, 20, v2
	v_and_b32_e32 v2, 0xff00000, v2
	s_mov_b32 s38, 0x7f00000
	v_mov_b32_e32 v4, 0x7e
	v_cmp_ne_u32_e32 vcc, s38, v2
	v_cndmask_b32_e32 v3, v4, v3, vcc
                                        ; implicit-def: $vgpr2
; %bb.737:
	s_andn2_saveexec_b64 s[36:37], s[36:37]
; %bb.738:
	v_add_f32_e32 v3, 0x46800000, v2
; %bb.739:
	s_or_b64 exec, exec, s[36:37]
                                        ; implicit-def: $vgpr2
.LBB94_740:
	s_andn2_saveexec_b64 s[34:35], s[34:35]
; %bb.741:
	s_mov_b32 s36, 0x7f800000
	v_mov_b32_e32 v3, 0x7e
	v_mov_b32_e32 v4, 0x7f
	v_cmp_lt_u32_e32 vcc, s36, v2
	v_cndmask_b32_e32 v3, v3, v4, vcc
; %bb.742:
	s_or_b64 exec, exec, s[34:35]
	global_store_byte v[0:1], v3, off
.LBB94_743:
	s_mov_b64 s[34:35], 0
.LBB94_744:
	s_andn2_b64 vcc, exec, s[34:35]
	s_cbranch_vccnz .LBB94_754
; %bb.745:
	v_cndmask_b32_e64 v2, 0, 1.0, s[28:29]
	s_mov_b32 s34, 0x47800000
	v_cmp_gt_u32_e32 vcc, s34, v2
                                        ; implicit-def: $vgpr3
	s_and_saveexec_b64 s[34:35], vcc
	s_xor_b64 s[34:35], exec, s[34:35]
	s_cbranch_execz .LBB94_751
; %bb.746:
	s_mov_b32 s36, 0x387fffff
	v_cmp_lt_u32_e32 vcc, s36, v2
                                        ; implicit-def: $vgpr3
	s_and_saveexec_b64 s[36:37], vcc
	s_xor_b64 s[36:37], exec, s[36:37]
; %bb.747:
	v_bfe_u32 v3, v2, 21, 1
	s_mov_b32 s38, 0x80fffff
	v_add3_u32 v2, v2, v3, s38
	v_lshrrev_b32_e32 v3, 21, v2
                                        ; implicit-def: $vgpr2
; %bb.748:
	s_andn2_saveexec_b64 s[36:37], s[36:37]
; %bb.749:
	v_add_f32_e32 v3, 0x43000000, v2
; %bb.750:
	s_or_b64 exec, exec, s[36:37]
                                        ; implicit-def: $vgpr2
.LBB94_751:
	s_andn2_saveexec_b64 s[34:35], s[34:35]
; %bb.752:
	s_mov_b32 s36, 0x7f800000
	v_mov_b32_e32 v3, 0x7c
	v_mov_b32_e32 v4, 0x7f
	v_cmp_lt_u32_e32 vcc, s36, v2
	v_cndmask_b32_e32 v3, v3, v4, vcc
; %bb.753:
	s_or_b64 exec, exec, s[34:35]
	global_store_byte v[0:1], v3, off
.LBB94_754:
	s_mov_b64 s[36:37], 0
	s_mov_b64 s[34:35], -1
.LBB94_755:
	s_andn2_b64 vcc, exec, s[36:37]
	s_cbranch_vccnz .LBB94_763
; %bb.756:
	s_cmp_gt_i32 s41, 14
	s_mov_b64 s[36:37], -1
	s_cbranch_scc0 .LBB94_760
; %bb.757:
	s_cmp_eq_u32 s41, 15
	s_mov_b64 s[0:1], -1
	s_cbranch_scc0 .LBB94_759
; %bb.758:
	v_cndmask_b32_e64 v2, 0, 1.0, s[28:29]
	v_bfe_u32 v3, v2, 16, 1
	s_movk_i32 s0, 0x7fff
	v_add3_u32 v2, v2, v3, s0
	global_store_short_d16_hi v[0:1], v2, off
	s_mov_b64 s[34:35], -1
	s_mov_b64 s[0:1], 0
.LBB94_759:
	s_mov_b64 s[36:37], 0
.LBB94_760:
	s_and_b64 vcc, exec, s[36:37]
	s_cbranch_vccz .LBB94_763
; %bb.761:
	s_cmp_eq_u32 s41, 11
	s_mov_b64 s[0:1], -1
	s_cbranch_scc0 .LBB94_763
; %bb.762:
	v_cndmask_b32_e64 v2, 0, 1, s[28:29]
	s_mov_b64 s[34:35], -1
	s_mov_b64 s[0:1], 0
	global_store_byte v[0:1], v2, off
.LBB94_763:
	s_mov_b64 s[36:37], 0
.LBB94_764:
	s_and_b64 vcc, exec, s[36:37]
	s_cbranch_vccz .LBB94_803
; %bb.765:
	s_and_b32 s36, 0xffff, s40
	s_cmp_lt_i32 s36, 5
	s_mov_b64 s[34:35], -1
	s_cbranch_scc1 .LBB94_786
; %bb.766:
	s_cmp_lt_i32 s36, 8
	s_cbranch_scc1 .LBB94_776
; %bb.767:
	s_cmp_lt_i32 s36, 9
	s_cbranch_scc1 .LBB94_773
; %bb.768:
	s_cmp_gt_i32 s36, 9
	s_cbranch_scc0 .LBB94_770
; %bb.769:
	v_cndmask_b32_e64 v2, 0, 1, s[28:29]
	v_cvt_f64_u32_e32 v[2:3], v2
	v_mov_b32_e32 v4, 0
	v_mov_b32_e32 v5, v4
	s_mov_b64 s[34:35], 0
	global_store_dwordx4 v[0:1], v[2:5], off
.LBB94_770:
	s_andn2_b64 vcc, exec, s[34:35]
	s_cbranch_vccnz .LBB94_772
; %bb.771:
	v_cndmask_b32_e64 v2, 0, 1.0, s[28:29]
	v_mov_b32_e32 v3, 0
	global_store_dwordx2 v[0:1], v[2:3], off
.LBB94_772:
	s_mov_b64 s[34:35], 0
.LBB94_773:
	s_andn2_b64 vcc, exec, s[34:35]
	s_cbranch_vccnz .LBB94_775
; %bb.774:
	v_cndmask_b32_e64 v2, 0, 1.0, s[28:29]
	v_cvt_f16_f32_e32 v2, v2
	global_store_dword v[0:1], v2, off
.LBB94_775:
	s_mov_b64 s[34:35], 0
.LBB94_776:
	s_andn2_b64 vcc, exec, s[34:35]
	s_cbranch_vccnz .LBB94_785
; %bb.777:
	s_cmp_lt_i32 s36, 6
	s_mov_b64 s[34:35], -1
	s_cbranch_scc1 .LBB94_783
; %bb.778:
	s_cmp_gt_i32 s36, 6
	s_cbranch_scc0 .LBB94_780
; %bb.779:
	v_cndmask_b32_e64 v2, 0, 1, s[28:29]
	v_cvt_f64_u32_e32 v[2:3], v2
	s_mov_b64 s[34:35], 0
	global_store_dwordx2 v[0:1], v[2:3], off
.LBB94_780:
	s_andn2_b64 vcc, exec, s[34:35]
	s_cbranch_vccnz .LBB94_782
; %bb.781:
	v_cndmask_b32_e64 v2, 0, 1.0, s[28:29]
	global_store_dword v[0:1], v2, off
.LBB94_782:
	s_mov_b64 s[34:35], 0
.LBB94_783:
	s_andn2_b64 vcc, exec, s[34:35]
	s_cbranch_vccnz .LBB94_785
; %bb.784:
	v_cndmask_b32_e64 v2, 0, 1.0, s[28:29]
	v_cvt_f16_f32_e32 v2, v2
	global_store_short v[0:1], v2, off
.LBB94_785:
	s_mov_b64 s[34:35], 0
.LBB94_786:
	s_andn2_b64 vcc, exec, s[34:35]
	s_cbranch_vccnz .LBB94_802
; %bb.787:
	s_cmp_lt_i32 s36, 2
	s_mov_b64 s[34:35], -1
	s_cbranch_scc1 .LBB94_797
; %bb.788:
	s_cmp_lt_i32 s36, 3
	s_cbranch_scc1 .LBB94_794
; %bb.789:
	s_cmp_gt_i32 s36, 3
	s_cbranch_scc0 .LBB94_791
; %bb.790:
	s_mov_b32 s34, 0
	v_cndmask_b32_e64 v2, 0, 1, s[28:29]
	v_mov_b32_e32 v3, s34
	s_mov_b64 s[34:35], 0
	global_store_dwordx2 v[0:1], v[2:3], off
.LBB94_791:
	s_andn2_b64 vcc, exec, s[34:35]
	s_cbranch_vccnz .LBB94_793
; %bb.792:
	v_cndmask_b32_e64 v2, 0, 1, s[28:29]
	global_store_dword v[0:1], v2, off
.LBB94_793:
	s_mov_b64 s[34:35], 0
.LBB94_794:
	s_andn2_b64 vcc, exec, s[34:35]
	s_cbranch_vccnz .LBB94_796
; %bb.795:
	v_cndmask_b32_e64 v2, 0, 1, s[28:29]
	global_store_short v[0:1], v2, off
.LBB94_796:
	s_mov_b64 s[34:35], 0
.LBB94_797:
	s_andn2_b64 vcc, exec, s[34:35]
	s_cbranch_vccnz .LBB94_802
; %bb.798:
	s_mov_b64 s[34:35], -1
	s_cmp_gt_i32 s36, 0
	v_cndmask_b32_e64 v2, 0, 1, s[28:29]
	s_cbranch_scc0 .LBB94_800
; %bb.799:
	s_mov_b64 s[34:35], 0
	global_store_byte v[0:1], v2, off
.LBB94_800:
	s_andn2_b64 vcc, exec, s[34:35]
	s_cbranch_vccnz .LBB94_802
; %bb.801:
	global_store_byte v[0:1], v2, off
.LBB94_802:
	s_mov_b64 s[34:35], -1
.LBB94_803:
	s_andn2_b64 vcc, exec, s[34:35]
	s_cbranch_vccnz .LBB94_816
; %bb.804:
	v_add_u32_e32 v6, 0x80, v6
	s_mov_b64 s[34:35], -1
.LBB94_805:
	s_andn2_b64 s[28:29], s[16:17], exec
	s_and_b64 s[0:1], s[0:1], exec
	s_or_b64 s[28:29], s[28:29], s[0:1]
	s_andn2_b64 s[0:1], s[18:19], exec
	s_and_b64 s[26:27], s[26:27], exec
	s_or_b64 s[26:27], s[0:1], s[26:27]
	;; [unrolled: 3-line block ×3, first 2 shown]
	s_orn2_b64 s[0:1], s[34:35], exec
.LBB94_806:
	s_or_b64 exec, exec, s[30:31]
	s_mov_b64 s[34:35], 0
	s_mov_b64 s[36:37], 0
	;; [unrolled: 1-line block ×3, first 2 shown]
                                        ; implicit-def: $sgpr56
                                        ; implicit-def: $vgpr2_vgpr3
                                        ; implicit-def: $vgpr0_vgpr1
	s_and_saveexec_b64 s[30:31], s[0:1]
	s_cbranch_execz .LBB94_1297
; %bb.807:
	v_cmp_gt_i32_e32 vcc, s48, v6
	s_mov_b64 s[46:47], -1
	s_mov_b64 s[0:1], s[24:25]
	s_mov_b64 s[38:39], s[26:27]
	;; [unrolled: 1-line block ×3, first 2 shown]
	s_and_saveexec_b64 s[34:35], vcc
	s_cbranch_execz .LBB94_1212
; %bb.808:
	s_waitcnt vmcnt(0)
	v_mul_lo_u32 v0, v6, s13
	v_mov_b32_e32 v1, s11
	s_and_b32 s42, s55, 0xff
	s_cmp_lt_i32 s42, 11
	v_ashrrev_i32_e32 v3, 31, v0
	v_add_co_u32_e32 v2, vcc, s10, v0
	v_addc_co_u32_e32 v3, vcc, v1, v3, vcc
	s_cbranch_scc1 .LBB94_815
; %bb.809:
	s_and_b32 s43, 0xffff, s42
	s_cmp_gt_i32 s43, 25
	s_cbranch_scc0 .LBB94_817
; %bb.810:
	s_cmp_gt_i32 s43, 28
	s_cbranch_scc0 .LBB94_818
; %bb.811:
	;; [unrolled: 3-line block ×4, first 2 shown]
	s_cmp_eq_u32 s43, 46
	s_mov_b64 s[38:39], 0
	s_cbranch_scc0 .LBB94_823
; %bb.814:
	global_load_dword v0, v[2:3], off
	s_mov_b64 s[0:1], -1
	s_waitcnt vmcnt(0)
	v_lshlrev_b32_e32 v0, 16, v0
	v_cvt_f64_f32_e32 v[0:1], v0
	s_branch .LBB94_824
.LBB94_815:
	s_mov_b64 s[38:39], -1
	s_mov_b64 s[0:1], 0
                                        ; implicit-def: $vgpr0_vgpr1
	s_mov_b64 s[36:37], s[24:25]
	s_branch .LBB94_889
.LBB94_816:
	s_mov_b64 s[34:35], 0
	s_branch .LBB94_546
.LBB94_817:
	s_mov_b64 s[38:39], -1
	s_mov_b64 s[0:1], 0
	s_mov_b64 s[36:37], s[24:25]
                                        ; implicit-def: $vgpr0_vgpr1
	s_branch .LBB94_855
.LBB94_818:
	s_mov_b64 s[38:39], -1
	s_mov_b64 s[0:1], 0
	s_mov_b64 s[36:37], s[24:25]
                                        ; implicit-def: $vgpr0_vgpr1
	s_branch .LBB94_834
.LBB94_819:
	s_mov_b64 s[38:39], -1
	s_mov_b64 s[0:1], 0
	s_mov_b64 s[36:37], s[24:25]
                                        ; implicit-def: $vgpr0_vgpr1
	s_branch .LBB94_829
.LBB94_820:
	s_mov_b64 s[38:39], -1
	s_mov_b64 s[0:1], 0
	s_mov_b64 s[36:37], s[24:25]
                                        ; implicit-def: $vgpr0_vgpr1
	s_branch .LBB94_824
.LBB94_821:
	s_andn2_saveexec_b64 s[38:39], s[38:39]
	s_cbranch_execz .LBB94_716
.LBB94_822:
	v_add_f32_e32 v2, 0x46000000, v3
	v_and_b32_e32 v2, 0xff, v2
	v_cmp_ne_u32_e32 vcc, 0, v2
	s_andn2_b64 s[36:37], s[36:37], exec
	s_and_b64 s[42:43], vcc, exec
	s_or_b64 s[36:37], s[36:37], s[42:43]
	s_or_b64 exec, exec, s[38:39]
	v_mov_b32_e32 v4, 0
	s_and_saveexec_b64 s[38:39], s[36:37]
	s_cbranch_execnz .LBB94_717
	s_branch .LBB94_718
.LBB94_823:
	s_mov_b64 s[36:37], -1
                                        ; implicit-def: $vgpr0_vgpr1
	s_mov_b64 s[0:1], 0
.LBB94_824:
	s_and_b64 vcc, exec, s[38:39]
	s_cbranch_vccz .LBB94_828
; %bb.825:
	s_cmp_eq_u32 s43, 44
	s_cbranch_scc0 .LBB94_827
; %bb.826:
	global_load_ubyte v4, v[2:3], off
	s_movk_i32 s36, 0xff
	v_bfrev_b32_e32 v5, 4
	v_mov_b32_e32 v7, 0x7ff80000
	v_bfrev_b32_e32 v8, 28
	s_mov_b64 s[0:1], -1
	s_waitcnt vmcnt(0)
	v_lshlrev_b32_e32 v0, 23, v4
	v_cvt_f64_f32_e32 v[0:1], v0
	v_cmp_ne_u32_e32 vcc, s36, v4
	s_mov_b64 s[36:37], 0
	v_cndmask_b32_e32 v0, v5, v0, vcc
	v_cndmask_b32_e32 v1, v7, v1, vcc
	v_cmp_ne_u32_e32 vcc, 0, v4
	v_cndmask_b32_e32 v1, v8, v1, vcc
	v_cndmask_b32_e32 v0, 0, v0, vcc
	s_branch .LBB94_828
.LBB94_827:
	s_mov_b64 s[36:37], -1
                                        ; implicit-def: $vgpr0_vgpr1
.LBB94_828:
	s_mov_b64 s[38:39], 0
.LBB94_829:
	s_and_b64 vcc, exec, s[38:39]
	s_cbranch_vccz .LBB94_833
; %bb.830:
	s_cmp_eq_u32 s43, 29
	s_cbranch_scc0 .LBB94_832
; %bb.831:
	global_load_dwordx2 v[0:1], v[2:3], off
	s_mov_b64 s[0:1], -1
	s_mov_b64 s[36:37], 0
	s_mov_b64 s[38:39], 0
	s_waitcnt vmcnt(0)
	v_cvt_f64_u32_e32 v[4:5], v1
	v_cvt_f64_u32_e32 v[0:1], v0
	v_ldexp_f64 v[4:5], v[4:5], 32
	v_add_f64 v[0:1], v[4:5], v[0:1]
	s_branch .LBB94_834
.LBB94_832:
	s_mov_b64 s[36:37], -1
                                        ; implicit-def: $vgpr0_vgpr1
.LBB94_833:
	s_mov_b64 s[38:39], 0
.LBB94_834:
	s_and_b64 vcc, exec, s[38:39]
	s_cbranch_vccz .LBB94_854
; %bb.835:
	s_cmp_lt_i32 s43, 27
	s_cbranch_scc1 .LBB94_838
; %bb.836:
	s_cmp_gt_i32 s43, 27
	s_cbranch_scc0 .LBB94_839
; %bb.837:
	global_load_dword v0, v[2:3], off
	s_mov_b64 s[0:1], 0
	s_waitcnt vmcnt(0)
	v_cvt_f64_u32_e32 v[0:1], v0
	s_branch .LBB94_840
.LBB94_838:
	s_mov_b64 s[0:1], -1
                                        ; implicit-def: $vgpr0_vgpr1
	s_branch .LBB94_843
.LBB94_839:
	s_mov_b64 s[0:1], -1
                                        ; implicit-def: $vgpr0_vgpr1
.LBB94_840:
	s_andn2_b64 vcc, exec, s[0:1]
	s_cbranch_vccnz .LBB94_842
; %bb.841:
	global_load_ushort v0, v[2:3], off
	s_waitcnt vmcnt(0)
	v_cvt_f64_u32_e32 v[0:1], v0
.LBB94_842:
	s_mov_b64 s[0:1], 0
.LBB94_843:
	s_andn2_b64 vcc, exec, s[0:1]
	s_cbranch_vccnz .LBB94_853
; %bb.844:
	global_load_ubyte v4, v[2:3], off
	s_movk_i32 s0, 0x7f
	s_waitcnt vmcnt(0)
	v_cmp_lt_i16_e32 vcc, s0, v4
	s_mov_b64 s[0:1], 0
	s_and_saveexec_b64 s[38:39], vcc
	s_xor_b64 s[38:39], exec, s[38:39]
	s_cbranch_execz .LBB94_848
; %bb.845:
	s_movk_i32 s0, 0x80
	v_cmp_eq_u16_e32 vcc, s0, v4
	s_mov_b64 s[0:1], -1
	s_and_saveexec_b64 s[40:41], vcc
; %bb.846:
	s_xor_b64 s[0:1], exec, -1
; %bb.847:
	s_or_b64 exec, exec, s[40:41]
	s_and_b64 s[0:1], s[0:1], exec
.LBB94_848:
	s_or_saveexec_b64 s[38:39], s[38:39]
	v_bfrev_b32_e32 v0, 4
	v_mov_b32_e32 v1, 0x7ff80000
	s_xor_b64 exec, exec, s[38:39]
; %bb.849:
	v_cmp_ne_u16_e32 vcc, 0, v4
	v_mov_b32_e32 v0, 0
	s_andn2_b64 s[0:1], s[0:1], exec
	s_and_b64 s[40:41], vcc, exec
	v_mov_b32_e32 v1, 0
	s_or_b64 s[0:1], s[0:1], s[40:41]
; %bb.850:
	s_or_b64 exec, exec, s[38:39]
	s_and_saveexec_b64 s[38:39], s[0:1]
	s_cbranch_execz .LBB94_852
; %bb.851:
	v_and_b32_e32 v1, 0xffff, v4
	v_lshlrev_b32_e32 v0, 24, v4
	v_and_b32_e32 v4, 7, v1
	v_ffbh_u32_e32 v7, v4
	v_min_u32_e32 v7, 32, v7
	v_subrev_u32_e32 v8, 28, v7
	v_bfe_u32 v5, v1, 3, 4
	v_lshlrev_b32_e32 v1, v8, v1
	v_sub_u32_e32 v7, 29, v7
	v_and_b32_e32 v1, 7, v1
	v_cmp_eq_u32_e32 vcc, 0, v5
	v_cndmask_b32_e32 v5, v5, v7, vcc
	v_cndmask_b32_e32 v1, v4, v1, vcc
	v_mov_b32_e32 v4, 0x3b800000
	v_lshlrev_b32_e32 v1, 20, v1
	v_and_b32_e32 v0, 0x80000000, v0
	v_lshl_add_u32 v4, v5, 23, v4
	v_or3_b32 v0, v0, v4, v1
	v_cvt_f64_f32_e32 v[0:1], v0
.LBB94_852:
	s_or_b64 exec, exec, s[38:39]
.LBB94_853:
	s_mov_b64 s[0:1], -1
.LBB94_854:
	s_mov_b64 s[38:39], 0
.LBB94_855:
	s_and_b64 vcc, exec, s[38:39]
	s_cbranch_vccz .LBB94_888
; %bb.856:
	s_cmp_gt_i32 s43, 22
	s_cbranch_scc0 .LBB94_868
; %bb.857:
	s_cmp_lt_i32 s43, 24
	s_cbranch_scc1 .LBB94_869
; %bb.858:
	s_cmp_gt_i32 s43, 24
	s_cbranch_scc0 .LBB94_870
; %bb.859:
	global_load_ubyte v4, v[2:3], off
	s_movk_i32 s0, 0x7f
	s_waitcnt vmcnt(0)
	v_cmp_lt_i16_e32 vcc, s0, v4
	s_mov_b64 s[0:1], 0
	s_and_saveexec_b64 s[38:39], vcc
	s_xor_b64 s[38:39], exec, s[38:39]
	s_cbranch_execz .LBB94_863
; %bb.860:
	s_movk_i32 s0, 0x80
	v_cmp_eq_u16_e32 vcc, s0, v4
	s_mov_b64 s[0:1], -1
	s_and_saveexec_b64 s[40:41], vcc
; %bb.861:
	s_xor_b64 s[0:1], exec, -1
; %bb.862:
	s_or_b64 exec, exec, s[40:41]
	s_and_b64 s[0:1], s[0:1], exec
.LBB94_863:
	s_or_saveexec_b64 s[38:39], s[38:39]
	v_bfrev_b32_e32 v0, 4
	v_mov_b32_e32 v1, 0x7ff80000
	s_xor_b64 exec, exec, s[38:39]
; %bb.864:
	v_cmp_ne_u16_e32 vcc, 0, v4
	v_mov_b32_e32 v0, 0
	s_andn2_b64 s[0:1], s[0:1], exec
	s_and_b64 s[40:41], vcc, exec
	v_mov_b32_e32 v1, 0
	s_or_b64 s[0:1], s[0:1], s[40:41]
; %bb.865:
	s_or_b64 exec, exec, s[38:39]
	s_and_saveexec_b64 s[38:39], s[0:1]
	s_cbranch_execz .LBB94_867
; %bb.866:
	v_and_b32_e32 v1, 0xffff, v4
	v_lshlrev_b32_e32 v0, 24, v4
	v_and_b32_e32 v4, 3, v1
	v_ffbh_u32_e32 v7, v4
	v_min_u32_e32 v7, 32, v7
	v_subrev_u32_e32 v8, 29, v7
	v_bfe_u32 v5, v1, 2, 5
	v_lshlrev_b32_e32 v1, v8, v1
	v_sub_u32_e32 v7, 30, v7
	v_and_b32_e32 v1, 3, v1
	v_cmp_eq_u32_e32 vcc, 0, v5
	v_cndmask_b32_e32 v5, v5, v7, vcc
	v_cndmask_b32_e32 v1, v4, v1, vcc
	v_mov_b32_e32 v4, 0x37800000
	v_lshlrev_b32_e32 v1, 21, v1
	v_and_b32_e32 v0, 0x80000000, v0
	v_lshl_add_u32 v4, v5, 23, v4
	v_or3_b32 v0, v0, v4, v1
	v_cvt_f64_f32_e32 v[0:1], v0
.LBB94_867:
	s_or_b64 exec, exec, s[38:39]
	s_mov_b64 s[0:1], 0
	s_branch .LBB94_871
.LBB94_868:
	s_mov_b64 s[38:39], -1
                                        ; implicit-def: $vgpr0_vgpr1
	s_branch .LBB94_877
.LBB94_869:
	s_mov_b64 s[0:1], -1
                                        ; implicit-def: $vgpr0_vgpr1
	s_branch .LBB94_874
.LBB94_870:
	s_mov_b64 s[0:1], -1
                                        ; implicit-def: $vgpr0_vgpr1
.LBB94_871:
	s_and_b64 vcc, exec, s[0:1]
	s_cbranch_vccz .LBB94_873
; %bb.872:
	global_load_ubyte v0, v[2:3], off
	s_mov_b32 s0, 0x7f800000
	s_waitcnt vmcnt(0)
	v_lshlrev_b32_e32 v0, 24, v0
	v_and_b32_e32 v1, 0x7f000000, v0
	v_ffbh_u32_e32 v4, v1
	v_min_u32_e32 v4, 32, v4
	v_sub_u32_e64 v4, v4, 4 clamp
	v_lshlrev_b32_e32 v7, v4, v1
	v_lshlrev_b32_e32 v4, 23, v4
	v_lshrrev_b32_e32 v7, 4, v7
	v_add_u32_e32 v5, 0x1000000, v1
	v_sub_u32_e32 v4, v7, v4
	v_ashrrev_i32_e32 v5, 8, v5
	v_add_u32_e32 v4, 0x3c000000, v4
	v_and_or_b32 v4, v5, s0, v4
	v_cmp_ne_u32_e32 vcc, 0, v1
	v_cndmask_b32_e32 v1, 0, v4, vcc
	s_brev_b32 s0, 1
	v_and_or_b32 v0, v0, s0, v1
	v_cvt_f64_f32_e32 v[0:1], v0
.LBB94_873:
	s_mov_b64 s[0:1], 0
.LBB94_874:
	s_andn2_b64 vcc, exec, s[0:1]
	s_cbranch_vccnz .LBB94_876
; %bb.875:
	global_load_ubyte v0, v[2:3], off
	s_movk_i32 s0, 0x7f00
	s_brev_b32 s1, 16
	s_waitcnt vmcnt(0)
	v_lshlrev_b16_e32 v1, 8, v0
	v_lshlrev_b32_e32 v0, 25, v0
	v_lshrrev_b32_e32 v4, 4, v0
	v_and_or_b32 v5, v1, s0, 0.5
	v_or_b32_e32 v4, 0x70000000, v4
	v_add_f32_e32 v5, -0.5, v5
	v_mul_f32_e32 v4, 0x7800000, v4
	v_cmp_gt_u32_e32 vcc, s1, v0
	v_bfe_i32 v1, v1, 0, 16
	v_cndmask_b32_e32 v0, v4, v5, vcc
	s_brev_b32 s0, 1
	v_and_or_b32 v0, v1, s0, v0
	v_cvt_f64_f32_e32 v[0:1], v0
.LBB94_876:
	s_mov_b64 s[38:39], 0
	s_mov_b64 s[0:1], -1
.LBB94_877:
	s_andn2_b64 vcc, exec, s[38:39]
	s_cbranch_vccnz .LBB94_888
; %bb.878:
	s_cmp_gt_i32 s43, 14
	s_cbranch_scc0 .LBB94_881
; %bb.879:
	s_cmp_eq_u32 s43, 15
	s_cbranch_scc0 .LBB94_882
; %bb.880:
	global_load_ushort v0, v[2:3], off
	s_mov_b64 s[0:1], -1
	s_mov_b64 s[36:37], 0
	s_waitcnt vmcnt(0)
	v_lshlrev_b32_e32 v0, 16, v0
	v_cvt_f64_f32_e32 v[0:1], v0
	s_branch .LBB94_883
.LBB94_881:
	s_mov_b64 s[38:39], -1
                                        ; implicit-def: $vgpr0_vgpr1
	s_branch .LBB94_884
.LBB94_882:
	s_mov_b64 s[36:37], -1
                                        ; implicit-def: $vgpr0_vgpr1
.LBB94_883:
	s_mov_b64 s[38:39], 0
.LBB94_884:
	s_and_b64 vcc, exec, s[38:39]
	s_cbranch_vccz .LBB94_888
; %bb.885:
	s_cmp_eq_u32 s43, 11
	s_cbranch_scc0 .LBB94_887
; %bb.886:
	global_load_ubyte v1, v[2:3], off
	v_mov_b32_e32 v4, 0x3ff00000
	v_mov_b32_e32 v0, 0
	s_mov_b64 s[0:1], -1
	s_mov_b64 s[36:37], 0
	s_waitcnt vmcnt(0)
	v_cmp_ne_u16_e32 vcc, 0, v1
	v_cndmask_b32_e32 v1, 0, v4, vcc
	s_branch .LBB94_888
.LBB94_887:
	s_mov_b64 s[36:37], -1
                                        ; implicit-def: $vgpr0_vgpr1
.LBB94_888:
	s_mov_b64 s[38:39], 0
.LBB94_889:
	s_and_b64 vcc, exec, s[38:39]
	s_cbranch_vccz .LBB94_938
; %bb.890:
	s_and_b32 s38, 0xffff, s42
	s_cmp_lt_i32 s38, 5
	s_cbranch_scc1 .LBB94_895
; %bb.891:
	s_cmp_lt_i32 s38, 8
	s_cbranch_scc1 .LBB94_896
; %bb.892:
	;; [unrolled: 3-line block ×3, first 2 shown]
	s_cmp_gt_i32 s38, 9
	s_cbranch_scc0 .LBB94_898
; %bb.894:
	global_load_dwordx2 v[0:1], v[2:3], off
	s_mov_b64 s[0:1], 0
	s_branch .LBB94_899
.LBB94_895:
	s_mov_b64 s[0:1], -1
                                        ; implicit-def: $vgpr0_vgpr1
	s_branch .LBB94_917
.LBB94_896:
	s_mov_b64 s[0:1], -1
                                        ; implicit-def: $vgpr0_vgpr1
	s_branch .LBB94_905
.LBB94_897:
	s_mov_b64 s[0:1], -1
                                        ; implicit-def: $vgpr0_vgpr1
	s_branch .LBB94_902
.LBB94_898:
	s_mov_b64 s[0:1], -1
                                        ; implicit-def: $vgpr0_vgpr1
.LBB94_899:
	s_andn2_b64 vcc, exec, s[0:1]
	s_cbranch_vccnz .LBB94_901
; %bb.900:
	global_load_dword v0, v[2:3], off
	s_waitcnt vmcnt(0)
	v_cvt_f64_f32_e32 v[0:1], v0
.LBB94_901:
	s_mov_b64 s[0:1], 0
.LBB94_902:
	s_andn2_b64 vcc, exec, s[0:1]
	s_cbranch_vccnz .LBB94_904
; %bb.903:
	global_load_dword v0, v[2:3], off
	s_waitcnt vmcnt(0)
	v_cvt_f32_f16_e32 v0, v0
	v_cvt_f64_f32_e32 v[0:1], v0
.LBB94_904:
	s_mov_b64 s[0:1], 0
.LBB94_905:
	s_andn2_b64 vcc, exec, s[0:1]
	s_cbranch_vccnz .LBB94_916
; %bb.906:
	s_cmp_lt_i32 s38, 6
	s_cbranch_scc1 .LBB94_909
; %bb.907:
	s_cmp_gt_i32 s38, 6
	s_cbranch_scc0 .LBB94_910
; %bb.908:
	global_load_dwordx2 v[0:1], v[2:3], off
	s_mov_b64 s[0:1], 0
	s_branch .LBB94_911
.LBB94_909:
	s_mov_b64 s[0:1], -1
                                        ; implicit-def: $vgpr0_vgpr1
	s_branch .LBB94_914
.LBB94_910:
	s_mov_b64 s[0:1], -1
                                        ; implicit-def: $vgpr0_vgpr1
.LBB94_911:
	s_andn2_b64 vcc, exec, s[0:1]
	s_cbranch_vccnz .LBB94_913
; %bb.912:
	global_load_dword v0, v[2:3], off
	s_waitcnt vmcnt(0)
	v_cvt_f64_f32_e32 v[0:1], v0
.LBB94_913:
	s_mov_b64 s[0:1], 0
.LBB94_914:
	s_andn2_b64 vcc, exec, s[0:1]
	s_cbranch_vccnz .LBB94_916
; %bb.915:
	global_load_ushort v0, v[2:3], off
	s_waitcnt vmcnt(0)
	v_cvt_f32_f16_e32 v0, v0
	v_cvt_f64_f32_e32 v[0:1], v0
.LBB94_916:
	s_mov_b64 s[0:1], 0
.LBB94_917:
	s_andn2_b64 vcc, exec, s[0:1]
	s_cbranch_vccnz .LBB94_937
; %bb.918:
	s_cmp_lt_i32 s38, 2
	s_cbranch_scc1 .LBB94_922
; %bb.919:
	s_cmp_lt_i32 s38, 3
	s_cbranch_scc1 .LBB94_923
; %bb.920:
	s_cmp_gt_i32 s38, 3
	s_cbranch_scc0 .LBB94_924
; %bb.921:
	global_load_dwordx2 v[0:1], v[2:3], off
	s_mov_b64 s[0:1], 0
	s_waitcnt vmcnt(0)
	v_cvt_f64_i32_e32 v[4:5], v1
	v_cvt_f64_u32_e32 v[0:1], v0
	v_ldexp_f64 v[4:5], v[4:5], 32
	v_add_f64 v[0:1], v[4:5], v[0:1]
	s_branch .LBB94_925
.LBB94_922:
	s_mov_b64 s[0:1], -1
                                        ; implicit-def: $vgpr0_vgpr1
	s_branch .LBB94_931
.LBB94_923:
	s_mov_b64 s[0:1], -1
                                        ; implicit-def: $vgpr0_vgpr1
	s_branch .LBB94_928
.LBB94_924:
	s_mov_b64 s[0:1], -1
                                        ; implicit-def: $vgpr0_vgpr1
.LBB94_925:
	s_andn2_b64 vcc, exec, s[0:1]
	s_cbranch_vccnz .LBB94_927
; %bb.926:
	global_load_dword v0, v[2:3], off
	s_waitcnt vmcnt(0)
	v_cvt_f64_i32_e32 v[0:1], v0
.LBB94_927:
	s_mov_b64 s[0:1], 0
.LBB94_928:
	s_andn2_b64 vcc, exec, s[0:1]
	s_cbranch_vccnz .LBB94_930
; %bb.929:
	global_load_sshort v0, v[2:3], off
	s_waitcnt vmcnt(0)
	v_cvt_f64_i32_e32 v[0:1], v0
.LBB94_930:
	s_mov_b64 s[0:1], 0
.LBB94_931:
	s_andn2_b64 vcc, exec, s[0:1]
	s_cbranch_vccnz .LBB94_937
; %bb.932:
	s_cmp_gt_i32 s38, 0
	s_cbranch_scc0 .LBB94_934
; %bb.933:
	global_load_sbyte v0, v[2:3], off
	s_mov_b64 s[0:1], 0
	s_waitcnt vmcnt(0)
	v_cvt_f64_i32_e32 v[0:1], v0
	s_branch .LBB94_935
.LBB94_934:
	s_mov_b64 s[0:1], -1
                                        ; implicit-def: $vgpr0_vgpr1
.LBB94_935:
	s_andn2_b64 vcc, exec, s[0:1]
	s_cbranch_vccnz .LBB94_937
; %bb.936:
	global_load_ubyte v0, v[2:3], off
	s_waitcnt vmcnt(0)
	v_cvt_f64_u32_e32 v[0:1], v0
.LBB94_937:
	s_mov_b64 s[0:1], -1
.LBB94_938:
	s_andn2_b64 vcc, exec, s[0:1]
	s_cbranch_vccnz .LBB94_946
; %bb.939:
	v_mul_lo_u32 v2, v6, s14
	v_mov_b32_e32 v3, s3
	s_and_b32 s44, s54, 0xff
	s_cmp_lt_i32 s44, 11
	v_ashrrev_i32_e32 v4, 31, v2
	v_add_co_u32_e32 v2, vcc, s2, v2
	v_addc_co_u32_e32 v3, vcc, v3, v4, vcc
	s_cbranch_scc1 .LBB94_948
; %bb.940:
	s_and_b32 s45, 0xffff, s44
	s_cmp_gt_i32 s45, 25
	s_cbranch_scc0 .LBB94_949
; %bb.941:
	s_cmp_gt_i32 s45, 28
	s_cbranch_scc0 .LBB94_950
; %bb.942:
	;; [unrolled: 3-line block ×4, first 2 shown]
	s_cmp_eq_u32 s45, 46
	s_mov_b64 s[40:41], 0
	s_cbranch_scc0 .LBB94_955
; %bb.945:
	global_load_dword v4, v[2:3], off
	s_mov_b64 s[0:1], -1
	s_mov_b64 s[38:39], 0
	s_waitcnt vmcnt(0)
	v_lshlrev_b32_e32 v4, 16, v4
	v_cvt_f64_f32_e32 v[4:5], v4
	s_branch .LBB94_956
.LBB94_946:
	s_mov_b64 s[42:43], 0
	s_mov_b64 s[0:1], s[28:29]
	;; [unrolled: 1-line block ×3, first 2 shown]
.LBB94_947:
                                        ; implicit-def: $vgpr6
	s_branch .LBB94_1211
.LBB94_948:
	s_mov_b64 s[40:41], -1
	s_mov_b64 s[0:1], 0
                                        ; implicit-def: $vgpr4_vgpr5
	s_mov_b64 s[38:39], s[26:27]
	s_branch .LBB94_1021
.LBB94_949:
	s_mov_b64 s[40:41], -1
	s_mov_b64 s[0:1], 0
	s_mov_b64 s[38:39], s[26:27]
                                        ; implicit-def: $vgpr4_vgpr5
	s_branch .LBB94_987
.LBB94_950:
	s_mov_b64 s[40:41], -1
	s_mov_b64 s[0:1], 0
	s_mov_b64 s[38:39], s[26:27]
                                        ; implicit-def: $vgpr4_vgpr5
	s_branch .LBB94_966
.LBB94_951:
	s_mov_b64 s[40:41], -1
	s_mov_b64 s[0:1], 0
	s_mov_b64 s[38:39], s[26:27]
                                        ; implicit-def: $vgpr4_vgpr5
	s_branch .LBB94_961
.LBB94_952:
	s_mov_b64 s[40:41], -1
	s_mov_b64 s[0:1], 0
	s_mov_b64 s[38:39], s[26:27]
                                        ; implicit-def: $vgpr4_vgpr5
	s_branch .LBB94_956
.LBB94_953:
	s_andn2_saveexec_b64 s[38:39], s[38:39]
	s_cbranch_execz .LBB94_729
.LBB94_954:
	v_add_f32_e32 v2, 0x42800000, v3
	v_and_b32_e32 v2, 0xff, v2
	v_cmp_ne_u32_e32 vcc, 0, v2
	s_andn2_b64 s[36:37], s[36:37], exec
	s_and_b64 s[42:43], vcc, exec
	s_or_b64 s[36:37], s[36:37], s[42:43]
	s_or_b64 exec, exec, s[38:39]
	v_mov_b32_e32 v4, 0
	s_and_saveexec_b64 s[38:39], s[36:37]
	s_cbranch_execnz .LBB94_730
	s_branch .LBB94_731
.LBB94_955:
	s_mov_b64 s[38:39], -1
                                        ; implicit-def: $vgpr4_vgpr5
	s_mov_b64 s[0:1], 0
.LBB94_956:
	s_and_b64 vcc, exec, s[40:41]
	s_cbranch_vccz .LBB94_960
; %bb.957:
	s_cmp_eq_u32 s45, 44
	s_cbranch_scc0 .LBB94_959
; %bb.958:
	global_load_ubyte v7, v[2:3], off
	s_movk_i32 s38, 0xff
	v_bfrev_b32_e32 v8, 4
	v_mov_b32_e32 v9, 0x7ff80000
	v_bfrev_b32_e32 v10, 28
	s_mov_b64 s[0:1], -1
	s_waitcnt vmcnt(0)
	v_lshlrev_b32_e32 v4, 23, v7
	v_cvt_f64_f32_e32 v[4:5], v4
	v_cmp_ne_u32_e32 vcc, s38, v7
	s_mov_b64 s[38:39], 0
	v_cndmask_b32_e32 v4, v8, v4, vcc
	v_cndmask_b32_e32 v5, v9, v5, vcc
	v_cmp_ne_u32_e32 vcc, 0, v7
	v_cndmask_b32_e32 v5, v10, v5, vcc
	v_cndmask_b32_e32 v4, 0, v4, vcc
	s_branch .LBB94_960
.LBB94_959:
	s_mov_b64 s[38:39], -1
                                        ; implicit-def: $vgpr4_vgpr5
.LBB94_960:
	s_mov_b64 s[40:41], 0
.LBB94_961:
	s_and_b64 vcc, exec, s[40:41]
	s_cbranch_vccz .LBB94_965
; %bb.962:
	s_cmp_eq_u32 s45, 29
	s_cbranch_scc0 .LBB94_964
; %bb.963:
	global_load_dwordx2 v[4:5], v[2:3], off
	s_mov_b64 s[0:1], -1
	s_mov_b64 s[38:39], 0
	s_mov_b64 s[40:41], 0
	s_waitcnt vmcnt(0)
	v_cvt_f64_u32_e32 v[7:8], v5
	v_cvt_f64_u32_e32 v[4:5], v4
	v_ldexp_f64 v[7:8], v[7:8], 32
	v_add_f64 v[4:5], v[7:8], v[4:5]
	s_branch .LBB94_966
.LBB94_964:
	s_mov_b64 s[38:39], -1
                                        ; implicit-def: $vgpr4_vgpr5
.LBB94_965:
	s_mov_b64 s[40:41], 0
.LBB94_966:
	s_and_b64 vcc, exec, s[40:41]
	s_cbranch_vccz .LBB94_986
; %bb.967:
	s_cmp_lt_i32 s45, 27
	s_cbranch_scc1 .LBB94_970
; %bb.968:
	s_cmp_gt_i32 s45, 27
	s_cbranch_scc0 .LBB94_971
; %bb.969:
	global_load_dword v4, v[2:3], off
	s_mov_b64 s[0:1], 0
	s_waitcnt vmcnt(0)
	v_cvt_f64_u32_e32 v[4:5], v4
	s_branch .LBB94_972
.LBB94_970:
	s_mov_b64 s[0:1], -1
                                        ; implicit-def: $vgpr4_vgpr5
	s_branch .LBB94_975
.LBB94_971:
	s_mov_b64 s[0:1], -1
                                        ; implicit-def: $vgpr4_vgpr5
.LBB94_972:
	s_andn2_b64 vcc, exec, s[0:1]
	s_cbranch_vccnz .LBB94_974
; %bb.973:
	global_load_ushort v4, v[2:3], off
	s_waitcnt vmcnt(0)
	v_cvt_f64_u32_e32 v[4:5], v4
.LBB94_974:
	s_mov_b64 s[0:1], 0
.LBB94_975:
	s_andn2_b64 vcc, exec, s[0:1]
	s_cbranch_vccnz .LBB94_985
; %bb.976:
	global_load_ubyte v7, v[2:3], off
	s_movk_i32 s0, 0x7f
	s_waitcnt vmcnt(0)
	v_cmp_lt_i16_e32 vcc, s0, v7
	s_mov_b64 s[0:1], 0
	s_and_saveexec_b64 s[40:41], vcc
	s_xor_b64 s[40:41], exec, s[40:41]
	s_cbranch_execz .LBB94_980
; %bb.977:
	s_movk_i32 s0, 0x80
	v_cmp_eq_u16_e32 vcc, s0, v7
	s_mov_b64 s[0:1], -1
	s_and_saveexec_b64 s[42:43], vcc
; %bb.978:
	s_xor_b64 s[0:1], exec, -1
; %bb.979:
	s_or_b64 exec, exec, s[42:43]
	s_and_b64 s[0:1], s[0:1], exec
.LBB94_980:
	s_or_saveexec_b64 s[40:41], s[40:41]
	v_bfrev_b32_e32 v4, 4
	v_mov_b32_e32 v5, 0x7ff80000
	s_xor_b64 exec, exec, s[40:41]
; %bb.981:
	v_cmp_ne_u16_e32 vcc, 0, v7
	v_mov_b32_e32 v4, 0
	s_andn2_b64 s[0:1], s[0:1], exec
	s_and_b64 s[42:43], vcc, exec
	v_mov_b32_e32 v5, 0
	s_or_b64 s[0:1], s[0:1], s[42:43]
; %bb.982:
	s_or_b64 exec, exec, s[40:41]
	s_and_saveexec_b64 s[40:41], s[0:1]
	s_cbranch_execz .LBB94_984
; %bb.983:
	v_and_b32_e32 v5, 0xffff, v7
	v_lshlrev_b32_e32 v4, 24, v7
	v_and_b32_e32 v7, 7, v5
	v_ffbh_u32_e32 v9, v7
	v_min_u32_e32 v9, 32, v9
	v_subrev_u32_e32 v10, 28, v9
	v_bfe_u32 v8, v5, 3, 4
	v_lshlrev_b32_e32 v5, v10, v5
	v_sub_u32_e32 v9, 29, v9
	v_and_b32_e32 v5, 7, v5
	v_cmp_eq_u32_e32 vcc, 0, v8
	v_cndmask_b32_e32 v8, v8, v9, vcc
	v_cndmask_b32_e32 v5, v7, v5, vcc
	v_mov_b32_e32 v7, 0x3b800000
	v_lshlrev_b32_e32 v5, 20, v5
	v_and_b32_e32 v4, 0x80000000, v4
	v_lshl_add_u32 v7, v8, 23, v7
	v_or3_b32 v4, v4, v7, v5
	v_cvt_f64_f32_e32 v[4:5], v4
.LBB94_984:
	s_or_b64 exec, exec, s[40:41]
.LBB94_985:
	s_mov_b64 s[0:1], -1
.LBB94_986:
	s_mov_b64 s[40:41], 0
.LBB94_987:
	s_and_b64 vcc, exec, s[40:41]
	s_cbranch_vccz .LBB94_1020
; %bb.988:
	s_cmp_gt_i32 s45, 22
	s_cbranch_scc0 .LBB94_1000
; %bb.989:
	s_cmp_lt_i32 s45, 24
	s_cbranch_scc1 .LBB94_1001
; %bb.990:
	s_cmp_gt_i32 s45, 24
	s_cbranch_scc0 .LBB94_1002
; %bb.991:
	global_load_ubyte v7, v[2:3], off
	s_movk_i32 s0, 0x7f
	s_waitcnt vmcnt(0)
	v_cmp_lt_i16_e32 vcc, s0, v7
	s_mov_b64 s[0:1], 0
	s_and_saveexec_b64 s[40:41], vcc
	s_xor_b64 s[40:41], exec, s[40:41]
	s_cbranch_execz .LBB94_995
; %bb.992:
	s_movk_i32 s0, 0x80
	v_cmp_eq_u16_e32 vcc, s0, v7
	s_mov_b64 s[0:1], -1
	s_and_saveexec_b64 s[42:43], vcc
; %bb.993:
	s_xor_b64 s[0:1], exec, -1
; %bb.994:
	s_or_b64 exec, exec, s[42:43]
	s_and_b64 s[0:1], s[0:1], exec
.LBB94_995:
	s_or_saveexec_b64 s[40:41], s[40:41]
	v_bfrev_b32_e32 v4, 4
	v_mov_b32_e32 v5, 0x7ff80000
	s_xor_b64 exec, exec, s[40:41]
; %bb.996:
	v_cmp_ne_u16_e32 vcc, 0, v7
	v_mov_b32_e32 v4, 0
	s_andn2_b64 s[0:1], s[0:1], exec
	s_and_b64 s[42:43], vcc, exec
	v_mov_b32_e32 v5, 0
	s_or_b64 s[0:1], s[0:1], s[42:43]
; %bb.997:
	s_or_b64 exec, exec, s[40:41]
	s_and_saveexec_b64 s[40:41], s[0:1]
	s_cbranch_execz .LBB94_999
; %bb.998:
	v_and_b32_e32 v5, 0xffff, v7
	v_lshlrev_b32_e32 v4, 24, v7
	v_and_b32_e32 v7, 3, v5
	v_ffbh_u32_e32 v9, v7
	v_min_u32_e32 v9, 32, v9
	v_subrev_u32_e32 v10, 29, v9
	v_bfe_u32 v8, v5, 2, 5
	v_lshlrev_b32_e32 v5, v10, v5
	v_sub_u32_e32 v9, 30, v9
	v_and_b32_e32 v5, 3, v5
	v_cmp_eq_u32_e32 vcc, 0, v8
	v_cndmask_b32_e32 v8, v8, v9, vcc
	v_cndmask_b32_e32 v5, v7, v5, vcc
	v_mov_b32_e32 v7, 0x37800000
	v_lshlrev_b32_e32 v5, 21, v5
	v_and_b32_e32 v4, 0x80000000, v4
	v_lshl_add_u32 v7, v8, 23, v7
	v_or3_b32 v4, v4, v7, v5
	v_cvt_f64_f32_e32 v[4:5], v4
.LBB94_999:
	s_or_b64 exec, exec, s[40:41]
	s_mov_b64 s[0:1], 0
	s_branch .LBB94_1003
.LBB94_1000:
	s_mov_b64 s[40:41], -1
                                        ; implicit-def: $vgpr4_vgpr5
	s_branch .LBB94_1009
.LBB94_1001:
	s_mov_b64 s[0:1], -1
                                        ; implicit-def: $vgpr4_vgpr5
	s_branch .LBB94_1006
.LBB94_1002:
	s_mov_b64 s[0:1], -1
                                        ; implicit-def: $vgpr4_vgpr5
.LBB94_1003:
	s_and_b64 vcc, exec, s[0:1]
	s_cbranch_vccz .LBB94_1005
; %bb.1004:
	global_load_ubyte v4, v[2:3], off
	s_mov_b32 s0, 0x7f800000
	s_waitcnt vmcnt(0)
	v_lshlrev_b32_e32 v4, 24, v4
	v_and_b32_e32 v5, 0x7f000000, v4
	v_ffbh_u32_e32 v7, v5
	v_min_u32_e32 v7, 32, v7
	v_sub_u32_e64 v7, v7, 4 clamp
	v_lshlrev_b32_e32 v9, v7, v5
	v_lshlrev_b32_e32 v7, 23, v7
	v_lshrrev_b32_e32 v9, 4, v9
	v_add_u32_e32 v8, 0x1000000, v5
	v_sub_u32_e32 v7, v9, v7
	v_ashrrev_i32_e32 v8, 8, v8
	v_add_u32_e32 v7, 0x3c000000, v7
	v_and_or_b32 v7, v8, s0, v7
	v_cmp_ne_u32_e32 vcc, 0, v5
	v_cndmask_b32_e32 v5, 0, v7, vcc
	s_brev_b32 s0, 1
	v_and_or_b32 v4, v4, s0, v5
	v_cvt_f64_f32_e32 v[4:5], v4
.LBB94_1005:
	s_mov_b64 s[0:1], 0
.LBB94_1006:
	s_andn2_b64 vcc, exec, s[0:1]
	s_cbranch_vccnz .LBB94_1008
; %bb.1007:
	global_load_ubyte v4, v[2:3], off
	s_movk_i32 s0, 0x7f00
	s_brev_b32 s1, 16
	s_waitcnt vmcnt(0)
	v_lshlrev_b16_e32 v5, 8, v4
	v_lshlrev_b32_e32 v4, 25, v4
	v_lshrrev_b32_e32 v7, 4, v4
	v_and_or_b32 v8, v5, s0, 0.5
	v_or_b32_e32 v7, 0x70000000, v7
	v_add_f32_e32 v8, -0.5, v8
	v_mul_f32_e32 v7, 0x7800000, v7
	v_cmp_gt_u32_e32 vcc, s1, v4
	v_bfe_i32 v5, v5, 0, 16
	v_cndmask_b32_e32 v4, v7, v8, vcc
	s_brev_b32 s0, 1
	v_and_or_b32 v4, v5, s0, v4
	v_cvt_f64_f32_e32 v[4:5], v4
.LBB94_1008:
	s_mov_b64 s[40:41], 0
	s_mov_b64 s[0:1], -1
.LBB94_1009:
	s_andn2_b64 vcc, exec, s[40:41]
	s_cbranch_vccnz .LBB94_1020
; %bb.1010:
	s_cmp_gt_i32 s45, 14
	s_cbranch_scc0 .LBB94_1013
; %bb.1011:
	s_cmp_eq_u32 s45, 15
	s_cbranch_scc0 .LBB94_1014
; %bb.1012:
	global_load_ushort v4, v[2:3], off
	s_mov_b64 s[0:1], -1
	s_mov_b64 s[38:39], 0
	s_waitcnt vmcnt(0)
	v_lshlrev_b32_e32 v4, 16, v4
	v_cvt_f64_f32_e32 v[4:5], v4
	s_branch .LBB94_1015
.LBB94_1013:
	s_mov_b64 s[40:41], -1
                                        ; implicit-def: $vgpr4_vgpr5
	s_branch .LBB94_1016
.LBB94_1014:
	s_mov_b64 s[38:39], -1
                                        ; implicit-def: $vgpr4_vgpr5
.LBB94_1015:
	s_mov_b64 s[40:41], 0
.LBB94_1016:
	s_and_b64 vcc, exec, s[40:41]
	s_cbranch_vccz .LBB94_1020
; %bb.1017:
	s_cmp_eq_u32 s45, 11
	s_cbranch_scc0 .LBB94_1019
; %bb.1018:
	global_load_ubyte v5, v[2:3], off
	v_mov_b32_e32 v7, 0x3ff00000
	v_mov_b32_e32 v4, 0
	s_mov_b64 s[0:1], -1
	s_mov_b64 s[38:39], 0
	s_waitcnt vmcnt(0)
	v_cmp_ne_u16_e32 vcc, 0, v5
	v_cndmask_b32_e32 v5, 0, v7, vcc
	s_branch .LBB94_1020
.LBB94_1019:
	s_mov_b64 s[38:39], -1
                                        ; implicit-def: $vgpr4_vgpr5
.LBB94_1020:
	s_mov_b64 s[40:41], 0
.LBB94_1021:
	s_and_b64 vcc, exec, s[40:41]
	s_cbranch_vccz .LBB94_1070
; %bb.1022:
	s_and_b32 s40, 0xffff, s44
	s_cmp_lt_i32 s40, 5
	s_cbranch_scc1 .LBB94_1027
; %bb.1023:
	s_cmp_lt_i32 s40, 8
	s_cbranch_scc1 .LBB94_1028
; %bb.1024:
	;; [unrolled: 3-line block ×3, first 2 shown]
	s_cmp_gt_i32 s40, 9
	s_cbranch_scc0 .LBB94_1030
; %bb.1026:
	global_load_dwordx2 v[4:5], v[2:3], off
	s_mov_b64 s[0:1], 0
	s_branch .LBB94_1031
.LBB94_1027:
	s_mov_b64 s[0:1], -1
                                        ; implicit-def: $vgpr4_vgpr5
	s_branch .LBB94_1049
.LBB94_1028:
	s_mov_b64 s[0:1], -1
                                        ; implicit-def: $vgpr4_vgpr5
	s_branch .LBB94_1037
.LBB94_1029:
	s_mov_b64 s[0:1], -1
                                        ; implicit-def: $vgpr4_vgpr5
	s_branch .LBB94_1034
.LBB94_1030:
	s_mov_b64 s[0:1], -1
                                        ; implicit-def: $vgpr4_vgpr5
.LBB94_1031:
	s_andn2_b64 vcc, exec, s[0:1]
	s_cbranch_vccnz .LBB94_1033
; %bb.1032:
	global_load_dword v4, v[2:3], off
	s_waitcnt vmcnt(0)
	v_cvt_f64_f32_e32 v[4:5], v4
.LBB94_1033:
	s_mov_b64 s[0:1], 0
.LBB94_1034:
	s_andn2_b64 vcc, exec, s[0:1]
	s_cbranch_vccnz .LBB94_1036
; %bb.1035:
	global_load_dword v4, v[2:3], off
	s_waitcnt vmcnt(0)
	v_cvt_f32_f16_e32 v4, v4
	v_cvt_f64_f32_e32 v[4:5], v4
.LBB94_1036:
	s_mov_b64 s[0:1], 0
.LBB94_1037:
	s_andn2_b64 vcc, exec, s[0:1]
	s_cbranch_vccnz .LBB94_1048
; %bb.1038:
	s_cmp_lt_i32 s40, 6
	s_cbranch_scc1 .LBB94_1041
; %bb.1039:
	s_cmp_gt_i32 s40, 6
	s_cbranch_scc0 .LBB94_1042
; %bb.1040:
	global_load_dwordx2 v[4:5], v[2:3], off
	s_mov_b64 s[0:1], 0
	s_branch .LBB94_1043
.LBB94_1041:
	s_mov_b64 s[0:1], -1
                                        ; implicit-def: $vgpr4_vgpr5
	s_branch .LBB94_1046
.LBB94_1042:
	s_mov_b64 s[0:1], -1
                                        ; implicit-def: $vgpr4_vgpr5
.LBB94_1043:
	s_andn2_b64 vcc, exec, s[0:1]
	s_cbranch_vccnz .LBB94_1045
; %bb.1044:
	global_load_dword v4, v[2:3], off
	s_waitcnt vmcnt(0)
	v_cvt_f64_f32_e32 v[4:5], v4
.LBB94_1045:
	s_mov_b64 s[0:1], 0
.LBB94_1046:
	s_andn2_b64 vcc, exec, s[0:1]
	s_cbranch_vccnz .LBB94_1048
; %bb.1047:
	global_load_ushort v4, v[2:3], off
	s_waitcnt vmcnt(0)
	v_cvt_f32_f16_e32 v4, v4
	v_cvt_f64_f32_e32 v[4:5], v4
.LBB94_1048:
	s_mov_b64 s[0:1], 0
.LBB94_1049:
	s_andn2_b64 vcc, exec, s[0:1]
	s_cbranch_vccnz .LBB94_1069
; %bb.1050:
	s_cmp_lt_i32 s40, 2
	s_cbranch_scc1 .LBB94_1054
; %bb.1051:
	s_cmp_lt_i32 s40, 3
	s_cbranch_scc1 .LBB94_1055
; %bb.1052:
	s_cmp_gt_i32 s40, 3
	s_cbranch_scc0 .LBB94_1056
; %bb.1053:
	global_load_dwordx2 v[4:5], v[2:3], off
	s_mov_b64 s[0:1], 0
	s_waitcnt vmcnt(0)
	v_cvt_f64_i32_e32 v[7:8], v5
	v_cvt_f64_u32_e32 v[4:5], v4
	v_ldexp_f64 v[7:8], v[7:8], 32
	v_add_f64 v[4:5], v[7:8], v[4:5]
	s_branch .LBB94_1057
.LBB94_1054:
	s_mov_b64 s[0:1], -1
                                        ; implicit-def: $vgpr4_vgpr5
	s_branch .LBB94_1063
.LBB94_1055:
	s_mov_b64 s[0:1], -1
                                        ; implicit-def: $vgpr4_vgpr5
	s_branch .LBB94_1060
.LBB94_1056:
	s_mov_b64 s[0:1], -1
                                        ; implicit-def: $vgpr4_vgpr5
.LBB94_1057:
	s_andn2_b64 vcc, exec, s[0:1]
	s_cbranch_vccnz .LBB94_1059
; %bb.1058:
	global_load_dword v4, v[2:3], off
	s_waitcnt vmcnt(0)
	v_cvt_f64_i32_e32 v[4:5], v4
.LBB94_1059:
	s_mov_b64 s[0:1], 0
.LBB94_1060:
	s_andn2_b64 vcc, exec, s[0:1]
	s_cbranch_vccnz .LBB94_1062
; %bb.1061:
	global_load_sshort v4, v[2:3], off
	s_waitcnt vmcnt(0)
	v_cvt_f64_i32_e32 v[4:5], v4
.LBB94_1062:
	s_mov_b64 s[0:1], 0
.LBB94_1063:
	s_andn2_b64 vcc, exec, s[0:1]
	s_cbranch_vccnz .LBB94_1069
; %bb.1064:
	s_cmp_gt_i32 s40, 0
	s_cbranch_scc0 .LBB94_1066
; %bb.1065:
	global_load_sbyte v4, v[2:3], off
	s_mov_b64 s[0:1], 0
	s_waitcnt vmcnt(0)
	v_cvt_f64_i32_e32 v[4:5], v4
	s_branch .LBB94_1067
.LBB94_1066:
	s_mov_b64 s[0:1], -1
                                        ; implicit-def: $vgpr4_vgpr5
.LBB94_1067:
	s_andn2_b64 vcc, exec, s[0:1]
	s_cbranch_vccnz .LBB94_1069
; %bb.1068:
	global_load_ubyte v2, v[2:3], off
	s_waitcnt vmcnt(0)
	v_cvt_f64_u32_e32 v[4:5], v2
.LBB94_1069:
	s_mov_b64 s[0:1], -1
.LBB94_1070:
	s_andn2_b64 vcc, exec, s[0:1]
	s_cbranch_vccnz .LBB94_1075
; %bb.1071:
	s_cmp_lt_i32 s15, 1
	s_mov_b64 s[0:1], 0
	s_cbranch_scc1 .LBB94_1076
; %bb.1072:
	s_cmp_gt_i32 s15, 1
	s_cbranch_scc0 .LBB94_1077
; %bb.1073:
	s_cmp_eq_u32 s15, 2
	s_cbranch_scc0 .LBB94_1078
; %bb.1074:
	s_waitcnt vmcnt(0)
	v_cmp_le_f64_e64 s[40:41], v[0:1], v[4:5]
	s_mov_b64 s[42:43], 0
	s_branch .LBB94_1079
.LBB94_1075:
	s_mov_b64 s[42:43], 0
                                        ; implicit-def: $vgpr6
	s_mov_b64 s[0:1], s[28:29]
	s_branch .LBB94_1211
.LBB94_1076:
	s_mov_b64 s[44:45], -1
                                        ; implicit-def: $sgpr40_sgpr41
	s_mov_b64 s[42:43], 0
	s_branch .LBB94_1083
.LBB94_1077:
	s_mov_b64 s[44:45], -1
	s_mov_b64 s[42:43], 0
                                        ; implicit-def: $sgpr40_sgpr41
	s_branch .LBB94_1080
.LBB94_1078:
	s_mov_b64 s[42:43], -1
                                        ; implicit-def: $sgpr40_sgpr41
.LBB94_1079:
	s_mov_b64 s[44:45], 0
.LBB94_1080:
	s_and_b64 vcc, exec, s[44:45]
	s_cbranch_vccz .LBB94_1082
; %bb.1081:
	s_waitcnt vmcnt(0)
	v_cmp_gt_f64_e32 vcc, v[0:1], v[4:5]
	s_andn2_b64 s[40:41], s[40:41], exec
	s_and_b64 s[44:45], vcc, exec
	s_or_b64 s[40:41], s[40:41], s[44:45]
.LBB94_1082:
	s_mov_b64 s[44:45], 0
.LBB94_1083:
	s_and_b64 vcc, exec, s[44:45]
	s_cbranch_vccz .LBB94_1094
; %bb.1084:
	s_cmp_lg_u32 s15, 0
	s_mov_b64 s[0:1], -1
	s_cselect_b64 s[42:43], -1, 0
	s_andn2_b64 vcc, exec, s[42:43]
	s_cbranch_vccz .LBB94_1095
.LBB94_1085:
	s_andn2_b64 vcc, exec, s[0:1]
	s_cbranch_vccnz .LBB94_1087
.LBB94_1086:
	s_waitcnt vmcnt(0)
	v_cmp_ge_f64_e32 vcc, v[0:1], v[4:5]
	s_andn2_b64 s[0:1], s[40:41], exec
	s_and_b64 s[40:41], vcc, exec
	s_or_b64 s[40:41], s[0:1], s[40:41]
.LBB94_1087:
	s_waitcnt vmcnt(0)
	v_mul_lo_u32 v0, v6, s12
	v_mov_b32_e32 v1, s9
	s_and_b32 s49, s33, 0xff
	s_cmp_lt_i32 s49, 11
	v_ashrrev_i32_e32 v2, 31, v0
	v_add_co_u32_e32 v0, vcc, s8, v0
	v_addc_co_u32_e32 v1, vcc, v1, v2, vcc
	s_cbranch_scc1 .LBB94_1096
; %bb.1088:
	s_and_b32 s50, 0xffff, s49
	s_cmp_gt_i32 s50, 25
	s_cbranch_scc0 .LBB94_1097
; %bb.1089:
	s_cmp_gt_i32 s50, 28
	s_cbranch_scc0 .LBB94_1098
; %bb.1090:
	;; [unrolled: 3-line block ×4, first 2 shown]
	s_mov_b64 s[44:45], 0
	s_mov_b64 s[0:1], -1
	s_cmp_eq_u32 s50, 46
	s_mov_b64 s[42:43], 0
	s_cbranch_scc0 .LBB94_1101
; %bb.1093:
	v_cndmask_b32_e64 v2, 0, 1.0, s[40:41]
	v_bfe_u32 v3, v2, 16, 1
	s_movk_i32 s0, 0x7fff
	v_add3_u32 v2, v2, v3, s0
	v_lshrrev_b32_e32 v2, 16, v2
	global_store_dword v[0:1], v2, off
	s_mov_b64 s[42:43], -1
	s_mov_b64 s[0:1], 0
	s_branch .LBB94_1101
.LBB94_1094:
	s_andn2_b64 vcc, exec, s[42:43]
	s_cbranch_vccnz .LBB94_1085
.LBB94_1095:
	s_waitcnt vmcnt(0)
	v_cmp_lt_f64_e32 vcc, v[0:1], v[4:5]
	s_andn2_b64 s[40:41], s[40:41], exec
	s_and_b64 s[42:43], vcc, exec
	s_or_b64 s[40:41], s[40:41], s[42:43]
	s_cbranch_execz .LBB94_1086
	s_branch .LBB94_1087
.LBB94_1096:
	s_mov_b64 s[44:45], -1
	s_mov_b64 s[42:43], 0
	s_mov_b64 s[0:1], s[28:29]
	s_branch .LBB94_1170
.LBB94_1097:
	s_mov_b64 s[44:45], -1
	s_mov_b64 s[42:43], 0
	s_mov_b64 s[0:1], s[28:29]
	s_branch .LBB94_1128
.LBB94_1098:
	s_mov_b64 s[44:45], -1
	s_mov_b64 s[42:43], 0
	s_mov_b64 s[0:1], s[28:29]
	s_branch .LBB94_1111
.LBB94_1099:
	s_mov_b64 s[44:45], -1
	s_mov_b64 s[42:43], 0
	s_mov_b64 s[0:1], s[28:29]
	s_branch .LBB94_1107
.LBB94_1100:
	s_mov_b64 s[44:45], -1
	s_mov_b64 s[42:43], 0
	s_mov_b64 s[0:1], s[28:29]
.LBB94_1101:
	s_and_b64 vcc, exec, s[44:45]
	s_cbranch_vccz .LBB94_1106
; %bb.1102:
	s_cmp_eq_u32 s50, 44
	s_mov_b64 s[0:1], -1
	s_cbranch_scc0 .LBB94_1106
; %bb.1103:
	v_cndmask_b32_e64 v3, 0, 1.0, s[40:41]
	v_lshrrev_b32_e32 v2, 23, v3
	s_movk_i32 s0, 0xff
	v_cmp_ne_u32_e32 vcc, s0, v2
	v_mov_b32_e32 v4, 0xff
	s_and_saveexec_b64 s[42:43], vcc
; %bb.1104:
	s_mov_b32 s0, 0x3fffff
	v_and_b32_e32 v4, 0x400000, v3
	v_and_or_b32 v3, v3, s0, v2
	v_cmp_ne_u32_e32 vcc, 0, v4
	v_cmp_ne_u32_e64 s[0:1], 0, v3
	s_and_b64 s[0:1], vcc, s[0:1]
	v_cndmask_b32_e64 v3, 0, 1, s[0:1]
	v_add_u32_e32 v4, v2, v3
; %bb.1105:
	s_or_b64 exec, exec, s[42:43]
	s_mov_b64 s[42:43], -1
	s_mov_b64 s[0:1], 0
	global_store_byte v[0:1], v4, off
.LBB94_1106:
	s_mov_b64 s[44:45], 0
.LBB94_1107:
	s_and_b64 vcc, exec, s[44:45]
	s_cbranch_vccz .LBB94_1110
; %bb.1108:
	s_cmp_eq_u32 s50, 29
	s_mov_b64 s[0:1], -1
	s_cbranch_scc0 .LBB94_1110
; %bb.1109:
	s_mov_b32 s0, 0
	v_cndmask_b32_e64 v2, 0, 1, s[40:41]
	v_mov_b32_e32 v3, s0
	global_store_dwordx2 v[0:1], v[2:3], off
	s_mov_b64 s[42:43], -1
	s_mov_b64 s[0:1], 0
.LBB94_1110:
	s_mov_b64 s[44:45], 0
.LBB94_1111:
	s_and_b64 vcc, exec, s[44:45]
	s_cbranch_vccz .LBB94_1127
; %bb.1112:
	s_cmp_lt_i32 s50, 27
	s_mov_b64 s[42:43], -1
	s_cbranch_scc1 .LBB94_1118
; %bb.1113:
	s_cmp_gt_i32 s50, 27
	s_cbranch_scc0 .LBB94_1115
; %bb.1114:
	v_cndmask_b32_e64 v2, 0, 1, s[40:41]
	s_mov_b64 s[42:43], 0
	global_store_dword v[0:1], v2, off
.LBB94_1115:
	s_andn2_b64 vcc, exec, s[42:43]
	s_cbranch_vccnz .LBB94_1117
; %bb.1116:
	v_cndmask_b32_e64 v2, 0, 1, s[40:41]
	global_store_short v[0:1], v2, off
.LBB94_1117:
	s_mov_b64 s[42:43], 0
.LBB94_1118:
	s_andn2_b64 vcc, exec, s[42:43]
	s_cbranch_vccnz .LBB94_1126
; %bb.1119:
	v_cndmask_b32_e64 v3, 0, 1.0, s[40:41]
	s_mov_b32 s42, 0x43800000
	v_cmp_gt_u32_e32 vcc, s42, v3
	v_mov_b32_e32 v4, 0x80
	s_and_saveexec_b64 s[42:43], vcc
	s_cbranch_execz .LBB94_1125
; %bb.1120:
	s_mov_b32 s44, 0x3bffffff
	v_cmp_lt_u32_e32 vcc, s44, v3
	s_mov_b64 s[44:45], 0
                                        ; implicit-def: $vgpr2
	s_and_saveexec_b64 s[46:47], vcc
	s_xor_b64 s[46:47], exec, s[46:47]
	s_cbranch_execz .LBB94_1227
; %bb.1121:
	v_bfe_u32 v2, v3, 20, 1
	s_mov_b32 s51, 0x487ffff
	v_add3_u32 v2, v3, v2, s51
	s_mov_b64 s[44:45], exec
	v_lshrrev_b32_e32 v2, 20, v2
                                        ; implicit-def: $vgpr3
	s_andn2_saveexec_b64 s[46:47], s[46:47]
	s_cbranch_execnz .LBB94_1228
.LBB94_1122:
	s_or_b64 exec, exec, s[46:47]
	v_mov_b32_e32 v4, 0
	s_and_saveexec_b64 s[46:47], s[44:45]
.LBB94_1123:
	v_mov_b32_e32 v4, v2
.LBB94_1124:
	s_or_b64 exec, exec, s[46:47]
.LBB94_1125:
	s_or_b64 exec, exec, s[42:43]
	global_store_byte v[0:1], v4, off
.LBB94_1126:
	s_mov_b64 s[42:43], -1
.LBB94_1127:
	s_mov_b64 s[44:45], 0
.LBB94_1128:
	s_and_b64 vcc, exec, s[44:45]
	s_cbranch_vccz .LBB94_1169
; %bb.1129:
	s_cmp_gt_i32 s50, 22
	s_mov_b64 s[44:45], -1
	s_cbranch_scc0 .LBB94_1161
; %bb.1130:
	s_cmp_lt_i32 s50, 24
	s_mov_b64 s[42:43], -1
	s_cbranch_scc1 .LBB94_1150
; %bb.1131:
	s_cmp_gt_i32 s50, 24
	s_cbranch_scc0 .LBB94_1139
; %bb.1132:
	v_cndmask_b32_e64 v3, 0, 1.0, s[40:41]
	s_mov_b32 s42, 0x47800000
	v_cmp_gt_u32_e32 vcc, s42, v3
	v_mov_b32_e32 v4, 0x80
	s_and_saveexec_b64 s[42:43], vcc
	s_cbranch_execz .LBB94_1138
; %bb.1133:
	s_mov_b32 s44, 0x37ffffff
	v_cmp_lt_u32_e32 vcc, s44, v3
	s_mov_b64 s[44:45], 0
                                        ; implicit-def: $vgpr2
	s_and_saveexec_b64 s[46:47], vcc
	s_xor_b64 s[46:47], exec, s[46:47]
	s_cbranch_execz .LBB94_2297
; %bb.1134:
	v_bfe_u32 v2, v3, 21, 1
	s_mov_b32 s51, 0x88fffff
	v_add3_u32 v2, v3, v2, s51
	s_mov_b64 s[44:45], exec
	v_lshrrev_b32_e32 v2, 21, v2
                                        ; implicit-def: $vgpr3
	s_andn2_saveexec_b64 s[46:47], s[46:47]
	s_cbranch_execnz .LBB94_2298
.LBB94_1135:
	s_or_b64 exec, exec, s[46:47]
	v_mov_b32_e32 v4, 0
	s_and_saveexec_b64 s[46:47], s[44:45]
.LBB94_1136:
	v_mov_b32_e32 v4, v2
.LBB94_1137:
	s_or_b64 exec, exec, s[46:47]
.LBB94_1138:
	s_or_b64 exec, exec, s[42:43]
	s_mov_b64 s[42:43], 0
	global_store_byte v[0:1], v4, off
.LBB94_1139:
	s_and_b64 vcc, exec, s[42:43]
	s_cbranch_vccz .LBB94_1149
; %bb.1140:
	v_cndmask_b32_e64 v2, 0, 1.0, s[40:41]
	s_mov_b32 s42, 0x43f00000
	v_cmp_gt_u32_e32 vcc, s42, v2
                                        ; implicit-def: $vgpr3
	s_and_saveexec_b64 s[42:43], vcc
	s_xor_b64 s[42:43], exec, s[42:43]
	s_cbranch_execz .LBB94_1146
; %bb.1141:
	s_mov_b32 s44, 0x3c7fffff
	v_cmp_lt_u32_e32 vcc, s44, v2
                                        ; implicit-def: $vgpr3
	s_and_saveexec_b64 s[44:45], vcc
	s_xor_b64 s[44:45], exec, s[44:45]
; %bb.1142:
	v_bfe_u32 v3, v2, 20, 1
	s_mov_b32 s46, 0x407ffff
	v_add3_u32 v2, v2, v3, s46
	v_lshrrev_b32_e32 v3, 20, v2
	v_and_b32_e32 v2, 0xff00000, v2
	s_mov_b32 s46, 0x7f00000
	v_mov_b32_e32 v4, 0x7e
	v_cmp_ne_u32_e32 vcc, s46, v2
	v_cndmask_b32_e32 v3, v4, v3, vcc
                                        ; implicit-def: $vgpr2
; %bb.1143:
	s_andn2_saveexec_b64 s[44:45], s[44:45]
; %bb.1144:
	v_add_f32_e32 v3, 0x46800000, v2
; %bb.1145:
	s_or_b64 exec, exec, s[44:45]
                                        ; implicit-def: $vgpr2
.LBB94_1146:
	s_andn2_saveexec_b64 s[42:43], s[42:43]
; %bb.1147:
	s_mov_b32 s44, 0x7f800000
	v_mov_b32_e32 v3, 0x7e
	v_mov_b32_e32 v4, 0x7f
	v_cmp_lt_u32_e32 vcc, s44, v2
	v_cndmask_b32_e32 v3, v3, v4, vcc
; %bb.1148:
	s_or_b64 exec, exec, s[42:43]
	global_store_byte v[0:1], v3, off
.LBB94_1149:
	s_mov_b64 s[42:43], 0
.LBB94_1150:
	s_andn2_b64 vcc, exec, s[42:43]
	s_cbranch_vccnz .LBB94_1160
; %bb.1151:
	v_cndmask_b32_e64 v2, 0, 1.0, s[40:41]
	s_mov_b32 s42, 0x47800000
	v_cmp_gt_u32_e32 vcc, s42, v2
                                        ; implicit-def: $vgpr3
	s_and_saveexec_b64 s[42:43], vcc
	s_xor_b64 s[42:43], exec, s[42:43]
	s_cbranch_execz .LBB94_1157
; %bb.1152:
	s_mov_b32 s44, 0x387fffff
	v_cmp_lt_u32_e32 vcc, s44, v2
                                        ; implicit-def: $vgpr3
	s_and_saveexec_b64 s[44:45], vcc
	s_xor_b64 s[44:45], exec, s[44:45]
; %bb.1153:
	v_bfe_u32 v3, v2, 21, 1
	s_mov_b32 s46, 0x80fffff
	v_add3_u32 v2, v2, v3, s46
	v_lshrrev_b32_e32 v3, 21, v2
                                        ; implicit-def: $vgpr2
; %bb.1154:
	s_andn2_saveexec_b64 s[44:45], s[44:45]
; %bb.1155:
	v_add_f32_e32 v3, 0x43000000, v2
; %bb.1156:
	s_or_b64 exec, exec, s[44:45]
                                        ; implicit-def: $vgpr2
.LBB94_1157:
	s_andn2_saveexec_b64 s[42:43], s[42:43]
; %bb.1158:
	s_mov_b32 s44, 0x7f800000
	v_mov_b32_e32 v3, 0x7c
	v_mov_b32_e32 v4, 0x7f
	v_cmp_lt_u32_e32 vcc, s44, v2
	v_cndmask_b32_e32 v3, v3, v4, vcc
; %bb.1159:
	s_or_b64 exec, exec, s[42:43]
	global_store_byte v[0:1], v3, off
.LBB94_1160:
	s_mov_b64 s[44:45], 0
	s_mov_b64 s[42:43], -1
.LBB94_1161:
	s_andn2_b64 vcc, exec, s[44:45]
	s_cbranch_vccnz .LBB94_1169
; %bb.1162:
	s_cmp_gt_i32 s50, 14
	s_mov_b64 s[44:45], -1
	s_cbranch_scc0 .LBB94_1166
; %bb.1163:
	s_cmp_eq_u32 s50, 15
	s_mov_b64 s[0:1], -1
	s_cbranch_scc0 .LBB94_1165
; %bb.1164:
	v_cndmask_b32_e64 v2, 0, 1.0, s[40:41]
	v_bfe_u32 v3, v2, 16, 1
	s_movk_i32 s0, 0x7fff
	v_add3_u32 v2, v2, v3, s0
	global_store_short_d16_hi v[0:1], v2, off
	s_mov_b64 s[42:43], -1
	s_mov_b64 s[0:1], 0
.LBB94_1165:
	s_mov_b64 s[44:45], 0
.LBB94_1166:
	s_and_b64 vcc, exec, s[44:45]
	s_cbranch_vccz .LBB94_1169
; %bb.1167:
	s_cmp_eq_u32 s50, 11
	s_mov_b64 s[0:1], -1
	s_cbranch_scc0 .LBB94_1169
; %bb.1168:
	v_cndmask_b32_e64 v2, 0, 1, s[40:41]
	s_mov_b64 s[42:43], -1
	s_mov_b64 s[0:1], 0
	global_store_byte v[0:1], v2, off
.LBB94_1169:
	s_mov_b64 s[44:45], 0
.LBB94_1170:
	s_and_b64 vcc, exec, s[44:45]
	s_cbranch_vccz .LBB94_1209
; %bb.1171:
	s_and_b32 s44, 0xffff, s49
	s_cmp_lt_i32 s44, 5
	s_mov_b64 s[42:43], -1
	s_cbranch_scc1 .LBB94_1192
; %bb.1172:
	s_cmp_lt_i32 s44, 8
	s_cbranch_scc1 .LBB94_1182
; %bb.1173:
	s_cmp_lt_i32 s44, 9
	s_cbranch_scc1 .LBB94_1179
; %bb.1174:
	s_cmp_gt_i32 s44, 9
	s_cbranch_scc0 .LBB94_1176
; %bb.1175:
	v_cndmask_b32_e64 v2, 0, 1, s[40:41]
	v_cvt_f64_u32_e32 v[2:3], v2
	v_mov_b32_e32 v4, 0
	v_mov_b32_e32 v5, v4
	s_mov_b64 s[42:43], 0
	global_store_dwordx4 v[0:1], v[2:5], off
.LBB94_1176:
	s_andn2_b64 vcc, exec, s[42:43]
	s_cbranch_vccnz .LBB94_1178
; %bb.1177:
	v_cndmask_b32_e64 v2, 0, 1.0, s[40:41]
	v_mov_b32_e32 v3, 0
	global_store_dwordx2 v[0:1], v[2:3], off
.LBB94_1178:
	s_mov_b64 s[42:43], 0
.LBB94_1179:
	s_andn2_b64 vcc, exec, s[42:43]
	s_cbranch_vccnz .LBB94_1181
; %bb.1180:
	v_cndmask_b32_e64 v2, 0, 1.0, s[40:41]
	v_cvt_f16_f32_e32 v2, v2
	global_store_dword v[0:1], v2, off
.LBB94_1181:
	s_mov_b64 s[42:43], 0
.LBB94_1182:
	s_andn2_b64 vcc, exec, s[42:43]
	s_cbranch_vccnz .LBB94_1191
; %bb.1183:
	s_cmp_lt_i32 s44, 6
	s_mov_b64 s[42:43], -1
	s_cbranch_scc1 .LBB94_1189
; %bb.1184:
	s_cmp_gt_i32 s44, 6
	s_cbranch_scc0 .LBB94_1186
; %bb.1185:
	v_cndmask_b32_e64 v2, 0, 1, s[40:41]
	v_cvt_f64_u32_e32 v[2:3], v2
	s_mov_b64 s[42:43], 0
	global_store_dwordx2 v[0:1], v[2:3], off
.LBB94_1186:
	s_andn2_b64 vcc, exec, s[42:43]
	s_cbranch_vccnz .LBB94_1188
; %bb.1187:
	v_cndmask_b32_e64 v2, 0, 1.0, s[40:41]
	global_store_dword v[0:1], v2, off
.LBB94_1188:
	s_mov_b64 s[42:43], 0
.LBB94_1189:
	s_andn2_b64 vcc, exec, s[42:43]
	s_cbranch_vccnz .LBB94_1191
; %bb.1190:
	v_cndmask_b32_e64 v2, 0, 1.0, s[40:41]
	v_cvt_f16_f32_e32 v2, v2
	global_store_short v[0:1], v2, off
.LBB94_1191:
	s_mov_b64 s[42:43], 0
.LBB94_1192:
	s_andn2_b64 vcc, exec, s[42:43]
	s_cbranch_vccnz .LBB94_1208
; %bb.1193:
	s_cmp_lt_i32 s44, 2
	s_mov_b64 s[42:43], -1
	s_cbranch_scc1 .LBB94_1203
; %bb.1194:
	s_cmp_lt_i32 s44, 3
	s_cbranch_scc1 .LBB94_1200
; %bb.1195:
	s_cmp_gt_i32 s44, 3
	s_cbranch_scc0 .LBB94_1197
; %bb.1196:
	s_mov_b32 s42, 0
	v_cndmask_b32_e64 v2, 0, 1, s[40:41]
	v_mov_b32_e32 v3, s42
	s_mov_b64 s[42:43], 0
	global_store_dwordx2 v[0:1], v[2:3], off
.LBB94_1197:
	s_andn2_b64 vcc, exec, s[42:43]
	s_cbranch_vccnz .LBB94_1199
; %bb.1198:
	v_cndmask_b32_e64 v2, 0, 1, s[40:41]
	global_store_dword v[0:1], v2, off
.LBB94_1199:
	s_mov_b64 s[42:43], 0
.LBB94_1200:
	s_andn2_b64 vcc, exec, s[42:43]
	s_cbranch_vccnz .LBB94_1202
; %bb.1201:
	v_cndmask_b32_e64 v2, 0, 1, s[40:41]
	global_store_short v[0:1], v2, off
.LBB94_1202:
	s_mov_b64 s[42:43], 0
.LBB94_1203:
	s_andn2_b64 vcc, exec, s[42:43]
	s_cbranch_vccnz .LBB94_1208
; %bb.1204:
	s_mov_b64 s[42:43], -1
	s_cmp_gt_i32 s44, 0
	v_cndmask_b32_e64 v2, 0, 1, s[40:41]
	s_cbranch_scc0 .LBB94_1206
; %bb.1205:
	s_mov_b64 s[42:43], 0
	global_store_byte v[0:1], v2, off
.LBB94_1206:
	s_andn2_b64 vcc, exec, s[42:43]
	s_cbranch_vccnz .LBB94_1208
; %bb.1207:
	global_store_byte v[0:1], v2, off
.LBB94_1208:
	s_mov_b64 s[42:43], -1
.LBB94_1209:
	s_andn2_b64 vcc, exec, s[42:43]
	s_cbranch_vccnz .LBB94_1222
; %bb.1210:
	v_add_u32_e32 v6, 0x80, v6
	s_mov_b64 s[42:43], -1
.LBB94_1211:
	s_andn2_b64 s[40:41], s[28:29], exec
	s_and_b64 s[0:1], s[0:1], exec
	s_or_b64 s[40:41], s[40:41], s[0:1]
	s_andn2_b64 s[0:1], s[26:27], exec
	s_and_b64 s[38:39], s[38:39], exec
	s_or_b64 s[38:39], s[0:1], s[38:39]
	;; [unrolled: 3-line block ×3, first 2 shown]
	s_orn2_b64 s[46:47], s[42:43], exec
.LBB94_1212:
	s_or_b64 exec, exec, s[34:35]
	s_mov_b64 s[42:43], 0
	s_mov_b64 s[36:37], 0
	;; [unrolled: 1-line block ×3, first 2 shown]
                                        ; implicit-def: $sgpr56
                                        ; implicit-def: $vgpr2_vgpr3
                                        ; implicit-def: $vgpr0_vgpr1
	s_and_saveexec_b64 s[34:35], s[46:47]
	s_cbranch_execz .LBB94_1296
; %bb.1213:
	v_cmp_gt_i32_e32 vcc, s48, v6
	s_mov_b64 s[46:47], 0
	s_mov_b64 s[48:49], s[0:1]
	;; [unrolled: 1-line block ×4, first 2 shown]
                                        ; implicit-def: $sgpr56
                                        ; implicit-def: $vgpr2_vgpr3
                                        ; implicit-def: $vgpr0_vgpr1
	s_and_saveexec_b64 s[36:37], vcc
	s_cbranch_execz .LBB94_1295
; %bb.1214:
	s_waitcnt vmcnt(0)
	v_mul_lo_u32 v0, v6, s13
	v_mov_b32_e32 v1, s11
	s_and_b32 s56, s55, 0xff
	s_cmp_lt_i32 s56, 11
	v_ashrrev_i32_e32 v3, 31, v0
	v_add_co_u32_e32 v2, vcc, s10, v0
	v_addc_co_u32_e32 v3, vcc, v1, v3, vcc
	s_cbranch_scc1 .LBB94_1221
; %bb.1215:
	s_and_b32 s52, 0xffff, s56
	s_cmp_gt_i32 s52, 25
	s_cbranch_scc0 .LBB94_1223
; %bb.1216:
	s_cmp_gt_i32 s52, 28
	s_cbranch_scc0 .LBB94_1224
; %bb.1217:
	;; [unrolled: 3-line block ×4, first 2 shown]
	s_cmp_eq_u32 s52, 46
	s_mov_b64 s[48:49], 0
	s_cbranch_scc0 .LBB94_1229
; %bb.1220:
	global_load_dword v0, v[2:3], off
	s_mov_b64 s[46:47], -1
	s_waitcnt vmcnt(0)
	v_lshlrev_b32_e32 v0, 16, v0
	v_cvt_f64_f32_e32 v[0:1], v0
	s_branch .LBB94_1231
.LBB94_1221:
	s_mov_b64 s[48:49], -1
                                        ; implicit-def: $vgpr0_vgpr1
	s_mov_b64 s[42:43], s[0:1]
	s_branch .LBB94_1294
.LBB94_1222:
	s_mov_b64 s[42:43], 0
	s_branch .LBB94_947
.LBB94_1223:
	s_mov_b64 s[48:49], -1
	s_mov_b64 s[42:43], s[0:1]
                                        ; implicit-def: $vgpr0_vgpr1
	s_branch .LBB94_1262
.LBB94_1224:
	s_mov_b64 s[48:49], -1
	s_mov_b64 s[42:43], s[0:1]
                                        ; implicit-def: $vgpr0_vgpr1
	s_branch .LBB94_1241
.LBB94_1225:
	s_mov_b64 s[48:49], -1
	s_mov_b64 s[42:43], s[0:1]
                                        ; implicit-def: $vgpr0_vgpr1
	s_branch .LBB94_1236
.LBB94_1226:
	s_mov_b64 s[48:49], -1
	s_mov_b64 s[42:43], s[0:1]
	s_branch .LBB94_1230
.LBB94_1227:
	s_andn2_saveexec_b64 s[46:47], s[46:47]
	s_cbranch_execz .LBB94_1122
.LBB94_1228:
	v_add_f32_e32 v2, 0x46000000, v3
	v_and_b32_e32 v2, 0xff, v2
	v_cmp_ne_u32_e32 vcc, 0, v2
	s_andn2_b64 s[44:45], s[44:45], exec
	s_and_b64 s[52:53], vcc, exec
	s_or_b64 s[44:45], s[44:45], s[52:53]
	s_or_b64 exec, exec, s[46:47]
	v_mov_b32_e32 v4, 0
	s_and_saveexec_b64 s[46:47], s[44:45]
	s_cbranch_execnz .LBB94_1123
	s_branch .LBB94_1124
.LBB94_1229:
	s_mov_b64 s[42:43], -1
.LBB94_1230:
                                        ; implicit-def: $vgpr0_vgpr1
.LBB94_1231:
	s_and_b64 vcc, exec, s[48:49]
	s_cbranch_vccz .LBB94_1235
; %bb.1232:
	s_cmp_eq_u32 s52, 44
	s_cbranch_scc0 .LBB94_1234
; %bb.1233:
	global_load_ubyte v4, v[2:3], off
	s_movk_i32 s46, 0xff
	v_bfrev_b32_e32 v5, 4
	v_mov_b32_e32 v7, 0x7ff80000
	v_bfrev_b32_e32 v8, 28
	s_mov_b64 s[42:43], 0
	s_waitcnt vmcnt(0)
	v_lshlrev_b32_e32 v0, 23, v4
	v_cvt_f64_f32_e32 v[0:1], v0
	v_cmp_ne_u32_e32 vcc, s46, v4
	s_mov_b64 s[46:47], -1
	v_cndmask_b32_e32 v0, v5, v0, vcc
	v_cndmask_b32_e32 v1, v7, v1, vcc
	v_cmp_ne_u32_e32 vcc, 0, v4
	v_cndmask_b32_e32 v1, v8, v1, vcc
	v_cndmask_b32_e32 v0, 0, v0, vcc
	s_branch .LBB94_1235
.LBB94_1234:
	s_mov_b64 s[42:43], -1
                                        ; implicit-def: $vgpr0_vgpr1
.LBB94_1235:
	s_mov_b64 s[48:49], 0
.LBB94_1236:
	s_and_b64 vcc, exec, s[48:49]
	s_cbranch_vccz .LBB94_1240
; %bb.1237:
	s_cmp_eq_u32 s52, 29
	s_cbranch_scc0 .LBB94_1239
; %bb.1238:
	global_load_dwordx2 v[0:1], v[2:3], off
	s_mov_b64 s[42:43], 0
	s_mov_b64 s[46:47], -1
	s_mov_b64 s[48:49], 0
	s_waitcnt vmcnt(0)
	v_cvt_f64_u32_e32 v[4:5], v1
	v_cvt_f64_u32_e32 v[0:1], v0
	v_ldexp_f64 v[4:5], v[4:5], 32
	v_add_f64 v[0:1], v[4:5], v[0:1]
	s_branch .LBB94_1241
.LBB94_1239:
	s_mov_b64 s[42:43], -1
                                        ; implicit-def: $vgpr0_vgpr1
.LBB94_1240:
	s_mov_b64 s[48:49], 0
.LBB94_1241:
	s_and_b64 vcc, exec, s[48:49]
	s_cbranch_vccz .LBB94_1261
; %bb.1242:
	s_cmp_lt_i32 s52, 27
	s_cbranch_scc1 .LBB94_1245
; %bb.1243:
	s_cmp_gt_i32 s52, 27
	s_cbranch_scc0 .LBB94_1246
; %bb.1244:
	global_load_dword v0, v[2:3], off
	s_mov_b64 s[46:47], 0
	s_waitcnt vmcnt(0)
	v_cvt_f64_u32_e32 v[0:1], v0
	s_branch .LBB94_1247
.LBB94_1245:
	s_mov_b64 s[46:47], -1
                                        ; implicit-def: $vgpr0_vgpr1
	s_branch .LBB94_1250
.LBB94_1246:
	s_mov_b64 s[46:47], -1
                                        ; implicit-def: $vgpr0_vgpr1
.LBB94_1247:
	s_andn2_b64 vcc, exec, s[46:47]
	s_cbranch_vccnz .LBB94_1249
; %bb.1248:
	global_load_ushort v0, v[2:3], off
	s_waitcnt vmcnt(0)
	v_cvt_f64_u32_e32 v[0:1], v0
.LBB94_1249:
	s_mov_b64 s[46:47], 0
.LBB94_1250:
	s_andn2_b64 vcc, exec, s[46:47]
	s_cbranch_vccnz .LBB94_1260
; %bb.1251:
	global_load_ubyte v4, v[2:3], off
	s_movk_i32 s46, 0x7f
	s_waitcnt vmcnt(0)
	v_cmp_lt_i16_e32 vcc, s46, v4
	s_mov_b64 s[46:47], 0
	s_and_saveexec_b64 s[48:49], vcc
	s_xor_b64 s[48:49], exec, s[48:49]
	s_cbranch_execz .LBB94_1255
; %bb.1252:
	s_movk_i32 s46, 0x80
	v_cmp_eq_u16_e32 vcc, s46, v4
	s_mov_b64 s[46:47], -1
	s_and_saveexec_b64 s[50:51], vcc
; %bb.1253:
	s_xor_b64 s[46:47], exec, -1
; %bb.1254:
	s_or_b64 exec, exec, s[50:51]
	s_and_b64 s[46:47], s[46:47], exec
.LBB94_1255:
	s_or_saveexec_b64 s[48:49], s[48:49]
	v_bfrev_b32_e32 v0, 4
	v_mov_b32_e32 v1, 0x7ff80000
	s_xor_b64 exec, exec, s[48:49]
; %bb.1256:
	v_cmp_ne_u16_e32 vcc, 0, v4
	v_mov_b32_e32 v0, 0
	s_andn2_b64 s[46:47], s[46:47], exec
	s_and_b64 s[50:51], vcc, exec
	v_mov_b32_e32 v1, 0
	s_or_b64 s[46:47], s[46:47], s[50:51]
; %bb.1257:
	s_or_b64 exec, exec, s[48:49]
	s_and_saveexec_b64 s[48:49], s[46:47]
	s_cbranch_execz .LBB94_1259
; %bb.1258:
	v_and_b32_e32 v1, 0xffff, v4
	v_lshlrev_b32_e32 v0, 24, v4
	v_and_b32_e32 v4, 7, v1
	v_ffbh_u32_e32 v7, v4
	v_min_u32_e32 v7, 32, v7
	v_subrev_u32_e32 v8, 28, v7
	v_bfe_u32 v5, v1, 3, 4
	v_lshlrev_b32_e32 v1, v8, v1
	v_sub_u32_e32 v7, 29, v7
	v_and_b32_e32 v1, 7, v1
	v_cmp_eq_u32_e32 vcc, 0, v5
	v_cndmask_b32_e32 v5, v5, v7, vcc
	v_cndmask_b32_e32 v1, v4, v1, vcc
	v_mov_b32_e32 v4, 0x3b800000
	v_lshlrev_b32_e32 v1, 20, v1
	v_and_b32_e32 v0, 0x80000000, v0
	v_lshl_add_u32 v4, v5, 23, v4
	v_or3_b32 v0, v0, v4, v1
	v_cvt_f64_f32_e32 v[0:1], v0
.LBB94_1259:
	s_or_b64 exec, exec, s[48:49]
.LBB94_1260:
	s_mov_b64 s[46:47], -1
.LBB94_1261:
	s_mov_b64 s[48:49], 0
.LBB94_1262:
	s_and_b64 vcc, exec, s[48:49]
	s_cbranch_vccz .LBB94_1293
; %bb.1263:
	s_cmp_gt_i32 s52, 22
	s_cbranch_scc0 .LBB94_1275
; %bb.1264:
	s_cmp_lt_i32 s52, 24
	s_cbranch_scc1 .LBB94_1276
; %bb.1265:
	s_cmp_gt_i32 s52, 24
	s_cbranch_scc0 .LBB94_1277
; %bb.1266:
	global_load_ubyte v4, v[2:3], off
	s_movk_i32 s44, 0x7f
	s_waitcnt vmcnt(0)
	v_cmp_lt_i16_e32 vcc, s44, v4
	s_mov_b64 s[44:45], 0
	s_and_saveexec_b64 s[46:47], vcc
	s_xor_b64 s[46:47], exec, s[46:47]
	s_cbranch_execz .LBB94_1270
; %bb.1267:
	s_movk_i32 s44, 0x80
	v_cmp_eq_u16_e32 vcc, s44, v4
	s_mov_b64 s[44:45], -1
	s_and_saveexec_b64 s[48:49], vcc
; %bb.1268:
	s_xor_b64 s[44:45], exec, -1
; %bb.1269:
	s_or_b64 exec, exec, s[48:49]
	s_and_b64 s[44:45], s[44:45], exec
.LBB94_1270:
	s_or_saveexec_b64 s[46:47], s[46:47]
	v_bfrev_b32_e32 v0, 4
	v_mov_b32_e32 v1, 0x7ff80000
	s_xor_b64 exec, exec, s[46:47]
; %bb.1271:
	v_cmp_ne_u16_e32 vcc, 0, v4
	v_mov_b32_e32 v0, 0
	s_andn2_b64 s[44:45], s[44:45], exec
	s_and_b64 s[48:49], vcc, exec
	v_mov_b32_e32 v1, 0
	s_or_b64 s[44:45], s[44:45], s[48:49]
; %bb.1272:
	s_or_b64 exec, exec, s[46:47]
	s_and_saveexec_b64 s[46:47], s[44:45]
	s_cbranch_execz .LBB94_1274
; %bb.1273:
	v_and_b32_e32 v1, 0xffff, v4
	v_lshlrev_b32_e32 v0, 24, v4
	v_and_b32_e32 v4, 3, v1
	v_ffbh_u32_e32 v7, v4
	v_min_u32_e32 v7, 32, v7
	v_subrev_u32_e32 v8, 29, v7
	v_bfe_u32 v5, v1, 2, 5
	v_lshlrev_b32_e32 v1, v8, v1
	v_sub_u32_e32 v7, 30, v7
	v_and_b32_e32 v1, 3, v1
	v_cmp_eq_u32_e32 vcc, 0, v5
	v_cndmask_b32_e32 v5, v5, v7, vcc
	v_cndmask_b32_e32 v1, v4, v1, vcc
	v_mov_b32_e32 v4, 0x37800000
	v_lshlrev_b32_e32 v1, 21, v1
	v_and_b32_e32 v0, 0x80000000, v0
	v_lshl_add_u32 v4, v5, 23, v4
	v_or3_b32 v0, v0, v4, v1
	v_cvt_f64_f32_e32 v[0:1], v0
.LBB94_1274:
	s_or_b64 exec, exec, s[46:47]
	s_mov_b64 s[44:45], 0
	s_branch .LBB94_1278
.LBB94_1275:
	s_mov_b64 s[44:45], -1
                                        ; implicit-def: $vgpr0_vgpr1
	s_branch .LBB94_1284
.LBB94_1276:
	s_mov_b64 s[44:45], -1
                                        ; implicit-def: $vgpr0_vgpr1
	s_branch .LBB94_1281
.LBB94_1277:
	s_mov_b64 s[44:45], -1
                                        ; implicit-def: $vgpr0_vgpr1
.LBB94_1278:
	s_and_b64 vcc, exec, s[44:45]
	s_cbranch_vccz .LBB94_1280
; %bb.1279:
	global_load_ubyte v0, v[2:3], off
	s_mov_b32 s44, 0x7f800000
	s_waitcnt vmcnt(0)
	v_lshlrev_b32_e32 v0, 24, v0
	v_and_b32_e32 v1, 0x7f000000, v0
	v_ffbh_u32_e32 v4, v1
	v_min_u32_e32 v4, 32, v4
	v_sub_u32_e64 v4, v4, 4 clamp
	v_lshlrev_b32_e32 v7, v4, v1
	v_lshlrev_b32_e32 v4, 23, v4
	v_lshrrev_b32_e32 v7, 4, v7
	v_add_u32_e32 v5, 0x1000000, v1
	v_sub_u32_e32 v4, v7, v4
	v_ashrrev_i32_e32 v5, 8, v5
	v_add_u32_e32 v4, 0x3c000000, v4
	v_and_or_b32 v4, v5, s44, v4
	v_cmp_ne_u32_e32 vcc, 0, v1
	v_cndmask_b32_e32 v1, 0, v4, vcc
	s_brev_b32 s44, 1
	v_and_or_b32 v0, v0, s44, v1
	v_cvt_f64_f32_e32 v[0:1], v0
.LBB94_1280:
	s_mov_b64 s[44:45], 0
.LBB94_1281:
	s_andn2_b64 vcc, exec, s[44:45]
	s_cbranch_vccnz .LBB94_1283
; %bb.1282:
	global_load_ubyte v0, v[2:3], off
	s_movk_i32 s44, 0x7f00
	s_brev_b32 s45, 16
	s_waitcnt vmcnt(0)
	v_lshlrev_b16_e32 v1, 8, v0
	v_lshlrev_b32_e32 v0, 25, v0
	v_lshrrev_b32_e32 v4, 4, v0
	v_and_or_b32 v5, v1, s44, 0.5
	v_or_b32_e32 v4, 0x70000000, v4
	v_add_f32_e32 v5, -0.5, v5
	v_mul_f32_e32 v4, 0x7800000, v4
	v_cmp_gt_u32_e32 vcc, s45, v0
	v_bfe_i32 v1, v1, 0, 16
	v_cndmask_b32_e32 v0, v4, v5, vcc
	s_brev_b32 s44, 1
	v_and_or_b32 v0, v1, s44, v0
	v_cvt_f64_f32_e32 v[0:1], v0
.LBB94_1283:
	s_mov_b64 s[44:45], 0
	s_mov_b64 s[46:47], -1
.LBB94_1284:
	s_andn2_b64 vcc, exec, s[44:45]
	s_mov_b64 s[44:45], 0
	s_cbranch_vccnz .LBB94_1293
; %bb.1285:
	s_cmp_gt_i32 s52, 14
	s_cbranch_scc0 .LBB94_1288
; %bb.1286:
	s_cmp_eq_u32 s52, 15
	s_cbranch_scc0 .LBB94_1289
; %bb.1287:
	global_load_ushort v0, v[2:3], off
	s_mov_b64 s[42:43], 0
	s_mov_b64 s[46:47], -1
	s_waitcnt vmcnt(0)
	v_lshlrev_b32_e32 v0, 16, v0
	v_cvt_f64_f32_e32 v[0:1], v0
	s_branch .LBB94_1290
.LBB94_1288:
	s_mov_b64 s[48:49], -1
                                        ; implicit-def: $vgpr0_vgpr1
	s_branch .LBB94_1291
.LBB94_1289:
	s_mov_b64 s[42:43], -1
                                        ; implicit-def: $vgpr0_vgpr1
.LBB94_1290:
	s_mov_b64 s[48:49], 0
.LBB94_1291:
	s_and_b64 vcc, exec, s[48:49]
	s_cbranch_vccz .LBB94_1293
; %bb.1292:
	s_cmp_lg_u32 s52, 11
	s_cselect_b64 s[48:49], -1, 0
	s_andn2_b64 s[42:43], s[42:43], exec
	s_and_b64 s[48:49], s[48:49], exec
	s_mov_b64 s[44:45], -1
	s_or_b64 s[42:43], s[42:43], s[48:49]
.LBB94_1293:
	s_mov_b64 s[48:49], 0
.LBB94_1294:
	s_and_b64 s[52:53], s[46:47], exec
	s_and_b64 s[46:47], s[44:45], exec
	s_andn2_b64 s[44:45], s[0:1], exec
	s_and_b64 s[42:43], s[42:43], exec
	s_and_b64 s[50:51], s[48:49], exec
	s_or_b64 s[48:49], s[44:45], s[42:43]
.LBB94_1295:
	s_or_b64 exec, exec, s[36:37]
	s_and_b64 s[42:43], s[46:47], exec
	s_andn2_b64 s[0:1], s[0:1], exec
	s_and_b64 s[46:47], s[48:49], exec
	s_and_b64 s[44:45], s[52:53], exec
	;; [unrolled: 1-line block ×3, first 2 shown]
	s_or_b64 s[0:1], s[0:1], s[46:47]
.LBB94_1296:
	s_or_b64 exec, exec, s[34:35]
	s_andn2_b64 s[28:29], s[28:29], exec
	s_and_b64 s[34:35], s[40:41], exec
	s_or_b64 s[28:29], s[28:29], s[34:35]
	s_andn2_b64 s[26:27], s[26:27], exec
	s_and_b64 s[34:35], s[38:39], exec
	s_andn2_b64 s[24:25], s[24:25], exec
	s_and_b64 s[0:1], s[0:1], exec
	s_or_b64 s[26:27], s[26:27], s[34:35]
	s_and_b64 s[38:39], s[44:45], exec
	s_and_b64 s[36:37], s[36:37], exec
	;; [unrolled: 1-line block ×3, first 2 shown]
	s_or_b64 s[24:25], s[24:25], s[0:1]
.LBB94_1297:
	s_or_b64 exec, exec, s[30:31]
	s_andn2_b64 s[0:1], s[16:17], exec
	s_and_b64 s[16:17], s[28:29], exec
	s_or_b64 s[16:17], s[0:1], s[16:17]
	s_andn2_b64 s[0:1], s[18:19], exec
	s_and_b64 s[18:19], s[26:27], exec
	s_or_b64 s[18:19], s[0:1], s[18:19]
	s_andn2_b64 s[0:1], s[20:21], exec
	s_and_b64 s[20:21], s[24:25], exec
	s_and_b64 s[28:29], s[38:39], exec
	;; [unrolled: 1-line block ×4, first 2 shown]
	s_or_b64 s[20:21], s[0:1], s[20:21]
	s_or_b64 exec, exec, s[22:23]
	s_mov_b64 s[22:23], 0
	s_and_saveexec_b64 s[0:1], s[20:21]
	s_cbranch_execz .LBB94_409
.LBB94_1298:
	s_mov_b64 s[22:23], exec
	s_andn2_b64 s[26:27], s[26:27], exec
	s_trap 2
	s_or_b64 exec, exec, s[0:1]
	s_and_saveexec_b64 s[0:1], s[26:27]
	s_xor_b64 s[0:1], exec, s[0:1]
	s_cbranch_execnz .LBB94_410
.LBB94_1299:
	s_or_b64 exec, exec, s[0:1]
	s_and_saveexec_b64 s[0:1], s[30:31]
	s_cbranch_execz .LBB94_1345
.LBB94_1300:
	s_sext_i32_i16 s20, s56
	s_cmp_lt_i32 s20, 5
	s_cbranch_scc1 .LBB94_1305
; %bb.1301:
	s_cmp_lt_i32 s20, 8
	s_cbranch_scc1 .LBB94_1306
; %bb.1302:
	;; [unrolled: 3-line block ×3, first 2 shown]
	s_cmp_gt_i32 s20, 9
	s_cbranch_scc0 .LBB94_1308
; %bb.1304:
	global_load_dwordx2 v[0:1], v[2:3], off
	s_mov_b64 s[20:21], 0
	s_branch .LBB94_1309
.LBB94_1305:
                                        ; implicit-def: $vgpr0_vgpr1
	s_branch .LBB94_1326
.LBB94_1306:
                                        ; implicit-def: $vgpr0_vgpr1
	s_branch .LBB94_1315
.LBB94_1307:
	s_mov_b64 s[20:21], -1
                                        ; implicit-def: $vgpr0_vgpr1
	s_branch .LBB94_1312
.LBB94_1308:
	s_mov_b64 s[20:21], -1
                                        ; implicit-def: $vgpr0_vgpr1
.LBB94_1309:
	s_andn2_b64 vcc, exec, s[20:21]
	s_cbranch_vccnz .LBB94_1311
; %bb.1310:
	global_load_dword v0, v[2:3], off
	s_waitcnt vmcnt(0)
	v_cvt_f64_f32_e32 v[0:1], v0
.LBB94_1311:
	s_mov_b64 s[20:21], 0
.LBB94_1312:
	s_andn2_b64 vcc, exec, s[20:21]
	s_cbranch_vccnz .LBB94_1314
; %bb.1313:
	global_load_dword v0, v[2:3], off
	s_waitcnt vmcnt(0)
	v_cvt_f32_f16_e32 v0, v0
	v_cvt_f64_f32_e32 v[0:1], v0
.LBB94_1314:
	s_cbranch_execnz .LBB94_1325
.LBB94_1315:
	s_sext_i32_i16 s20, s56
	s_cmp_lt_i32 s20, 6
	s_cbranch_scc1 .LBB94_1318
; %bb.1316:
	s_cmp_gt_i32 s20, 6
	s_cbranch_scc0 .LBB94_1319
; %bb.1317:
	global_load_dwordx2 v[0:1], v[2:3], off
	s_mov_b64 s[20:21], 0
	s_branch .LBB94_1320
.LBB94_1318:
	s_mov_b64 s[20:21], -1
                                        ; implicit-def: $vgpr0_vgpr1
	s_branch .LBB94_1323
.LBB94_1319:
	s_mov_b64 s[20:21], -1
                                        ; implicit-def: $vgpr0_vgpr1
.LBB94_1320:
	s_andn2_b64 vcc, exec, s[20:21]
	s_cbranch_vccnz .LBB94_1322
; %bb.1321:
	global_load_dword v0, v[2:3], off
	s_waitcnt vmcnt(0)
	v_cvt_f64_f32_e32 v[0:1], v0
.LBB94_1322:
	s_mov_b64 s[20:21], 0
.LBB94_1323:
	s_andn2_b64 vcc, exec, s[20:21]
	s_cbranch_vccnz .LBB94_1325
; %bb.1324:
	global_load_ushort v0, v[2:3], off
	s_waitcnt vmcnt(0)
	v_cvt_f32_f16_e32 v0, v0
	v_cvt_f64_f32_e32 v[0:1], v0
.LBB94_1325:
	s_cbranch_execnz .LBB94_1344
.LBB94_1326:
	s_sext_i32_i16 s20, s56
	s_cmp_lt_i32 s20, 2
	s_cbranch_scc1 .LBB94_1330
; %bb.1327:
	s_cmp_lt_i32 s20, 3
	s_cbranch_scc1 .LBB94_1331
; %bb.1328:
	s_cmp_gt_i32 s20, 3
	s_cbranch_scc0 .LBB94_1332
; %bb.1329:
	global_load_dwordx2 v[0:1], v[2:3], off
	s_mov_b64 s[20:21], 0
	s_waitcnt vmcnt(0)
	v_cvt_f64_i32_e32 v[4:5], v1
	v_cvt_f64_u32_e32 v[0:1], v0
	v_ldexp_f64 v[4:5], v[4:5], 32
	v_add_f64 v[0:1], v[4:5], v[0:1]
	s_branch .LBB94_1333
.LBB94_1330:
                                        ; implicit-def: $vgpr0_vgpr1
	s_branch .LBB94_1339
.LBB94_1331:
	s_mov_b64 s[20:21], -1
                                        ; implicit-def: $vgpr0_vgpr1
	s_branch .LBB94_1336
.LBB94_1332:
	s_mov_b64 s[20:21], -1
                                        ; implicit-def: $vgpr0_vgpr1
.LBB94_1333:
	s_andn2_b64 vcc, exec, s[20:21]
	s_cbranch_vccnz .LBB94_1335
; %bb.1334:
	global_load_dword v0, v[2:3], off
	s_waitcnt vmcnt(0)
	v_cvt_f64_i32_e32 v[0:1], v0
.LBB94_1335:
	s_mov_b64 s[20:21], 0
.LBB94_1336:
	s_andn2_b64 vcc, exec, s[20:21]
	s_cbranch_vccnz .LBB94_1338
; %bb.1337:
	global_load_sshort v0, v[2:3], off
	s_waitcnt vmcnt(0)
	v_cvt_f64_i32_e32 v[0:1], v0
.LBB94_1338:
	s_cbranch_execnz .LBB94_1344
.LBB94_1339:
	s_sext_i32_i16 s20, s56
	s_cmp_gt_i32 s20, 0
	s_cbranch_scc0 .LBB94_1341
; %bb.1340:
	global_load_sbyte v0, v[2:3], off
	s_mov_b64 s[20:21], 0
	s_waitcnt vmcnt(0)
	v_cvt_f64_i32_e32 v[0:1], v0
	s_branch .LBB94_1342
.LBB94_1341:
	s_mov_b64 s[20:21], -1
                                        ; implicit-def: $vgpr0_vgpr1
.LBB94_1342:
	s_andn2_b64 vcc, exec, s[20:21]
	s_cbranch_vccnz .LBB94_1344
; %bb.1343:
	global_load_ubyte v0, v[2:3], off
	s_waitcnt vmcnt(0)
	v_cvt_f64_u32_e32 v[0:1], v0
.LBB94_1344:
	s_or_b64 s[28:29], s[28:29], exec
.LBB94_1345:
	s_or_b64 exec, exec, s[0:1]
	s_mov_b64 s[24:25], 0
	s_mov_b64 s[30:31], 0
	;; [unrolled: 1-line block ×3, first 2 shown]
                                        ; implicit-def: $sgpr34
                                        ; implicit-def: $vgpr2_vgpr3
                                        ; implicit-def: $vgpr4_vgpr5
	s_and_saveexec_b64 s[0:1], s[28:29]
	s_cbranch_execz .LBB94_1353
; %bb.1346:
	v_mul_lo_u32 v2, v6, s14
	v_mov_b32_e32 v3, s3
	s_and_b32 s34, s54, 0xff
	s_cmp_lt_i32 s34, 11
	s_waitcnt vmcnt(0)
	v_ashrrev_i32_e32 v4, 31, v2
	v_add_co_u32_e32 v2, vcc, s2, v2
	v_addc_co_u32_e32 v3, vcc, v3, v4, vcc
	s_cbranch_scc1 .LBB94_1356
; %bb.1347:
	s_and_b32 s35, 0xffff, s34
	s_cmp_gt_i32 s35, 25
	s_cbranch_scc0 .LBB94_1357
; %bb.1348:
	s_cmp_gt_i32 s35, 28
	s_cbranch_scc0 .LBB94_1358
; %bb.1349:
	;; [unrolled: 3-line block ×4, first 2 shown]
	s_cmp_eq_u32 s35, 46
	s_mov_b64 s[28:29], 0
	s_cbranch_scc0 .LBB94_1361
; %bb.1352:
	global_load_dword v4, v[2:3], off
	s_mov_b64 s[20:21], 0
	s_mov_b64 s[26:27], -1
	s_waitcnt vmcnt(0)
	v_lshlrev_b32_e32 v4, 16, v4
	v_cvt_f64_f32_e32 v[4:5], v4
	s_branch .LBB94_1363
.LBB94_1353:
	s_or_b64 exec, exec, s[0:1]
	s_and_saveexec_b64 s[0:1], s[18:19]
	s_cbranch_execnz .LBB94_1426
.LBB94_1354:
	s_or_b64 exec, exec, s[0:1]
	s_and_saveexec_b64 s[0:1], s[24:25]
	s_xor_b64 s[0:1], exec, s[0:1]
	s_cbranch_execz .LBB94_1427
.LBB94_1355:
	global_load_ubyte v5, v[2:3], off
	v_mov_b32_e32 v7, 0x3ff00000
	s_waitcnt vmcnt(1)
	v_mov_b32_e32 v4, 0
	s_or_b64 s[26:27], s[26:27], exec
	s_waitcnt vmcnt(0)
	v_cmp_ne_u16_e32 vcc, 0, v5
	v_cndmask_b32_e32 v5, 0, v7, vcc
	s_or_b64 exec, exec, s[0:1]
	s_and_saveexec_b64 s[0:1], s[30:31]
	s_cbranch_execz .LBB94_1473
	s_branch .LBB94_1428
.LBB94_1356:
	s_mov_b64 s[28:29], -1
                                        ; implicit-def: $vgpr4_vgpr5
	s_mov_b64 s[20:21], s[18:19]
	s_branch .LBB94_1425
.LBB94_1357:
	s_mov_b64 s[20:21], s[18:19]
                                        ; implicit-def: $vgpr4_vgpr5
	s_cbranch_execnz .LBB94_1394
	s_branch .LBB94_1424
.LBB94_1358:
	s_mov_b64 s[28:29], -1
	s_mov_b64 s[20:21], s[18:19]
                                        ; implicit-def: $vgpr4_vgpr5
	s_branch .LBB94_1373
.LBB94_1359:
	s_mov_b64 s[28:29], -1
	s_mov_b64 s[20:21], s[18:19]
                                        ; implicit-def: $vgpr4_vgpr5
	s_branch .LBB94_1368
.LBB94_1360:
	s_mov_b64 s[28:29], -1
	s_mov_b64 s[20:21], s[18:19]
	s_branch .LBB94_1362
.LBB94_1361:
	s_mov_b64 s[20:21], -1
.LBB94_1362:
                                        ; implicit-def: $vgpr4_vgpr5
.LBB94_1363:
	s_and_b64 vcc, exec, s[28:29]
	s_cbranch_vccz .LBB94_1367
; %bb.1364:
	s_cmp_eq_u32 s35, 44
	s_cbranch_scc0 .LBB94_1366
; %bb.1365:
	global_load_ubyte v7, v[2:3], off
	s_movk_i32 s26, 0xff
	v_bfrev_b32_e32 v8, 4
	v_mov_b32_e32 v9, 0x7ff80000
	v_bfrev_b32_e32 v10, 28
	s_mov_b64 s[20:21], 0
	s_waitcnt vmcnt(0)
	v_lshlrev_b32_e32 v4, 23, v7
	v_cvt_f64_f32_e32 v[4:5], v4
	v_cmp_ne_u32_e32 vcc, s26, v7
	s_mov_b64 s[26:27], -1
	v_cndmask_b32_e32 v4, v8, v4, vcc
	v_cndmask_b32_e32 v5, v9, v5, vcc
	v_cmp_ne_u32_e32 vcc, 0, v7
	v_cndmask_b32_e32 v5, v10, v5, vcc
	v_cndmask_b32_e32 v4, 0, v4, vcc
	s_branch .LBB94_1367
.LBB94_1366:
	s_mov_b64 s[20:21], -1
                                        ; implicit-def: $vgpr4_vgpr5
.LBB94_1367:
	s_mov_b64 s[28:29], 0
.LBB94_1368:
	s_and_b64 vcc, exec, s[28:29]
	s_cbranch_vccz .LBB94_1372
; %bb.1369:
	s_cmp_eq_u32 s35, 29
	s_cbranch_scc0 .LBB94_1371
; %bb.1370:
	global_load_dwordx2 v[4:5], v[2:3], off
	s_mov_b64 s[20:21], 0
	s_mov_b64 s[26:27], -1
	s_mov_b64 s[28:29], 0
	s_waitcnt vmcnt(0)
	v_cvt_f64_u32_e32 v[7:8], v5
	v_cvt_f64_u32_e32 v[4:5], v4
	v_ldexp_f64 v[7:8], v[7:8], 32
	v_add_f64 v[4:5], v[7:8], v[4:5]
	s_branch .LBB94_1373
.LBB94_1371:
	s_mov_b64 s[20:21], -1
                                        ; implicit-def: $vgpr4_vgpr5
.LBB94_1372:
	s_mov_b64 s[28:29], 0
.LBB94_1373:
	s_and_b64 vcc, exec, s[28:29]
	s_cbranch_vccz .LBB94_1393
; %bb.1374:
	s_cmp_lt_i32 s35, 27
	s_cbranch_scc1 .LBB94_1377
; %bb.1375:
	s_cmp_gt_i32 s35, 27
	s_cbranch_scc0 .LBB94_1378
; %bb.1376:
	global_load_dword v4, v[2:3], off
	s_mov_b64 s[26:27], 0
	s_waitcnt vmcnt(0)
	v_cvt_f64_u32_e32 v[4:5], v4
	s_branch .LBB94_1379
.LBB94_1377:
	s_mov_b64 s[26:27], -1
                                        ; implicit-def: $vgpr4_vgpr5
	s_branch .LBB94_1382
.LBB94_1378:
	s_mov_b64 s[26:27], -1
                                        ; implicit-def: $vgpr4_vgpr5
.LBB94_1379:
	s_andn2_b64 vcc, exec, s[26:27]
	s_cbranch_vccnz .LBB94_1381
; %bb.1380:
	global_load_ushort v4, v[2:3], off
	s_waitcnt vmcnt(0)
	v_cvt_f64_u32_e32 v[4:5], v4
.LBB94_1381:
	s_mov_b64 s[26:27], 0
.LBB94_1382:
	s_andn2_b64 vcc, exec, s[26:27]
	s_cbranch_vccnz .LBB94_1392
; %bb.1383:
	global_load_ubyte v7, v[2:3], off
	s_movk_i32 s26, 0x7f
	s_waitcnt vmcnt(0)
	v_cmp_lt_i16_e32 vcc, s26, v7
	s_mov_b64 s[26:27], 0
	s_and_saveexec_b64 s[28:29], vcc
	s_xor_b64 s[28:29], exec, s[28:29]
	s_cbranch_execz .LBB94_1387
; %bb.1384:
	s_movk_i32 s26, 0x80
	v_cmp_eq_u16_e32 vcc, s26, v7
	s_mov_b64 s[26:27], -1
	s_and_saveexec_b64 s[30:31], vcc
; %bb.1385:
	s_xor_b64 s[26:27], exec, -1
; %bb.1386:
	s_or_b64 exec, exec, s[30:31]
	s_and_b64 s[26:27], s[26:27], exec
.LBB94_1387:
	s_or_saveexec_b64 s[28:29], s[28:29]
	v_bfrev_b32_e32 v4, 4
	v_mov_b32_e32 v5, 0x7ff80000
	s_xor_b64 exec, exec, s[28:29]
; %bb.1388:
	v_cmp_ne_u16_e32 vcc, 0, v7
	v_mov_b32_e32 v4, 0
	s_andn2_b64 s[26:27], s[26:27], exec
	s_and_b64 s[30:31], vcc, exec
	v_mov_b32_e32 v5, 0
	s_or_b64 s[26:27], s[26:27], s[30:31]
; %bb.1389:
	s_or_b64 exec, exec, s[28:29]
	s_and_saveexec_b64 s[28:29], s[26:27]
	s_cbranch_execz .LBB94_1391
; %bb.1390:
	v_and_b32_e32 v5, 0xffff, v7
	v_lshlrev_b32_e32 v4, 24, v7
	v_and_b32_e32 v7, 7, v5
	v_ffbh_u32_e32 v9, v7
	v_min_u32_e32 v9, 32, v9
	v_subrev_u32_e32 v10, 28, v9
	v_bfe_u32 v8, v5, 3, 4
	v_lshlrev_b32_e32 v5, v10, v5
	v_sub_u32_e32 v9, 29, v9
	v_and_b32_e32 v5, 7, v5
	v_cmp_eq_u32_e32 vcc, 0, v8
	v_cndmask_b32_e32 v8, v8, v9, vcc
	v_cndmask_b32_e32 v5, v7, v5, vcc
	v_mov_b32_e32 v7, 0x3b800000
	v_lshlrev_b32_e32 v5, 20, v5
	v_and_b32_e32 v4, 0x80000000, v4
	v_lshl_add_u32 v7, v8, 23, v7
	v_or3_b32 v4, v4, v7, v5
	v_cvt_f64_f32_e32 v[4:5], v4
.LBB94_1391:
	s_or_b64 exec, exec, s[28:29]
.LBB94_1392:
	s_mov_b64 s[26:27], -1
.LBB94_1393:
	s_branch .LBB94_1424
.LBB94_1394:
	s_cmp_gt_i32 s35, 22
	s_cbranch_scc0 .LBB94_1406
; %bb.1395:
	s_cmp_lt_i32 s35, 24
	s_cbranch_scc1 .LBB94_1407
; %bb.1396:
	s_cmp_gt_i32 s35, 24
	s_cbranch_scc0 .LBB94_1408
; %bb.1397:
	global_load_ubyte v7, v[2:3], off
	s_movk_i32 s24, 0x7f
	s_waitcnt vmcnt(0)
	v_cmp_lt_i16_e32 vcc, s24, v7
	s_mov_b64 s[24:25], 0
	s_and_saveexec_b64 s[26:27], vcc
	s_xor_b64 s[26:27], exec, s[26:27]
	s_cbranch_execz .LBB94_1401
; %bb.1398:
	s_movk_i32 s24, 0x80
	v_cmp_eq_u16_e32 vcc, s24, v7
	s_mov_b64 s[24:25], -1
	s_and_saveexec_b64 s[28:29], vcc
; %bb.1399:
	s_xor_b64 s[24:25], exec, -1
; %bb.1400:
	s_or_b64 exec, exec, s[28:29]
	s_and_b64 s[24:25], s[24:25], exec
.LBB94_1401:
	s_or_saveexec_b64 s[26:27], s[26:27]
	v_bfrev_b32_e32 v4, 4
	v_mov_b32_e32 v5, 0x7ff80000
	s_xor_b64 exec, exec, s[26:27]
; %bb.1402:
	v_cmp_ne_u16_e32 vcc, 0, v7
	v_mov_b32_e32 v4, 0
	s_andn2_b64 s[24:25], s[24:25], exec
	s_and_b64 s[28:29], vcc, exec
	v_mov_b32_e32 v5, 0
	s_or_b64 s[24:25], s[24:25], s[28:29]
; %bb.1403:
	s_or_b64 exec, exec, s[26:27]
	s_and_saveexec_b64 s[26:27], s[24:25]
	s_cbranch_execz .LBB94_1405
; %bb.1404:
	v_and_b32_e32 v5, 0xffff, v7
	v_lshlrev_b32_e32 v4, 24, v7
	v_and_b32_e32 v7, 3, v5
	v_ffbh_u32_e32 v9, v7
	v_min_u32_e32 v9, 32, v9
	v_subrev_u32_e32 v10, 29, v9
	v_bfe_u32 v8, v5, 2, 5
	v_lshlrev_b32_e32 v5, v10, v5
	v_sub_u32_e32 v9, 30, v9
	v_and_b32_e32 v5, 3, v5
	v_cmp_eq_u32_e32 vcc, 0, v8
	v_cndmask_b32_e32 v8, v8, v9, vcc
	v_cndmask_b32_e32 v5, v7, v5, vcc
	v_mov_b32_e32 v7, 0x37800000
	v_lshlrev_b32_e32 v5, 21, v5
	v_and_b32_e32 v4, 0x80000000, v4
	v_lshl_add_u32 v7, v8, 23, v7
	v_or3_b32 v4, v4, v7, v5
	v_cvt_f64_f32_e32 v[4:5], v4
.LBB94_1405:
	s_or_b64 exec, exec, s[26:27]
	s_mov_b64 s[24:25], 0
	s_branch .LBB94_1409
.LBB94_1406:
	s_mov_b64 s[24:25], -1
                                        ; implicit-def: $vgpr4_vgpr5
	s_branch .LBB94_1415
.LBB94_1407:
	s_mov_b64 s[24:25], -1
                                        ; implicit-def: $vgpr4_vgpr5
	s_branch .LBB94_1412
.LBB94_1408:
	s_mov_b64 s[24:25], -1
                                        ; implicit-def: $vgpr4_vgpr5
.LBB94_1409:
	s_and_b64 vcc, exec, s[24:25]
	s_cbranch_vccz .LBB94_1411
; %bb.1410:
	global_load_ubyte v4, v[2:3], off
	s_mov_b32 s24, 0x7f800000
	s_waitcnt vmcnt(0)
	v_lshlrev_b32_e32 v4, 24, v4
	v_and_b32_e32 v5, 0x7f000000, v4
	v_ffbh_u32_e32 v7, v5
	v_min_u32_e32 v7, 32, v7
	v_sub_u32_e64 v7, v7, 4 clamp
	v_lshlrev_b32_e32 v9, v7, v5
	v_lshlrev_b32_e32 v7, 23, v7
	v_lshrrev_b32_e32 v9, 4, v9
	v_add_u32_e32 v8, 0x1000000, v5
	v_sub_u32_e32 v7, v9, v7
	v_ashrrev_i32_e32 v8, 8, v8
	v_add_u32_e32 v7, 0x3c000000, v7
	v_and_or_b32 v7, v8, s24, v7
	v_cmp_ne_u32_e32 vcc, 0, v5
	v_cndmask_b32_e32 v5, 0, v7, vcc
	s_brev_b32 s24, 1
	v_and_or_b32 v4, v4, s24, v5
	v_cvt_f64_f32_e32 v[4:5], v4
.LBB94_1411:
	s_mov_b64 s[24:25], 0
.LBB94_1412:
	s_andn2_b64 vcc, exec, s[24:25]
	s_cbranch_vccnz .LBB94_1414
; %bb.1413:
	global_load_ubyte v4, v[2:3], off
	s_movk_i32 s24, 0x7f00
	s_brev_b32 s25, 16
	s_waitcnt vmcnt(0)
	v_lshlrev_b16_e32 v5, 8, v4
	v_lshlrev_b32_e32 v4, 25, v4
	v_lshrrev_b32_e32 v7, 4, v4
	v_and_or_b32 v8, v5, s24, 0.5
	v_or_b32_e32 v7, 0x70000000, v7
	v_add_f32_e32 v8, -0.5, v8
	v_mul_f32_e32 v7, 0x7800000, v7
	v_cmp_gt_u32_e32 vcc, s25, v4
	v_bfe_i32 v5, v5, 0, 16
	v_cndmask_b32_e32 v4, v7, v8, vcc
	s_brev_b32 s24, 1
	v_and_or_b32 v4, v5, s24, v4
	v_cvt_f64_f32_e32 v[4:5], v4
.LBB94_1414:
	s_mov_b64 s[24:25], 0
	s_mov_b64 s[26:27], -1
.LBB94_1415:
	s_andn2_b64 vcc, exec, s[24:25]
	s_mov_b64 s[24:25], 0
	s_cbranch_vccnz .LBB94_1424
; %bb.1416:
	s_cmp_gt_i32 s35, 14
	s_cbranch_scc0 .LBB94_1419
; %bb.1417:
	s_cmp_eq_u32 s35, 15
	s_cbranch_scc0 .LBB94_1420
; %bb.1418:
	global_load_ushort v4, v[2:3], off
	s_mov_b64 s[20:21], 0
	s_mov_b64 s[26:27], -1
	s_waitcnt vmcnt(0)
	v_lshlrev_b32_e32 v4, 16, v4
	v_cvt_f64_f32_e32 v[4:5], v4
	s_branch .LBB94_1421
.LBB94_1419:
	s_mov_b64 s[28:29], -1
                                        ; implicit-def: $vgpr4_vgpr5
	s_branch .LBB94_1422
.LBB94_1420:
	s_mov_b64 s[20:21], -1
                                        ; implicit-def: $vgpr4_vgpr5
.LBB94_1421:
	s_mov_b64 s[28:29], 0
.LBB94_1422:
	s_and_b64 vcc, exec, s[28:29]
	s_cbranch_vccz .LBB94_1424
; %bb.1423:
	s_cmp_lg_u32 s35, 11
	s_cselect_b64 s[28:29], -1, 0
	s_andn2_b64 s[20:21], s[20:21], exec
	s_and_b64 s[28:29], s[28:29], exec
	s_mov_b64 s[24:25], -1
	s_or_b64 s[20:21], s[20:21], s[28:29]
.LBB94_1424:
	s_mov_b64 s[28:29], 0
.LBB94_1425:
	s_andn2_b64 s[18:19], s[18:19], exec
	s_and_b64 s[20:21], s[20:21], exec
	s_and_b64 s[26:27], s[26:27], exec
	;; [unrolled: 1-line block ×4, first 2 shown]
	s_or_b64 s[18:19], s[18:19], s[20:21]
	s_or_b64 exec, exec, s[0:1]
	s_and_saveexec_b64 s[0:1], s[18:19]
	s_cbranch_execz .LBB94_1354
.LBB94_1426:
	s_or_b64 s[22:23], s[22:23], exec
	s_andn2_b64 s[24:25], s[24:25], exec
	s_trap 2
	s_or_b64 exec, exec, s[0:1]
	s_and_saveexec_b64 s[0:1], s[24:25]
	s_xor_b64 s[0:1], exec, s[0:1]
	s_cbranch_execnz .LBB94_1355
.LBB94_1427:
	s_or_b64 exec, exec, s[0:1]
	s_and_saveexec_b64 s[0:1], s[30:31]
	s_cbranch_execz .LBB94_1473
.LBB94_1428:
	s_sext_i32_i16 s18, s34
	s_cmp_lt_i32 s18, 5
	s_cbranch_scc1 .LBB94_1433
; %bb.1429:
	s_cmp_lt_i32 s18, 8
	s_cbranch_scc1 .LBB94_1434
; %bb.1430:
	;; [unrolled: 3-line block ×3, first 2 shown]
	s_cmp_gt_i32 s18, 9
	s_cbranch_scc0 .LBB94_1436
; %bb.1432:
	global_load_dwordx2 v[4:5], v[2:3], off
	s_mov_b64 s[18:19], 0
	s_branch .LBB94_1437
.LBB94_1433:
                                        ; implicit-def: $vgpr4_vgpr5
	s_branch .LBB94_1454
.LBB94_1434:
                                        ; implicit-def: $vgpr4_vgpr5
	s_branch .LBB94_1443
.LBB94_1435:
	s_mov_b64 s[18:19], -1
                                        ; implicit-def: $vgpr4_vgpr5
	s_branch .LBB94_1440
.LBB94_1436:
	s_mov_b64 s[18:19], -1
                                        ; implicit-def: $vgpr4_vgpr5
.LBB94_1437:
	s_andn2_b64 vcc, exec, s[18:19]
	s_cbranch_vccnz .LBB94_1439
; %bb.1438:
	global_load_dword v4, v[2:3], off
	s_waitcnt vmcnt(0)
	v_cvt_f64_f32_e32 v[4:5], v4
.LBB94_1439:
	s_mov_b64 s[18:19], 0
.LBB94_1440:
	s_andn2_b64 vcc, exec, s[18:19]
	s_cbranch_vccnz .LBB94_1442
; %bb.1441:
	global_load_dword v4, v[2:3], off
	s_waitcnt vmcnt(0)
	v_cvt_f32_f16_e32 v4, v4
	v_cvt_f64_f32_e32 v[4:5], v4
.LBB94_1442:
	s_cbranch_execnz .LBB94_1453
.LBB94_1443:
	s_sext_i32_i16 s18, s34
	s_cmp_lt_i32 s18, 6
	s_cbranch_scc1 .LBB94_1446
; %bb.1444:
	s_cmp_gt_i32 s18, 6
	s_cbranch_scc0 .LBB94_1447
; %bb.1445:
	global_load_dwordx2 v[4:5], v[2:3], off
	s_mov_b64 s[18:19], 0
	s_branch .LBB94_1448
.LBB94_1446:
	s_mov_b64 s[18:19], -1
                                        ; implicit-def: $vgpr4_vgpr5
	s_branch .LBB94_1451
.LBB94_1447:
	s_mov_b64 s[18:19], -1
                                        ; implicit-def: $vgpr4_vgpr5
.LBB94_1448:
	s_andn2_b64 vcc, exec, s[18:19]
	s_cbranch_vccnz .LBB94_1450
; %bb.1449:
	global_load_dword v4, v[2:3], off
	s_waitcnt vmcnt(0)
	v_cvt_f64_f32_e32 v[4:5], v4
.LBB94_1450:
	s_mov_b64 s[18:19], 0
.LBB94_1451:
	s_andn2_b64 vcc, exec, s[18:19]
	s_cbranch_vccnz .LBB94_1453
; %bb.1452:
	global_load_ushort v4, v[2:3], off
	s_waitcnt vmcnt(0)
	v_cvt_f32_f16_e32 v4, v4
	v_cvt_f64_f32_e32 v[4:5], v4
.LBB94_1453:
	s_cbranch_execnz .LBB94_1472
.LBB94_1454:
	s_sext_i32_i16 s18, s34
	s_cmp_lt_i32 s18, 2
	s_cbranch_scc1 .LBB94_1458
; %bb.1455:
	s_cmp_lt_i32 s18, 3
	s_cbranch_scc1 .LBB94_1459
; %bb.1456:
	s_cmp_gt_i32 s18, 3
	s_cbranch_scc0 .LBB94_1460
; %bb.1457:
	global_load_dwordx2 v[4:5], v[2:3], off
	s_mov_b64 s[18:19], 0
	s_waitcnt vmcnt(0)
	v_cvt_f64_i32_e32 v[7:8], v5
	v_cvt_f64_u32_e32 v[4:5], v4
	v_ldexp_f64 v[7:8], v[7:8], 32
	v_add_f64 v[4:5], v[7:8], v[4:5]
	s_branch .LBB94_1461
.LBB94_1458:
                                        ; implicit-def: $vgpr4_vgpr5
	s_branch .LBB94_1467
.LBB94_1459:
	s_mov_b64 s[18:19], -1
                                        ; implicit-def: $vgpr4_vgpr5
	s_branch .LBB94_1464
.LBB94_1460:
	s_mov_b64 s[18:19], -1
                                        ; implicit-def: $vgpr4_vgpr5
.LBB94_1461:
	s_andn2_b64 vcc, exec, s[18:19]
	s_cbranch_vccnz .LBB94_1463
; %bb.1462:
	global_load_dword v4, v[2:3], off
	s_waitcnt vmcnt(0)
	v_cvt_f64_i32_e32 v[4:5], v4
.LBB94_1463:
	s_mov_b64 s[18:19], 0
.LBB94_1464:
	s_andn2_b64 vcc, exec, s[18:19]
	s_cbranch_vccnz .LBB94_1466
; %bb.1465:
	global_load_sshort v4, v[2:3], off
	s_waitcnt vmcnt(0)
	v_cvt_f64_i32_e32 v[4:5], v4
.LBB94_1466:
	s_cbranch_execnz .LBB94_1472
.LBB94_1467:
	s_sext_i32_i16 s18, s34
	s_cmp_gt_i32 s18, 0
	s_cbranch_scc0 .LBB94_1469
; %bb.1468:
	global_load_sbyte v4, v[2:3], off
	s_mov_b64 s[18:19], 0
	s_waitcnt vmcnt(0)
	v_cvt_f64_i32_e32 v[4:5], v4
	s_branch .LBB94_1470
.LBB94_1469:
	s_mov_b64 s[18:19], -1
                                        ; implicit-def: $vgpr4_vgpr5
.LBB94_1470:
	s_andn2_b64 vcc, exec, s[18:19]
	s_cbranch_vccnz .LBB94_1472
; %bb.1471:
	global_load_ubyte v2, v[2:3], off
	s_waitcnt vmcnt(0)
	v_cvt_f64_u32_e32 v[4:5], v2
.LBB94_1472:
	s_or_b64 s[26:27], s[26:27], exec
.LBB94_1473:
	s_or_b64 exec, exec, s[0:1]
	s_mov_b64 s[28:29], 0
	s_mov_b64 s[24:25], 0
                                        ; implicit-def: $sgpr18_sgpr19
                                        ; implicit-def: $sgpr34
                                        ; implicit-def: $vgpr2_vgpr3
	s_and_saveexec_b64 s[20:21], s[26:27]
	s_cbranch_execz .LBB94_1478
; %bb.1474:
	s_cmp_lt_i32 s15, 1
	s_mov_b64 s[0:1], 0
	s_cbranch_scc1 .LBB94_1481
; %bb.1475:
	s_cmp_gt_i32 s15, 1
	s_cbranch_scc0 .LBB94_1482
; %bb.1476:
	s_cmp_eq_u32 s15, 2
	s_cbranch_scc0 .LBB94_1619
; %bb.1477:
	s_waitcnt vmcnt(0)
	v_cmp_le_f64_e64 s[18:19], v[0:1], v[4:5]
	s_branch .LBB94_1484
.LBB94_1478:
	s_or_b64 exec, exec, s[20:21]
	s_and_saveexec_b64 s[0:1], s[16:17]
	s_cbranch_execnz .LBB94_1567
.LBB94_1479:
	s_or_b64 exec, exec, s[0:1]
	s_and_saveexec_b64 s[0:1], s[28:29]
	s_xor_b64 s[0:1], exec, s[0:1]
	s_cbranch_execz .LBB94_1568
.LBB94_1480:
	s_waitcnt vmcnt(0)
	v_cndmask_b32_e64 v0, 0, 1, s[18:19]
	global_store_byte v[2:3], v0, off
	s_or_b64 exec, exec, s[0:1]
	s_and_saveexec_b64 s[0:1], s[24:25]
	s_xor_b64 s[0:1], exec, s[0:1]
	s_cbranch_execz .LBB94_1606
	s_branch .LBB94_1569
.LBB94_1481:
                                        ; implicit-def: $sgpr18_sgpr19
	s_cbranch_execnz .LBB94_1485
	s_branch .LBB94_1486
.LBB94_1482:
                                        ; implicit-def: $sgpr18_sgpr19
	s_cbranch_execz .LBB94_1484
; %bb.1483:
	s_waitcnt vmcnt(0)
	v_cmp_gt_f64_e32 vcc, v[0:1], v[4:5]
	s_andn2_b64 s[18:19], s[18:19], exec
	s_and_b64 s[26:27], vcc, exec
	s_or_b64 s[18:19], s[18:19], s[26:27]
.LBB94_1484:
	s_branch .LBB94_1486
.LBB94_1485:
	s_cmp_lg_u32 s15, 0
	s_mov_b64 s[0:1], -1
	s_cselect_b64 s[24:25], -1, 0
.LBB94_1486:
	s_andn2_b64 vcc, exec, s[24:25]
	s_cbranch_vccnz .LBB94_1488
; %bb.1487:
	s_waitcnt vmcnt(0)
	v_cmp_lt_f64_e32 vcc, v[0:1], v[4:5]
	s_andn2_b64 s[18:19], s[18:19], exec
	s_and_b64 s[24:25], vcc, exec
	s_or_b64 s[18:19], s[18:19], s[24:25]
	s_cbranch_execz .LBB94_1489
	s_branch .LBB94_1490
.LBB94_1488:
	s_andn2_b64 vcc, exec, s[0:1]
	s_cbranch_vccnz .LBB94_1490
.LBB94_1489:
	s_waitcnt vmcnt(0)
	v_cmp_ge_f64_e32 vcc, v[0:1], v[4:5]
	s_andn2_b64 s[0:1], s[18:19], exec
	s_and_b64 s[18:19], vcc, exec
	s_or_b64 s[18:19], s[0:1], s[18:19]
.LBB94_1490:
	s_waitcnt vmcnt(0)
	v_mul_lo_u32 v0, v6, s12
	v_mov_b32_e32 v1, s9
	s_and_b32 s34, s33, 0xff
	s_cmp_lt_i32 s34, 11
	v_ashrrev_i32_e32 v3, 31, v0
	v_add_co_u32_e32 v2, vcc, s8, v0
	v_addc_co_u32_e32 v3, vcc, v1, v3, vcc
	s_cbranch_scc1 .LBB94_1564
; %bb.1491:
	s_and_b32 s35, 0xffff, s34
	s_mov_b64 s[26:27], -1
	s_cmp_gt_i32 s35, 25
	s_mov_b64 s[0:1], s[16:17]
	s_cbranch_scc0 .LBB94_1524
; %bb.1492:
	s_mov_b64 s[24:25], -1
	s_cmp_gt_i32 s35, 28
	s_mov_b64 s[0:1], s[16:17]
	s_cbranch_scc0 .LBB94_1508
; %bb.1493:
	s_cmp_gt_i32 s35, 43
	s_mov_b64 s[0:1], s[16:17]
	s_cbranch_scc0 .LBB94_1504
; %bb.1494:
	;; [unrolled: 4-line block ×3, first 2 shown]
	s_cmp_eq_u32 s35, 46
	s_mov_b64 s[0:1], -1
	s_cbranch_scc0 .LBB94_1497
; %bb.1496:
	v_cndmask_b32_e64 v0, 0, 1.0, s[18:19]
	v_bfe_u32 v1, v0, 16, 1
	s_movk_i32 s0, 0x7fff
	v_add3_u32 v0, v0, v1, s0
	v_lshrrev_b32_e32 v0, 16, v0
	global_store_dword v[2:3], v0, off
	s_mov_b64 s[0:1], 0
.LBB94_1497:
	s_mov_b64 s[24:25], 0
.LBB94_1498:
	s_and_b64 vcc, exec, s[24:25]
	s_cbranch_vccz .LBB94_1503
; %bb.1499:
	s_cmp_eq_u32 s35, 44
	s_mov_b64 s[0:1], -1
	s_cbranch_scc0 .LBB94_1503
; %bb.1500:
	v_cndmask_b32_e64 v1, 0, 1.0, s[18:19]
	v_lshrrev_b32_e32 v0, 23, v1
	s_movk_i32 s0, 0xff
	v_cmp_ne_u32_e32 vcc, s0, v0
	v_mov_b32_e32 v4, 0xff
	s_and_saveexec_b64 s[24:25], vcc
; %bb.1501:
	s_mov_b32 s0, 0x3fffff
	v_and_b32_e32 v4, 0x400000, v1
	v_and_or_b32 v1, v1, s0, v0
	v_cmp_ne_u32_e32 vcc, 0, v4
	v_cmp_ne_u32_e64 s[0:1], 0, v1
	s_and_b64 s[0:1], vcc, s[0:1]
	v_cndmask_b32_e64 v1, 0, 1, s[0:1]
	v_add_u32_e32 v4, v0, v1
; %bb.1502:
	s_or_b64 exec, exec, s[24:25]
	s_mov_b64 s[0:1], 0
	global_store_byte v[2:3], v4, off
.LBB94_1503:
	s_mov_b64 s[24:25], 0
.LBB94_1504:
	s_and_b64 vcc, exec, s[24:25]
	s_cbranch_vccz .LBB94_1507
; %bb.1505:
	s_cmp_eq_u32 s35, 29
	s_mov_b64 s[0:1], -1
	s_cbranch_scc0 .LBB94_1507
; %bb.1506:
	s_mov_b32 s0, 0
	v_cndmask_b32_e64 v0, 0, 1, s[18:19]
	v_mov_b32_e32 v1, s0
	global_store_dwordx2 v[2:3], v[0:1], off
	s_mov_b64 s[0:1], 0
.LBB94_1507:
	s_mov_b64 s[24:25], 0
.LBB94_1508:
	s_and_b64 vcc, exec, s[24:25]
	s_cbranch_vccz .LBB94_1523
; %bb.1509:
	s_cmp_lt_i32 s35, 27
	s_mov_b64 s[24:25], -1
	s_cbranch_scc1 .LBB94_1515
; %bb.1510:
	s_cmp_gt_i32 s35, 27
	v_cndmask_b32_e64 v0, 0, 1, s[18:19]
	s_cbranch_scc0 .LBB94_1512
; %bb.1511:
	s_mov_b64 s[24:25], 0
	global_store_dword v[2:3], v0, off
.LBB94_1512:
	s_andn2_b64 vcc, exec, s[24:25]
	s_cbranch_vccnz .LBB94_1514
; %bb.1513:
	global_store_short v[2:3], v0, off
.LBB94_1514:
	s_mov_b64 s[24:25], 0
.LBB94_1515:
	s_andn2_b64 vcc, exec, s[24:25]
	s_cbranch_vccnz .LBB94_1523
; %bb.1516:
	v_cndmask_b32_e64 v1, 0, 1.0, s[18:19]
	s_mov_b32 s24, 0x43800000
	v_cmp_gt_u32_e32 vcc, s24, v1
	v_mov_b32_e32 v4, 0x80
	s_and_saveexec_b64 s[24:25], vcc
	s_cbranch_execz .LBB94_1522
; %bb.1517:
	s_mov_b32 s26, 0x3bffffff
	v_cmp_lt_u32_e32 vcc, s26, v1
	s_mov_b64 s[26:27], 0
                                        ; implicit-def: $vgpr0
	s_and_saveexec_b64 s[28:29], vcc
	s_xor_b64 s[28:29], exec, s[28:29]
	s_cbranch_execz .LBB94_1622
; %bb.1518:
	v_bfe_u32 v0, v1, 20, 1
	s_mov_b32 s30, 0x487ffff
	v_add3_u32 v0, v1, v0, s30
	s_mov_b64 s[26:27], exec
	v_lshrrev_b32_e32 v0, 20, v0
                                        ; implicit-def: $vgpr1
	s_andn2_saveexec_b64 s[28:29], s[28:29]
	s_cbranch_execnz .LBB94_1623
.LBB94_1519:
	s_or_b64 exec, exec, s[28:29]
	v_mov_b32_e32 v4, 0
	s_and_saveexec_b64 s[28:29], s[26:27]
.LBB94_1520:
	v_mov_b32_e32 v4, v0
.LBB94_1521:
	s_or_b64 exec, exec, s[28:29]
.LBB94_1522:
	s_or_b64 exec, exec, s[24:25]
	global_store_byte v[2:3], v4, off
.LBB94_1523:
	s_mov_b64 s[26:27], 0
.LBB94_1524:
	s_mov_b64 s[24:25], 0
	s_and_b64 vcc, exec, s[26:27]
	s_cbranch_vccz .LBB94_1565
; %bb.1525:
	s_cmp_gt_i32 s35, 22
	s_mov_b64 s[26:27], -1
	s_cbranch_scc0 .LBB94_1557
; %bb.1526:
	s_cmp_lt_i32 s35, 24
	s_cbranch_scc1 .LBB94_1546
; %bb.1527:
	s_cmp_gt_i32 s35, 24
	s_cbranch_scc0 .LBB94_1535
; %bb.1528:
	v_cndmask_b32_e64 v1, 0, 1.0, s[18:19]
	s_mov_b32 s26, 0x47800000
	v_cmp_gt_u32_e32 vcc, s26, v1
	v_mov_b32_e32 v4, 0x80
	s_and_saveexec_b64 s[26:27], vcc
	s_cbranch_execz .LBB94_1534
; %bb.1529:
	s_mov_b32 s28, 0x37ffffff
	v_cmp_lt_u32_e32 vcc, s28, v1
	s_mov_b64 s[28:29], 0
                                        ; implicit-def: $vgpr0
	s_and_saveexec_b64 s[30:31], vcc
	s_xor_b64 s[30:31], exec, s[30:31]
	s_cbranch_execz .LBB94_1747
; %bb.1530:
	v_bfe_u32 v0, v1, 21, 1
	s_mov_b32 s36, 0x88fffff
	v_add3_u32 v0, v1, v0, s36
	s_mov_b64 s[28:29], exec
	v_lshrrev_b32_e32 v0, 21, v0
                                        ; implicit-def: $vgpr1
	s_andn2_saveexec_b64 s[30:31], s[30:31]
	s_cbranch_execnz .LBB94_1748
.LBB94_1531:
	s_or_b64 exec, exec, s[30:31]
	v_mov_b32_e32 v4, 0
	s_and_saveexec_b64 s[30:31], s[28:29]
.LBB94_1532:
	v_mov_b32_e32 v4, v0
.LBB94_1533:
	s_or_b64 exec, exec, s[30:31]
.LBB94_1534:
	s_or_b64 exec, exec, s[26:27]
	s_mov_b64 s[26:27], 0
	global_store_byte v[2:3], v4, off
.LBB94_1535:
	s_and_b64 vcc, exec, s[26:27]
	s_cbranch_vccz .LBB94_1545
; %bb.1536:
	v_cndmask_b32_e64 v0, 0, 1.0, s[18:19]
	s_mov_b32 s26, 0x43f00000
	v_cmp_gt_u32_e32 vcc, s26, v0
                                        ; implicit-def: $vgpr1
	s_and_saveexec_b64 s[26:27], vcc
	s_xor_b64 s[26:27], exec, s[26:27]
	s_cbranch_execz .LBB94_1542
; %bb.1537:
	s_mov_b32 s28, 0x3c7fffff
	v_cmp_lt_u32_e32 vcc, s28, v0
                                        ; implicit-def: $vgpr1
	s_and_saveexec_b64 s[28:29], vcc
	s_xor_b64 s[28:29], exec, s[28:29]
; %bb.1538:
	v_bfe_u32 v1, v0, 20, 1
	s_mov_b32 s30, 0x407ffff
	v_add3_u32 v0, v0, v1, s30
	v_lshrrev_b32_e32 v1, 20, v0
	v_and_b32_e32 v0, 0xff00000, v0
	s_mov_b32 s30, 0x7f00000
	v_mov_b32_e32 v4, 0x7e
	v_cmp_ne_u32_e32 vcc, s30, v0
	v_cndmask_b32_e32 v1, v4, v1, vcc
                                        ; implicit-def: $vgpr0
; %bb.1539:
	s_andn2_saveexec_b64 s[28:29], s[28:29]
; %bb.1540:
	v_add_f32_e32 v1, 0x46800000, v0
; %bb.1541:
	s_or_b64 exec, exec, s[28:29]
                                        ; implicit-def: $vgpr0
.LBB94_1542:
	s_andn2_saveexec_b64 s[26:27], s[26:27]
; %bb.1543:
	s_mov_b32 s28, 0x7f800000
	v_mov_b32_e32 v1, 0x7e
	v_mov_b32_e32 v4, 0x7f
	v_cmp_lt_u32_e32 vcc, s28, v0
	v_cndmask_b32_e32 v1, v1, v4, vcc
; %bb.1544:
	s_or_b64 exec, exec, s[26:27]
	global_store_byte v[2:3], v1, off
.LBB94_1545:
	s_mov_b64 s[26:27], 0
.LBB94_1546:
	s_andn2_b64 vcc, exec, s[26:27]
	s_cbranch_vccnz .LBB94_1556
; %bb.1547:
	v_cndmask_b32_e64 v0, 0, 1.0, s[18:19]
	s_mov_b32 s26, 0x47800000
	v_cmp_gt_u32_e32 vcc, s26, v0
                                        ; implicit-def: $vgpr1
	s_and_saveexec_b64 s[26:27], vcc
	s_xor_b64 s[26:27], exec, s[26:27]
	s_cbranch_execz .LBB94_1553
; %bb.1548:
	s_mov_b32 s28, 0x387fffff
	v_cmp_lt_u32_e32 vcc, s28, v0
                                        ; implicit-def: $vgpr1
	s_and_saveexec_b64 s[28:29], vcc
	s_xor_b64 s[28:29], exec, s[28:29]
; %bb.1549:
	v_bfe_u32 v1, v0, 21, 1
	s_mov_b32 s30, 0x80fffff
	v_add3_u32 v0, v0, v1, s30
	v_lshrrev_b32_e32 v1, 21, v0
                                        ; implicit-def: $vgpr0
; %bb.1550:
	s_andn2_saveexec_b64 s[28:29], s[28:29]
; %bb.1551:
	v_add_f32_e32 v1, 0x43000000, v0
; %bb.1552:
	s_or_b64 exec, exec, s[28:29]
                                        ; implicit-def: $vgpr0
.LBB94_1553:
	s_andn2_saveexec_b64 s[26:27], s[26:27]
; %bb.1554:
	s_mov_b32 s28, 0x7f800000
	v_mov_b32_e32 v1, 0x7c
	v_mov_b32_e32 v4, 0x7f
	v_cmp_lt_u32_e32 vcc, s28, v0
	v_cndmask_b32_e32 v1, v1, v4, vcc
; %bb.1555:
	s_or_b64 exec, exec, s[26:27]
	global_store_byte v[2:3], v1, off
.LBB94_1556:
	s_mov_b64 s[26:27], 0
.LBB94_1557:
	s_andn2_b64 vcc, exec, s[26:27]
	s_mov_b64 s[26:27], 0
	s_cbranch_vccnz .LBB94_1566
; %bb.1558:
	s_cmp_gt_i32 s35, 14
	s_mov_b64 s[28:29], -1
	s_cbranch_scc0 .LBB94_1562
; %bb.1559:
	s_cmp_eq_u32 s35, 15
	s_mov_b64 s[0:1], -1
	s_cbranch_scc0 .LBB94_1561
; %bb.1560:
	v_cndmask_b32_e64 v0, 0, 1.0, s[18:19]
	v_bfe_u32 v1, v0, 16, 1
	s_movk_i32 s0, 0x7fff
	v_add3_u32 v0, v0, v1, s0
	global_store_short_d16_hi v[2:3], v0, off
	s_mov_b64 s[0:1], 0
.LBB94_1561:
	s_mov_b64 s[28:29], 0
.LBB94_1562:
	s_and_b64 vcc, exec, s[28:29]
	s_cbranch_vccz .LBB94_1566
; %bb.1563:
	s_cmp_lg_u32 s35, 11
	s_cselect_b64 s[28:29], -1, 0
	s_andn2_b64 s[0:1], s[0:1], exec
	s_and_b64 s[28:29], s[28:29], exec
	s_mov_b64 s[26:27], -1
	s_or_b64 s[0:1], s[0:1], s[28:29]
	s_branch .LBB94_1566
.LBB94_1564:
	s_mov_b64 s[26:27], 0
	s_mov_b64 s[24:25], -1
	s_mov_b64 s[0:1], s[16:17]
	s_branch .LBB94_1566
.LBB94_1565:
	s_mov_b64 s[26:27], 0
.LBB94_1566:
	s_andn2_b64 s[16:17], s[16:17], exec
	s_and_b64 s[0:1], s[0:1], exec
	s_and_b64 s[24:25], s[24:25], exec
	;; [unrolled: 1-line block ×3, first 2 shown]
	s_or_b64 s[16:17], s[16:17], s[0:1]
	s_or_b64 exec, exec, s[20:21]
	s_and_saveexec_b64 s[0:1], s[16:17]
	s_cbranch_execz .LBB94_1479
.LBB94_1567:
	s_or_b64 s[22:23], s[22:23], exec
	s_andn2_b64 s[28:29], s[28:29], exec
	s_trap 2
	s_or_b64 exec, exec, s[0:1]
	s_and_saveexec_b64 s[0:1], s[28:29]
	s_xor_b64 s[0:1], exec, s[0:1]
	s_cbranch_execnz .LBB94_1480
.LBB94_1568:
	s_or_b64 exec, exec, s[0:1]
	s_and_saveexec_b64 s[0:1], s[24:25]
	s_xor_b64 s[0:1], exec, s[0:1]
	s_cbranch_execz .LBB94_1606
.LBB94_1569:
	s_sext_i32_i16 s20, s34
	s_cmp_lt_i32 s20, 5
	s_mov_b64 s[16:17], -1
	s_cbranch_scc1 .LBB94_1590
; %bb.1570:
	s_cmp_lt_i32 s20, 8
	s_cbranch_scc1 .LBB94_1580
; %bb.1571:
	s_cmp_lt_i32 s20, 9
	s_cbranch_scc1 .LBB94_1577
; %bb.1572:
	s_cmp_gt_i32 s20, 9
	s_cbranch_scc0 .LBB94_1574
; %bb.1573:
	s_waitcnt vmcnt(0)
	v_cndmask_b32_e64 v0, 0, 1, s[18:19]
	v_cvt_f64_u32_e32 v[4:5], v0
	v_mov_b32_e32 v6, 0
	v_mov_b32_e32 v7, v6
	s_mov_b64 s[16:17], 0
	global_store_dwordx4 v[2:3], v[4:7], off
.LBB94_1574:
	s_andn2_b64 vcc, exec, s[16:17]
	s_cbranch_vccnz .LBB94_1576
; %bb.1575:
	s_waitcnt vmcnt(0)
	v_cndmask_b32_e64 v0, 0, 1.0, s[18:19]
	v_mov_b32_e32 v1, 0
	global_store_dwordx2 v[2:3], v[0:1], off
.LBB94_1576:
	s_mov_b64 s[16:17], 0
.LBB94_1577:
	s_andn2_b64 vcc, exec, s[16:17]
	s_cbranch_vccnz .LBB94_1579
; %bb.1578:
	s_waitcnt vmcnt(0)
	v_cndmask_b32_e64 v0, 0, 1.0, s[18:19]
	v_cvt_f16_f32_e32 v0, v0
	global_store_dword v[2:3], v0, off
.LBB94_1579:
	s_mov_b64 s[16:17], 0
.LBB94_1580:
	s_andn2_b64 vcc, exec, s[16:17]
	s_cbranch_vccnz .LBB94_1589
; %bb.1581:
	s_sext_i32_i16 s20, s34
	s_cmp_lt_i32 s20, 6
	s_mov_b64 s[16:17], -1
	s_cbranch_scc1 .LBB94_1587
; %bb.1582:
	s_cmp_gt_i32 s20, 6
	s_cbranch_scc0 .LBB94_1584
; %bb.1583:
	s_waitcnt vmcnt(0)
	v_cndmask_b32_e64 v0, 0, 1, s[18:19]
	v_cvt_f64_u32_e32 v[0:1], v0
	s_mov_b64 s[16:17], 0
	global_store_dwordx2 v[2:3], v[0:1], off
.LBB94_1584:
	s_andn2_b64 vcc, exec, s[16:17]
	s_cbranch_vccnz .LBB94_1586
; %bb.1585:
	s_waitcnt vmcnt(0)
	v_cndmask_b32_e64 v0, 0, 1.0, s[18:19]
	global_store_dword v[2:3], v0, off
.LBB94_1586:
	s_mov_b64 s[16:17], 0
.LBB94_1587:
	s_andn2_b64 vcc, exec, s[16:17]
	s_cbranch_vccnz .LBB94_1589
; %bb.1588:
	s_waitcnt vmcnt(0)
	v_cndmask_b32_e64 v0, 0, 1.0, s[18:19]
	v_cvt_f16_f32_e32 v0, v0
	global_store_short v[2:3], v0, off
.LBB94_1589:
	s_mov_b64 s[16:17], 0
.LBB94_1590:
	s_andn2_b64 vcc, exec, s[16:17]
	s_cbranch_vccnz .LBB94_1606
; %bb.1591:
	s_sext_i32_i16 s20, s34
	s_cmp_lt_i32 s20, 2
	s_mov_b64 s[16:17], -1
	s_cbranch_scc1 .LBB94_1601
; %bb.1592:
	s_cmp_lt_i32 s20, 3
	s_cbranch_scc1 .LBB94_1598
; %bb.1593:
	s_cmp_gt_i32 s20, 3
	s_cbranch_scc0 .LBB94_1595
; %bb.1594:
	s_mov_b32 s16, 0
	s_waitcnt vmcnt(0)
	v_cndmask_b32_e64 v0, 0, 1, s[18:19]
	v_mov_b32_e32 v1, s16
	s_mov_b64 s[16:17], 0
	global_store_dwordx2 v[2:3], v[0:1], off
.LBB94_1595:
	s_andn2_b64 vcc, exec, s[16:17]
	s_cbranch_vccnz .LBB94_1597
; %bb.1596:
	s_waitcnt vmcnt(0)
	v_cndmask_b32_e64 v0, 0, 1, s[18:19]
	global_store_dword v[2:3], v0, off
.LBB94_1597:
	s_mov_b64 s[16:17], 0
.LBB94_1598:
	s_andn2_b64 vcc, exec, s[16:17]
	s_cbranch_vccnz .LBB94_1600
; %bb.1599:
	s_waitcnt vmcnt(0)
	v_cndmask_b32_e64 v0, 0, 1, s[18:19]
	global_store_short v[2:3], v0, off
.LBB94_1600:
	s_mov_b64 s[16:17], 0
.LBB94_1601:
	s_andn2_b64 vcc, exec, s[16:17]
	s_cbranch_vccnz .LBB94_1606
; %bb.1602:
	s_sext_i32_i16 s20, s34
	s_mov_b64 s[16:17], -1
	s_cmp_gt_i32 s20, 0
	s_waitcnt vmcnt(0)
	v_cndmask_b32_e64 v0, 0, 1, s[18:19]
	s_cbranch_scc0 .LBB94_1604
; %bb.1603:
	s_mov_b64 s[16:17], 0
	global_store_byte v[2:3], v0, off
.LBB94_1604:
	s_andn2_b64 vcc, exec, s[16:17]
	s_cbranch_vccnz .LBB94_1606
; %bb.1605:
	global_store_byte v[2:3], v0, off
.LBB94_1606:
	s_or_b64 exec, exec, s[0:1]
	s_and_b64 s[16:17], s[22:23], exec
                                        ; implicit-def: $vgpr6
.LBB94_1607:
	s_or_saveexec_b64 s[6:7], s[6:7]
	s_mov_b64 s[0:1], 0
                                        ; implicit-def: $sgpr24_sgpr25
                                        ; implicit-def: $sgpr28
                                        ; implicit-def: $vgpr0_vgpr1
	s_xor_b64 exec, exec, s[6:7]
	s_cbranch_execz .LBB94_2700
; %bb.1608:
	v_mul_lo_u32 v7, s13, v6
	s_waitcnt vmcnt(0)
	v_mov_b32_e32 v0, s11
	s_and_b32 s30, s55, 0xff
	s_cmp_lt_i32 s30, 11
	v_ashrrev_i32_e32 v1, 31, v7
	v_add_co_u32_e32 v2, vcc, s10, v7
	v_addc_co_u32_e32 v3, vcc, v0, v1, vcc
	s_cbranch_scc1 .LBB94_1615
; %bb.1609:
	s_and_b32 s24, 0xffff, s30
	s_cmp_gt_i32 s24, 25
	s_cbranch_scc0 .LBB94_1617
; %bb.1610:
	s_cmp_gt_i32 s24, 28
	s_cbranch_scc0 .LBB94_1618
; %bb.1611:
	;; [unrolled: 3-line block ×4, first 2 shown]
	s_cmp_eq_u32 s24, 46
	s_mov_b64 s[18:19], 0
	s_cbranch_scc0 .LBB94_1624
; %bb.1614:
	global_load_dword v0, v[2:3], off
	s_mov_b64 s[20:21], -1
	s_waitcnt vmcnt(0)
	v_lshlrev_b32_e32 v0, 16, v0
	v_cvt_f64_f32_e32 v[0:1], v0
	s_branch .LBB94_1625
.LBB94_1615:
	s_mov_b64 s[20:21], 0
                                        ; implicit-def: $vgpr0_vgpr1
	s_mov_b64 s[18:19], s[16:17]
	s_cbranch_execnz .LBB94_1688
.LBB94_1616:
	s_andn2_b64 vcc, exec, s[20:21]
	s_cbranch_vccz .LBB94_1733
	s_branch .LBB94_2697
.LBB94_1617:
	s_mov_b64 s[20:21], 0
                                        ; implicit-def: $vgpr0_vgpr1
	s_cbranch_execnz .LBB94_1655
	s_branch .LBB94_1684
.LBB94_1618:
	s_mov_b64 s[18:19], -1
	s_mov_b64 s[20:21], 0
                                        ; implicit-def: $vgpr0_vgpr1
	s_branch .LBB94_1634
.LBB94_1619:
	s_mov_b64 s[24:25], -1
                                        ; implicit-def: $sgpr18_sgpr19
	s_branch .LBB94_1484
.LBB94_1620:
	s_mov_b64 s[20:21], 0
                                        ; implicit-def: $vgpr0_vgpr1
	s_cbranch_execnz .LBB94_1630
	s_branch .LBB94_1633
.LBB94_1621:
	s_mov_b64 s[18:19], -1
	s_mov_b64 s[20:21], 0
                                        ; implicit-def: $vgpr0_vgpr1
	s_branch .LBB94_1625
.LBB94_1622:
	s_andn2_saveexec_b64 s[28:29], s[28:29]
	s_cbranch_execz .LBB94_1519
.LBB94_1623:
	v_add_f32_e32 v0, 0x46000000, v1
	v_and_b32_e32 v0, 0xff, v0
	v_cmp_ne_u32_e32 vcc, 0, v0
	s_andn2_b64 s[26:27], s[26:27], exec
	s_and_b64 s[30:31], vcc, exec
	s_or_b64 s[26:27], s[26:27], s[30:31]
	s_or_b64 exec, exec, s[28:29]
	v_mov_b32_e32 v4, 0
	s_and_saveexec_b64 s[28:29], s[26:27]
	s_cbranch_execnz .LBB94_1520
	s_branch .LBB94_1521
.LBB94_1624:
	s_mov_b64 s[0:1], -1
                                        ; implicit-def: $vgpr0_vgpr1
	s_mov_b64 s[20:21], 0
.LBB94_1625:
	s_and_b64 vcc, exec, s[18:19]
	s_cbranch_vccz .LBB94_1628
; %bb.1626:
	s_cmp_eq_u32 s24, 44
	s_cbranch_scc0 .LBB94_1629
; %bb.1627:
	global_load_ubyte v4, v[2:3], off
	s_movk_i32 s18, 0xff
	v_bfrev_b32_e32 v5, 4
	v_mov_b32_e32 v8, 0x7ff80000
	v_bfrev_b32_e32 v9, 28
	s_mov_b64 s[0:1], 0
	s_mov_b64 s[20:21], -1
	s_waitcnt vmcnt(0)
	v_lshlrev_b32_e32 v0, 23, v4
	v_cvt_f64_f32_e32 v[0:1], v0
	v_cmp_ne_u32_e32 vcc, s18, v4
	v_cndmask_b32_e32 v0, v5, v0, vcc
	v_cndmask_b32_e32 v1, v8, v1, vcc
	v_cmp_ne_u32_e32 vcc, 0, v4
	v_cndmask_b32_e32 v1, v9, v1, vcc
	v_cndmask_b32_e32 v0, 0, v0, vcc
.LBB94_1628:
	s_branch .LBB94_1633
.LBB94_1629:
	s_mov_b64 s[0:1], -1
                                        ; implicit-def: $vgpr0_vgpr1
	s_branch .LBB94_1633
.LBB94_1630:
	s_cmp_eq_u32 s24, 29
	s_cbranch_scc0 .LBB94_1632
; %bb.1631:
	global_load_dwordx2 v[0:1], v[2:3], off
	s_mov_b64 s[0:1], 0
	s_mov_b64 s[20:21], -1
	s_mov_b64 s[18:19], 0
	s_waitcnt vmcnt(0)
	v_cvt_f64_u32_e32 v[4:5], v1
	v_cvt_f64_u32_e32 v[0:1], v0
	v_ldexp_f64 v[4:5], v[4:5], 32
	v_add_f64 v[0:1], v[4:5], v[0:1]
	s_branch .LBB94_1634
.LBB94_1632:
	s_mov_b64 s[0:1], -1
                                        ; implicit-def: $vgpr0_vgpr1
.LBB94_1633:
	s_mov_b64 s[18:19], 0
.LBB94_1634:
	s_and_b64 vcc, exec, s[18:19]
	s_cbranch_vccz .LBB94_1654
; %bb.1635:
	s_cmp_lt_i32 s24, 27
	s_cbranch_scc1 .LBB94_1638
; %bb.1636:
	s_cmp_gt_i32 s24, 27
	s_cbranch_scc0 .LBB94_1639
; %bb.1637:
	global_load_dword v0, v[2:3], off
	s_mov_b64 s[18:19], 0
	s_waitcnt vmcnt(0)
	v_cvt_f64_u32_e32 v[0:1], v0
	s_branch .LBB94_1640
.LBB94_1638:
	s_mov_b64 s[18:19], -1
                                        ; implicit-def: $vgpr0_vgpr1
	s_branch .LBB94_1643
.LBB94_1639:
	s_mov_b64 s[18:19], -1
                                        ; implicit-def: $vgpr0_vgpr1
.LBB94_1640:
	s_andn2_b64 vcc, exec, s[18:19]
	s_cbranch_vccnz .LBB94_1642
; %bb.1641:
	global_load_ushort v0, v[2:3], off
	s_waitcnt vmcnt(0)
	v_cvt_f64_u32_e32 v[0:1], v0
.LBB94_1642:
	s_mov_b64 s[18:19], 0
.LBB94_1643:
	s_andn2_b64 vcc, exec, s[18:19]
	s_cbranch_vccnz .LBB94_1653
; %bb.1644:
	global_load_ubyte v4, v[2:3], off
	s_movk_i32 s18, 0x7f
	s_waitcnt vmcnt(0)
	v_cmp_lt_i16_e32 vcc, s18, v4
	s_mov_b64 s[18:19], 0
	s_and_saveexec_b64 s[20:21], vcc
	s_xor_b64 s[20:21], exec, s[20:21]
	s_cbranch_execz .LBB94_1648
; %bb.1645:
	s_movk_i32 s18, 0x80
	v_cmp_eq_u16_e32 vcc, s18, v4
	s_mov_b64 s[18:19], -1
	s_and_saveexec_b64 s[22:23], vcc
; %bb.1646:
	s_xor_b64 s[18:19], exec, -1
; %bb.1647:
	s_or_b64 exec, exec, s[22:23]
	s_and_b64 s[18:19], s[18:19], exec
.LBB94_1648:
	s_or_saveexec_b64 s[20:21], s[20:21]
	v_bfrev_b32_e32 v0, 4
	v_mov_b32_e32 v1, 0x7ff80000
	s_xor_b64 exec, exec, s[20:21]
; %bb.1649:
	v_cmp_ne_u16_e32 vcc, 0, v4
	v_mov_b32_e32 v0, 0
	s_andn2_b64 s[18:19], s[18:19], exec
	s_and_b64 s[22:23], vcc, exec
	v_mov_b32_e32 v1, 0
	s_or_b64 s[18:19], s[18:19], s[22:23]
; %bb.1650:
	s_or_b64 exec, exec, s[20:21]
	s_and_saveexec_b64 s[20:21], s[18:19]
	s_cbranch_execz .LBB94_1652
; %bb.1651:
	v_and_b32_e32 v1, 0xffff, v4
	v_lshlrev_b32_e32 v0, 24, v4
	v_and_b32_e32 v4, 7, v1
	v_ffbh_u32_e32 v8, v4
	v_min_u32_e32 v8, 32, v8
	v_subrev_u32_e32 v9, 28, v8
	v_bfe_u32 v5, v1, 3, 4
	v_lshlrev_b32_e32 v1, v9, v1
	v_sub_u32_e32 v8, 29, v8
	v_and_b32_e32 v1, 7, v1
	v_cmp_eq_u32_e32 vcc, 0, v5
	v_cndmask_b32_e32 v5, v5, v8, vcc
	v_cndmask_b32_e32 v1, v4, v1, vcc
	v_mov_b32_e32 v4, 0x3b800000
	v_lshlrev_b32_e32 v1, 20, v1
	v_and_b32_e32 v0, 0x80000000, v0
	v_lshl_add_u32 v4, v5, 23, v4
	v_or3_b32 v0, v0, v4, v1
	v_cvt_f64_f32_e32 v[0:1], v0
.LBB94_1652:
	s_or_b64 exec, exec, s[20:21]
.LBB94_1653:
	s_mov_b64 s[20:21], -1
.LBB94_1654:
	s_branch .LBB94_1684
.LBB94_1655:
	s_cmp_gt_i32 s24, 22
	s_cbranch_scc0 .LBB94_1667
; %bb.1656:
	s_cmp_lt_i32 s24, 24
	s_cbranch_scc1 .LBB94_1668
; %bb.1657:
	s_cmp_gt_i32 s24, 24
	s_cbranch_scc0 .LBB94_1669
; %bb.1658:
	global_load_ubyte v4, v[2:3], off
	s_movk_i32 s4, 0x7f
	s_waitcnt vmcnt(0)
	v_cmp_lt_i16_e32 vcc, s4, v4
	s_mov_b64 s[4:5], 0
	s_and_saveexec_b64 s[18:19], vcc
	s_xor_b64 s[18:19], exec, s[18:19]
	s_cbranch_execz .LBB94_1662
; %bb.1659:
	s_movk_i32 s4, 0x80
	v_cmp_eq_u16_e32 vcc, s4, v4
	s_mov_b64 s[4:5], -1
	s_and_saveexec_b64 s[20:21], vcc
; %bb.1660:
	s_xor_b64 s[4:5], exec, -1
; %bb.1661:
	s_or_b64 exec, exec, s[20:21]
	s_and_b64 s[4:5], s[4:5], exec
.LBB94_1662:
	s_or_saveexec_b64 s[18:19], s[18:19]
	v_bfrev_b32_e32 v0, 4
	v_mov_b32_e32 v1, 0x7ff80000
	s_xor_b64 exec, exec, s[18:19]
; %bb.1663:
	v_cmp_ne_u16_e32 vcc, 0, v4
	v_mov_b32_e32 v0, 0
	s_andn2_b64 s[4:5], s[4:5], exec
	s_and_b64 s[20:21], vcc, exec
	v_mov_b32_e32 v1, 0
	s_or_b64 s[4:5], s[4:5], s[20:21]
; %bb.1664:
	s_or_b64 exec, exec, s[18:19]
	s_and_saveexec_b64 s[18:19], s[4:5]
	s_cbranch_execz .LBB94_1666
; %bb.1665:
	v_and_b32_e32 v1, 0xffff, v4
	v_lshlrev_b32_e32 v0, 24, v4
	v_and_b32_e32 v4, 3, v1
	v_ffbh_u32_e32 v8, v4
	v_min_u32_e32 v8, 32, v8
	v_subrev_u32_e32 v9, 29, v8
	v_bfe_u32 v5, v1, 2, 5
	v_lshlrev_b32_e32 v1, v9, v1
	v_sub_u32_e32 v8, 30, v8
	v_and_b32_e32 v1, 3, v1
	v_cmp_eq_u32_e32 vcc, 0, v5
	v_cndmask_b32_e32 v5, v5, v8, vcc
	v_cndmask_b32_e32 v1, v4, v1, vcc
	v_mov_b32_e32 v4, 0x37800000
	v_lshlrev_b32_e32 v1, 21, v1
	v_and_b32_e32 v0, 0x80000000, v0
	v_lshl_add_u32 v4, v5, 23, v4
	v_or3_b32 v0, v0, v4, v1
	v_cvt_f64_f32_e32 v[0:1], v0
.LBB94_1666:
	s_or_b64 exec, exec, s[18:19]
	s_mov_b64 s[4:5], 0
	s_branch .LBB94_1670
.LBB94_1667:
                                        ; implicit-def: $vgpr0_vgpr1
	s_mov_b64 s[4:5], 0
	s_branch .LBB94_1676
.LBB94_1668:
	s_mov_b64 s[4:5], -1
                                        ; implicit-def: $vgpr0_vgpr1
	s_branch .LBB94_1673
.LBB94_1669:
	s_mov_b64 s[4:5], -1
                                        ; implicit-def: $vgpr0_vgpr1
.LBB94_1670:
	s_and_b64 vcc, exec, s[4:5]
	s_cbranch_vccz .LBB94_1672
; %bb.1671:
	global_load_ubyte v0, v[2:3], off
	s_mov_b32 s4, 0x7f800000
	s_waitcnt vmcnt(0)
	v_lshlrev_b32_e32 v0, 24, v0
	v_and_b32_e32 v1, 0x7f000000, v0
	v_ffbh_u32_e32 v4, v1
	v_min_u32_e32 v4, 32, v4
	v_sub_u32_e64 v4, v4, 4 clamp
	v_lshlrev_b32_e32 v8, v4, v1
	v_lshlrev_b32_e32 v4, 23, v4
	v_lshrrev_b32_e32 v8, 4, v8
	v_add_u32_e32 v5, 0x1000000, v1
	v_sub_u32_e32 v4, v8, v4
	v_ashrrev_i32_e32 v5, 8, v5
	v_add_u32_e32 v4, 0x3c000000, v4
	v_and_or_b32 v4, v5, s4, v4
	v_cmp_ne_u32_e32 vcc, 0, v1
	v_cndmask_b32_e32 v1, 0, v4, vcc
	s_brev_b32 s4, 1
	v_and_or_b32 v0, v0, s4, v1
	v_cvt_f64_f32_e32 v[0:1], v0
.LBB94_1672:
	s_mov_b64 s[4:5], 0
.LBB94_1673:
	s_andn2_b64 vcc, exec, s[4:5]
	s_cbranch_vccnz .LBB94_1675
; %bb.1674:
	global_load_ubyte v0, v[2:3], off
	s_movk_i32 s4, 0x7f00
	s_brev_b32 s5, 16
	s_waitcnt vmcnt(0)
	v_lshlrev_b16_e32 v1, 8, v0
	v_lshlrev_b32_e32 v0, 25, v0
	v_lshrrev_b32_e32 v4, 4, v0
	v_and_or_b32 v5, v1, s4, 0.5
	v_or_b32_e32 v4, 0x70000000, v4
	v_add_f32_e32 v5, -0.5, v5
	v_mul_f32_e32 v4, 0x7800000, v4
	v_cmp_gt_u32_e32 vcc, s5, v0
	v_bfe_i32 v1, v1, 0, 16
	v_cndmask_b32_e32 v0, v4, v5, vcc
	s_brev_b32 s4, 1
	v_and_or_b32 v0, v1, s4, v0
	v_cvt_f64_f32_e32 v[0:1], v0
.LBB94_1675:
	s_mov_b64 s[20:21], -1
	s_mov_b64 s[4:5], 0
	s_cbranch_execnz .LBB94_1684
.LBB94_1676:
	s_cmp_gt_i32 s24, 14
	s_cbranch_scc0 .LBB94_1679
; %bb.1677:
	s_cmp_eq_u32 s24, 15
	s_cbranch_scc0 .LBB94_1680
; %bb.1678:
	global_load_ushort v0, v[2:3], off
	s_mov_b64 s[0:1], 0
	s_mov_b64 s[20:21], -1
	s_waitcnt vmcnt(0)
	v_lshlrev_b32_e32 v0, 16, v0
	v_cvt_f64_f32_e32 v[0:1], v0
	s_branch .LBB94_1681
.LBB94_1679:
	s_mov_b64 s[18:19], -1
                                        ; implicit-def: $vgpr0_vgpr1
	s_branch .LBB94_1682
.LBB94_1680:
	s_mov_b64 s[0:1], -1
                                        ; implicit-def: $vgpr0_vgpr1
.LBB94_1681:
	s_mov_b64 s[18:19], 0
.LBB94_1682:
	s_and_b64 vcc, exec, s[18:19]
	s_cbranch_vccz .LBB94_1684
; %bb.1683:
	s_cmp_lg_u32 s24, 11
	s_mov_b64 s[4:5], -1
	s_cselect_b64 s[0:1], -1, 0
.LBB94_1684:
	s_and_b64 vcc, exec, s[0:1]
	s_mov_b64 s[18:19], s[16:17]
	s_cbranch_vccnz .LBB94_1745
; %bb.1685:
	s_andn2_b64 vcc, exec, s[4:5]
	s_cbranch_vccnz .LBB94_1687
.LBB94_1686:
	global_load_ubyte v1, v[2:3], off
	v_mov_b32_e32 v4, 0x3ff00000
	v_mov_b32_e32 v0, 0
	s_mov_b64 s[20:21], -1
	s_waitcnt vmcnt(0)
	v_cmp_ne_u16_e32 vcc, 0, v1
	v_cndmask_b32_e32 v1, 0, v4, vcc
.LBB94_1687:
	s_branch .LBB94_1616
.LBB94_1688:
	s_and_b32 s4, 0xffff, s30
	s_cmp_lt_i32 s4, 5
	s_cbranch_scc1 .LBB94_1693
; %bb.1689:
	s_cmp_lt_i32 s4, 8
	s_cbranch_scc1 .LBB94_1694
; %bb.1690:
	;; [unrolled: 3-line block ×3, first 2 shown]
	s_cmp_gt_i32 s4, 9
	s_cbranch_scc0 .LBB94_1696
; %bb.1692:
	global_load_dwordx2 v[0:1], v[2:3], off
	s_mov_b64 s[0:1], 0
	s_branch .LBB94_1697
.LBB94_1693:
                                        ; implicit-def: $vgpr0_vgpr1
	s_branch .LBB94_1714
.LBB94_1694:
                                        ; implicit-def: $vgpr0_vgpr1
	s_branch .LBB94_1703
.LBB94_1695:
	s_mov_b64 s[0:1], -1
                                        ; implicit-def: $vgpr0_vgpr1
	s_branch .LBB94_1700
.LBB94_1696:
	s_mov_b64 s[0:1], -1
                                        ; implicit-def: $vgpr0_vgpr1
.LBB94_1697:
	s_andn2_b64 vcc, exec, s[0:1]
	s_cbranch_vccnz .LBB94_1699
; %bb.1698:
	global_load_dword v0, v[2:3], off
	s_waitcnt vmcnt(0)
	v_cvt_f64_f32_e32 v[0:1], v0
.LBB94_1699:
	s_mov_b64 s[0:1], 0
.LBB94_1700:
	s_andn2_b64 vcc, exec, s[0:1]
	s_cbranch_vccnz .LBB94_1702
; %bb.1701:
	global_load_dword v0, v[2:3], off
	s_waitcnt vmcnt(0)
	v_cvt_f32_f16_e32 v0, v0
	v_cvt_f64_f32_e32 v[0:1], v0
.LBB94_1702:
	s_cbranch_execnz .LBB94_1713
.LBB94_1703:
	s_cmp_lt_i32 s4, 6
	s_cbranch_scc1 .LBB94_1706
; %bb.1704:
	s_cmp_gt_i32 s4, 6
	s_cbranch_scc0 .LBB94_1707
; %bb.1705:
	global_load_dwordx2 v[0:1], v[2:3], off
	s_mov_b64 s[0:1], 0
	s_branch .LBB94_1708
.LBB94_1706:
	s_mov_b64 s[0:1], -1
                                        ; implicit-def: $vgpr0_vgpr1
	s_branch .LBB94_1711
.LBB94_1707:
	s_mov_b64 s[0:1], -1
                                        ; implicit-def: $vgpr0_vgpr1
.LBB94_1708:
	s_andn2_b64 vcc, exec, s[0:1]
	s_cbranch_vccnz .LBB94_1710
; %bb.1709:
	global_load_dword v0, v[2:3], off
	s_waitcnt vmcnt(0)
	v_cvt_f64_f32_e32 v[0:1], v0
.LBB94_1710:
	s_mov_b64 s[0:1], 0
.LBB94_1711:
	s_andn2_b64 vcc, exec, s[0:1]
	s_cbranch_vccnz .LBB94_1713
; %bb.1712:
	global_load_ushort v0, v[2:3], off
	s_waitcnt vmcnt(0)
	v_cvt_f32_f16_e32 v0, v0
	v_cvt_f64_f32_e32 v[0:1], v0
.LBB94_1713:
	s_cbranch_execnz .LBB94_1732
.LBB94_1714:
	s_cmp_lt_i32 s4, 2
	s_cbranch_scc1 .LBB94_1718
; %bb.1715:
	s_cmp_lt_i32 s4, 3
	s_cbranch_scc1 .LBB94_1719
; %bb.1716:
	s_cmp_gt_i32 s4, 3
	s_cbranch_scc0 .LBB94_1720
; %bb.1717:
	global_load_dwordx2 v[0:1], v[2:3], off
	s_mov_b64 s[0:1], 0
	s_waitcnt vmcnt(0)
	v_cvt_f64_i32_e32 v[4:5], v1
	v_cvt_f64_u32_e32 v[0:1], v0
	v_ldexp_f64 v[4:5], v[4:5], 32
	v_add_f64 v[0:1], v[4:5], v[0:1]
	s_branch .LBB94_1721
.LBB94_1718:
                                        ; implicit-def: $vgpr0_vgpr1
	s_branch .LBB94_1727
.LBB94_1719:
	s_mov_b64 s[0:1], -1
                                        ; implicit-def: $vgpr0_vgpr1
	s_branch .LBB94_1724
.LBB94_1720:
	s_mov_b64 s[0:1], -1
                                        ; implicit-def: $vgpr0_vgpr1
.LBB94_1721:
	s_andn2_b64 vcc, exec, s[0:1]
	s_cbranch_vccnz .LBB94_1723
; %bb.1722:
	global_load_dword v0, v[2:3], off
	s_waitcnt vmcnt(0)
	v_cvt_f64_i32_e32 v[0:1], v0
.LBB94_1723:
	s_mov_b64 s[0:1], 0
.LBB94_1724:
	s_andn2_b64 vcc, exec, s[0:1]
	s_cbranch_vccnz .LBB94_1726
; %bb.1725:
	global_load_sshort v0, v[2:3], off
	s_waitcnt vmcnt(0)
	v_cvt_f64_i32_e32 v[0:1], v0
.LBB94_1726:
	s_cbranch_execnz .LBB94_1732
.LBB94_1727:
	s_cmp_gt_i32 s4, 0
	s_cbranch_scc0 .LBB94_1729
; %bb.1728:
	global_load_sbyte v0, v[2:3], off
	s_mov_b64 s[0:1], 0
	s_waitcnt vmcnt(0)
	v_cvt_f64_i32_e32 v[0:1], v0
	s_branch .LBB94_1730
.LBB94_1729:
	s_mov_b64 s[0:1], -1
                                        ; implicit-def: $vgpr0_vgpr1
.LBB94_1730:
	s_andn2_b64 vcc, exec, s[0:1]
	s_cbranch_vccnz .LBB94_1732
; %bb.1731:
	global_load_ubyte v0, v[2:3], off
	s_waitcnt vmcnt(0)
	v_cvt_f64_u32_e32 v[0:1], v0
.LBB94_1732:
.LBB94_1733:
	v_mul_lo_u32 v8, s14, v6
	v_mov_b32_e32 v3, s3
	s_and_b32 s31, s54, 0xff
	s_cmp_lt_i32 s31, 11
	v_ashrrev_i32_e32 v4, 31, v8
	v_add_co_u32_e32 v2, vcc, s2, v8
	v_addc_co_u32_e32 v3, vcc, v3, v4, vcc
	s_cbranch_scc1 .LBB94_1740
; %bb.1734:
	s_and_b32 s26, 0xffff, s31
	s_cmp_gt_i32 s26, 25
	s_mov_b64 s[4:5], 0
	s_cbranch_scc0 .LBB94_1742
; %bb.1735:
	s_cmp_gt_i32 s26, 28
	s_cbranch_scc0 .LBB94_1743
; %bb.1736:
	s_cmp_gt_i32 s26, 43
	s_cbranch_scc0 .LBB94_1744
; %bb.1737:
	s_cmp_gt_i32 s26, 45
	s_cbranch_scc0 .LBB94_1746
; %bb.1738:
	s_cmp_eq_u32 s26, 46
	s_mov_b64 s[22:23], 0
	s_cbranch_scc0 .LBB94_1749
; %bb.1739:
	global_load_dword v4, v[2:3], off
	s_mov_b64 s[0:1], 0
	s_mov_b64 s[20:21], -1
	s_waitcnt vmcnt(0)
	v_lshlrev_b32_e32 v4, 16, v4
	v_cvt_f64_f32_e32 v[4:5], v4
	s_branch .LBB94_1750
.LBB94_1740:
	s_mov_b64 s[20:21], 0
                                        ; implicit-def: $vgpr4_vgpr5
	s_cbranch_execnz .LBB94_1815
.LBB94_1741:
	s_andn2_b64 vcc, exec, s[20:21]
	s_cbranch_vccnz .LBB94_2697
	s_branch .LBB94_1862
.LBB94_1742:
	s_mov_b64 s[20:21], 0
	s_mov_b64 s[0:1], 0
                                        ; implicit-def: $vgpr4_vgpr5
	s_cbranch_execnz .LBB94_1781
	s_branch .LBB94_1811
.LBB94_1743:
	s_mov_b64 s[22:23], -1
	s_mov_b64 s[20:21], 0
	s_mov_b64 s[0:1], 0
                                        ; implicit-def: $vgpr4_vgpr5
	s_branch .LBB94_1760
.LBB94_1744:
	s_mov_b64 s[22:23], -1
	s_mov_b64 s[20:21], 0
	s_mov_b64 s[0:1], 0
                                        ; implicit-def: $vgpr4_vgpr5
	s_branch .LBB94_1755
.LBB94_1745:
	s_or_b64 s[18:19], s[16:17], exec
	s_trap 2
	s_cbranch_execz .LBB94_1686
	s_branch .LBB94_1687
.LBB94_1746:
	s_mov_b64 s[22:23], -1
	s_mov_b64 s[20:21], 0
	s_mov_b64 s[0:1], 0
                                        ; implicit-def: $vgpr4_vgpr5
	s_branch .LBB94_1750
.LBB94_1747:
	s_andn2_saveexec_b64 s[30:31], s[30:31]
	s_cbranch_execz .LBB94_1531
.LBB94_1748:
	v_add_f32_e32 v0, 0x42800000, v1
	v_and_b32_e32 v0, 0xff, v0
	v_cmp_ne_u32_e32 vcc, 0, v0
	s_andn2_b64 s[28:29], s[28:29], exec
	s_and_b64 s[36:37], vcc, exec
	s_or_b64 s[28:29], s[28:29], s[36:37]
	s_or_b64 exec, exec, s[30:31]
	v_mov_b32_e32 v4, 0
	s_and_saveexec_b64 s[30:31], s[28:29]
	s_cbranch_execnz .LBB94_1532
	s_branch .LBB94_1533
.LBB94_1749:
	s_mov_b64 s[0:1], -1
                                        ; implicit-def: $vgpr4_vgpr5
	s_mov_b64 s[20:21], 0
.LBB94_1750:
	s_and_b64 vcc, exec, s[22:23]
	s_cbranch_vccz .LBB94_1754
; %bb.1751:
	s_cmp_eq_u32 s26, 44
	s_cbranch_scc0 .LBB94_1753
; %bb.1752:
	global_load_ubyte v9, v[2:3], off
	s_movk_i32 s20, 0xff
	v_bfrev_b32_e32 v10, 4
	v_mov_b32_e32 v11, 0x7ff80000
	v_bfrev_b32_e32 v12, 28
	s_mov_b64 s[0:1], 0
	s_waitcnt vmcnt(0)
	v_lshlrev_b32_e32 v4, 23, v9
	v_cvt_f64_f32_e32 v[4:5], v4
	v_cmp_ne_u32_e32 vcc, s20, v9
	s_mov_b64 s[20:21], -1
	v_cndmask_b32_e32 v4, v10, v4, vcc
	v_cndmask_b32_e32 v5, v11, v5, vcc
	v_cmp_ne_u32_e32 vcc, 0, v9
	v_cndmask_b32_e32 v5, v12, v5, vcc
	v_cndmask_b32_e32 v4, 0, v4, vcc
	s_branch .LBB94_1754
.LBB94_1753:
	s_mov_b64 s[0:1], -1
                                        ; implicit-def: $vgpr4_vgpr5
.LBB94_1754:
	s_mov_b64 s[22:23], 0
.LBB94_1755:
	s_and_b64 vcc, exec, s[22:23]
	s_cbranch_vccz .LBB94_1759
; %bb.1756:
	s_cmp_eq_u32 s26, 29
	s_cbranch_scc0 .LBB94_1758
; %bb.1757:
	global_load_dwordx2 v[4:5], v[2:3], off
	s_mov_b64 s[0:1], 0
	s_mov_b64 s[20:21], -1
	s_mov_b64 s[22:23], 0
	s_waitcnt vmcnt(0)
	v_cvt_f64_u32_e32 v[9:10], v5
	v_cvt_f64_u32_e32 v[4:5], v4
	v_ldexp_f64 v[9:10], v[9:10], 32
	v_add_f64 v[4:5], v[9:10], v[4:5]
	s_branch .LBB94_1760
.LBB94_1758:
	s_mov_b64 s[0:1], -1
                                        ; implicit-def: $vgpr4_vgpr5
.LBB94_1759:
	s_mov_b64 s[22:23], 0
.LBB94_1760:
	s_and_b64 vcc, exec, s[22:23]
	s_cbranch_vccz .LBB94_1780
; %bb.1761:
	s_cmp_lt_i32 s26, 27
	s_cbranch_scc1 .LBB94_1764
; %bb.1762:
	s_cmp_gt_i32 s26, 27
	s_cbranch_scc0 .LBB94_1765
; %bb.1763:
	global_load_dword v4, v[2:3], off
	s_mov_b64 s[20:21], 0
	s_waitcnt vmcnt(0)
	v_cvt_f64_u32_e32 v[4:5], v4
	s_branch .LBB94_1766
.LBB94_1764:
	s_mov_b64 s[20:21], -1
                                        ; implicit-def: $vgpr4_vgpr5
	s_branch .LBB94_1769
.LBB94_1765:
	s_mov_b64 s[20:21], -1
                                        ; implicit-def: $vgpr4_vgpr5
.LBB94_1766:
	s_andn2_b64 vcc, exec, s[20:21]
	s_cbranch_vccnz .LBB94_1768
; %bb.1767:
	global_load_ushort v4, v[2:3], off
	s_waitcnt vmcnt(0)
	v_cvt_f64_u32_e32 v[4:5], v4
.LBB94_1768:
	s_mov_b64 s[20:21], 0
.LBB94_1769:
	s_andn2_b64 vcc, exec, s[20:21]
	s_cbranch_vccnz .LBB94_1779
; %bb.1770:
	global_load_ubyte v9, v[2:3], off
	s_movk_i32 s20, 0x7f
	s_waitcnt vmcnt(0)
	v_cmp_lt_i16_e32 vcc, s20, v9
	s_mov_b64 s[20:21], 0
	s_and_saveexec_b64 s[22:23], vcc
	s_xor_b64 s[22:23], exec, s[22:23]
	s_cbranch_execz .LBB94_1774
; %bb.1771:
	s_movk_i32 s20, 0x80
	v_cmp_eq_u16_e32 vcc, s20, v9
	s_mov_b64 s[20:21], -1
	s_and_saveexec_b64 s[24:25], vcc
; %bb.1772:
	s_xor_b64 s[20:21], exec, -1
; %bb.1773:
	s_or_b64 exec, exec, s[24:25]
	s_and_b64 s[20:21], s[20:21], exec
.LBB94_1774:
	s_or_saveexec_b64 s[22:23], s[22:23]
	v_bfrev_b32_e32 v4, 4
	v_mov_b32_e32 v5, 0x7ff80000
	s_xor_b64 exec, exec, s[22:23]
; %bb.1775:
	v_cmp_ne_u16_e32 vcc, 0, v9
	v_mov_b32_e32 v4, 0
	s_andn2_b64 s[20:21], s[20:21], exec
	s_and_b64 s[24:25], vcc, exec
	v_mov_b32_e32 v5, 0
	s_or_b64 s[20:21], s[20:21], s[24:25]
; %bb.1776:
	s_or_b64 exec, exec, s[22:23]
	s_and_saveexec_b64 s[22:23], s[20:21]
	s_cbranch_execz .LBB94_1778
; %bb.1777:
	v_and_b32_e32 v5, 0xffff, v9
	v_lshlrev_b32_e32 v4, 24, v9
	v_and_b32_e32 v9, 7, v5
	v_ffbh_u32_e32 v11, v9
	v_min_u32_e32 v11, 32, v11
	v_subrev_u32_e32 v12, 28, v11
	v_bfe_u32 v10, v5, 3, 4
	v_lshlrev_b32_e32 v5, v12, v5
	v_sub_u32_e32 v11, 29, v11
	v_and_b32_e32 v5, 7, v5
	v_cmp_eq_u32_e32 vcc, 0, v10
	v_cndmask_b32_e32 v10, v10, v11, vcc
	v_cndmask_b32_e32 v5, v9, v5, vcc
	v_mov_b32_e32 v9, 0x3b800000
	v_lshlrev_b32_e32 v5, 20, v5
	v_and_b32_e32 v4, 0x80000000, v4
	v_lshl_add_u32 v9, v10, 23, v9
	v_or3_b32 v4, v4, v9, v5
	v_cvt_f64_f32_e32 v[4:5], v4
.LBB94_1778:
	s_or_b64 exec, exec, s[22:23]
.LBB94_1779:
	s_mov_b64 s[20:21], -1
.LBB94_1780:
	s_branch .LBB94_1811
.LBB94_1781:
	s_cmp_gt_i32 s26, 22
	s_cbranch_scc0 .LBB94_1793
; %bb.1782:
	s_cmp_lt_i32 s26, 24
	s_cbranch_scc1 .LBB94_1794
; %bb.1783:
	s_cmp_gt_i32 s26, 24
	s_cbranch_scc0 .LBB94_1795
; %bb.1784:
	global_load_ubyte v9, v[2:3], off
	s_movk_i32 s4, 0x7f
	s_waitcnt vmcnt(0)
	v_cmp_lt_i16_e32 vcc, s4, v9
	s_mov_b64 s[4:5], 0
	s_and_saveexec_b64 s[20:21], vcc
	s_xor_b64 s[20:21], exec, s[20:21]
	s_cbranch_execz .LBB94_1788
; %bb.1785:
	s_movk_i32 s4, 0x80
	v_cmp_eq_u16_e32 vcc, s4, v9
	s_mov_b64 s[4:5], -1
	s_and_saveexec_b64 s[22:23], vcc
; %bb.1786:
	s_xor_b64 s[4:5], exec, -1
; %bb.1787:
	s_or_b64 exec, exec, s[22:23]
	s_and_b64 s[4:5], s[4:5], exec
.LBB94_1788:
	s_or_saveexec_b64 s[20:21], s[20:21]
	v_bfrev_b32_e32 v4, 4
	v_mov_b32_e32 v5, 0x7ff80000
	s_xor_b64 exec, exec, s[20:21]
; %bb.1789:
	v_cmp_ne_u16_e32 vcc, 0, v9
	v_mov_b32_e32 v4, 0
	s_andn2_b64 s[4:5], s[4:5], exec
	s_and_b64 s[22:23], vcc, exec
	v_mov_b32_e32 v5, 0
	s_or_b64 s[4:5], s[4:5], s[22:23]
; %bb.1790:
	s_or_b64 exec, exec, s[20:21]
	s_and_saveexec_b64 s[20:21], s[4:5]
	s_cbranch_execz .LBB94_1792
; %bb.1791:
	v_and_b32_e32 v5, 0xffff, v9
	v_lshlrev_b32_e32 v4, 24, v9
	v_and_b32_e32 v9, 3, v5
	v_ffbh_u32_e32 v11, v9
	v_min_u32_e32 v11, 32, v11
	v_subrev_u32_e32 v12, 29, v11
	v_bfe_u32 v10, v5, 2, 5
	v_lshlrev_b32_e32 v5, v12, v5
	v_sub_u32_e32 v11, 30, v11
	v_and_b32_e32 v5, 3, v5
	v_cmp_eq_u32_e32 vcc, 0, v10
	v_cndmask_b32_e32 v10, v10, v11, vcc
	v_cndmask_b32_e32 v5, v9, v5, vcc
	v_mov_b32_e32 v9, 0x37800000
	v_lshlrev_b32_e32 v5, 21, v5
	v_and_b32_e32 v4, 0x80000000, v4
	v_lshl_add_u32 v9, v10, 23, v9
	v_or3_b32 v4, v4, v9, v5
	v_cvt_f64_f32_e32 v[4:5], v4
.LBB94_1792:
	s_or_b64 exec, exec, s[20:21]
	s_mov_b64 s[4:5], 0
	s_branch .LBB94_1796
.LBB94_1793:
	s_mov_b64 s[4:5], -1
                                        ; implicit-def: $vgpr4_vgpr5
	s_branch .LBB94_1802
.LBB94_1794:
	s_mov_b64 s[4:5], -1
                                        ; implicit-def: $vgpr4_vgpr5
	s_branch .LBB94_1799
.LBB94_1795:
	s_mov_b64 s[4:5], -1
                                        ; implicit-def: $vgpr4_vgpr5
.LBB94_1796:
	s_and_b64 vcc, exec, s[4:5]
	s_cbranch_vccz .LBB94_1798
; %bb.1797:
	global_load_ubyte v4, v[2:3], off
	s_mov_b32 s4, 0x7f800000
	s_waitcnt vmcnt(0)
	v_lshlrev_b32_e32 v4, 24, v4
	v_and_b32_e32 v5, 0x7f000000, v4
	v_ffbh_u32_e32 v9, v5
	v_min_u32_e32 v9, 32, v9
	v_sub_u32_e64 v9, v9, 4 clamp
	v_lshlrev_b32_e32 v11, v9, v5
	v_lshlrev_b32_e32 v9, 23, v9
	v_lshrrev_b32_e32 v11, 4, v11
	v_add_u32_e32 v10, 0x1000000, v5
	v_sub_u32_e32 v9, v11, v9
	v_ashrrev_i32_e32 v10, 8, v10
	v_add_u32_e32 v9, 0x3c000000, v9
	v_and_or_b32 v9, v10, s4, v9
	v_cmp_ne_u32_e32 vcc, 0, v5
	v_cndmask_b32_e32 v5, 0, v9, vcc
	s_brev_b32 s4, 1
	v_and_or_b32 v4, v4, s4, v5
	v_cvt_f64_f32_e32 v[4:5], v4
.LBB94_1798:
	s_mov_b64 s[4:5], 0
.LBB94_1799:
	s_andn2_b64 vcc, exec, s[4:5]
	s_cbranch_vccnz .LBB94_1801
; %bb.1800:
	global_load_ubyte v4, v[2:3], off
	s_movk_i32 s4, 0x7f00
	s_brev_b32 s5, 16
	s_waitcnt vmcnt(0)
	v_lshlrev_b16_e32 v5, 8, v4
	v_lshlrev_b32_e32 v4, 25, v4
	v_lshrrev_b32_e32 v9, 4, v4
	v_and_or_b32 v10, v5, s4, 0.5
	v_or_b32_e32 v9, 0x70000000, v9
	v_add_f32_e32 v10, -0.5, v10
	v_mul_f32_e32 v9, 0x7800000, v9
	v_cmp_gt_u32_e32 vcc, s5, v4
	v_bfe_i32 v5, v5, 0, 16
	v_cndmask_b32_e32 v4, v9, v10, vcc
	s_brev_b32 s4, 1
	v_and_or_b32 v4, v5, s4, v4
	v_cvt_f64_f32_e32 v[4:5], v4
.LBB94_1801:
	s_mov_b64 s[4:5], 0
	s_mov_b64 s[20:21], -1
.LBB94_1802:
	s_andn2_b64 vcc, exec, s[4:5]
	s_mov_b64 s[4:5], 0
	s_cbranch_vccnz .LBB94_1811
; %bb.1803:
	s_cmp_gt_i32 s26, 14
	s_cbranch_scc0 .LBB94_1806
; %bb.1804:
	s_cmp_eq_u32 s26, 15
	s_cbranch_scc0 .LBB94_1807
; %bb.1805:
	global_load_ushort v4, v[2:3], off
	s_mov_b64 s[0:1], 0
	s_mov_b64 s[20:21], -1
	s_waitcnt vmcnt(0)
	v_lshlrev_b32_e32 v4, 16, v4
	v_cvt_f64_f32_e32 v[4:5], v4
	s_branch .LBB94_1808
.LBB94_1806:
	s_mov_b64 s[22:23], -1
                                        ; implicit-def: $vgpr4_vgpr5
	s_branch .LBB94_1809
.LBB94_1807:
	s_mov_b64 s[0:1], -1
                                        ; implicit-def: $vgpr4_vgpr5
.LBB94_1808:
	s_mov_b64 s[22:23], 0
.LBB94_1809:
	s_and_b64 vcc, exec, s[22:23]
	s_cbranch_vccz .LBB94_1811
; %bb.1810:
	s_cmp_lg_u32 s26, 11
	s_mov_b64 s[4:5], -1
	s_cselect_b64 s[0:1], -1, 0
.LBB94_1811:
	s_and_b64 vcc, exec, s[0:1]
	s_cbranch_vccnz .LBB94_1890
; %bb.1812:
	s_andn2_b64 vcc, exec, s[4:5]
	s_cbranch_vccnz .LBB94_1814
.LBB94_1813:
	global_load_ubyte v5, v[2:3], off
	v_mov_b32_e32 v9, 0x3ff00000
	v_mov_b32_e32 v4, 0
	s_mov_b64 s[20:21], -1
	s_waitcnt vmcnt(0)
	v_cmp_ne_u16_e32 vcc, 0, v5
	v_cndmask_b32_e32 v5, 0, v9, vcc
.LBB94_1814:
	s_branch .LBB94_1741
.LBB94_1815:
	s_and_b32 s4, 0xffff, s31
	s_cmp_lt_i32 s4, 5
	s_cbranch_scc1 .LBB94_1820
; %bb.1816:
	s_cmp_lt_i32 s4, 8
	s_cbranch_scc1 .LBB94_1821
; %bb.1817:
	;; [unrolled: 3-line block ×3, first 2 shown]
	s_cmp_gt_i32 s4, 9
	s_cbranch_scc0 .LBB94_1823
; %bb.1819:
	global_load_dwordx2 v[4:5], v[2:3], off
	s_mov_b64 s[0:1], 0
	s_branch .LBB94_1824
.LBB94_1820:
                                        ; implicit-def: $vgpr4_vgpr5
	s_branch .LBB94_1842
.LBB94_1821:
	s_mov_b64 s[0:1], -1
                                        ; implicit-def: $vgpr4_vgpr5
	s_branch .LBB94_1830
.LBB94_1822:
	s_mov_b64 s[0:1], -1
                                        ; implicit-def: $vgpr4_vgpr5
	s_branch .LBB94_1827
.LBB94_1823:
	s_mov_b64 s[0:1], -1
                                        ; implicit-def: $vgpr4_vgpr5
.LBB94_1824:
	s_andn2_b64 vcc, exec, s[0:1]
	s_cbranch_vccnz .LBB94_1826
; %bb.1825:
	global_load_dword v4, v[2:3], off
	s_waitcnt vmcnt(0)
	v_cvt_f64_f32_e32 v[4:5], v4
.LBB94_1826:
	s_mov_b64 s[0:1], 0
.LBB94_1827:
	s_andn2_b64 vcc, exec, s[0:1]
	s_cbranch_vccnz .LBB94_1829
; %bb.1828:
	global_load_dword v4, v[2:3], off
	s_waitcnt vmcnt(0)
	v_cvt_f32_f16_e32 v4, v4
	v_cvt_f64_f32_e32 v[4:5], v4
.LBB94_1829:
	s_mov_b64 s[0:1], 0
.LBB94_1830:
	s_andn2_b64 vcc, exec, s[0:1]
	s_cbranch_vccnz .LBB94_1841
; %bb.1831:
	s_cmp_lt_i32 s4, 6
	s_cbranch_scc1 .LBB94_1834
; %bb.1832:
	s_cmp_gt_i32 s4, 6
	s_cbranch_scc0 .LBB94_1835
; %bb.1833:
	global_load_dwordx2 v[4:5], v[2:3], off
	s_mov_b64 s[0:1], 0
	s_branch .LBB94_1836
.LBB94_1834:
	s_mov_b64 s[0:1], -1
                                        ; implicit-def: $vgpr4_vgpr5
	s_branch .LBB94_1839
.LBB94_1835:
	s_mov_b64 s[0:1], -1
                                        ; implicit-def: $vgpr4_vgpr5
.LBB94_1836:
	s_andn2_b64 vcc, exec, s[0:1]
	s_cbranch_vccnz .LBB94_1838
; %bb.1837:
	global_load_dword v4, v[2:3], off
	s_waitcnt vmcnt(0)
	v_cvt_f64_f32_e32 v[4:5], v4
.LBB94_1838:
	s_mov_b64 s[0:1], 0
.LBB94_1839:
	s_andn2_b64 vcc, exec, s[0:1]
	s_cbranch_vccnz .LBB94_1841
; %bb.1840:
	global_load_ushort v4, v[2:3], off
	s_waitcnt vmcnt(0)
	v_cvt_f32_f16_e32 v4, v4
	v_cvt_f64_f32_e32 v[4:5], v4
.LBB94_1841:
	s_cbranch_execnz .LBB94_1861
.LBB94_1842:
	s_cmp_lt_i32 s4, 2
	s_cbranch_scc1 .LBB94_1846
; %bb.1843:
	s_cmp_lt_i32 s4, 3
	s_cbranch_scc1 .LBB94_1847
; %bb.1844:
	s_cmp_gt_i32 s4, 3
	s_cbranch_scc0 .LBB94_1848
; %bb.1845:
	global_load_dwordx2 v[4:5], v[2:3], off
	s_mov_b64 s[0:1], 0
	s_waitcnt vmcnt(0)
	v_cvt_f64_i32_e32 v[9:10], v5
	v_cvt_f64_u32_e32 v[4:5], v4
	v_ldexp_f64 v[9:10], v[9:10], 32
	v_add_f64 v[4:5], v[9:10], v[4:5]
	s_branch .LBB94_1849
.LBB94_1846:
	s_mov_b64 s[0:1], -1
                                        ; implicit-def: $vgpr4_vgpr5
	s_branch .LBB94_1855
.LBB94_1847:
	s_mov_b64 s[0:1], -1
                                        ; implicit-def: $vgpr4_vgpr5
	s_branch .LBB94_1852
.LBB94_1848:
	s_mov_b64 s[0:1], -1
                                        ; implicit-def: $vgpr4_vgpr5
.LBB94_1849:
	s_andn2_b64 vcc, exec, s[0:1]
	s_cbranch_vccnz .LBB94_1851
; %bb.1850:
	global_load_dword v4, v[2:3], off
	s_waitcnt vmcnt(0)
	v_cvt_f64_i32_e32 v[4:5], v4
.LBB94_1851:
	s_mov_b64 s[0:1], 0
.LBB94_1852:
	s_andn2_b64 vcc, exec, s[0:1]
	s_cbranch_vccnz .LBB94_1854
; %bb.1853:
	global_load_sshort v4, v[2:3], off
	s_waitcnt vmcnt(0)
	v_cvt_f64_i32_e32 v[4:5], v4
.LBB94_1854:
	s_mov_b64 s[0:1], 0
.LBB94_1855:
	s_andn2_b64 vcc, exec, s[0:1]
	s_cbranch_vccnz .LBB94_1861
; %bb.1856:
	s_cmp_gt_i32 s4, 0
	s_cbranch_scc0 .LBB94_1858
; %bb.1857:
	global_load_sbyte v4, v[2:3], off
	s_mov_b64 s[0:1], 0
	s_waitcnt vmcnt(0)
	v_cvt_f64_i32_e32 v[4:5], v4
	s_branch .LBB94_1859
.LBB94_1858:
	s_mov_b64 s[0:1], -1
                                        ; implicit-def: $vgpr4_vgpr5
.LBB94_1859:
	s_andn2_b64 vcc, exec, s[0:1]
	s_cbranch_vccnz .LBB94_1861
; %bb.1860:
	global_load_ubyte v2, v[2:3], off
	s_waitcnt vmcnt(0)
	v_cvt_f64_u32_e32 v[4:5], v2
.LBB94_1861:
.LBB94_1862:
	s_cmp_lt_i32 s15, 1
	s_mov_b64 s[0:1], 0
	s_cbranch_scc1 .LBB94_1866
; %bb.1863:
	s_cmp_gt_i32 s15, 1
	s_cbranch_scc0 .LBB94_1867
; %bb.1864:
	s_cmp_eq_u32 s15, 2
	s_cbranch_scc0 .LBB94_1868
; %bb.1865:
	s_waitcnt vmcnt(0)
	v_cmp_le_f64_e64 s[4:5], v[0:1], v[4:5]
	s_mov_b64 s[20:21], 0
	s_branch .LBB94_1869
.LBB94_1866:
                                        ; implicit-def: $sgpr4_sgpr5
	s_mov_b64 s[20:21], 0
	s_cbranch_execnz .LBB94_1873
	s_branch .LBB94_1874
.LBB94_1867:
	s_mov_b64 s[22:23], -1
	s_mov_b64 s[20:21], 0
                                        ; implicit-def: $sgpr4_sgpr5
	s_branch .LBB94_1870
.LBB94_1868:
	s_mov_b64 s[20:21], -1
                                        ; implicit-def: $sgpr4_sgpr5
.LBB94_1869:
	s_mov_b64 s[22:23], 0
.LBB94_1870:
	s_and_b64 vcc, exec, s[22:23]
	s_cbranch_vccz .LBB94_1872
; %bb.1871:
	s_waitcnt vmcnt(0)
	v_cmp_gt_f64_e32 vcc, v[0:1], v[4:5]
	s_andn2_b64 s[4:5], s[4:5], exec
	s_and_b64 s[22:23], vcc, exec
	s_or_b64 s[4:5], s[4:5], s[22:23]
.LBB94_1872:
	s_branch .LBB94_1874
.LBB94_1873:
	s_cmp_lg_u32 s15, 0
	s_mov_b64 s[0:1], -1
	s_cselect_b64 s[20:21], -1, 0
.LBB94_1874:
	s_andn2_b64 vcc, exec, s[20:21]
	s_cbranch_vccnz .LBB94_1876
; %bb.1875:
	s_waitcnt vmcnt(0)
	v_cmp_lt_f64_e32 vcc, v[0:1], v[4:5]
	s_andn2_b64 s[4:5], s[4:5], exec
	s_and_b64 s[20:21], vcc, exec
	s_or_b64 s[4:5], s[4:5], s[20:21]
	s_cbranch_execz .LBB94_1877
	s_branch .LBB94_1878
.LBB94_1876:
	s_andn2_b64 vcc, exec, s[0:1]
	s_cbranch_vccnz .LBB94_1878
.LBB94_1877:
	s_waitcnt vmcnt(0)
	v_cmp_ge_f64_e32 vcc, v[0:1], v[4:5]
	s_andn2_b64 s[0:1], s[4:5], exec
	s_and_b64 s[4:5], vcc, exec
	s_or_b64 s[4:5], s[0:1], s[4:5]
.LBB94_1878:
	s_lshl_b32 s13, s13, 7
	v_add_u32_e32 v7, s13, v7
	s_waitcnt vmcnt(0)
	v_ashrrev_i32_e32 v0, 31, v7
	v_mov_b32_e32 v1, s11
	v_add_co_u32_e32 v2, vcc, s10, v7
	s_cmp_lt_i32 s30, 11
	v_addc_co_u32_e32 v3, vcc, v1, v0, vcc
	s_cbranch_scc1 .LBB94_1885
; %bb.1879:
	s_and_b32 s28, 0xffff, s30
	s_cmp_gt_i32 s28, 25
	s_mov_b64 s[20:21], 0
	s_cbranch_scc0 .LBB94_1887
; %bb.1880:
	s_cmp_gt_i32 s28, 28
	s_cbranch_scc0 .LBB94_1888
; %bb.1881:
	s_cmp_gt_i32 s28, 43
	;; [unrolled: 3-line block ×3, first 2 shown]
	s_cbranch_scc0 .LBB94_1891
; %bb.1883:
	s_cmp_eq_u32 s28, 46
	s_mov_b64 s[24:25], 0
	s_cbranch_scc0 .LBB94_1892
; %bb.1884:
	global_load_dword v0, v[2:3], off
	s_mov_b64 s[0:1], 0
	s_mov_b64 s[22:23], -1
	s_waitcnt vmcnt(0)
	v_lshlrev_b32_e32 v0, 16, v0
	v_cvt_f64_f32_e32 v[0:1], v0
	s_branch .LBB94_1893
.LBB94_1885:
	s_mov_b64 s[22:23], 0
                                        ; implicit-def: $vgpr0_vgpr1
	s_cbranch_execnz .LBB94_1959
.LBB94_1886:
	s_andn2_b64 vcc, exec, s[22:23]
	s_cbranch_vccnz .LBB94_2697
	s_branch .LBB94_2007
.LBB94_1887:
	s_mov_b64 s[24:25], -1
	s_mov_b64 s[22:23], 0
	s_mov_b64 s[0:1], 0
                                        ; implicit-def: $vgpr0_vgpr1
	s_branch .LBB94_1924
.LBB94_1888:
	s_mov_b64 s[24:25], -1
	s_mov_b64 s[22:23], 0
	s_mov_b64 s[0:1], 0
                                        ; implicit-def: $vgpr0_vgpr1
	s_branch .LBB94_1903
.LBB94_1889:
	s_mov_b64 s[24:25], -1
	s_mov_b64 s[22:23], 0
	s_mov_b64 s[0:1], 0
                                        ; implicit-def: $vgpr0_vgpr1
	s_branch .LBB94_1898
.LBB94_1890:
	s_trap 2
	s_or_b64 s[18:19], s[18:19], exec
	s_cbranch_execz .LBB94_1813
	s_branch .LBB94_1814
.LBB94_1891:
	s_mov_b64 s[24:25], -1
	s_mov_b64 s[22:23], 0
	s_mov_b64 s[0:1], 0
                                        ; implicit-def: $vgpr0_vgpr1
	s_branch .LBB94_1893
.LBB94_1892:
	s_mov_b64 s[0:1], -1
                                        ; implicit-def: $vgpr0_vgpr1
	s_mov_b64 s[22:23], 0
.LBB94_1893:
	s_and_b64 vcc, exec, s[24:25]
	s_cbranch_vccz .LBB94_1897
; %bb.1894:
	s_cmp_eq_u32 s28, 44
	s_cbranch_scc0 .LBB94_1896
; %bb.1895:
	global_load_ubyte v4, v[2:3], off
	s_movk_i32 s22, 0xff
	v_bfrev_b32_e32 v5, 4
	v_mov_b32_e32 v9, 0x7ff80000
	v_bfrev_b32_e32 v10, 28
	s_mov_b64 s[0:1], 0
	s_waitcnt vmcnt(0)
	v_lshlrev_b32_e32 v0, 23, v4
	v_cvt_f64_f32_e32 v[0:1], v0
	v_cmp_ne_u32_e32 vcc, s22, v4
	s_mov_b64 s[22:23], -1
	v_cndmask_b32_e32 v0, v5, v0, vcc
	v_cndmask_b32_e32 v1, v9, v1, vcc
	v_cmp_ne_u32_e32 vcc, 0, v4
	v_cndmask_b32_e32 v1, v10, v1, vcc
	v_cndmask_b32_e32 v0, 0, v0, vcc
	s_branch .LBB94_1897
.LBB94_1896:
	s_mov_b64 s[0:1], -1
                                        ; implicit-def: $vgpr0_vgpr1
.LBB94_1897:
	s_mov_b64 s[24:25], 0
.LBB94_1898:
	s_and_b64 vcc, exec, s[24:25]
	s_cbranch_vccz .LBB94_1902
; %bb.1899:
	s_cmp_eq_u32 s28, 29
	s_cbranch_scc0 .LBB94_1901
; %bb.1900:
	global_load_dwordx2 v[0:1], v[2:3], off
	s_mov_b64 s[0:1], 0
	s_mov_b64 s[22:23], -1
	s_mov_b64 s[24:25], 0
	s_waitcnt vmcnt(0)
	v_cvt_f64_u32_e32 v[4:5], v1
	v_cvt_f64_u32_e32 v[0:1], v0
	v_ldexp_f64 v[4:5], v[4:5], 32
	v_add_f64 v[0:1], v[4:5], v[0:1]
	s_branch .LBB94_1903
.LBB94_1901:
	s_mov_b64 s[0:1], -1
                                        ; implicit-def: $vgpr0_vgpr1
.LBB94_1902:
	s_mov_b64 s[24:25], 0
.LBB94_1903:
	s_and_b64 vcc, exec, s[24:25]
	s_cbranch_vccz .LBB94_1923
; %bb.1904:
	s_cmp_lt_i32 s28, 27
	s_cbranch_scc1 .LBB94_1907
; %bb.1905:
	s_cmp_gt_i32 s28, 27
	s_cbranch_scc0 .LBB94_1908
; %bb.1906:
	global_load_dword v0, v[2:3], off
	s_mov_b64 s[22:23], 0
	s_waitcnt vmcnt(0)
	v_cvt_f64_u32_e32 v[0:1], v0
	s_branch .LBB94_1909
.LBB94_1907:
	s_mov_b64 s[22:23], -1
                                        ; implicit-def: $vgpr0_vgpr1
	s_branch .LBB94_1912
.LBB94_1908:
	s_mov_b64 s[22:23], -1
                                        ; implicit-def: $vgpr0_vgpr1
.LBB94_1909:
	s_andn2_b64 vcc, exec, s[22:23]
	s_cbranch_vccnz .LBB94_1911
; %bb.1910:
	global_load_ushort v0, v[2:3], off
	s_waitcnt vmcnt(0)
	v_cvt_f64_u32_e32 v[0:1], v0
.LBB94_1911:
	s_mov_b64 s[22:23], 0
.LBB94_1912:
	s_andn2_b64 vcc, exec, s[22:23]
	s_cbranch_vccnz .LBB94_1922
; %bb.1913:
	global_load_ubyte v4, v[2:3], off
	s_movk_i32 s22, 0x7f
	s_waitcnt vmcnt(0)
	v_cmp_lt_i16_e32 vcc, s22, v4
	s_mov_b64 s[22:23], 0
	s_and_saveexec_b64 s[24:25], vcc
	s_xor_b64 s[24:25], exec, s[24:25]
	s_cbranch_execz .LBB94_1917
; %bb.1914:
	s_movk_i32 s22, 0x80
	v_cmp_eq_u16_e32 vcc, s22, v4
	s_mov_b64 s[22:23], -1
	s_and_saveexec_b64 s[26:27], vcc
; %bb.1915:
	s_xor_b64 s[22:23], exec, -1
; %bb.1916:
	s_or_b64 exec, exec, s[26:27]
	s_and_b64 s[22:23], s[22:23], exec
.LBB94_1917:
	s_or_saveexec_b64 s[24:25], s[24:25]
	v_bfrev_b32_e32 v0, 4
	v_mov_b32_e32 v1, 0x7ff80000
	s_xor_b64 exec, exec, s[24:25]
; %bb.1918:
	v_cmp_ne_u16_e32 vcc, 0, v4
	v_mov_b32_e32 v0, 0
	s_andn2_b64 s[22:23], s[22:23], exec
	s_and_b64 s[26:27], vcc, exec
	v_mov_b32_e32 v1, 0
	s_or_b64 s[22:23], s[22:23], s[26:27]
; %bb.1919:
	s_or_b64 exec, exec, s[24:25]
	s_and_saveexec_b64 s[24:25], s[22:23]
	s_cbranch_execz .LBB94_1921
; %bb.1920:
	v_and_b32_e32 v1, 0xffff, v4
	v_lshlrev_b32_e32 v0, 24, v4
	v_and_b32_e32 v4, 7, v1
	v_ffbh_u32_e32 v9, v4
	v_min_u32_e32 v9, 32, v9
	v_subrev_u32_e32 v10, 28, v9
	v_bfe_u32 v5, v1, 3, 4
	v_lshlrev_b32_e32 v1, v10, v1
	v_sub_u32_e32 v9, 29, v9
	v_and_b32_e32 v1, 7, v1
	v_cmp_eq_u32_e32 vcc, 0, v5
	v_cndmask_b32_e32 v5, v5, v9, vcc
	v_cndmask_b32_e32 v1, v4, v1, vcc
	v_mov_b32_e32 v4, 0x3b800000
	v_lshlrev_b32_e32 v1, 20, v1
	v_and_b32_e32 v0, 0x80000000, v0
	v_lshl_add_u32 v4, v5, 23, v4
	v_or3_b32 v0, v0, v4, v1
	v_cvt_f64_f32_e32 v[0:1], v0
.LBB94_1921:
	s_or_b64 exec, exec, s[24:25]
.LBB94_1922:
	s_mov_b64 s[22:23], -1
.LBB94_1923:
	s_mov_b64 s[24:25], 0
.LBB94_1924:
	s_and_b64 vcc, exec, s[24:25]
	s_cbranch_vccz .LBB94_1955
; %bb.1925:
	s_cmp_gt_i32 s28, 22
	s_cbranch_scc0 .LBB94_1937
; %bb.1926:
	s_cmp_lt_i32 s28, 24
	s_cbranch_scc1 .LBB94_1938
; %bb.1927:
	s_cmp_gt_i32 s28, 24
	s_cbranch_scc0 .LBB94_1939
; %bb.1928:
	global_load_ubyte v4, v[2:3], off
	s_movk_i32 s20, 0x7f
	s_waitcnt vmcnt(0)
	v_cmp_lt_i16_e32 vcc, s20, v4
	s_mov_b64 s[20:21], 0
	s_and_saveexec_b64 s[22:23], vcc
	s_xor_b64 s[22:23], exec, s[22:23]
	s_cbranch_execz .LBB94_1932
; %bb.1929:
	s_movk_i32 s20, 0x80
	v_cmp_eq_u16_e32 vcc, s20, v4
	s_mov_b64 s[20:21], -1
	s_and_saveexec_b64 s[24:25], vcc
; %bb.1930:
	s_xor_b64 s[20:21], exec, -1
; %bb.1931:
	s_or_b64 exec, exec, s[24:25]
	s_and_b64 s[20:21], s[20:21], exec
.LBB94_1932:
	s_or_saveexec_b64 s[22:23], s[22:23]
	v_bfrev_b32_e32 v0, 4
	v_mov_b32_e32 v1, 0x7ff80000
	s_xor_b64 exec, exec, s[22:23]
; %bb.1933:
	v_cmp_ne_u16_e32 vcc, 0, v4
	v_mov_b32_e32 v0, 0
	s_andn2_b64 s[20:21], s[20:21], exec
	s_and_b64 s[24:25], vcc, exec
	v_mov_b32_e32 v1, 0
	s_or_b64 s[20:21], s[20:21], s[24:25]
; %bb.1934:
	s_or_b64 exec, exec, s[22:23]
	s_and_saveexec_b64 s[22:23], s[20:21]
	s_cbranch_execz .LBB94_1936
; %bb.1935:
	v_and_b32_e32 v1, 0xffff, v4
	v_lshlrev_b32_e32 v0, 24, v4
	v_and_b32_e32 v4, 3, v1
	v_ffbh_u32_e32 v9, v4
	v_min_u32_e32 v9, 32, v9
	v_subrev_u32_e32 v10, 29, v9
	v_bfe_u32 v5, v1, 2, 5
	v_lshlrev_b32_e32 v1, v10, v1
	v_sub_u32_e32 v9, 30, v9
	v_and_b32_e32 v1, 3, v1
	v_cmp_eq_u32_e32 vcc, 0, v5
	v_cndmask_b32_e32 v5, v5, v9, vcc
	v_cndmask_b32_e32 v1, v4, v1, vcc
	v_mov_b32_e32 v4, 0x37800000
	v_lshlrev_b32_e32 v1, 21, v1
	v_and_b32_e32 v0, 0x80000000, v0
	v_lshl_add_u32 v4, v5, 23, v4
	v_or3_b32 v0, v0, v4, v1
	v_cvt_f64_f32_e32 v[0:1], v0
.LBB94_1936:
	s_or_b64 exec, exec, s[22:23]
	s_mov_b64 s[20:21], 0
	s_branch .LBB94_1940
.LBB94_1937:
	s_mov_b64 s[20:21], -1
                                        ; implicit-def: $vgpr0_vgpr1
	s_branch .LBB94_1946
.LBB94_1938:
	s_mov_b64 s[20:21], -1
                                        ; implicit-def: $vgpr0_vgpr1
	s_branch .LBB94_1943
.LBB94_1939:
	s_mov_b64 s[20:21], -1
                                        ; implicit-def: $vgpr0_vgpr1
.LBB94_1940:
	s_and_b64 vcc, exec, s[20:21]
	s_cbranch_vccz .LBB94_1942
; %bb.1941:
	global_load_ubyte v0, v[2:3], off
	s_mov_b32 s20, 0x7f800000
	s_waitcnt vmcnt(0)
	v_lshlrev_b32_e32 v0, 24, v0
	v_and_b32_e32 v1, 0x7f000000, v0
	v_ffbh_u32_e32 v4, v1
	v_min_u32_e32 v4, 32, v4
	v_sub_u32_e64 v4, v4, 4 clamp
	v_lshlrev_b32_e32 v9, v4, v1
	v_lshlrev_b32_e32 v4, 23, v4
	v_lshrrev_b32_e32 v9, 4, v9
	v_add_u32_e32 v5, 0x1000000, v1
	v_sub_u32_e32 v4, v9, v4
	v_ashrrev_i32_e32 v5, 8, v5
	v_add_u32_e32 v4, 0x3c000000, v4
	v_and_or_b32 v4, v5, s20, v4
	v_cmp_ne_u32_e32 vcc, 0, v1
	v_cndmask_b32_e32 v1, 0, v4, vcc
	s_brev_b32 s20, 1
	v_and_or_b32 v0, v0, s20, v1
	v_cvt_f64_f32_e32 v[0:1], v0
.LBB94_1942:
	s_mov_b64 s[20:21], 0
.LBB94_1943:
	s_andn2_b64 vcc, exec, s[20:21]
	s_cbranch_vccnz .LBB94_1945
; %bb.1944:
	global_load_ubyte v0, v[2:3], off
	s_movk_i32 s20, 0x7f00
	s_brev_b32 s21, 16
	s_waitcnt vmcnt(0)
	v_lshlrev_b16_e32 v1, 8, v0
	v_lshlrev_b32_e32 v0, 25, v0
	v_lshrrev_b32_e32 v4, 4, v0
	v_and_or_b32 v5, v1, s20, 0.5
	v_or_b32_e32 v4, 0x70000000, v4
	v_add_f32_e32 v5, -0.5, v5
	v_mul_f32_e32 v4, 0x7800000, v4
	v_cmp_gt_u32_e32 vcc, s21, v0
	v_bfe_i32 v1, v1, 0, 16
	v_cndmask_b32_e32 v0, v4, v5, vcc
	s_brev_b32 s20, 1
	v_and_or_b32 v0, v1, s20, v0
	v_cvt_f64_f32_e32 v[0:1], v0
.LBB94_1945:
	s_mov_b64 s[20:21], 0
	s_mov_b64 s[22:23], -1
.LBB94_1946:
	s_andn2_b64 vcc, exec, s[20:21]
	s_mov_b64 s[20:21], 0
	s_cbranch_vccnz .LBB94_1955
; %bb.1947:
	s_cmp_gt_i32 s28, 14
	s_cbranch_scc0 .LBB94_1950
; %bb.1948:
	s_cmp_eq_u32 s28, 15
	s_cbranch_scc0 .LBB94_1951
; %bb.1949:
	global_load_ushort v0, v[2:3], off
	s_mov_b64 s[0:1], 0
	s_mov_b64 s[22:23], -1
	s_waitcnt vmcnt(0)
	v_lshlrev_b32_e32 v0, 16, v0
	v_cvt_f64_f32_e32 v[0:1], v0
	s_branch .LBB94_1952
.LBB94_1950:
	s_mov_b64 s[24:25], -1
                                        ; implicit-def: $vgpr0_vgpr1
	s_branch .LBB94_1953
.LBB94_1951:
	s_mov_b64 s[0:1], -1
                                        ; implicit-def: $vgpr0_vgpr1
.LBB94_1952:
	s_mov_b64 s[24:25], 0
.LBB94_1953:
	s_and_b64 vcc, exec, s[24:25]
	s_cbranch_vccz .LBB94_1955
; %bb.1954:
	s_cmp_lg_u32 s28, 11
	s_mov_b64 s[20:21], -1
	s_cselect_b64 s[0:1], -1, 0
.LBB94_1955:
	s_and_b64 vcc, exec, s[0:1]
	s_cbranch_vccnz .LBB94_2018
; %bb.1956:
	s_andn2_b64 vcc, exec, s[20:21]
	s_cbranch_vccnz .LBB94_1958
.LBB94_1957:
	global_load_ubyte v1, v[2:3], off
	v_mov_b32_e32 v4, 0x3ff00000
	v_mov_b32_e32 v0, 0
	s_mov_b64 s[22:23], -1
	s_waitcnt vmcnt(0)
	v_cmp_ne_u16_e32 vcc, 0, v1
	v_cndmask_b32_e32 v1, 0, v4, vcc
.LBB94_1958:
	s_branch .LBB94_1886
.LBB94_1959:
	s_and_b32 s20, 0xffff, s30
	s_cmp_lt_i32 s20, 5
	s_cbranch_scc1 .LBB94_1964
; %bb.1960:
	s_cmp_lt_i32 s20, 8
	s_cbranch_scc1 .LBB94_1965
; %bb.1961:
	;; [unrolled: 3-line block ×3, first 2 shown]
	s_cmp_gt_i32 s20, 9
	s_cbranch_scc0 .LBB94_1967
; %bb.1963:
	global_load_dwordx2 v[0:1], v[2:3], off
	s_mov_b64 s[0:1], 0
	s_branch .LBB94_1968
.LBB94_1964:
	s_mov_b64 s[0:1], -1
                                        ; implicit-def: $vgpr0_vgpr1
	s_branch .LBB94_1986
.LBB94_1965:
	s_mov_b64 s[0:1], -1
                                        ; implicit-def: $vgpr0_vgpr1
	s_branch .LBB94_1974
.LBB94_1966:
	s_mov_b64 s[0:1], -1
                                        ; implicit-def: $vgpr0_vgpr1
	s_branch .LBB94_1971
.LBB94_1967:
	s_mov_b64 s[0:1], -1
                                        ; implicit-def: $vgpr0_vgpr1
.LBB94_1968:
	s_andn2_b64 vcc, exec, s[0:1]
	s_cbranch_vccnz .LBB94_1970
; %bb.1969:
	global_load_dword v0, v[2:3], off
	s_waitcnt vmcnt(0)
	v_cvt_f64_f32_e32 v[0:1], v0
.LBB94_1970:
	s_mov_b64 s[0:1], 0
.LBB94_1971:
	s_andn2_b64 vcc, exec, s[0:1]
	s_cbranch_vccnz .LBB94_1973
; %bb.1972:
	global_load_dword v0, v[2:3], off
	s_waitcnt vmcnt(0)
	v_cvt_f32_f16_e32 v0, v0
	v_cvt_f64_f32_e32 v[0:1], v0
.LBB94_1973:
	s_mov_b64 s[0:1], 0
.LBB94_1974:
	s_andn2_b64 vcc, exec, s[0:1]
	s_cbranch_vccnz .LBB94_1985
; %bb.1975:
	s_cmp_lt_i32 s20, 6
	s_cbranch_scc1 .LBB94_1978
; %bb.1976:
	s_cmp_gt_i32 s20, 6
	s_cbranch_scc0 .LBB94_1979
; %bb.1977:
	global_load_dwordx2 v[0:1], v[2:3], off
	s_mov_b64 s[0:1], 0
	s_branch .LBB94_1980
.LBB94_1978:
	s_mov_b64 s[0:1], -1
                                        ; implicit-def: $vgpr0_vgpr1
	s_branch .LBB94_1983
.LBB94_1979:
	s_mov_b64 s[0:1], -1
                                        ; implicit-def: $vgpr0_vgpr1
.LBB94_1980:
	s_andn2_b64 vcc, exec, s[0:1]
	s_cbranch_vccnz .LBB94_1982
; %bb.1981:
	global_load_dword v0, v[2:3], off
	s_waitcnt vmcnt(0)
	v_cvt_f64_f32_e32 v[0:1], v0
.LBB94_1982:
	s_mov_b64 s[0:1], 0
.LBB94_1983:
	s_andn2_b64 vcc, exec, s[0:1]
	s_cbranch_vccnz .LBB94_1985
; %bb.1984:
	global_load_ushort v0, v[2:3], off
	s_waitcnt vmcnt(0)
	v_cvt_f32_f16_e32 v0, v0
	v_cvt_f64_f32_e32 v[0:1], v0
.LBB94_1985:
	s_mov_b64 s[0:1], 0
.LBB94_1986:
	s_andn2_b64 vcc, exec, s[0:1]
	s_cbranch_vccnz .LBB94_2006
; %bb.1987:
	s_cmp_lt_i32 s20, 2
	s_cbranch_scc1 .LBB94_1991
; %bb.1988:
	s_cmp_lt_i32 s20, 3
	s_cbranch_scc1 .LBB94_1992
; %bb.1989:
	s_cmp_gt_i32 s20, 3
	s_cbranch_scc0 .LBB94_1993
; %bb.1990:
	global_load_dwordx2 v[0:1], v[2:3], off
	s_mov_b64 s[0:1], 0
	s_waitcnt vmcnt(0)
	v_cvt_f64_i32_e32 v[4:5], v1
	v_cvt_f64_u32_e32 v[0:1], v0
	v_ldexp_f64 v[4:5], v[4:5], 32
	v_add_f64 v[0:1], v[4:5], v[0:1]
	s_branch .LBB94_1994
.LBB94_1991:
	s_mov_b64 s[0:1], -1
                                        ; implicit-def: $vgpr0_vgpr1
	s_branch .LBB94_2000
.LBB94_1992:
	s_mov_b64 s[0:1], -1
                                        ; implicit-def: $vgpr0_vgpr1
	s_branch .LBB94_1997
.LBB94_1993:
	s_mov_b64 s[0:1], -1
                                        ; implicit-def: $vgpr0_vgpr1
.LBB94_1994:
	s_andn2_b64 vcc, exec, s[0:1]
	s_cbranch_vccnz .LBB94_1996
; %bb.1995:
	global_load_dword v0, v[2:3], off
	s_waitcnt vmcnt(0)
	v_cvt_f64_i32_e32 v[0:1], v0
.LBB94_1996:
	s_mov_b64 s[0:1], 0
.LBB94_1997:
	s_andn2_b64 vcc, exec, s[0:1]
	s_cbranch_vccnz .LBB94_1999
; %bb.1998:
	global_load_sshort v0, v[2:3], off
	s_waitcnt vmcnt(0)
	v_cvt_f64_i32_e32 v[0:1], v0
.LBB94_1999:
	s_mov_b64 s[0:1], 0
.LBB94_2000:
	s_andn2_b64 vcc, exec, s[0:1]
	s_cbranch_vccnz .LBB94_2006
; %bb.2001:
	s_cmp_gt_i32 s20, 0
	s_cbranch_scc0 .LBB94_2003
; %bb.2002:
	global_load_sbyte v0, v[2:3], off
	s_mov_b64 s[0:1], 0
	s_waitcnt vmcnt(0)
	v_cvt_f64_i32_e32 v[0:1], v0
	s_branch .LBB94_2004
.LBB94_2003:
	s_mov_b64 s[0:1], -1
                                        ; implicit-def: $vgpr0_vgpr1
.LBB94_2004:
	s_andn2_b64 vcc, exec, s[0:1]
	s_cbranch_vccnz .LBB94_2006
; %bb.2005:
	global_load_ubyte v0, v[2:3], off
	s_waitcnt vmcnt(0)
	v_cvt_f64_u32_e32 v[0:1], v0
.LBB94_2006:
.LBB94_2007:
	s_lshl_b32 s14, s14, 7
	v_add_u32_e32 v8, s14, v8
	v_ashrrev_i32_e32 v3, 31, v8
	v_mov_b32_e32 v4, s3
	v_add_co_u32_e32 v2, vcc, s2, v8
	s_cmp_lt_i32 s31, 11
	v_addc_co_u32_e32 v3, vcc, v4, v3, vcc
	s_cbranch_scc1 .LBB94_2014
; %bb.2008:
	s_and_b32 s28, 0xffff, s31
	s_cmp_gt_i32 s28, 25
	s_mov_b64 s[20:21], 0
	s_cbranch_scc0 .LBB94_2015
; %bb.2009:
	s_cmp_gt_i32 s28, 28
	s_cbranch_scc0 .LBB94_2016
; %bb.2010:
	s_cmp_gt_i32 s28, 43
	;; [unrolled: 3-line block ×3, first 2 shown]
	s_cbranch_scc0 .LBB94_2019
; %bb.2012:
	s_cmp_eq_u32 s28, 46
	s_mov_b64 s[24:25], 0
	s_cbranch_scc0 .LBB94_2020
; %bb.2013:
	global_load_dword v4, v[2:3], off
	s_mov_b64 s[0:1], 0
	s_mov_b64 s[22:23], -1
	s_waitcnt vmcnt(0)
	v_lshlrev_b32_e32 v4, 16, v4
	v_cvt_f64_f32_e32 v[4:5], v4
	s_branch .LBB94_2021
.LBB94_2014:
	s_mov_b64 s[0:1], -1
	s_mov_b64 s[22:23], 0
                                        ; implicit-def: $vgpr4_vgpr5
	s_branch .LBB94_2087
.LBB94_2015:
	s_mov_b64 s[24:25], -1
	s_mov_b64 s[22:23], 0
	s_mov_b64 s[0:1], 0
                                        ; implicit-def: $vgpr4_vgpr5
	s_branch .LBB94_2052
.LBB94_2016:
	s_mov_b64 s[24:25], -1
	s_mov_b64 s[22:23], 0
	s_mov_b64 s[0:1], 0
                                        ; implicit-def: $vgpr4_vgpr5
	s_branch .LBB94_2031
.LBB94_2017:
	s_mov_b64 s[24:25], -1
	s_mov_b64 s[22:23], 0
	s_mov_b64 s[0:1], 0
                                        ; implicit-def: $vgpr4_vgpr5
	s_branch .LBB94_2026
.LBB94_2018:
	s_trap 2
	s_or_b64 s[18:19], s[18:19], exec
	s_cbranch_execz .LBB94_1957
	s_branch .LBB94_1958
.LBB94_2019:
	s_mov_b64 s[24:25], -1
	s_mov_b64 s[22:23], 0
	s_mov_b64 s[0:1], 0
                                        ; implicit-def: $vgpr4_vgpr5
	s_branch .LBB94_2021
.LBB94_2020:
	s_mov_b64 s[0:1], -1
                                        ; implicit-def: $vgpr4_vgpr5
	s_mov_b64 s[22:23], 0
.LBB94_2021:
	s_and_b64 vcc, exec, s[24:25]
	s_cbranch_vccz .LBB94_2025
; %bb.2022:
	s_cmp_eq_u32 s28, 44
	s_cbranch_scc0 .LBB94_2024
; %bb.2023:
	global_load_ubyte v9, v[2:3], off
	s_movk_i32 s22, 0xff
	v_bfrev_b32_e32 v10, 4
	v_mov_b32_e32 v11, 0x7ff80000
	v_bfrev_b32_e32 v12, 28
	s_mov_b64 s[0:1], 0
	s_waitcnt vmcnt(0)
	v_lshlrev_b32_e32 v4, 23, v9
	v_cvt_f64_f32_e32 v[4:5], v4
	v_cmp_ne_u32_e32 vcc, s22, v9
	s_mov_b64 s[22:23], -1
	v_cndmask_b32_e32 v4, v10, v4, vcc
	v_cndmask_b32_e32 v5, v11, v5, vcc
	v_cmp_ne_u32_e32 vcc, 0, v9
	v_cndmask_b32_e32 v5, v12, v5, vcc
	v_cndmask_b32_e32 v4, 0, v4, vcc
	s_branch .LBB94_2025
.LBB94_2024:
	s_mov_b64 s[0:1], -1
                                        ; implicit-def: $vgpr4_vgpr5
.LBB94_2025:
	s_mov_b64 s[24:25], 0
.LBB94_2026:
	s_and_b64 vcc, exec, s[24:25]
	s_cbranch_vccz .LBB94_2030
; %bb.2027:
	s_cmp_eq_u32 s28, 29
	s_cbranch_scc0 .LBB94_2029
; %bb.2028:
	global_load_dwordx2 v[4:5], v[2:3], off
	s_mov_b64 s[0:1], 0
	s_mov_b64 s[22:23], -1
	s_mov_b64 s[24:25], 0
	s_waitcnt vmcnt(0)
	v_cvt_f64_u32_e32 v[9:10], v5
	v_cvt_f64_u32_e32 v[4:5], v4
	v_ldexp_f64 v[9:10], v[9:10], 32
	v_add_f64 v[4:5], v[9:10], v[4:5]
	s_branch .LBB94_2031
.LBB94_2029:
	s_mov_b64 s[0:1], -1
                                        ; implicit-def: $vgpr4_vgpr5
.LBB94_2030:
	s_mov_b64 s[24:25], 0
.LBB94_2031:
	s_and_b64 vcc, exec, s[24:25]
	s_cbranch_vccz .LBB94_2051
; %bb.2032:
	s_cmp_lt_i32 s28, 27
	s_cbranch_scc1 .LBB94_2035
; %bb.2033:
	s_cmp_gt_i32 s28, 27
	s_cbranch_scc0 .LBB94_2036
; %bb.2034:
	global_load_dword v4, v[2:3], off
	s_mov_b64 s[22:23], 0
	s_waitcnt vmcnt(0)
	v_cvt_f64_u32_e32 v[4:5], v4
	s_branch .LBB94_2037
.LBB94_2035:
	s_mov_b64 s[22:23], -1
                                        ; implicit-def: $vgpr4_vgpr5
	s_branch .LBB94_2040
.LBB94_2036:
	s_mov_b64 s[22:23], -1
                                        ; implicit-def: $vgpr4_vgpr5
.LBB94_2037:
	s_andn2_b64 vcc, exec, s[22:23]
	s_cbranch_vccnz .LBB94_2039
; %bb.2038:
	global_load_ushort v4, v[2:3], off
	s_waitcnt vmcnt(0)
	v_cvt_f64_u32_e32 v[4:5], v4
.LBB94_2039:
	s_mov_b64 s[22:23], 0
.LBB94_2040:
	s_andn2_b64 vcc, exec, s[22:23]
	s_cbranch_vccnz .LBB94_2050
; %bb.2041:
	global_load_ubyte v9, v[2:3], off
	s_movk_i32 s22, 0x7f
	s_waitcnt vmcnt(0)
	v_cmp_lt_i16_e32 vcc, s22, v9
	s_mov_b64 s[22:23], 0
	s_and_saveexec_b64 s[24:25], vcc
	s_xor_b64 s[24:25], exec, s[24:25]
	s_cbranch_execz .LBB94_2045
; %bb.2042:
	s_movk_i32 s22, 0x80
	v_cmp_eq_u16_e32 vcc, s22, v9
	s_mov_b64 s[22:23], -1
	s_and_saveexec_b64 s[26:27], vcc
; %bb.2043:
	s_xor_b64 s[22:23], exec, -1
; %bb.2044:
	s_or_b64 exec, exec, s[26:27]
	s_and_b64 s[22:23], s[22:23], exec
.LBB94_2045:
	s_or_saveexec_b64 s[24:25], s[24:25]
	v_bfrev_b32_e32 v4, 4
	v_mov_b32_e32 v5, 0x7ff80000
	s_xor_b64 exec, exec, s[24:25]
; %bb.2046:
	v_cmp_ne_u16_e32 vcc, 0, v9
	v_mov_b32_e32 v4, 0
	s_andn2_b64 s[22:23], s[22:23], exec
	s_and_b64 s[26:27], vcc, exec
	v_mov_b32_e32 v5, 0
	s_or_b64 s[22:23], s[22:23], s[26:27]
; %bb.2047:
	s_or_b64 exec, exec, s[24:25]
	s_and_saveexec_b64 s[24:25], s[22:23]
	s_cbranch_execz .LBB94_2049
; %bb.2048:
	v_and_b32_e32 v5, 0xffff, v9
	v_lshlrev_b32_e32 v4, 24, v9
	v_and_b32_e32 v9, 7, v5
	v_ffbh_u32_e32 v11, v9
	v_min_u32_e32 v11, 32, v11
	v_subrev_u32_e32 v12, 28, v11
	v_bfe_u32 v10, v5, 3, 4
	v_lshlrev_b32_e32 v5, v12, v5
	v_sub_u32_e32 v11, 29, v11
	v_and_b32_e32 v5, 7, v5
	v_cmp_eq_u32_e32 vcc, 0, v10
	v_cndmask_b32_e32 v10, v10, v11, vcc
	v_cndmask_b32_e32 v5, v9, v5, vcc
	v_mov_b32_e32 v9, 0x3b800000
	v_lshlrev_b32_e32 v5, 20, v5
	v_and_b32_e32 v4, 0x80000000, v4
	v_lshl_add_u32 v9, v10, 23, v9
	v_or3_b32 v4, v4, v9, v5
	v_cvt_f64_f32_e32 v[4:5], v4
.LBB94_2049:
	s_or_b64 exec, exec, s[24:25]
.LBB94_2050:
	s_mov_b64 s[22:23], -1
.LBB94_2051:
	s_mov_b64 s[24:25], 0
.LBB94_2052:
	s_and_b64 vcc, exec, s[24:25]
	s_cbranch_vccz .LBB94_2083
; %bb.2053:
	s_cmp_gt_i32 s28, 22
	s_cbranch_scc0 .LBB94_2065
; %bb.2054:
	s_cmp_lt_i32 s28, 24
	s_cbranch_scc1 .LBB94_2066
; %bb.2055:
	s_cmp_gt_i32 s28, 24
	s_cbranch_scc0 .LBB94_2067
; %bb.2056:
	global_load_ubyte v9, v[2:3], off
	s_movk_i32 s20, 0x7f
	s_waitcnt vmcnt(0)
	v_cmp_lt_i16_e32 vcc, s20, v9
	s_mov_b64 s[20:21], 0
	s_and_saveexec_b64 s[22:23], vcc
	s_xor_b64 s[22:23], exec, s[22:23]
	s_cbranch_execz .LBB94_2060
; %bb.2057:
	s_movk_i32 s20, 0x80
	v_cmp_eq_u16_e32 vcc, s20, v9
	s_mov_b64 s[20:21], -1
	s_and_saveexec_b64 s[24:25], vcc
; %bb.2058:
	s_xor_b64 s[20:21], exec, -1
; %bb.2059:
	s_or_b64 exec, exec, s[24:25]
	s_and_b64 s[20:21], s[20:21], exec
.LBB94_2060:
	s_or_saveexec_b64 s[22:23], s[22:23]
	v_bfrev_b32_e32 v4, 4
	v_mov_b32_e32 v5, 0x7ff80000
	s_xor_b64 exec, exec, s[22:23]
; %bb.2061:
	v_cmp_ne_u16_e32 vcc, 0, v9
	v_mov_b32_e32 v4, 0
	s_andn2_b64 s[20:21], s[20:21], exec
	s_and_b64 s[24:25], vcc, exec
	v_mov_b32_e32 v5, 0
	s_or_b64 s[20:21], s[20:21], s[24:25]
; %bb.2062:
	s_or_b64 exec, exec, s[22:23]
	s_and_saveexec_b64 s[22:23], s[20:21]
	s_cbranch_execz .LBB94_2064
; %bb.2063:
	v_and_b32_e32 v5, 0xffff, v9
	v_lshlrev_b32_e32 v4, 24, v9
	v_and_b32_e32 v9, 3, v5
	v_ffbh_u32_e32 v11, v9
	v_min_u32_e32 v11, 32, v11
	v_subrev_u32_e32 v12, 29, v11
	v_bfe_u32 v10, v5, 2, 5
	v_lshlrev_b32_e32 v5, v12, v5
	v_sub_u32_e32 v11, 30, v11
	v_and_b32_e32 v5, 3, v5
	v_cmp_eq_u32_e32 vcc, 0, v10
	v_cndmask_b32_e32 v10, v10, v11, vcc
	v_cndmask_b32_e32 v5, v9, v5, vcc
	v_mov_b32_e32 v9, 0x37800000
	v_lshlrev_b32_e32 v5, 21, v5
	v_and_b32_e32 v4, 0x80000000, v4
	v_lshl_add_u32 v9, v10, 23, v9
	v_or3_b32 v4, v4, v9, v5
	v_cvt_f64_f32_e32 v[4:5], v4
.LBB94_2064:
	s_or_b64 exec, exec, s[22:23]
	s_mov_b64 s[20:21], 0
	s_branch .LBB94_2068
.LBB94_2065:
	s_mov_b64 s[20:21], -1
                                        ; implicit-def: $vgpr4_vgpr5
	s_branch .LBB94_2074
.LBB94_2066:
	s_mov_b64 s[20:21], -1
                                        ; implicit-def: $vgpr4_vgpr5
	s_branch .LBB94_2071
.LBB94_2067:
	s_mov_b64 s[20:21], -1
                                        ; implicit-def: $vgpr4_vgpr5
.LBB94_2068:
	s_and_b64 vcc, exec, s[20:21]
	s_cbranch_vccz .LBB94_2070
; %bb.2069:
	global_load_ubyte v4, v[2:3], off
	s_mov_b32 s20, 0x7f800000
	s_waitcnt vmcnt(0)
	v_lshlrev_b32_e32 v4, 24, v4
	v_and_b32_e32 v5, 0x7f000000, v4
	v_ffbh_u32_e32 v9, v5
	v_min_u32_e32 v9, 32, v9
	v_sub_u32_e64 v9, v9, 4 clamp
	v_lshlrev_b32_e32 v11, v9, v5
	v_lshlrev_b32_e32 v9, 23, v9
	v_lshrrev_b32_e32 v11, 4, v11
	v_add_u32_e32 v10, 0x1000000, v5
	v_sub_u32_e32 v9, v11, v9
	v_ashrrev_i32_e32 v10, 8, v10
	v_add_u32_e32 v9, 0x3c000000, v9
	v_and_or_b32 v9, v10, s20, v9
	v_cmp_ne_u32_e32 vcc, 0, v5
	v_cndmask_b32_e32 v5, 0, v9, vcc
	s_brev_b32 s20, 1
	v_and_or_b32 v4, v4, s20, v5
	v_cvt_f64_f32_e32 v[4:5], v4
.LBB94_2070:
	s_mov_b64 s[20:21], 0
.LBB94_2071:
	s_andn2_b64 vcc, exec, s[20:21]
	s_cbranch_vccnz .LBB94_2073
; %bb.2072:
	global_load_ubyte v4, v[2:3], off
	s_movk_i32 s20, 0x7f00
	s_brev_b32 s21, 16
	s_waitcnt vmcnt(0)
	v_lshlrev_b16_e32 v5, 8, v4
	v_lshlrev_b32_e32 v4, 25, v4
	v_lshrrev_b32_e32 v9, 4, v4
	v_and_or_b32 v10, v5, s20, 0.5
	v_or_b32_e32 v9, 0x70000000, v9
	v_add_f32_e32 v10, -0.5, v10
	v_mul_f32_e32 v9, 0x7800000, v9
	v_cmp_gt_u32_e32 vcc, s21, v4
	v_bfe_i32 v5, v5, 0, 16
	v_cndmask_b32_e32 v4, v9, v10, vcc
	s_brev_b32 s20, 1
	v_and_or_b32 v4, v5, s20, v4
	v_cvt_f64_f32_e32 v[4:5], v4
.LBB94_2073:
	s_mov_b64 s[20:21], 0
	s_mov_b64 s[22:23], -1
.LBB94_2074:
	s_andn2_b64 vcc, exec, s[20:21]
	s_mov_b64 s[20:21], 0
	s_cbranch_vccnz .LBB94_2083
; %bb.2075:
	s_cmp_gt_i32 s28, 14
	s_cbranch_scc0 .LBB94_2078
; %bb.2076:
	s_cmp_eq_u32 s28, 15
	s_cbranch_scc0 .LBB94_2079
; %bb.2077:
	global_load_ushort v4, v[2:3], off
	s_mov_b64 s[0:1], 0
	s_mov_b64 s[22:23], -1
	s_waitcnt vmcnt(0)
	v_lshlrev_b32_e32 v4, 16, v4
	v_cvt_f64_f32_e32 v[4:5], v4
	s_branch .LBB94_2080
.LBB94_2078:
	s_mov_b64 s[24:25], -1
                                        ; implicit-def: $vgpr4_vgpr5
	s_branch .LBB94_2081
.LBB94_2079:
	s_mov_b64 s[0:1], -1
                                        ; implicit-def: $vgpr4_vgpr5
.LBB94_2080:
	s_mov_b64 s[24:25], 0
.LBB94_2081:
	s_and_b64 vcc, exec, s[24:25]
	s_cbranch_vccz .LBB94_2083
; %bb.2082:
	s_cmp_lg_u32 s28, 11
	s_mov_b64 s[20:21], -1
	s_cselect_b64 s[0:1], -1, 0
.LBB94_2083:
	s_and_b64 vcc, exec, s[0:1]
	s_cbranch_vccnz .LBB94_2165
; %bb.2084:
	s_andn2_b64 vcc, exec, s[20:21]
	s_cbranch_vccnz .LBB94_2086
.LBB94_2085:
	global_load_ubyte v5, v[2:3], off
	v_mov_b32_e32 v9, 0x3ff00000
	v_mov_b32_e32 v4, 0
	s_mov_b64 s[22:23], -1
	s_waitcnt vmcnt(0)
	v_cmp_ne_u16_e32 vcc, 0, v5
	v_cndmask_b32_e32 v5, 0, v9, vcc
.LBB94_2086:
	s_mov_b64 s[0:1], 0
.LBB94_2087:
	s_and_b64 vcc, exec, s[0:1]
	s_cbranch_vccz .LBB94_2136
; %bb.2088:
	s_and_b32 s20, 0xffff, s31
	s_cmp_lt_i32 s20, 5
	s_cbranch_scc1 .LBB94_2093
; %bb.2089:
	s_cmp_lt_i32 s20, 8
	s_cbranch_scc1 .LBB94_2094
; %bb.2090:
	;; [unrolled: 3-line block ×3, first 2 shown]
	s_cmp_gt_i32 s20, 9
	s_cbranch_scc0 .LBB94_2096
; %bb.2092:
	global_load_dwordx2 v[4:5], v[2:3], off
	s_mov_b64 s[0:1], 0
	s_branch .LBB94_2097
.LBB94_2093:
	s_mov_b64 s[0:1], -1
                                        ; implicit-def: $vgpr4_vgpr5
	s_branch .LBB94_2115
.LBB94_2094:
	s_mov_b64 s[0:1], -1
                                        ; implicit-def: $vgpr4_vgpr5
	s_branch .LBB94_2103
.LBB94_2095:
	s_mov_b64 s[0:1], -1
                                        ; implicit-def: $vgpr4_vgpr5
	s_branch .LBB94_2100
.LBB94_2096:
	s_mov_b64 s[0:1], -1
                                        ; implicit-def: $vgpr4_vgpr5
.LBB94_2097:
	s_andn2_b64 vcc, exec, s[0:1]
	s_cbranch_vccnz .LBB94_2099
; %bb.2098:
	global_load_dword v4, v[2:3], off
	s_waitcnt vmcnt(0)
	v_cvt_f64_f32_e32 v[4:5], v4
.LBB94_2099:
	s_mov_b64 s[0:1], 0
.LBB94_2100:
	s_andn2_b64 vcc, exec, s[0:1]
	s_cbranch_vccnz .LBB94_2102
; %bb.2101:
	global_load_dword v4, v[2:3], off
	s_waitcnt vmcnt(0)
	v_cvt_f32_f16_e32 v4, v4
	v_cvt_f64_f32_e32 v[4:5], v4
.LBB94_2102:
	s_mov_b64 s[0:1], 0
.LBB94_2103:
	s_andn2_b64 vcc, exec, s[0:1]
	s_cbranch_vccnz .LBB94_2114
; %bb.2104:
	s_cmp_lt_i32 s20, 6
	s_cbranch_scc1 .LBB94_2107
; %bb.2105:
	s_cmp_gt_i32 s20, 6
	s_cbranch_scc0 .LBB94_2108
; %bb.2106:
	global_load_dwordx2 v[4:5], v[2:3], off
	s_mov_b64 s[0:1], 0
	s_branch .LBB94_2109
.LBB94_2107:
	s_mov_b64 s[0:1], -1
                                        ; implicit-def: $vgpr4_vgpr5
	s_branch .LBB94_2112
.LBB94_2108:
	s_mov_b64 s[0:1], -1
                                        ; implicit-def: $vgpr4_vgpr5
.LBB94_2109:
	s_andn2_b64 vcc, exec, s[0:1]
	s_cbranch_vccnz .LBB94_2111
; %bb.2110:
	global_load_dword v4, v[2:3], off
	s_waitcnt vmcnt(0)
	v_cvt_f64_f32_e32 v[4:5], v4
.LBB94_2111:
	s_mov_b64 s[0:1], 0
.LBB94_2112:
	s_andn2_b64 vcc, exec, s[0:1]
	s_cbranch_vccnz .LBB94_2114
; %bb.2113:
	global_load_ushort v4, v[2:3], off
	s_waitcnt vmcnt(0)
	v_cvt_f32_f16_e32 v4, v4
	v_cvt_f64_f32_e32 v[4:5], v4
.LBB94_2114:
	s_mov_b64 s[0:1], 0
.LBB94_2115:
	s_andn2_b64 vcc, exec, s[0:1]
	s_cbranch_vccnz .LBB94_2135
; %bb.2116:
	s_cmp_lt_i32 s20, 2
	s_cbranch_scc1 .LBB94_2120
; %bb.2117:
	s_cmp_lt_i32 s20, 3
	s_cbranch_scc1 .LBB94_2121
; %bb.2118:
	s_cmp_gt_i32 s20, 3
	s_cbranch_scc0 .LBB94_2122
; %bb.2119:
	global_load_dwordx2 v[4:5], v[2:3], off
	s_mov_b64 s[0:1], 0
	s_waitcnt vmcnt(0)
	v_cvt_f64_i32_e32 v[9:10], v5
	v_cvt_f64_u32_e32 v[4:5], v4
	v_ldexp_f64 v[9:10], v[9:10], 32
	v_add_f64 v[4:5], v[9:10], v[4:5]
	s_branch .LBB94_2123
.LBB94_2120:
	s_mov_b64 s[0:1], -1
                                        ; implicit-def: $vgpr4_vgpr5
	s_branch .LBB94_2129
.LBB94_2121:
	s_mov_b64 s[0:1], -1
                                        ; implicit-def: $vgpr4_vgpr5
	s_branch .LBB94_2126
.LBB94_2122:
	s_mov_b64 s[0:1], -1
                                        ; implicit-def: $vgpr4_vgpr5
.LBB94_2123:
	s_andn2_b64 vcc, exec, s[0:1]
	s_cbranch_vccnz .LBB94_2125
; %bb.2124:
	global_load_dword v4, v[2:3], off
	s_waitcnt vmcnt(0)
	v_cvt_f64_i32_e32 v[4:5], v4
.LBB94_2125:
	s_mov_b64 s[0:1], 0
.LBB94_2126:
	s_andn2_b64 vcc, exec, s[0:1]
	s_cbranch_vccnz .LBB94_2128
; %bb.2127:
	global_load_sshort v4, v[2:3], off
	s_waitcnt vmcnt(0)
	v_cvt_f64_i32_e32 v[4:5], v4
.LBB94_2128:
	s_mov_b64 s[0:1], 0
.LBB94_2129:
	s_andn2_b64 vcc, exec, s[0:1]
	s_cbranch_vccnz .LBB94_2135
; %bb.2130:
	s_cmp_gt_i32 s20, 0
	s_cbranch_scc0 .LBB94_2132
; %bb.2131:
	global_load_sbyte v4, v[2:3], off
	s_mov_b64 s[0:1], 0
	s_waitcnt vmcnt(0)
	v_cvt_f64_i32_e32 v[4:5], v4
	s_branch .LBB94_2133
.LBB94_2132:
	s_mov_b64 s[0:1], -1
                                        ; implicit-def: $vgpr4_vgpr5
.LBB94_2133:
	s_andn2_b64 vcc, exec, s[0:1]
	s_cbranch_vccnz .LBB94_2135
; %bb.2134:
	global_load_ubyte v2, v[2:3], off
	s_waitcnt vmcnt(0)
	v_cvt_f64_u32_e32 v[4:5], v2
.LBB94_2135:
	s_mov_b64 s[22:23], -1
.LBB94_2136:
	s_andn2_b64 vcc, exec, s[22:23]
	s_cbranch_vccnz .LBB94_2697
; %bb.2137:
	s_cmp_lt_i32 s15, 1
	s_mov_b64 s[0:1], 0
	s_cbranch_scc1 .LBB94_2141
; %bb.2138:
	s_cmp_gt_i32 s15, 1
	s_cbranch_scc0 .LBB94_2142
; %bb.2139:
	s_cmp_eq_u32 s15, 2
	s_cbranch_scc0 .LBB94_2143
; %bb.2140:
	s_waitcnt vmcnt(0)
	v_cmp_le_f64_e64 s[20:21], v[0:1], v[4:5]
	s_mov_b64 s[22:23], 0
	s_branch .LBB94_2144
.LBB94_2141:
	s_mov_b64 s[24:25], -1
                                        ; implicit-def: $sgpr20_sgpr21
	s_mov_b64 s[22:23], 0
	s_branch .LBB94_2148
.LBB94_2142:
	s_mov_b64 s[24:25], -1
	s_mov_b64 s[22:23], 0
                                        ; implicit-def: $sgpr20_sgpr21
	s_branch .LBB94_2145
.LBB94_2143:
	s_mov_b64 s[22:23], -1
                                        ; implicit-def: $sgpr20_sgpr21
.LBB94_2144:
	s_mov_b64 s[24:25], 0
.LBB94_2145:
	s_and_b64 vcc, exec, s[24:25]
	s_cbranch_vccz .LBB94_2147
; %bb.2146:
	s_waitcnt vmcnt(0)
	v_cmp_gt_f64_e32 vcc, v[0:1], v[4:5]
	s_andn2_b64 s[20:21], s[20:21], exec
	s_and_b64 s[24:25], vcc, exec
	s_or_b64 s[20:21], s[20:21], s[24:25]
.LBB94_2147:
	s_mov_b64 s[24:25], 0
.LBB94_2148:
	s_and_b64 vcc, exec, s[24:25]
	s_cbranch_vccz .LBB94_2159
; %bb.2149:
	s_cmp_lg_u32 s15, 0
	s_mov_b64 s[0:1], -1
	s_cselect_b64 s[22:23], -1, 0
	s_andn2_b64 vcc, exec, s[22:23]
	s_cbranch_vccz .LBB94_2160
.LBB94_2150:
	s_andn2_b64 vcc, exec, s[0:1]
	s_cbranch_vccnz .LBB94_2152
.LBB94_2151:
	s_waitcnt vmcnt(0)
	v_cmp_ge_f64_e32 vcc, v[0:1], v[4:5]
	s_andn2_b64 s[0:1], s[20:21], exec
	s_and_b64 s[20:21], vcc, exec
	s_or_b64 s[20:21], s[0:1], s[20:21]
.LBB94_2152:
	v_add_u32_e32 v7, s13, v7
	s_waitcnt vmcnt(0)
	v_ashrrev_i32_e32 v0, 31, v7
	v_mov_b32_e32 v1, s11
	v_add_co_u32_e32 v2, vcc, s10, v7
	s_cmp_lt_i32 s30, 11
	v_addc_co_u32_e32 v3, vcc, v1, v0, vcc
	s_cbranch_scc1 .LBB94_2161
; %bb.2153:
	s_and_b32 s34, 0xffff, s30
	s_cmp_gt_i32 s34, 25
	s_mov_b64 s[22:23], 0
	s_cbranch_scc0 .LBB94_2162
; %bb.2154:
	s_cmp_gt_i32 s34, 28
	s_cbranch_scc0 .LBB94_2163
; %bb.2155:
	s_cmp_gt_i32 s34, 43
	s_cbranch_scc0 .LBB94_2164
; %bb.2156:
	s_cmp_gt_i32 s34, 45
	s_cbranch_scc0 .LBB94_2166
; %bb.2157:
	s_cmp_eq_u32 s34, 46
	s_mov_b64 s[26:27], 0
	s_cbranch_scc0 .LBB94_2167
; %bb.2158:
	global_load_dword v0, v[2:3], off
	s_mov_b64 s[0:1], 0
	s_mov_b64 s[24:25], -1
	s_waitcnt vmcnt(0)
	v_lshlrev_b32_e32 v0, 16, v0
	v_cvt_f64_f32_e32 v[0:1], v0
	s_branch .LBB94_2168
.LBB94_2159:
	s_andn2_b64 vcc, exec, s[22:23]
	s_cbranch_vccnz .LBB94_2150
.LBB94_2160:
	s_waitcnt vmcnt(0)
	v_cmp_lt_f64_e32 vcc, v[0:1], v[4:5]
	s_andn2_b64 s[20:21], s[20:21], exec
	s_and_b64 s[22:23], vcc, exec
	s_or_b64 s[20:21], s[20:21], s[22:23]
	s_cbranch_execz .LBB94_2151
	s_branch .LBB94_2152
.LBB94_2161:
	s_mov_b64 s[0:1], -1
	s_mov_b64 s[24:25], 0
                                        ; implicit-def: $vgpr0_vgpr1
	s_branch .LBB94_2234
.LBB94_2162:
	s_mov_b64 s[26:27], -1
	s_mov_b64 s[24:25], 0
	s_mov_b64 s[0:1], 0
                                        ; implicit-def: $vgpr0_vgpr1
	s_branch .LBB94_2199
.LBB94_2163:
	s_mov_b64 s[26:27], -1
	s_mov_b64 s[24:25], 0
	s_mov_b64 s[0:1], 0
                                        ; implicit-def: $vgpr0_vgpr1
	s_branch .LBB94_2178
.LBB94_2164:
	s_mov_b64 s[26:27], -1
	s_mov_b64 s[24:25], 0
	s_mov_b64 s[0:1], 0
                                        ; implicit-def: $vgpr0_vgpr1
	s_branch .LBB94_2173
.LBB94_2165:
	s_trap 2
	s_or_b64 s[18:19], s[18:19], exec
	s_cbranch_execz .LBB94_2085
	s_branch .LBB94_2086
.LBB94_2166:
	s_mov_b64 s[26:27], -1
	s_mov_b64 s[24:25], 0
	s_mov_b64 s[0:1], 0
                                        ; implicit-def: $vgpr0_vgpr1
	s_branch .LBB94_2168
.LBB94_2167:
	s_mov_b64 s[0:1], -1
                                        ; implicit-def: $vgpr0_vgpr1
	s_mov_b64 s[24:25], 0
.LBB94_2168:
	s_and_b64 vcc, exec, s[26:27]
	s_cbranch_vccz .LBB94_2172
; %bb.2169:
	s_cmp_eq_u32 s34, 44
	s_cbranch_scc0 .LBB94_2171
; %bb.2170:
	global_load_ubyte v4, v[2:3], off
	s_movk_i32 s24, 0xff
	v_bfrev_b32_e32 v5, 4
	v_mov_b32_e32 v9, 0x7ff80000
	v_bfrev_b32_e32 v10, 28
	s_mov_b64 s[0:1], 0
	s_waitcnt vmcnt(0)
	v_lshlrev_b32_e32 v0, 23, v4
	v_cvt_f64_f32_e32 v[0:1], v0
	v_cmp_ne_u32_e32 vcc, s24, v4
	s_mov_b64 s[24:25], -1
	v_cndmask_b32_e32 v0, v5, v0, vcc
	v_cndmask_b32_e32 v1, v9, v1, vcc
	v_cmp_ne_u32_e32 vcc, 0, v4
	v_cndmask_b32_e32 v1, v10, v1, vcc
	v_cndmask_b32_e32 v0, 0, v0, vcc
	s_branch .LBB94_2172
.LBB94_2171:
	s_mov_b64 s[0:1], -1
                                        ; implicit-def: $vgpr0_vgpr1
.LBB94_2172:
	s_mov_b64 s[26:27], 0
.LBB94_2173:
	s_and_b64 vcc, exec, s[26:27]
	s_cbranch_vccz .LBB94_2177
; %bb.2174:
	s_cmp_eq_u32 s34, 29
	s_cbranch_scc0 .LBB94_2176
; %bb.2175:
	global_load_dwordx2 v[0:1], v[2:3], off
	s_mov_b64 s[0:1], 0
	s_mov_b64 s[24:25], -1
	s_mov_b64 s[26:27], 0
	s_waitcnt vmcnt(0)
	v_cvt_f64_u32_e32 v[4:5], v1
	v_cvt_f64_u32_e32 v[0:1], v0
	v_ldexp_f64 v[4:5], v[4:5], 32
	v_add_f64 v[0:1], v[4:5], v[0:1]
	s_branch .LBB94_2178
.LBB94_2176:
	s_mov_b64 s[0:1], -1
                                        ; implicit-def: $vgpr0_vgpr1
.LBB94_2177:
	s_mov_b64 s[26:27], 0
.LBB94_2178:
	s_and_b64 vcc, exec, s[26:27]
	s_cbranch_vccz .LBB94_2198
; %bb.2179:
	s_cmp_lt_i32 s34, 27
	s_cbranch_scc1 .LBB94_2182
; %bb.2180:
	s_cmp_gt_i32 s34, 27
	s_cbranch_scc0 .LBB94_2183
; %bb.2181:
	global_load_dword v0, v[2:3], off
	s_mov_b64 s[24:25], 0
	s_waitcnt vmcnt(0)
	v_cvt_f64_u32_e32 v[0:1], v0
	s_branch .LBB94_2184
.LBB94_2182:
	s_mov_b64 s[24:25], -1
                                        ; implicit-def: $vgpr0_vgpr1
	s_branch .LBB94_2187
.LBB94_2183:
	s_mov_b64 s[24:25], -1
                                        ; implicit-def: $vgpr0_vgpr1
.LBB94_2184:
	s_andn2_b64 vcc, exec, s[24:25]
	s_cbranch_vccnz .LBB94_2186
; %bb.2185:
	global_load_ushort v0, v[2:3], off
	s_waitcnt vmcnt(0)
	v_cvt_f64_u32_e32 v[0:1], v0
.LBB94_2186:
	s_mov_b64 s[24:25], 0
.LBB94_2187:
	s_andn2_b64 vcc, exec, s[24:25]
	s_cbranch_vccnz .LBB94_2197
; %bb.2188:
	global_load_ubyte v4, v[2:3], off
	s_movk_i32 s24, 0x7f
	s_waitcnt vmcnt(0)
	v_cmp_lt_i16_e32 vcc, s24, v4
	s_mov_b64 s[24:25], 0
	s_and_saveexec_b64 s[26:27], vcc
	s_xor_b64 s[26:27], exec, s[26:27]
	s_cbranch_execz .LBB94_2192
; %bb.2189:
	s_movk_i32 s24, 0x80
	v_cmp_eq_u16_e32 vcc, s24, v4
	s_mov_b64 s[24:25], -1
	s_and_saveexec_b64 s[28:29], vcc
; %bb.2190:
	s_xor_b64 s[24:25], exec, -1
; %bb.2191:
	s_or_b64 exec, exec, s[28:29]
	s_and_b64 s[24:25], s[24:25], exec
.LBB94_2192:
	s_or_saveexec_b64 s[26:27], s[26:27]
	v_bfrev_b32_e32 v0, 4
	v_mov_b32_e32 v1, 0x7ff80000
	s_xor_b64 exec, exec, s[26:27]
; %bb.2193:
	v_cmp_ne_u16_e32 vcc, 0, v4
	v_mov_b32_e32 v0, 0
	s_andn2_b64 s[24:25], s[24:25], exec
	s_and_b64 s[28:29], vcc, exec
	v_mov_b32_e32 v1, 0
	s_or_b64 s[24:25], s[24:25], s[28:29]
; %bb.2194:
	s_or_b64 exec, exec, s[26:27]
	s_and_saveexec_b64 s[26:27], s[24:25]
	s_cbranch_execz .LBB94_2196
; %bb.2195:
	v_and_b32_e32 v1, 0xffff, v4
	v_lshlrev_b32_e32 v0, 24, v4
	v_and_b32_e32 v4, 7, v1
	v_ffbh_u32_e32 v9, v4
	v_min_u32_e32 v9, 32, v9
	v_subrev_u32_e32 v10, 28, v9
	v_bfe_u32 v5, v1, 3, 4
	v_lshlrev_b32_e32 v1, v10, v1
	v_sub_u32_e32 v9, 29, v9
	v_and_b32_e32 v1, 7, v1
	v_cmp_eq_u32_e32 vcc, 0, v5
	v_cndmask_b32_e32 v5, v5, v9, vcc
	v_cndmask_b32_e32 v1, v4, v1, vcc
	v_mov_b32_e32 v4, 0x3b800000
	v_lshlrev_b32_e32 v1, 20, v1
	v_and_b32_e32 v0, 0x80000000, v0
	v_lshl_add_u32 v4, v5, 23, v4
	v_or3_b32 v0, v0, v4, v1
	v_cvt_f64_f32_e32 v[0:1], v0
.LBB94_2196:
	s_or_b64 exec, exec, s[26:27]
.LBB94_2197:
	s_mov_b64 s[24:25], -1
.LBB94_2198:
	s_mov_b64 s[26:27], 0
.LBB94_2199:
	s_and_b64 vcc, exec, s[26:27]
	s_cbranch_vccz .LBB94_2230
; %bb.2200:
	s_cmp_gt_i32 s34, 22
	s_cbranch_scc0 .LBB94_2212
; %bb.2201:
	s_cmp_lt_i32 s34, 24
	s_cbranch_scc1 .LBB94_2213
; %bb.2202:
	s_cmp_gt_i32 s34, 24
	s_cbranch_scc0 .LBB94_2214
; %bb.2203:
	global_load_ubyte v4, v[2:3], off
	s_movk_i32 s22, 0x7f
	s_waitcnt vmcnt(0)
	v_cmp_lt_i16_e32 vcc, s22, v4
	s_mov_b64 s[22:23], 0
	s_and_saveexec_b64 s[24:25], vcc
	s_xor_b64 s[24:25], exec, s[24:25]
	s_cbranch_execz .LBB94_2207
; %bb.2204:
	s_movk_i32 s22, 0x80
	v_cmp_eq_u16_e32 vcc, s22, v4
	s_mov_b64 s[22:23], -1
	s_and_saveexec_b64 s[26:27], vcc
; %bb.2205:
	s_xor_b64 s[22:23], exec, -1
; %bb.2206:
	s_or_b64 exec, exec, s[26:27]
	s_and_b64 s[22:23], s[22:23], exec
.LBB94_2207:
	s_or_saveexec_b64 s[24:25], s[24:25]
	v_bfrev_b32_e32 v0, 4
	v_mov_b32_e32 v1, 0x7ff80000
	s_xor_b64 exec, exec, s[24:25]
; %bb.2208:
	v_cmp_ne_u16_e32 vcc, 0, v4
	v_mov_b32_e32 v0, 0
	s_andn2_b64 s[22:23], s[22:23], exec
	s_and_b64 s[26:27], vcc, exec
	v_mov_b32_e32 v1, 0
	s_or_b64 s[22:23], s[22:23], s[26:27]
; %bb.2209:
	s_or_b64 exec, exec, s[24:25]
	s_and_saveexec_b64 s[24:25], s[22:23]
	s_cbranch_execz .LBB94_2211
; %bb.2210:
	v_and_b32_e32 v1, 0xffff, v4
	v_lshlrev_b32_e32 v0, 24, v4
	v_and_b32_e32 v4, 3, v1
	v_ffbh_u32_e32 v9, v4
	v_min_u32_e32 v9, 32, v9
	v_subrev_u32_e32 v10, 29, v9
	v_bfe_u32 v5, v1, 2, 5
	v_lshlrev_b32_e32 v1, v10, v1
	v_sub_u32_e32 v9, 30, v9
	v_and_b32_e32 v1, 3, v1
	v_cmp_eq_u32_e32 vcc, 0, v5
	v_cndmask_b32_e32 v5, v5, v9, vcc
	v_cndmask_b32_e32 v1, v4, v1, vcc
	v_mov_b32_e32 v4, 0x37800000
	v_lshlrev_b32_e32 v1, 21, v1
	v_and_b32_e32 v0, 0x80000000, v0
	v_lshl_add_u32 v4, v5, 23, v4
	v_or3_b32 v0, v0, v4, v1
	v_cvt_f64_f32_e32 v[0:1], v0
.LBB94_2211:
	s_or_b64 exec, exec, s[24:25]
	s_mov_b64 s[22:23], 0
	s_branch .LBB94_2215
.LBB94_2212:
	s_mov_b64 s[22:23], -1
                                        ; implicit-def: $vgpr0_vgpr1
	s_branch .LBB94_2221
.LBB94_2213:
	s_mov_b64 s[22:23], -1
                                        ; implicit-def: $vgpr0_vgpr1
	s_branch .LBB94_2218
.LBB94_2214:
	s_mov_b64 s[22:23], -1
                                        ; implicit-def: $vgpr0_vgpr1
.LBB94_2215:
	s_and_b64 vcc, exec, s[22:23]
	s_cbranch_vccz .LBB94_2217
; %bb.2216:
	global_load_ubyte v0, v[2:3], off
	s_mov_b32 s22, 0x7f800000
	s_waitcnt vmcnt(0)
	v_lshlrev_b32_e32 v0, 24, v0
	v_and_b32_e32 v1, 0x7f000000, v0
	v_ffbh_u32_e32 v4, v1
	v_min_u32_e32 v4, 32, v4
	v_sub_u32_e64 v4, v4, 4 clamp
	v_lshlrev_b32_e32 v9, v4, v1
	v_lshlrev_b32_e32 v4, 23, v4
	v_lshrrev_b32_e32 v9, 4, v9
	v_add_u32_e32 v5, 0x1000000, v1
	v_sub_u32_e32 v4, v9, v4
	v_ashrrev_i32_e32 v5, 8, v5
	v_add_u32_e32 v4, 0x3c000000, v4
	v_and_or_b32 v4, v5, s22, v4
	v_cmp_ne_u32_e32 vcc, 0, v1
	v_cndmask_b32_e32 v1, 0, v4, vcc
	s_brev_b32 s22, 1
	v_and_or_b32 v0, v0, s22, v1
	v_cvt_f64_f32_e32 v[0:1], v0
.LBB94_2217:
	s_mov_b64 s[22:23], 0
.LBB94_2218:
	s_andn2_b64 vcc, exec, s[22:23]
	s_cbranch_vccnz .LBB94_2220
; %bb.2219:
	global_load_ubyte v0, v[2:3], off
	s_movk_i32 s22, 0x7f00
	s_brev_b32 s23, 16
	s_waitcnt vmcnt(0)
	v_lshlrev_b16_e32 v1, 8, v0
	v_lshlrev_b32_e32 v0, 25, v0
	v_lshrrev_b32_e32 v4, 4, v0
	v_and_or_b32 v5, v1, s22, 0.5
	v_or_b32_e32 v4, 0x70000000, v4
	v_add_f32_e32 v5, -0.5, v5
	v_mul_f32_e32 v4, 0x7800000, v4
	v_cmp_gt_u32_e32 vcc, s23, v0
	v_bfe_i32 v1, v1, 0, 16
	v_cndmask_b32_e32 v0, v4, v5, vcc
	s_brev_b32 s22, 1
	v_and_or_b32 v0, v1, s22, v0
	v_cvt_f64_f32_e32 v[0:1], v0
.LBB94_2220:
	s_mov_b64 s[22:23], 0
	s_mov_b64 s[24:25], -1
.LBB94_2221:
	s_andn2_b64 vcc, exec, s[22:23]
	s_mov_b64 s[22:23], 0
	s_cbranch_vccnz .LBB94_2230
; %bb.2222:
	s_cmp_gt_i32 s34, 14
	s_cbranch_scc0 .LBB94_2225
; %bb.2223:
	s_cmp_eq_u32 s34, 15
	s_cbranch_scc0 .LBB94_2226
; %bb.2224:
	global_load_ushort v0, v[2:3], off
	s_mov_b64 s[0:1], 0
	s_mov_b64 s[24:25], -1
	s_waitcnt vmcnt(0)
	v_lshlrev_b32_e32 v0, 16, v0
	v_cvt_f64_f32_e32 v[0:1], v0
	s_branch .LBB94_2227
.LBB94_2225:
	s_mov_b64 s[26:27], -1
                                        ; implicit-def: $vgpr0_vgpr1
	s_branch .LBB94_2228
.LBB94_2226:
	s_mov_b64 s[0:1], -1
                                        ; implicit-def: $vgpr0_vgpr1
.LBB94_2227:
	s_mov_b64 s[26:27], 0
.LBB94_2228:
	s_and_b64 vcc, exec, s[26:27]
	s_cbranch_vccz .LBB94_2230
; %bb.2229:
	s_cmp_lg_u32 s34, 11
	s_mov_b64 s[22:23], -1
	s_cselect_b64 s[0:1], -1, 0
.LBB94_2230:
	s_and_b64 vcc, exec, s[0:1]
	s_cbranch_vccnz .LBB94_2295
; %bb.2231:
	s_andn2_b64 vcc, exec, s[22:23]
	s_cbranch_vccnz .LBB94_2233
.LBB94_2232:
	global_load_ubyte v1, v[2:3], off
	v_mov_b32_e32 v4, 0x3ff00000
	v_mov_b32_e32 v0, 0
	s_mov_b64 s[24:25], -1
	s_waitcnt vmcnt(0)
	v_cmp_ne_u16_e32 vcc, 0, v1
	v_cndmask_b32_e32 v1, 0, v4, vcc
.LBB94_2233:
	s_mov_b64 s[0:1], 0
.LBB94_2234:
	s_and_b64 vcc, exec, s[0:1]
	s_cbranch_vccz .LBB94_2283
; %bb.2235:
	s_and_b32 s22, 0xffff, s30
	s_cmp_lt_i32 s22, 5
	s_cbranch_scc1 .LBB94_2240
; %bb.2236:
	s_cmp_lt_i32 s22, 8
	s_cbranch_scc1 .LBB94_2241
; %bb.2237:
	;; [unrolled: 3-line block ×3, first 2 shown]
	s_cmp_gt_i32 s22, 9
	s_cbranch_scc0 .LBB94_2243
; %bb.2239:
	global_load_dwordx2 v[0:1], v[2:3], off
	s_mov_b64 s[0:1], 0
	s_branch .LBB94_2244
.LBB94_2240:
	s_mov_b64 s[0:1], -1
                                        ; implicit-def: $vgpr0_vgpr1
	s_branch .LBB94_2262
.LBB94_2241:
	s_mov_b64 s[0:1], -1
                                        ; implicit-def: $vgpr0_vgpr1
	s_branch .LBB94_2250
.LBB94_2242:
	s_mov_b64 s[0:1], -1
                                        ; implicit-def: $vgpr0_vgpr1
	s_branch .LBB94_2247
.LBB94_2243:
	s_mov_b64 s[0:1], -1
                                        ; implicit-def: $vgpr0_vgpr1
.LBB94_2244:
	s_andn2_b64 vcc, exec, s[0:1]
	s_cbranch_vccnz .LBB94_2246
; %bb.2245:
	global_load_dword v0, v[2:3], off
	s_waitcnt vmcnt(0)
	v_cvt_f64_f32_e32 v[0:1], v0
.LBB94_2246:
	s_mov_b64 s[0:1], 0
.LBB94_2247:
	s_andn2_b64 vcc, exec, s[0:1]
	s_cbranch_vccnz .LBB94_2249
; %bb.2248:
	global_load_dword v0, v[2:3], off
	s_waitcnt vmcnt(0)
	v_cvt_f32_f16_e32 v0, v0
	v_cvt_f64_f32_e32 v[0:1], v0
.LBB94_2249:
	s_mov_b64 s[0:1], 0
.LBB94_2250:
	s_andn2_b64 vcc, exec, s[0:1]
	s_cbranch_vccnz .LBB94_2261
; %bb.2251:
	s_cmp_lt_i32 s22, 6
	s_cbranch_scc1 .LBB94_2254
; %bb.2252:
	s_cmp_gt_i32 s22, 6
	s_cbranch_scc0 .LBB94_2255
; %bb.2253:
	global_load_dwordx2 v[0:1], v[2:3], off
	s_mov_b64 s[0:1], 0
	s_branch .LBB94_2256
.LBB94_2254:
	s_mov_b64 s[0:1], -1
                                        ; implicit-def: $vgpr0_vgpr1
	s_branch .LBB94_2259
.LBB94_2255:
	s_mov_b64 s[0:1], -1
                                        ; implicit-def: $vgpr0_vgpr1
.LBB94_2256:
	s_andn2_b64 vcc, exec, s[0:1]
	s_cbranch_vccnz .LBB94_2258
; %bb.2257:
	global_load_dword v0, v[2:3], off
	s_waitcnt vmcnt(0)
	v_cvt_f64_f32_e32 v[0:1], v0
.LBB94_2258:
	s_mov_b64 s[0:1], 0
.LBB94_2259:
	s_andn2_b64 vcc, exec, s[0:1]
	s_cbranch_vccnz .LBB94_2261
; %bb.2260:
	global_load_ushort v0, v[2:3], off
	s_waitcnt vmcnt(0)
	v_cvt_f32_f16_e32 v0, v0
	v_cvt_f64_f32_e32 v[0:1], v0
.LBB94_2261:
	s_mov_b64 s[0:1], 0
.LBB94_2262:
	s_andn2_b64 vcc, exec, s[0:1]
	s_cbranch_vccnz .LBB94_2282
; %bb.2263:
	s_cmp_lt_i32 s22, 2
	s_cbranch_scc1 .LBB94_2267
; %bb.2264:
	s_cmp_lt_i32 s22, 3
	s_cbranch_scc1 .LBB94_2268
; %bb.2265:
	s_cmp_gt_i32 s22, 3
	s_cbranch_scc0 .LBB94_2269
; %bb.2266:
	global_load_dwordx2 v[0:1], v[2:3], off
	s_mov_b64 s[0:1], 0
	s_waitcnt vmcnt(0)
	v_cvt_f64_i32_e32 v[4:5], v1
	v_cvt_f64_u32_e32 v[0:1], v0
	v_ldexp_f64 v[4:5], v[4:5], 32
	v_add_f64 v[0:1], v[4:5], v[0:1]
	s_branch .LBB94_2270
.LBB94_2267:
	s_mov_b64 s[0:1], -1
                                        ; implicit-def: $vgpr0_vgpr1
	s_branch .LBB94_2276
.LBB94_2268:
	s_mov_b64 s[0:1], -1
                                        ; implicit-def: $vgpr0_vgpr1
	s_branch .LBB94_2273
.LBB94_2269:
	s_mov_b64 s[0:1], -1
                                        ; implicit-def: $vgpr0_vgpr1
.LBB94_2270:
	s_andn2_b64 vcc, exec, s[0:1]
	s_cbranch_vccnz .LBB94_2272
; %bb.2271:
	global_load_dword v0, v[2:3], off
	s_waitcnt vmcnt(0)
	v_cvt_f64_i32_e32 v[0:1], v0
.LBB94_2272:
	s_mov_b64 s[0:1], 0
.LBB94_2273:
	s_andn2_b64 vcc, exec, s[0:1]
	s_cbranch_vccnz .LBB94_2275
; %bb.2274:
	global_load_sshort v0, v[2:3], off
	s_waitcnt vmcnt(0)
	v_cvt_f64_i32_e32 v[0:1], v0
.LBB94_2275:
	s_mov_b64 s[0:1], 0
.LBB94_2276:
	s_andn2_b64 vcc, exec, s[0:1]
	s_cbranch_vccnz .LBB94_2282
; %bb.2277:
	s_cmp_gt_i32 s22, 0
	s_cbranch_scc0 .LBB94_2279
; %bb.2278:
	global_load_sbyte v0, v[2:3], off
	s_mov_b64 s[0:1], 0
	s_waitcnt vmcnt(0)
	v_cvt_f64_i32_e32 v[0:1], v0
	s_branch .LBB94_2280
.LBB94_2279:
	s_mov_b64 s[0:1], -1
                                        ; implicit-def: $vgpr0_vgpr1
.LBB94_2280:
	s_andn2_b64 vcc, exec, s[0:1]
	s_cbranch_vccnz .LBB94_2282
; %bb.2281:
	global_load_ubyte v0, v[2:3], off
	s_waitcnt vmcnt(0)
	v_cvt_f64_u32_e32 v[0:1], v0
.LBB94_2282:
	s_mov_b64 s[24:25], -1
.LBB94_2283:
	s_andn2_b64 vcc, exec, s[24:25]
	s_cbranch_vccnz .LBB94_2697
; %bb.2284:
	v_add_u32_e32 v8, s14, v8
	v_ashrrev_i32_e32 v3, 31, v8
	v_mov_b32_e32 v4, s3
	v_add_co_u32_e32 v2, vcc, s2, v8
	s_cmp_lt_i32 s31, 11
	v_addc_co_u32_e32 v3, vcc, v4, v3, vcc
	s_cbranch_scc1 .LBB94_2291
; %bb.2285:
	s_and_b32 s34, 0xffff, s31
	s_cmp_gt_i32 s34, 25
	s_mov_b64 s[22:23], 0
	s_cbranch_scc0 .LBB94_2292
; %bb.2286:
	s_cmp_gt_i32 s34, 28
	s_cbranch_scc0 .LBB94_2293
; %bb.2287:
	s_cmp_gt_i32 s34, 43
	;; [unrolled: 3-line block ×3, first 2 shown]
	s_cbranch_scc0 .LBB94_2296
; %bb.2289:
	s_cmp_eq_u32 s34, 46
	s_mov_b64 s[26:27], 0
	s_cbranch_scc0 .LBB94_2299
; %bb.2290:
	global_load_dword v4, v[2:3], off
	s_mov_b64 s[0:1], 0
	s_mov_b64 s[24:25], -1
	s_waitcnt vmcnt(0)
	v_lshlrev_b32_e32 v4, 16, v4
	v_cvt_f64_f32_e32 v[4:5], v4
	s_branch .LBB94_2300
.LBB94_2291:
	s_mov_b64 s[0:1], -1
	s_mov_b64 s[24:25], 0
                                        ; implicit-def: $vgpr4_vgpr5
	s_branch .LBB94_2366
.LBB94_2292:
	s_mov_b64 s[26:27], -1
	s_mov_b64 s[24:25], 0
	s_mov_b64 s[0:1], 0
                                        ; implicit-def: $vgpr4_vgpr5
	s_branch .LBB94_2331
.LBB94_2293:
	s_mov_b64 s[26:27], -1
	s_mov_b64 s[24:25], 0
	s_mov_b64 s[0:1], 0
                                        ; implicit-def: $vgpr4_vgpr5
	s_branch .LBB94_2310
.LBB94_2294:
	s_mov_b64 s[26:27], -1
	s_mov_b64 s[24:25], 0
	s_mov_b64 s[0:1], 0
                                        ; implicit-def: $vgpr4_vgpr5
	s_branch .LBB94_2305
.LBB94_2295:
	s_trap 2
	s_or_b64 s[18:19], s[18:19], exec
	s_cbranch_execz .LBB94_2232
	s_branch .LBB94_2233
.LBB94_2296:
	s_mov_b64 s[26:27], -1
	s_mov_b64 s[24:25], 0
	s_mov_b64 s[0:1], 0
                                        ; implicit-def: $vgpr4_vgpr5
	s_branch .LBB94_2300
.LBB94_2297:
	s_andn2_saveexec_b64 s[46:47], s[46:47]
	s_cbranch_execz .LBB94_1135
.LBB94_2298:
	v_add_f32_e32 v2, 0x42800000, v3
	v_and_b32_e32 v2, 0xff, v2
	v_cmp_ne_u32_e32 vcc, 0, v2
	s_andn2_b64 s[44:45], s[44:45], exec
	s_and_b64 s[52:53], vcc, exec
	s_or_b64 s[44:45], s[44:45], s[52:53]
	s_or_b64 exec, exec, s[46:47]
	v_mov_b32_e32 v4, 0
	s_and_saveexec_b64 s[46:47], s[44:45]
	s_cbranch_execnz .LBB94_1136
	s_branch .LBB94_1137
.LBB94_2299:
	s_mov_b64 s[0:1], -1
                                        ; implicit-def: $vgpr4_vgpr5
	s_mov_b64 s[24:25], 0
.LBB94_2300:
	s_and_b64 vcc, exec, s[26:27]
	s_cbranch_vccz .LBB94_2304
; %bb.2301:
	s_cmp_eq_u32 s34, 44
	s_cbranch_scc0 .LBB94_2303
; %bb.2302:
	global_load_ubyte v9, v[2:3], off
	s_movk_i32 s24, 0xff
	v_bfrev_b32_e32 v10, 4
	v_mov_b32_e32 v11, 0x7ff80000
	v_bfrev_b32_e32 v12, 28
	s_mov_b64 s[0:1], 0
	s_waitcnt vmcnt(0)
	v_lshlrev_b32_e32 v4, 23, v9
	v_cvt_f64_f32_e32 v[4:5], v4
	v_cmp_ne_u32_e32 vcc, s24, v9
	s_mov_b64 s[24:25], -1
	v_cndmask_b32_e32 v4, v10, v4, vcc
	v_cndmask_b32_e32 v5, v11, v5, vcc
	v_cmp_ne_u32_e32 vcc, 0, v9
	v_cndmask_b32_e32 v5, v12, v5, vcc
	v_cndmask_b32_e32 v4, 0, v4, vcc
	s_branch .LBB94_2304
.LBB94_2303:
	s_mov_b64 s[0:1], -1
                                        ; implicit-def: $vgpr4_vgpr5
.LBB94_2304:
	s_mov_b64 s[26:27], 0
.LBB94_2305:
	s_and_b64 vcc, exec, s[26:27]
	s_cbranch_vccz .LBB94_2309
; %bb.2306:
	s_cmp_eq_u32 s34, 29
	s_cbranch_scc0 .LBB94_2308
; %bb.2307:
	global_load_dwordx2 v[4:5], v[2:3], off
	s_mov_b64 s[0:1], 0
	s_mov_b64 s[24:25], -1
	s_mov_b64 s[26:27], 0
	s_waitcnt vmcnt(0)
	v_cvt_f64_u32_e32 v[9:10], v5
	v_cvt_f64_u32_e32 v[4:5], v4
	v_ldexp_f64 v[9:10], v[9:10], 32
	v_add_f64 v[4:5], v[9:10], v[4:5]
	s_branch .LBB94_2310
.LBB94_2308:
	s_mov_b64 s[0:1], -1
                                        ; implicit-def: $vgpr4_vgpr5
.LBB94_2309:
	s_mov_b64 s[26:27], 0
.LBB94_2310:
	s_and_b64 vcc, exec, s[26:27]
	s_cbranch_vccz .LBB94_2330
; %bb.2311:
	s_cmp_lt_i32 s34, 27
	s_cbranch_scc1 .LBB94_2314
; %bb.2312:
	s_cmp_gt_i32 s34, 27
	s_cbranch_scc0 .LBB94_2315
; %bb.2313:
	global_load_dword v4, v[2:3], off
	s_mov_b64 s[24:25], 0
	s_waitcnt vmcnt(0)
	v_cvt_f64_u32_e32 v[4:5], v4
	s_branch .LBB94_2316
.LBB94_2314:
	s_mov_b64 s[24:25], -1
                                        ; implicit-def: $vgpr4_vgpr5
	s_branch .LBB94_2319
.LBB94_2315:
	s_mov_b64 s[24:25], -1
                                        ; implicit-def: $vgpr4_vgpr5
.LBB94_2316:
	s_andn2_b64 vcc, exec, s[24:25]
	s_cbranch_vccnz .LBB94_2318
; %bb.2317:
	global_load_ushort v4, v[2:3], off
	s_waitcnt vmcnt(0)
	v_cvt_f64_u32_e32 v[4:5], v4
.LBB94_2318:
	s_mov_b64 s[24:25], 0
.LBB94_2319:
	s_andn2_b64 vcc, exec, s[24:25]
	s_cbranch_vccnz .LBB94_2329
; %bb.2320:
	global_load_ubyte v9, v[2:3], off
	s_movk_i32 s24, 0x7f
	s_waitcnt vmcnt(0)
	v_cmp_lt_i16_e32 vcc, s24, v9
	s_mov_b64 s[24:25], 0
	s_and_saveexec_b64 s[26:27], vcc
	s_xor_b64 s[26:27], exec, s[26:27]
	s_cbranch_execz .LBB94_2324
; %bb.2321:
	s_movk_i32 s24, 0x80
	v_cmp_eq_u16_e32 vcc, s24, v9
	s_mov_b64 s[24:25], -1
	s_and_saveexec_b64 s[28:29], vcc
; %bb.2322:
	s_xor_b64 s[24:25], exec, -1
; %bb.2323:
	s_or_b64 exec, exec, s[28:29]
	s_and_b64 s[24:25], s[24:25], exec
.LBB94_2324:
	s_or_saveexec_b64 s[26:27], s[26:27]
	v_bfrev_b32_e32 v4, 4
	v_mov_b32_e32 v5, 0x7ff80000
	s_xor_b64 exec, exec, s[26:27]
; %bb.2325:
	v_cmp_ne_u16_e32 vcc, 0, v9
	v_mov_b32_e32 v4, 0
	s_andn2_b64 s[24:25], s[24:25], exec
	s_and_b64 s[28:29], vcc, exec
	v_mov_b32_e32 v5, 0
	s_or_b64 s[24:25], s[24:25], s[28:29]
; %bb.2326:
	s_or_b64 exec, exec, s[26:27]
	s_and_saveexec_b64 s[26:27], s[24:25]
	s_cbranch_execz .LBB94_2328
; %bb.2327:
	v_and_b32_e32 v5, 0xffff, v9
	v_lshlrev_b32_e32 v4, 24, v9
	v_and_b32_e32 v9, 7, v5
	v_ffbh_u32_e32 v11, v9
	v_min_u32_e32 v11, 32, v11
	v_subrev_u32_e32 v12, 28, v11
	v_bfe_u32 v10, v5, 3, 4
	v_lshlrev_b32_e32 v5, v12, v5
	v_sub_u32_e32 v11, 29, v11
	v_and_b32_e32 v5, 7, v5
	v_cmp_eq_u32_e32 vcc, 0, v10
	v_cndmask_b32_e32 v10, v10, v11, vcc
	v_cndmask_b32_e32 v5, v9, v5, vcc
	v_mov_b32_e32 v9, 0x3b800000
	v_lshlrev_b32_e32 v5, 20, v5
	v_and_b32_e32 v4, 0x80000000, v4
	v_lshl_add_u32 v9, v10, 23, v9
	v_or3_b32 v4, v4, v9, v5
	v_cvt_f64_f32_e32 v[4:5], v4
.LBB94_2328:
	s_or_b64 exec, exec, s[26:27]
.LBB94_2329:
	s_mov_b64 s[24:25], -1
.LBB94_2330:
	s_mov_b64 s[26:27], 0
.LBB94_2331:
	s_and_b64 vcc, exec, s[26:27]
	s_cbranch_vccz .LBB94_2362
; %bb.2332:
	s_cmp_gt_i32 s34, 22
	s_cbranch_scc0 .LBB94_2344
; %bb.2333:
	s_cmp_lt_i32 s34, 24
	s_cbranch_scc1 .LBB94_2345
; %bb.2334:
	s_cmp_gt_i32 s34, 24
	s_cbranch_scc0 .LBB94_2346
; %bb.2335:
	global_load_ubyte v9, v[2:3], off
	s_movk_i32 s22, 0x7f
	s_waitcnt vmcnt(0)
	v_cmp_lt_i16_e32 vcc, s22, v9
	s_mov_b64 s[22:23], 0
	s_and_saveexec_b64 s[24:25], vcc
	s_xor_b64 s[24:25], exec, s[24:25]
	s_cbranch_execz .LBB94_2339
; %bb.2336:
	s_movk_i32 s22, 0x80
	v_cmp_eq_u16_e32 vcc, s22, v9
	s_mov_b64 s[22:23], -1
	s_and_saveexec_b64 s[26:27], vcc
; %bb.2337:
	s_xor_b64 s[22:23], exec, -1
; %bb.2338:
	s_or_b64 exec, exec, s[26:27]
	s_and_b64 s[22:23], s[22:23], exec
.LBB94_2339:
	s_or_saveexec_b64 s[24:25], s[24:25]
	v_bfrev_b32_e32 v4, 4
	v_mov_b32_e32 v5, 0x7ff80000
	s_xor_b64 exec, exec, s[24:25]
; %bb.2340:
	v_cmp_ne_u16_e32 vcc, 0, v9
	v_mov_b32_e32 v4, 0
	s_andn2_b64 s[22:23], s[22:23], exec
	s_and_b64 s[26:27], vcc, exec
	v_mov_b32_e32 v5, 0
	s_or_b64 s[22:23], s[22:23], s[26:27]
; %bb.2341:
	s_or_b64 exec, exec, s[24:25]
	s_and_saveexec_b64 s[24:25], s[22:23]
	s_cbranch_execz .LBB94_2343
; %bb.2342:
	v_and_b32_e32 v5, 0xffff, v9
	v_lshlrev_b32_e32 v4, 24, v9
	v_and_b32_e32 v9, 3, v5
	v_ffbh_u32_e32 v11, v9
	v_min_u32_e32 v11, 32, v11
	v_subrev_u32_e32 v12, 29, v11
	v_bfe_u32 v10, v5, 2, 5
	v_lshlrev_b32_e32 v5, v12, v5
	v_sub_u32_e32 v11, 30, v11
	v_and_b32_e32 v5, 3, v5
	v_cmp_eq_u32_e32 vcc, 0, v10
	v_cndmask_b32_e32 v10, v10, v11, vcc
	v_cndmask_b32_e32 v5, v9, v5, vcc
	v_mov_b32_e32 v9, 0x37800000
	v_lshlrev_b32_e32 v5, 21, v5
	v_and_b32_e32 v4, 0x80000000, v4
	v_lshl_add_u32 v9, v10, 23, v9
	v_or3_b32 v4, v4, v9, v5
	v_cvt_f64_f32_e32 v[4:5], v4
.LBB94_2343:
	s_or_b64 exec, exec, s[24:25]
	s_mov_b64 s[22:23], 0
	s_branch .LBB94_2347
.LBB94_2344:
	s_mov_b64 s[22:23], -1
                                        ; implicit-def: $vgpr4_vgpr5
	s_branch .LBB94_2353
.LBB94_2345:
	s_mov_b64 s[22:23], -1
                                        ; implicit-def: $vgpr4_vgpr5
	s_branch .LBB94_2350
.LBB94_2346:
	s_mov_b64 s[22:23], -1
                                        ; implicit-def: $vgpr4_vgpr5
.LBB94_2347:
	s_and_b64 vcc, exec, s[22:23]
	s_cbranch_vccz .LBB94_2349
; %bb.2348:
	global_load_ubyte v4, v[2:3], off
	s_mov_b32 s22, 0x7f800000
	s_waitcnt vmcnt(0)
	v_lshlrev_b32_e32 v4, 24, v4
	v_and_b32_e32 v5, 0x7f000000, v4
	v_ffbh_u32_e32 v9, v5
	v_min_u32_e32 v9, 32, v9
	v_sub_u32_e64 v9, v9, 4 clamp
	v_lshlrev_b32_e32 v11, v9, v5
	v_lshlrev_b32_e32 v9, 23, v9
	v_lshrrev_b32_e32 v11, 4, v11
	v_add_u32_e32 v10, 0x1000000, v5
	v_sub_u32_e32 v9, v11, v9
	v_ashrrev_i32_e32 v10, 8, v10
	v_add_u32_e32 v9, 0x3c000000, v9
	v_and_or_b32 v9, v10, s22, v9
	v_cmp_ne_u32_e32 vcc, 0, v5
	v_cndmask_b32_e32 v5, 0, v9, vcc
	s_brev_b32 s22, 1
	v_and_or_b32 v4, v4, s22, v5
	v_cvt_f64_f32_e32 v[4:5], v4
.LBB94_2349:
	s_mov_b64 s[22:23], 0
.LBB94_2350:
	s_andn2_b64 vcc, exec, s[22:23]
	s_cbranch_vccnz .LBB94_2352
; %bb.2351:
	global_load_ubyte v4, v[2:3], off
	s_movk_i32 s22, 0x7f00
	s_brev_b32 s23, 16
	s_waitcnt vmcnt(0)
	v_lshlrev_b16_e32 v5, 8, v4
	v_lshlrev_b32_e32 v4, 25, v4
	v_lshrrev_b32_e32 v9, 4, v4
	v_and_or_b32 v10, v5, s22, 0.5
	v_or_b32_e32 v9, 0x70000000, v9
	v_add_f32_e32 v10, -0.5, v10
	v_mul_f32_e32 v9, 0x7800000, v9
	v_cmp_gt_u32_e32 vcc, s23, v4
	v_bfe_i32 v5, v5, 0, 16
	v_cndmask_b32_e32 v4, v9, v10, vcc
	s_brev_b32 s22, 1
	v_and_or_b32 v4, v5, s22, v4
	v_cvt_f64_f32_e32 v[4:5], v4
.LBB94_2352:
	s_mov_b64 s[22:23], 0
	s_mov_b64 s[24:25], -1
.LBB94_2353:
	s_andn2_b64 vcc, exec, s[22:23]
	s_mov_b64 s[22:23], 0
	s_cbranch_vccnz .LBB94_2362
; %bb.2354:
	s_cmp_gt_i32 s34, 14
	s_cbranch_scc0 .LBB94_2357
; %bb.2355:
	s_cmp_eq_u32 s34, 15
	s_cbranch_scc0 .LBB94_2358
; %bb.2356:
	global_load_ushort v4, v[2:3], off
	s_mov_b64 s[0:1], 0
	s_mov_b64 s[24:25], -1
	s_waitcnt vmcnt(0)
	v_lshlrev_b32_e32 v4, 16, v4
	v_cvt_f64_f32_e32 v[4:5], v4
	s_branch .LBB94_2359
.LBB94_2357:
	s_mov_b64 s[26:27], -1
                                        ; implicit-def: $vgpr4_vgpr5
	s_branch .LBB94_2360
.LBB94_2358:
	s_mov_b64 s[0:1], -1
                                        ; implicit-def: $vgpr4_vgpr5
.LBB94_2359:
	s_mov_b64 s[26:27], 0
.LBB94_2360:
	s_and_b64 vcc, exec, s[26:27]
	s_cbranch_vccz .LBB94_2362
; %bb.2361:
	s_cmp_lg_u32 s34, 11
	s_mov_b64 s[22:23], -1
	s_cselect_b64 s[0:1], -1, 0
.LBB94_2362:
	s_and_b64 vcc, exec, s[0:1]
	s_cbranch_vccnz .LBB94_2444
; %bb.2363:
	s_andn2_b64 vcc, exec, s[22:23]
	s_cbranch_vccnz .LBB94_2365
.LBB94_2364:
	global_load_ubyte v5, v[2:3], off
	v_mov_b32_e32 v9, 0x3ff00000
	v_mov_b32_e32 v4, 0
	s_mov_b64 s[24:25], -1
	s_waitcnt vmcnt(0)
	v_cmp_ne_u16_e32 vcc, 0, v5
	v_cndmask_b32_e32 v5, 0, v9, vcc
.LBB94_2365:
	s_mov_b64 s[0:1], 0
.LBB94_2366:
	s_and_b64 vcc, exec, s[0:1]
	s_cbranch_vccz .LBB94_2415
; %bb.2367:
	s_and_b32 s22, 0xffff, s31
	s_cmp_lt_i32 s22, 5
	s_cbranch_scc1 .LBB94_2372
; %bb.2368:
	s_cmp_lt_i32 s22, 8
	s_cbranch_scc1 .LBB94_2373
; %bb.2369:
	;; [unrolled: 3-line block ×3, first 2 shown]
	s_cmp_gt_i32 s22, 9
	s_cbranch_scc0 .LBB94_2375
; %bb.2371:
	global_load_dwordx2 v[4:5], v[2:3], off
	s_mov_b64 s[0:1], 0
	s_branch .LBB94_2376
.LBB94_2372:
	s_mov_b64 s[0:1], -1
                                        ; implicit-def: $vgpr4_vgpr5
	s_branch .LBB94_2394
.LBB94_2373:
	s_mov_b64 s[0:1], -1
                                        ; implicit-def: $vgpr4_vgpr5
	s_branch .LBB94_2382
.LBB94_2374:
	s_mov_b64 s[0:1], -1
                                        ; implicit-def: $vgpr4_vgpr5
	s_branch .LBB94_2379
.LBB94_2375:
	s_mov_b64 s[0:1], -1
                                        ; implicit-def: $vgpr4_vgpr5
.LBB94_2376:
	s_andn2_b64 vcc, exec, s[0:1]
	s_cbranch_vccnz .LBB94_2378
; %bb.2377:
	global_load_dword v4, v[2:3], off
	s_waitcnt vmcnt(0)
	v_cvt_f64_f32_e32 v[4:5], v4
.LBB94_2378:
	s_mov_b64 s[0:1], 0
.LBB94_2379:
	s_andn2_b64 vcc, exec, s[0:1]
	s_cbranch_vccnz .LBB94_2381
; %bb.2380:
	global_load_dword v4, v[2:3], off
	s_waitcnt vmcnt(0)
	v_cvt_f32_f16_e32 v4, v4
	v_cvt_f64_f32_e32 v[4:5], v4
.LBB94_2381:
	s_mov_b64 s[0:1], 0
.LBB94_2382:
	s_andn2_b64 vcc, exec, s[0:1]
	s_cbranch_vccnz .LBB94_2393
; %bb.2383:
	s_cmp_lt_i32 s22, 6
	s_cbranch_scc1 .LBB94_2386
; %bb.2384:
	s_cmp_gt_i32 s22, 6
	s_cbranch_scc0 .LBB94_2387
; %bb.2385:
	global_load_dwordx2 v[4:5], v[2:3], off
	s_mov_b64 s[0:1], 0
	s_branch .LBB94_2388
.LBB94_2386:
	s_mov_b64 s[0:1], -1
                                        ; implicit-def: $vgpr4_vgpr5
	s_branch .LBB94_2391
.LBB94_2387:
	s_mov_b64 s[0:1], -1
                                        ; implicit-def: $vgpr4_vgpr5
.LBB94_2388:
	s_andn2_b64 vcc, exec, s[0:1]
	s_cbranch_vccnz .LBB94_2390
; %bb.2389:
	global_load_dword v4, v[2:3], off
	s_waitcnt vmcnt(0)
	v_cvt_f64_f32_e32 v[4:5], v4
.LBB94_2390:
	s_mov_b64 s[0:1], 0
.LBB94_2391:
	s_andn2_b64 vcc, exec, s[0:1]
	s_cbranch_vccnz .LBB94_2393
; %bb.2392:
	global_load_ushort v4, v[2:3], off
	s_waitcnt vmcnt(0)
	v_cvt_f32_f16_e32 v4, v4
	v_cvt_f64_f32_e32 v[4:5], v4
.LBB94_2393:
	s_mov_b64 s[0:1], 0
.LBB94_2394:
	s_andn2_b64 vcc, exec, s[0:1]
	s_cbranch_vccnz .LBB94_2414
; %bb.2395:
	s_cmp_lt_i32 s22, 2
	s_cbranch_scc1 .LBB94_2399
; %bb.2396:
	s_cmp_lt_i32 s22, 3
	s_cbranch_scc1 .LBB94_2400
; %bb.2397:
	s_cmp_gt_i32 s22, 3
	s_cbranch_scc0 .LBB94_2401
; %bb.2398:
	global_load_dwordx2 v[4:5], v[2:3], off
	s_mov_b64 s[0:1], 0
	s_waitcnt vmcnt(0)
	v_cvt_f64_i32_e32 v[9:10], v5
	v_cvt_f64_u32_e32 v[4:5], v4
	v_ldexp_f64 v[9:10], v[9:10], 32
	v_add_f64 v[4:5], v[9:10], v[4:5]
	s_branch .LBB94_2402
.LBB94_2399:
	s_mov_b64 s[0:1], -1
                                        ; implicit-def: $vgpr4_vgpr5
	s_branch .LBB94_2408
.LBB94_2400:
	s_mov_b64 s[0:1], -1
                                        ; implicit-def: $vgpr4_vgpr5
	s_branch .LBB94_2405
.LBB94_2401:
	s_mov_b64 s[0:1], -1
                                        ; implicit-def: $vgpr4_vgpr5
.LBB94_2402:
	s_andn2_b64 vcc, exec, s[0:1]
	s_cbranch_vccnz .LBB94_2404
; %bb.2403:
	global_load_dword v4, v[2:3], off
	s_waitcnt vmcnt(0)
	v_cvt_f64_i32_e32 v[4:5], v4
.LBB94_2404:
	s_mov_b64 s[0:1], 0
.LBB94_2405:
	s_andn2_b64 vcc, exec, s[0:1]
	s_cbranch_vccnz .LBB94_2407
; %bb.2406:
	global_load_sshort v4, v[2:3], off
	s_waitcnt vmcnt(0)
	v_cvt_f64_i32_e32 v[4:5], v4
.LBB94_2407:
	s_mov_b64 s[0:1], 0
.LBB94_2408:
	s_andn2_b64 vcc, exec, s[0:1]
	s_cbranch_vccnz .LBB94_2414
; %bb.2409:
	s_cmp_gt_i32 s22, 0
	s_cbranch_scc0 .LBB94_2411
; %bb.2410:
	global_load_sbyte v4, v[2:3], off
	s_mov_b64 s[0:1], 0
	s_waitcnt vmcnt(0)
	v_cvt_f64_i32_e32 v[4:5], v4
	s_branch .LBB94_2412
.LBB94_2411:
	s_mov_b64 s[0:1], -1
                                        ; implicit-def: $vgpr4_vgpr5
.LBB94_2412:
	s_andn2_b64 vcc, exec, s[0:1]
	s_cbranch_vccnz .LBB94_2414
; %bb.2413:
	global_load_ubyte v2, v[2:3], off
	s_waitcnt vmcnt(0)
	v_cvt_f64_u32_e32 v[4:5], v2
.LBB94_2414:
	s_mov_b64 s[24:25], -1
.LBB94_2415:
	s_andn2_b64 vcc, exec, s[24:25]
	s_cbranch_vccnz .LBB94_2697
; %bb.2416:
	s_cmp_lt_i32 s15, 1
	s_mov_b64 s[0:1], 0
	s_cbranch_scc1 .LBB94_2420
; %bb.2417:
	s_cmp_gt_i32 s15, 1
	s_cbranch_scc0 .LBB94_2421
; %bb.2418:
	s_cmp_eq_u32 s15, 2
	s_cbranch_scc0 .LBB94_2422
; %bb.2419:
	s_waitcnt vmcnt(0)
	v_cmp_le_f64_e64 s[22:23], v[0:1], v[4:5]
	s_mov_b64 s[24:25], 0
	s_branch .LBB94_2423
.LBB94_2420:
	s_mov_b64 s[26:27], -1
                                        ; implicit-def: $sgpr22_sgpr23
	s_mov_b64 s[24:25], 0
	s_branch .LBB94_2427
.LBB94_2421:
	s_mov_b64 s[26:27], -1
	s_mov_b64 s[24:25], 0
                                        ; implicit-def: $sgpr22_sgpr23
	s_branch .LBB94_2424
.LBB94_2422:
	s_mov_b64 s[24:25], -1
                                        ; implicit-def: $sgpr22_sgpr23
.LBB94_2423:
	s_mov_b64 s[26:27], 0
.LBB94_2424:
	s_and_b64 vcc, exec, s[26:27]
	s_cbranch_vccz .LBB94_2426
; %bb.2425:
	s_waitcnt vmcnt(0)
	v_cmp_gt_f64_e32 vcc, v[0:1], v[4:5]
	s_andn2_b64 s[22:23], s[22:23], exec
	s_and_b64 s[26:27], vcc, exec
	s_or_b64 s[22:23], s[22:23], s[26:27]
.LBB94_2426:
	s_mov_b64 s[26:27], 0
.LBB94_2427:
	s_and_b64 vcc, exec, s[26:27]
	s_cbranch_vccz .LBB94_2438
; %bb.2428:
	s_cmp_lg_u32 s15, 0
	s_mov_b64 s[0:1], -1
	s_cselect_b64 s[24:25], -1, 0
	s_andn2_b64 vcc, exec, s[24:25]
	s_cbranch_vccz .LBB94_2439
.LBB94_2429:
	s_andn2_b64 vcc, exec, s[0:1]
	s_cbranch_vccnz .LBB94_2431
.LBB94_2430:
	s_waitcnt vmcnt(0)
	v_cmp_ge_f64_e32 vcc, v[0:1], v[4:5]
	s_andn2_b64 s[0:1], s[22:23], exec
	s_and_b64 s[22:23], vcc, exec
	s_or_b64 s[22:23], s[0:1], s[22:23]
.LBB94_2431:
	s_waitcnt vmcnt(0)
	v_add_u32_e32 v0, s13, v7
	v_ashrrev_i32_e32 v1, 31, v0
	v_mov_b32_e32 v3, s11
	v_add_co_u32_e32 v2, vcc, s10, v0
	s_cmp_lt_i32 s30, 11
	v_addc_co_u32_e32 v3, vcc, v3, v1, vcc
	s_cbranch_scc1 .LBB94_2440
; %bb.2432:
	s_and_b32 s13, 0xffff, s30
	s_cmp_gt_i32 s13, 25
	s_mov_b64 s[10:11], 0
	s_cbranch_scc0 .LBB94_2441
; %bb.2433:
	s_cmp_gt_i32 s13, 28
	s_cbranch_scc0 .LBB94_2442
; %bb.2434:
	s_cmp_gt_i32 s13, 43
	;; [unrolled: 3-line block ×3, first 2 shown]
	s_cbranch_scc0 .LBB94_2445
; %bb.2436:
	s_cmp_eq_u32 s13, 46
	s_mov_b64 s[26:27], 0
	s_cbranch_scc0 .LBB94_2446
; %bb.2437:
	global_load_dword v0, v[2:3], off
	s_mov_b64 s[0:1], 0
	s_mov_b64 s[24:25], -1
	s_waitcnt vmcnt(0)
	v_lshlrev_b32_e32 v0, 16, v0
	v_cvt_f64_f32_e32 v[0:1], v0
	s_branch .LBB94_2447
.LBB94_2438:
	s_andn2_b64 vcc, exec, s[24:25]
	s_cbranch_vccnz .LBB94_2429
.LBB94_2439:
	s_waitcnt vmcnt(0)
	v_cmp_lt_f64_e32 vcc, v[0:1], v[4:5]
	s_andn2_b64 s[22:23], s[22:23], exec
	s_and_b64 s[24:25], vcc, exec
	s_or_b64 s[22:23], s[22:23], s[24:25]
	s_cbranch_execz .LBB94_2430
	s_branch .LBB94_2431
.LBB94_2440:
	s_mov_b64 s[0:1], -1
	s_mov_b64 s[24:25], 0
                                        ; implicit-def: $vgpr0_vgpr1
	s_branch .LBB94_2513
.LBB94_2441:
	s_mov_b64 s[26:27], -1
	s_mov_b64 s[24:25], 0
	s_mov_b64 s[0:1], 0
                                        ; implicit-def: $vgpr0_vgpr1
	s_branch .LBB94_2478
.LBB94_2442:
	s_mov_b64 s[26:27], -1
	s_mov_b64 s[24:25], 0
	s_mov_b64 s[0:1], 0
                                        ; implicit-def: $vgpr0_vgpr1
	s_branch .LBB94_2457
.LBB94_2443:
	s_mov_b64 s[26:27], -1
	s_mov_b64 s[24:25], 0
	s_mov_b64 s[0:1], 0
                                        ; implicit-def: $vgpr0_vgpr1
	s_branch .LBB94_2452
.LBB94_2444:
	s_trap 2
	s_or_b64 s[18:19], s[18:19], exec
	s_cbranch_execz .LBB94_2364
	s_branch .LBB94_2365
.LBB94_2445:
	s_mov_b64 s[26:27], -1
	s_mov_b64 s[24:25], 0
	s_mov_b64 s[0:1], 0
                                        ; implicit-def: $vgpr0_vgpr1
	s_branch .LBB94_2447
.LBB94_2446:
	s_mov_b64 s[0:1], -1
                                        ; implicit-def: $vgpr0_vgpr1
	s_mov_b64 s[24:25], 0
.LBB94_2447:
	s_and_b64 vcc, exec, s[26:27]
	s_cbranch_vccz .LBB94_2451
; %bb.2448:
	s_cmp_eq_u32 s13, 44
	s_cbranch_scc0 .LBB94_2450
; %bb.2449:
	global_load_ubyte v4, v[2:3], off
	s_movk_i32 s24, 0xff
	v_bfrev_b32_e32 v5, 4
	v_mov_b32_e32 v7, 0x7ff80000
	v_bfrev_b32_e32 v9, 28
	s_mov_b64 s[0:1], 0
	s_waitcnt vmcnt(0)
	v_lshlrev_b32_e32 v0, 23, v4
	v_cvt_f64_f32_e32 v[0:1], v0
	v_cmp_ne_u32_e32 vcc, s24, v4
	s_mov_b64 s[24:25], -1
	v_cndmask_b32_e32 v0, v5, v0, vcc
	v_cndmask_b32_e32 v1, v7, v1, vcc
	v_cmp_ne_u32_e32 vcc, 0, v4
	v_cndmask_b32_e32 v1, v9, v1, vcc
	v_cndmask_b32_e32 v0, 0, v0, vcc
	s_branch .LBB94_2451
.LBB94_2450:
	s_mov_b64 s[0:1], -1
                                        ; implicit-def: $vgpr0_vgpr1
.LBB94_2451:
	s_mov_b64 s[26:27], 0
.LBB94_2452:
	s_and_b64 vcc, exec, s[26:27]
	s_cbranch_vccz .LBB94_2456
; %bb.2453:
	s_cmp_eq_u32 s13, 29
	s_cbranch_scc0 .LBB94_2455
; %bb.2454:
	global_load_dwordx2 v[0:1], v[2:3], off
	s_mov_b64 s[0:1], 0
	s_mov_b64 s[24:25], -1
	s_mov_b64 s[26:27], 0
	s_waitcnt vmcnt(0)
	v_cvt_f64_u32_e32 v[4:5], v1
	v_cvt_f64_u32_e32 v[0:1], v0
	v_ldexp_f64 v[4:5], v[4:5], 32
	v_add_f64 v[0:1], v[4:5], v[0:1]
	s_branch .LBB94_2457
.LBB94_2455:
	s_mov_b64 s[0:1], -1
                                        ; implicit-def: $vgpr0_vgpr1
.LBB94_2456:
	s_mov_b64 s[26:27], 0
.LBB94_2457:
	s_and_b64 vcc, exec, s[26:27]
	s_cbranch_vccz .LBB94_2477
; %bb.2458:
	s_cmp_lt_i32 s13, 27
	s_cbranch_scc1 .LBB94_2461
; %bb.2459:
	s_cmp_gt_i32 s13, 27
	s_cbranch_scc0 .LBB94_2462
; %bb.2460:
	global_load_dword v0, v[2:3], off
	s_mov_b64 s[24:25], 0
	s_waitcnt vmcnt(0)
	v_cvt_f64_u32_e32 v[0:1], v0
	s_branch .LBB94_2463
.LBB94_2461:
	s_mov_b64 s[24:25], -1
                                        ; implicit-def: $vgpr0_vgpr1
	s_branch .LBB94_2466
.LBB94_2462:
	s_mov_b64 s[24:25], -1
                                        ; implicit-def: $vgpr0_vgpr1
.LBB94_2463:
	s_andn2_b64 vcc, exec, s[24:25]
	s_cbranch_vccnz .LBB94_2465
; %bb.2464:
	global_load_ushort v0, v[2:3], off
	s_waitcnt vmcnt(0)
	v_cvt_f64_u32_e32 v[0:1], v0
.LBB94_2465:
	s_mov_b64 s[24:25], 0
.LBB94_2466:
	s_andn2_b64 vcc, exec, s[24:25]
	s_cbranch_vccnz .LBB94_2476
; %bb.2467:
	global_load_ubyte v4, v[2:3], off
	s_movk_i32 s24, 0x7f
	s_waitcnt vmcnt(0)
	v_cmp_lt_i16_e32 vcc, s24, v4
	s_mov_b64 s[24:25], 0
	s_and_saveexec_b64 s[26:27], vcc
	s_xor_b64 s[26:27], exec, s[26:27]
	s_cbranch_execz .LBB94_2471
; %bb.2468:
	s_movk_i32 s24, 0x80
	v_cmp_eq_u16_e32 vcc, s24, v4
	s_mov_b64 s[24:25], -1
	s_and_saveexec_b64 s[28:29], vcc
; %bb.2469:
	s_xor_b64 s[24:25], exec, -1
; %bb.2470:
	s_or_b64 exec, exec, s[28:29]
	s_and_b64 s[24:25], s[24:25], exec
.LBB94_2471:
	s_or_saveexec_b64 s[26:27], s[26:27]
	v_bfrev_b32_e32 v0, 4
	v_mov_b32_e32 v1, 0x7ff80000
	s_xor_b64 exec, exec, s[26:27]
; %bb.2472:
	v_cmp_ne_u16_e32 vcc, 0, v4
	v_mov_b32_e32 v0, 0
	s_andn2_b64 s[24:25], s[24:25], exec
	s_and_b64 s[28:29], vcc, exec
	v_mov_b32_e32 v1, 0
	s_or_b64 s[24:25], s[24:25], s[28:29]
; %bb.2473:
	s_or_b64 exec, exec, s[26:27]
	s_and_saveexec_b64 s[26:27], s[24:25]
	s_cbranch_execz .LBB94_2475
; %bb.2474:
	v_and_b32_e32 v1, 0xffff, v4
	v_lshlrev_b32_e32 v0, 24, v4
	v_and_b32_e32 v4, 7, v1
	v_ffbh_u32_e32 v7, v4
	v_min_u32_e32 v7, 32, v7
	v_subrev_u32_e32 v9, 28, v7
	v_bfe_u32 v5, v1, 3, 4
	v_lshlrev_b32_e32 v1, v9, v1
	v_sub_u32_e32 v7, 29, v7
	v_and_b32_e32 v1, 7, v1
	v_cmp_eq_u32_e32 vcc, 0, v5
	v_cndmask_b32_e32 v5, v5, v7, vcc
	v_cndmask_b32_e32 v1, v4, v1, vcc
	v_mov_b32_e32 v4, 0x3b800000
	v_lshlrev_b32_e32 v1, 20, v1
	v_and_b32_e32 v0, 0x80000000, v0
	v_lshl_add_u32 v4, v5, 23, v4
	v_or3_b32 v0, v0, v4, v1
	v_cvt_f64_f32_e32 v[0:1], v0
.LBB94_2475:
	s_or_b64 exec, exec, s[26:27]
.LBB94_2476:
	s_mov_b64 s[24:25], -1
.LBB94_2477:
	s_mov_b64 s[26:27], 0
.LBB94_2478:
	s_and_b64 vcc, exec, s[26:27]
	s_cbranch_vccz .LBB94_2509
; %bb.2479:
	s_cmp_gt_i32 s13, 22
	s_cbranch_scc0 .LBB94_2491
; %bb.2480:
	s_cmp_lt_i32 s13, 24
	s_cbranch_scc1 .LBB94_2492
; %bb.2481:
	s_cmp_gt_i32 s13, 24
	s_cbranch_scc0 .LBB94_2493
; %bb.2482:
	global_load_ubyte v4, v[2:3], off
	s_movk_i32 s10, 0x7f
	s_waitcnt vmcnt(0)
	v_cmp_lt_i16_e32 vcc, s10, v4
	s_mov_b64 s[10:11], 0
	s_and_saveexec_b64 s[24:25], vcc
	s_xor_b64 s[24:25], exec, s[24:25]
	s_cbranch_execz .LBB94_2486
; %bb.2483:
	s_movk_i32 s10, 0x80
	v_cmp_eq_u16_e32 vcc, s10, v4
	s_mov_b64 s[10:11], -1
	s_and_saveexec_b64 s[26:27], vcc
; %bb.2484:
	s_xor_b64 s[10:11], exec, -1
; %bb.2485:
	s_or_b64 exec, exec, s[26:27]
	s_and_b64 s[10:11], s[10:11], exec
.LBB94_2486:
	s_or_saveexec_b64 s[24:25], s[24:25]
	v_bfrev_b32_e32 v0, 4
	v_mov_b32_e32 v1, 0x7ff80000
	s_xor_b64 exec, exec, s[24:25]
; %bb.2487:
	v_cmp_ne_u16_e32 vcc, 0, v4
	v_mov_b32_e32 v0, 0
	s_andn2_b64 s[10:11], s[10:11], exec
	s_and_b64 s[26:27], vcc, exec
	v_mov_b32_e32 v1, 0
	s_or_b64 s[10:11], s[10:11], s[26:27]
; %bb.2488:
	s_or_b64 exec, exec, s[24:25]
	s_and_saveexec_b64 s[24:25], s[10:11]
	s_cbranch_execz .LBB94_2490
; %bb.2489:
	v_and_b32_e32 v1, 0xffff, v4
	v_lshlrev_b32_e32 v0, 24, v4
	v_and_b32_e32 v4, 3, v1
	v_ffbh_u32_e32 v7, v4
	v_min_u32_e32 v7, 32, v7
	v_subrev_u32_e32 v9, 29, v7
	v_bfe_u32 v5, v1, 2, 5
	v_lshlrev_b32_e32 v1, v9, v1
	v_sub_u32_e32 v7, 30, v7
	v_and_b32_e32 v1, 3, v1
	v_cmp_eq_u32_e32 vcc, 0, v5
	v_cndmask_b32_e32 v5, v5, v7, vcc
	v_cndmask_b32_e32 v1, v4, v1, vcc
	v_mov_b32_e32 v4, 0x37800000
	v_lshlrev_b32_e32 v1, 21, v1
	v_and_b32_e32 v0, 0x80000000, v0
	v_lshl_add_u32 v4, v5, 23, v4
	v_or3_b32 v0, v0, v4, v1
	v_cvt_f64_f32_e32 v[0:1], v0
.LBB94_2490:
	s_or_b64 exec, exec, s[24:25]
	s_mov_b64 s[10:11], 0
	s_branch .LBB94_2494
.LBB94_2491:
	s_mov_b64 s[10:11], -1
                                        ; implicit-def: $vgpr0_vgpr1
	s_branch .LBB94_2500
.LBB94_2492:
	s_mov_b64 s[10:11], -1
                                        ; implicit-def: $vgpr0_vgpr1
	s_branch .LBB94_2497
.LBB94_2493:
	s_mov_b64 s[10:11], -1
                                        ; implicit-def: $vgpr0_vgpr1
.LBB94_2494:
	s_and_b64 vcc, exec, s[10:11]
	s_cbranch_vccz .LBB94_2496
; %bb.2495:
	global_load_ubyte v0, v[2:3], off
	s_mov_b32 s10, 0x7f800000
	s_waitcnt vmcnt(0)
	v_lshlrev_b32_e32 v0, 24, v0
	v_and_b32_e32 v1, 0x7f000000, v0
	v_ffbh_u32_e32 v4, v1
	v_min_u32_e32 v4, 32, v4
	v_sub_u32_e64 v4, v4, 4 clamp
	v_lshlrev_b32_e32 v7, v4, v1
	v_lshlrev_b32_e32 v4, 23, v4
	v_lshrrev_b32_e32 v7, 4, v7
	v_add_u32_e32 v5, 0x1000000, v1
	v_sub_u32_e32 v4, v7, v4
	v_ashrrev_i32_e32 v5, 8, v5
	v_add_u32_e32 v4, 0x3c000000, v4
	v_and_or_b32 v4, v5, s10, v4
	v_cmp_ne_u32_e32 vcc, 0, v1
	v_cndmask_b32_e32 v1, 0, v4, vcc
	s_brev_b32 s10, 1
	v_and_or_b32 v0, v0, s10, v1
	v_cvt_f64_f32_e32 v[0:1], v0
.LBB94_2496:
	s_mov_b64 s[10:11], 0
.LBB94_2497:
	s_andn2_b64 vcc, exec, s[10:11]
	s_cbranch_vccnz .LBB94_2499
; %bb.2498:
	global_load_ubyte v0, v[2:3], off
	s_movk_i32 s10, 0x7f00
	s_brev_b32 s11, 16
	s_waitcnt vmcnt(0)
	v_lshlrev_b16_e32 v1, 8, v0
	v_lshlrev_b32_e32 v0, 25, v0
	v_lshrrev_b32_e32 v4, 4, v0
	v_and_or_b32 v5, v1, s10, 0.5
	v_or_b32_e32 v4, 0x70000000, v4
	v_add_f32_e32 v5, -0.5, v5
	v_mul_f32_e32 v4, 0x7800000, v4
	v_cmp_gt_u32_e32 vcc, s11, v0
	v_bfe_i32 v1, v1, 0, 16
	v_cndmask_b32_e32 v0, v4, v5, vcc
	s_brev_b32 s10, 1
	v_and_or_b32 v0, v1, s10, v0
	v_cvt_f64_f32_e32 v[0:1], v0
.LBB94_2499:
	s_mov_b64 s[10:11], 0
	s_mov_b64 s[24:25], -1
.LBB94_2500:
	s_andn2_b64 vcc, exec, s[10:11]
	s_mov_b64 s[10:11], 0
	s_cbranch_vccnz .LBB94_2509
; %bb.2501:
	s_cmp_gt_i32 s13, 14
	s_cbranch_scc0 .LBB94_2504
; %bb.2502:
	s_cmp_eq_u32 s13, 15
	s_cbranch_scc0 .LBB94_2505
; %bb.2503:
	global_load_ushort v0, v[2:3], off
	s_mov_b64 s[0:1], 0
	s_mov_b64 s[24:25], -1
	s_waitcnt vmcnt(0)
	v_lshlrev_b32_e32 v0, 16, v0
	v_cvt_f64_f32_e32 v[0:1], v0
	s_branch .LBB94_2506
.LBB94_2504:
	s_mov_b64 s[26:27], -1
                                        ; implicit-def: $vgpr0_vgpr1
	s_branch .LBB94_2507
.LBB94_2505:
	s_mov_b64 s[0:1], -1
                                        ; implicit-def: $vgpr0_vgpr1
.LBB94_2506:
	s_mov_b64 s[26:27], 0
.LBB94_2507:
	s_and_b64 vcc, exec, s[26:27]
	s_cbranch_vccz .LBB94_2509
; %bb.2508:
	s_cmp_lg_u32 s13, 11
	s_mov_b64 s[10:11], -1
	s_cselect_b64 s[0:1], -1, 0
.LBB94_2509:
	s_and_b64 vcc, exec, s[0:1]
	s_cbranch_vccnz .LBB94_2574
; %bb.2510:
	s_andn2_b64 vcc, exec, s[10:11]
	s_cbranch_vccnz .LBB94_2512
.LBB94_2511:
	global_load_ubyte v1, v[2:3], off
	v_mov_b32_e32 v4, 0x3ff00000
	v_mov_b32_e32 v0, 0
	s_mov_b64 s[24:25], -1
	s_waitcnt vmcnt(0)
	v_cmp_ne_u16_e32 vcc, 0, v1
	v_cndmask_b32_e32 v1, 0, v4, vcc
.LBB94_2512:
	s_mov_b64 s[0:1], 0
.LBB94_2513:
	s_and_b64 vcc, exec, s[0:1]
	s_cbranch_vccz .LBB94_2562
; %bb.2514:
	s_and_b32 s10, 0xffff, s30
	s_cmp_lt_i32 s10, 5
	s_cbranch_scc1 .LBB94_2519
; %bb.2515:
	s_cmp_lt_i32 s10, 8
	s_cbranch_scc1 .LBB94_2520
; %bb.2516:
	;; [unrolled: 3-line block ×3, first 2 shown]
	s_cmp_gt_i32 s10, 9
	s_cbranch_scc0 .LBB94_2522
; %bb.2518:
	global_load_dwordx2 v[0:1], v[2:3], off
	s_mov_b64 s[0:1], 0
	s_branch .LBB94_2523
.LBB94_2519:
	s_mov_b64 s[0:1], -1
                                        ; implicit-def: $vgpr0_vgpr1
	s_branch .LBB94_2541
.LBB94_2520:
	s_mov_b64 s[0:1], -1
                                        ; implicit-def: $vgpr0_vgpr1
	s_branch .LBB94_2529
.LBB94_2521:
	s_mov_b64 s[0:1], -1
                                        ; implicit-def: $vgpr0_vgpr1
	s_branch .LBB94_2526
.LBB94_2522:
	s_mov_b64 s[0:1], -1
                                        ; implicit-def: $vgpr0_vgpr1
.LBB94_2523:
	s_andn2_b64 vcc, exec, s[0:1]
	s_cbranch_vccnz .LBB94_2525
; %bb.2524:
	global_load_dword v0, v[2:3], off
	s_waitcnt vmcnt(0)
	v_cvt_f64_f32_e32 v[0:1], v0
.LBB94_2525:
	s_mov_b64 s[0:1], 0
.LBB94_2526:
	s_andn2_b64 vcc, exec, s[0:1]
	s_cbranch_vccnz .LBB94_2528
; %bb.2527:
	global_load_dword v0, v[2:3], off
	s_waitcnt vmcnt(0)
	v_cvt_f32_f16_e32 v0, v0
	v_cvt_f64_f32_e32 v[0:1], v0
.LBB94_2528:
	s_mov_b64 s[0:1], 0
.LBB94_2529:
	s_andn2_b64 vcc, exec, s[0:1]
	s_cbranch_vccnz .LBB94_2540
; %bb.2530:
	s_cmp_lt_i32 s10, 6
	s_cbranch_scc1 .LBB94_2533
; %bb.2531:
	s_cmp_gt_i32 s10, 6
	s_cbranch_scc0 .LBB94_2534
; %bb.2532:
	global_load_dwordx2 v[0:1], v[2:3], off
	s_mov_b64 s[0:1], 0
	s_branch .LBB94_2535
.LBB94_2533:
	s_mov_b64 s[0:1], -1
                                        ; implicit-def: $vgpr0_vgpr1
	s_branch .LBB94_2538
.LBB94_2534:
	s_mov_b64 s[0:1], -1
                                        ; implicit-def: $vgpr0_vgpr1
.LBB94_2535:
	s_andn2_b64 vcc, exec, s[0:1]
	s_cbranch_vccnz .LBB94_2537
; %bb.2536:
	global_load_dword v0, v[2:3], off
	s_waitcnt vmcnt(0)
	v_cvt_f64_f32_e32 v[0:1], v0
.LBB94_2537:
	s_mov_b64 s[0:1], 0
.LBB94_2538:
	s_andn2_b64 vcc, exec, s[0:1]
	s_cbranch_vccnz .LBB94_2540
; %bb.2539:
	global_load_ushort v0, v[2:3], off
	s_waitcnt vmcnt(0)
	v_cvt_f32_f16_e32 v0, v0
	v_cvt_f64_f32_e32 v[0:1], v0
.LBB94_2540:
	s_mov_b64 s[0:1], 0
.LBB94_2541:
	s_andn2_b64 vcc, exec, s[0:1]
	s_cbranch_vccnz .LBB94_2561
; %bb.2542:
	s_cmp_lt_i32 s10, 2
	s_cbranch_scc1 .LBB94_2546
; %bb.2543:
	s_cmp_lt_i32 s10, 3
	s_cbranch_scc1 .LBB94_2547
; %bb.2544:
	s_cmp_gt_i32 s10, 3
	s_cbranch_scc0 .LBB94_2548
; %bb.2545:
	global_load_dwordx2 v[0:1], v[2:3], off
	s_mov_b64 s[0:1], 0
	s_waitcnt vmcnt(0)
	v_cvt_f64_i32_e32 v[4:5], v1
	v_cvt_f64_u32_e32 v[0:1], v0
	v_ldexp_f64 v[4:5], v[4:5], 32
	v_add_f64 v[0:1], v[4:5], v[0:1]
	s_branch .LBB94_2549
.LBB94_2546:
	s_mov_b64 s[0:1], -1
                                        ; implicit-def: $vgpr0_vgpr1
	s_branch .LBB94_2555
.LBB94_2547:
	s_mov_b64 s[0:1], -1
                                        ; implicit-def: $vgpr0_vgpr1
	s_branch .LBB94_2552
.LBB94_2548:
	s_mov_b64 s[0:1], -1
                                        ; implicit-def: $vgpr0_vgpr1
.LBB94_2549:
	s_andn2_b64 vcc, exec, s[0:1]
	s_cbranch_vccnz .LBB94_2551
; %bb.2550:
	global_load_dword v0, v[2:3], off
	s_waitcnt vmcnt(0)
	v_cvt_f64_i32_e32 v[0:1], v0
.LBB94_2551:
	s_mov_b64 s[0:1], 0
.LBB94_2552:
	s_andn2_b64 vcc, exec, s[0:1]
	s_cbranch_vccnz .LBB94_2554
; %bb.2553:
	global_load_sshort v0, v[2:3], off
	s_waitcnt vmcnt(0)
	v_cvt_f64_i32_e32 v[0:1], v0
.LBB94_2554:
	s_mov_b64 s[0:1], 0
.LBB94_2555:
	s_andn2_b64 vcc, exec, s[0:1]
	s_cbranch_vccnz .LBB94_2561
; %bb.2556:
	s_cmp_gt_i32 s10, 0
	s_cbranch_scc0 .LBB94_2558
; %bb.2557:
	global_load_sbyte v0, v[2:3], off
	s_mov_b64 s[0:1], 0
	s_waitcnt vmcnt(0)
	v_cvt_f64_i32_e32 v[0:1], v0
	s_branch .LBB94_2559
.LBB94_2558:
	s_mov_b64 s[0:1], -1
                                        ; implicit-def: $vgpr0_vgpr1
.LBB94_2559:
	s_andn2_b64 vcc, exec, s[0:1]
	s_cbranch_vccnz .LBB94_2561
; %bb.2560:
	global_load_ubyte v0, v[2:3], off
	s_waitcnt vmcnt(0)
	v_cvt_f64_u32_e32 v[0:1], v0
.LBB94_2561:
	s_mov_b64 s[24:25], -1
.LBB94_2562:
	s_andn2_b64 vcc, exec, s[24:25]
	s_cbranch_vccnz .LBB94_2697
; %bb.2563:
	v_add_u32_e32 v2, s14, v8
	v_ashrrev_i32_e32 v3, 31, v2
	v_mov_b32_e32 v4, s3
	v_add_co_u32_e32 v2, vcc, s2, v2
	s_cmp_lt_i32 s31, 11
	v_addc_co_u32_e32 v3, vcc, v4, v3, vcc
	s_cbranch_scc1 .LBB94_2570
; %bb.2564:
	s_and_b32 s13, 0xffff, s31
	s_cmp_gt_i32 s13, 25
	s_mov_b64 s[2:3], 0
	s_cbranch_scc0 .LBB94_2571
; %bb.2565:
	s_cmp_gt_i32 s13, 28
	s_cbranch_scc0 .LBB94_2572
; %bb.2566:
	s_cmp_gt_i32 s13, 43
	;; [unrolled: 3-line block ×3, first 2 shown]
	s_cbranch_scc0 .LBB94_2575
; %bb.2568:
	s_cmp_eq_u32 s13, 46
	s_mov_b64 s[24:25], 0
	s_cbranch_scc0 .LBB94_2576
; %bb.2569:
	global_load_dword v4, v[2:3], off
	s_mov_b64 s[0:1], 0
	s_mov_b64 s[10:11], -1
	s_waitcnt vmcnt(0)
	v_lshlrev_b32_e32 v4, 16, v4
	v_cvt_f64_f32_e32 v[4:5], v4
	s_branch .LBB94_2577
.LBB94_2570:
	s_mov_b64 s[0:1], -1
	s_mov_b64 s[10:11], 0
                                        ; implicit-def: $vgpr4_vgpr5
	s_branch .LBB94_2643
.LBB94_2571:
	s_mov_b64 s[24:25], -1
	s_mov_b64 s[10:11], 0
	s_mov_b64 s[0:1], 0
                                        ; implicit-def: $vgpr4_vgpr5
	s_branch .LBB94_2608
.LBB94_2572:
	s_mov_b64 s[24:25], -1
	s_mov_b64 s[10:11], 0
	s_mov_b64 s[0:1], 0
                                        ; implicit-def: $vgpr4_vgpr5
	s_branch .LBB94_2587
.LBB94_2573:
	s_mov_b64 s[24:25], -1
	s_mov_b64 s[10:11], 0
	s_mov_b64 s[0:1], 0
                                        ; implicit-def: $vgpr4_vgpr5
	s_branch .LBB94_2582
.LBB94_2574:
	s_trap 2
	s_or_b64 s[18:19], s[18:19], exec
	s_cbranch_execz .LBB94_2511
	s_branch .LBB94_2512
.LBB94_2575:
	s_mov_b64 s[24:25], -1
	s_mov_b64 s[10:11], 0
	s_mov_b64 s[0:1], 0
                                        ; implicit-def: $vgpr4_vgpr5
	s_branch .LBB94_2577
.LBB94_2576:
	s_mov_b64 s[0:1], -1
                                        ; implicit-def: $vgpr4_vgpr5
	s_mov_b64 s[10:11], 0
.LBB94_2577:
	s_and_b64 vcc, exec, s[24:25]
	s_cbranch_vccz .LBB94_2581
; %bb.2578:
	s_cmp_eq_u32 s13, 44
	s_cbranch_scc0 .LBB94_2580
; %bb.2579:
	global_load_ubyte v7, v[2:3], off
	s_movk_i32 s10, 0xff
	v_bfrev_b32_e32 v8, 4
	v_mov_b32_e32 v9, 0x7ff80000
	v_bfrev_b32_e32 v10, 28
	s_mov_b64 s[0:1], 0
	s_waitcnt vmcnt(0)
	v_lshlrev_b32_e32 v4, 23, v7
	v_cvt_f64_f32_e32 v[4:5], v4
	v_cmp_ne_u32_e32 vcc, s10, v7
	s_mov_b64 s[10:11], -1
	v_cndmask_b32_e32 v4, v8, v4, vcc
	v_cndmask_b32_e32 v5, v9, v5, vcc
	v_cmp_ne_u32_e32 vcc, 0, v7
	v_cndmask_b32_e32 v5, v10, v5, vcc
	v_cndmask_b32_e32 v4, 0, v4, vcc
	s_branch .LBB94_2581
.LBB94_2580:
	s_mov_b64 s[0:1], -1
                                        ; implicit-def: $vgpr4_vgpr5
.LBB94_2581:
	s_mov_b64 s[24:25], 0
.LBB94_2582:
	s_and_b64 vcc, exec, s[24:25]
	s_cbranch_vccz .LBB94_2586
; %bb.2583:
	s_cmp_eq_u32 s13, 29
	s_cbranch_scc0 .LBB94_2585
; %bb.2584:
	global_load_dwordx2 v[4:5], v[2:3], off
	s_mov_b64 s[0:1], 0
	s_mov_b64 s[10:11], -1
	s_mov_b64 s[24:25], 0
	s_waitcnt vmcnt(0)
	v_cvt_f64_u32_e32 v[7:8], v5
	v_cvt_f64_u32_e32 v[4:5], v4
	v_ldexp_f64 v[7:8], v[7:8], 32
	v_add_f64 v[4:5], v[7:8], v[4:5]
	s_branch .LBB94_2587
.LBB94_2585:
	s_mov_b64 s[0:1], -1
                                        ; implicit-def: $vgpr4_vgpr5
.LBB94_2586:
	s_mov_b64 s[24:25], 0
.LBB94_2587:
	s_and_b64 vcc, exec, s[24:25]
	s_cbranch_vccz .LBB94_2607
; %bb.2588:
	s_cmp_lt_i32 s13, 27
	s_cbranch_scc1 .LBB94_2591
; %bb.2589:
	s_cmp_gt_i32 s13, 27
	s_cbranch_scc0 .LBB94_2592
; %bb.2590:
	global_load_dword v4, v[2:3], off
	s_mov_b64 s[10:11], 0
	s_waitcnt vmcnt(0)
	v_cvt_f64_u32_e32 v[4:5], v4
	s_branch .LBB94_2593
.LBB94_2591:
	s_mov_b64 s[10:11], -1
                                        ; implicit-def: $vgpr4_vgpr5
	s_branch .LBB94_2596
.LBB94_2592:
	s_mov_b64 s[10:11], -1
                                        ; implicit-def: $vgpr4_vgpr5
.LBB94_2593:
	s_andn2_b64 vcc, exec, s[10:11]
	s_cbranch_vccnz .LBB94_2595
; %bb.2594:
	global_load_ushort v4, v[2:3], off
	s_waitcnt vmcnt(0)
	v_cvt_f64_u32_e32 v[4:5], v4
.LBB94_2595:
	s_mov_b64 s[10:11], 0
.LBB94_2596:
	s_andn2_b64 vcc, exec, s[10:11]
	s_cbranch_vccnz .LBB94_2606
; %bb.2597:
	global_load_ubyte v7, v[2:3], off
	s_movk_i32 s10, 0x7f
	s_waitcnt vmcnt(0)
	v_cmp_lt_i16_e32 vcc, s10, v7
	s_mov_b64 s[10:11], 0
	s_and_saveexec_b64 s[24:25], vcc
	s_xor_b64 s[24:25], exec, s[24:25]
	s_cbranch_execz .LBB94_2601
; %bb.2598:
	s_movk_i32 s10, 0x80
	v_cmp_eq_u16_e32 vcc, s10, v7
	s_mov_b64 s[10:11], -1
	s_and_saveexec_b64 s[26:27], vcc
; %bb.2599:
	s_xor_b64 s[10:11], exec, -1
; %bb.2600:
	s_or_b64 exec, exec, s[26:27]
	s_and_b64 s[10:11], s[10:11], exec
.LBB94_2601:
	s_or_saveexec_b64 s[24:25], s[24:25]
	v_bfrev_b32_e32 v4, 4
	v_mov_b32_e32 v5, 0x7ff80000
	s_xor_b64 exec, exec, s[24:25]
; %bb.2602:
	v_cmp_ne_u16_e32 vcc, 0, v7
	v_mov_b32_e32 v4, 0
	s_andn2_b64 s[10:11], s[10:11], exec
	s_and_b64 s[26:27], vcc, exec
	v_mov_b32_e32 v5, 0
	s_or_b64 s[10:11], s[10:11], s[26:27]
; %bb.2603:
	s_or_b64 exec, exec, s[24:25]
	s_and_saveexec_b64 s[24:25], s[10:11]
	s_cbranch_execz .LBB94_2605
; %bb.2604:
	v_and_b32_e32 v5, 0xffff, v7
	v_lshlrev_b32_e32 v4, 24, v7
	v_and_b32_e32 v7, 7, v5
	v_ffbh_u32_e32 v9, v7
	v_min_u32_e32 v9, 32, v9
	v_subrev_u32_e32 v10, 28, v9
	v_bfe_u32 v8, v5, 3, 4
	v_lshlrev_b32_e32 v5, v10, v5
	v_sub_u32_e32 v9, 29, v9
	v_and_b32_e32 v5, 7, v5
	v_cmp_eq_u32_e32 vcc, 0, v8
	v_cndmask_b32_e32 v8, v8, v9, vcc
	v_cndmask_b32_e32 v5, v7, v5, vcc
	v_mov_b32_e32 v7, 0x3b800000
	v_lshlrev_b32_e32 v5, 20, v5
	v_and_b32_e32 v4, 0x80000000, v4
	v_lshl_add_u32 v7, v8, 23, v7
	v_or3_b32 v4, v4, v7, v5
	v_cvt_f64_f32_e32 v[4:5], v4
.LBB94_2605:
	s_or_b64 exec, exec, s[24:25]
.LBB94_2606:
	s_mov_b64 s[10:11], -1
.LBB94_2607:
	s_mov_b64 s[24:25], 0
.LBB94_2608:
	s_and_b64 vcc, exec, s[24:25]
	s_cbranch_vccz .LBB94_2639
; %bb.2609:
	s_cmp_gt_i32 s13, 22
	s_cbranch_scc0 .LBB94_2621
; %bb.2610:
	s_cmp_lt_i32 s13, 24
	s_cbranch_scc1 .LBB94_2622
; %bb.2611:
	s_cmp_gt_i32 s13, 24
	s_cbranch_scc0 .LBB94_2623
; %bb.2612:
	global_load_ubyte v7, v[2:3], off
	s_movk_i32 s2, 0x7f
	s_waitcnt vmcnt(0)
	v_cmp_lt_i16_e32 vcc, s2, v7
	s_mov_b64 s[2:3], 0
	s_and_saveexec_b64 s[10:11], vcc
	s_xor_b64 s[10:11], exec, s[10:11]
	s_cbranch_execz .LBB94_2616
; %bb.2613:
	s_movk_i32 s2, 0x80
	v_cmp_eq_u16_e32 vcc, s2, v7
	s_mov_b64 s[2:3], -1
	s_and_saveexec_b64 s[24:25], vcc
; %bb.2614:
	s_xor_b64 s[2:3], exec, -1
; %bb.2615:
	s_or_b64 exec, exec, s[24:25]
	s_and_b64 s[2:3], s[2:3], exec
.LBB94_2616:
	s_or_saveexec_b64 s[10:11], s[10:11]
	v_bfrev_b32_e32 v4, 4
	v_mov_b32_e32 v5, 0x7ff80000
	s_xor_b64 exec, exec, s[10:11]
; %bb.2617:
	v_cmp_ne_u16_e32 vcc, 0, v7
	v_mov_b32_e32 v4, 0
	s_andn2_b64 s[2:3], s[2:3], exec
	s_and_b64 s[24:25], vcc, exec
	v_mov_b32_e32 v5, 0
	s_or_b64 s[2:3], s[2:3], s[24:25]
; %bb.2618:
	s_or_b64 exec, exec, s[10:11]
	s_and_saveexec_b64 s[10:11], s[2:3]
	s_cbranch_execz .LBB94_2620
; %bb.2619:
	v_and_b32_e32 v5, 0xffff, v7
	v_lshlrev_b32_e32 v4, 24, v7
	v_and_b32_e32 v7, 3, v5
	v_ffbh_u32_e32 v9, v7
	v_min_u32_e32 v9, 32, v9
	v_subrev_u32_e32 v10, 29, v9
	v_bfe_u32 v8, v5, 2, 5
	v_lshlrev_b32_e32 v5, v10, v5
	v_sub_u32_e32 v9, 30, v9
	v_and_b32_e32 v5, 3, v5
	v_cmp_eq_u32_e32 vcc, 0, v8
	v_cndmask_b32_e32 v8, v8, v9, vcc
	v_cndmask_b32_e32 v5, v7, v5, vcc
	v_mov_b32_e32 v7, 0x37800000
	v_lshlrev_b32_e32 v5, 21, v5
	v_and_b32_e32 v4, 0x80000000, v4
	v_lshl_add_u32 v7, v8, 23, v7
	v_or3_b32 v4, v4, v7, v5
	v_cvt_f64_f32_e32 v[4:5], v4
.LBB94_2620:
	s_or_b64 exec, exec, s[10:11]
	s_mov_b64 s[2:3], 0
	s_branch .LBB94_2624
.LBB94_2621:
	s_mov_b64 s[2:3], -1
                                        ; implicit-def: $vgpr4_vgpr5
	s_branch .LBB94_2630
.LBB94_2622:
	s_mov_b64 s[2:3], -1
                                        ; implicit-def: $vgpr4_vgpr5
	s_branch .LBB94_2627
.LBB94_2623:
	s_mov_b64 s[2:3], -1
                                        ; implicit-def: $vgpr4_vgpr5
.LBB94_2624:
	s_and_b64 vcc, exec, s[2:3]
	s_cbranch_vccz .LBB94_2626
; %bb.2625:
	global_load_ubyte v4, v[2:3], off
	s_mov_b32 s2, 0x7f800000
	s_waitcnt vmcnt(0)
	v_lshlrev_b32_e32 v4, 24, v4
	v_and_b32_e32 v5, 0x7f000000, v4
	v_ffbh_u32_e32 v7, v5
	v_min_u32_e32 v7, 32, v7
	v_sub_u32_e64 v7, v7, 4 clamp
	v_lshlrev_b32_e32 v9, v7, v5
	v_lshlrev_b32_e32 v7, 23, v7
	v_lshrrev_b32_e32 v9, 4, v9
	v_add_u32_e32 v8, 0x1000000, v5
	v_sub_u32_e32 v7, v9, v7
	v_ashrrev_i32_e32 v8, 8, v8
	v_add_u32_e32 v7, 0x3c000000, v7
	v_and_or_b32 v7, v8, s2, v7
	v_cmp_ne_u32_e32 vcc, 0, v5
	v_cndmask_b32_e32 v5, 0, v7, vcc
	s_brev_b32 s2, 1
	v_and_or_b32 v4, v4, s2, v5
	v_cvt_f64_f32_e32 v[4:5], v4
.LBB94_2626:
	s_mov_b64 s[2:3], 0
.LBB94_2627:
	s_andn2_b64 vcc, exec, s[2:3]
	s_cbranch_vccnz .LBB94_2629
; %bb.2628:
	global_load_ubyte v4, v[2:3], off
	s_movk_i32 s2, 0x7f00
	s_brev_b32 s3, 16
	s_waitcnt vmcnt(0)
	v_lshlrev_b16_e32 v5, 8, v4
	v_lshlrev_b32_e32 v4, 25, v4
	v_lshrrev_b32_e32 v7, 4, v4
	v_and_or_b32 v8, v5, s2, 0.5
	v_or_b32_e32 v7, 0x70000000, v7
	v_add_f32_e32 v8, -0.5, v8
	v_mul_f32_e32 v7, 0x7800000, v7
	v_cmp_gt_u32_e32 vcc, s3, v4
	v_bfe_i32 v5, v5, 0, 16
	v_cndmask_b32_e32 v4, v7, v8, vcc
	s_brev_b32 s2, 1
	v_and_or_b32 v4, v5, s2, v4
	v_cvt_f64_f32_e32 v[4:5], v4
.LBB94_2629:
	s_mov_b64 s[2:3], 0
	s_mov_b64 s[10:11], -1
.LBB94_2630:
	s_andn2_b64 vcc, exec, s[2:3]
	s_mov_b64 s[2:3], 0
	s_cbranch_vccnz .LBB94_2639
; %bb.2631:
	s_cmp_gt_i32 s13, 14
	s_cbranch_scc0 .LBB94_2634
; %bb.2632:
	s_cmp_eq_u32 s13, 15
	s_cbranch_scc0 .LBB94_2635
; %bb.2633:
	global_load_ushort v4, v[2:3], off
	s_mov_b64 s[0:1], 0
	s_mov_b64 s[10:11], -1
	s_waitcnt vmcnt(0)
	v_lshlrev_b32_e32 v4, 16, v4
	v_cvt_f64_f32_e32 v[4:5], v4
	s_branch .LBB94_2636
.LBB94_2634:
	s_mov_b64 s[24:25], -1
                                        ; implicit-def: $vgpr4_vgpr5
	s_branch .LBB94_2637
.LBB94_2635:
	s_mov_b64 s[0:1], -1
                                        ; implicit-def: $vgpr4_vgpr5
.LBB94_2636:
	s_mov_b64 s[24:25], 0
.LBB94_2637:
	s_and_b64 vcc, exec, s[24:25]
	s_cbranch_vccz .LBB94_2639
; %bb.2638:
	s_cmp_lg_u32 s13, 11
	s_mov_b64 s[2:3], -1
	s_cselect_b64 s[0:1], -1, 0
.LBB94_2639:
	s_and_b64 vcc, exec, s[0:1]
	s_cbranch_vccnz .LBB94_3191
; %bb.2640:
	s_andn2_b64 vcc, exec, s[2:3]
	s_cbranch_vccnz .LBB94_2642
.LBB94_2641:
	global_load_ubyte v5, v[2:3], off
	v_mov_b32_e32 v7, 0x3ff00000
	v_mov_b32_e32 v4, 0
	s_mov_b64 s[10:11], -1
	s_waitcnt vmcnt(0)
	v_cmp_ne_u16_e32 vcc, 0, v5
	v_cndmask_b32_e32 v5, 0, v7, vcc
.LBB94_2642:
	s_mov_b64 s[0:1], 0
.LBB94_2643:
	s_and_b64 vcc, exec, s[0:1]
	s_cbranch_vccz .LBB94_2692
; %bb.2644:
	s_and_b32 s2, 0xffff, s31
	s_cmp_lt_i32 s2, 5
	s_cbranch_scc1 .LBB94_2649
; %bb.2645:
	s_cmp_lt_i32 s2, 8
	s_cbranch_scc1 .LBB94_2650
; %bb.2646:
	;; [unrolled: 3-line block ×3, first 2 shown]
	s_cmp_gt_i32 s2, 9
	s_cbranch_scc0 .LBB94_2652
; %bb.2648:
	global_load_dwordx2 v[4:5], v[2:3], off
	s_mov_b64 s[0:1], 0
	s_branch .LBB94_2653
.LBB94_2649:
	s_mov_b64 s[0:1], -1
                                        ; implicit-def: $vgpr4_vgpr5
	s_branch .LBB94_2671
.LBB94_2650:
	s_mov_b64 s[0:1], -1
                                        ; implicit-def: $vgpr4_vgpr5
	s_branch .LBB94_2659
.LBB94_2651:
	s_mov_b64 s[0:1], -1
                                        ; implicit-def: $vgpr4_vgpr5
	s_branch .LBB94_2656
.LBB94_2652:
	s_mov_b64 s[0:1], -1
                                        ; implicit-def: $vgpr4_vgpr5
.LBB94_2653:
	s_andn2_b64 vcc, exec, s[0:1]
	s_cbranch_vccnz .LBB94_2655
; %bb.2654:
	global_load_dword v4, v[2:3], off
	s_waitcnt vmcnt(0)
	v_cvt_f64_f32_e32 v[4:5], v4
.LBB94_2655:
	s_mov_b64 s[0:1], 0
.LBB94_2656:
	s_andn2_b64 vcc, exec, s[0:1]
	s_cbranch_vccnz .LBB94_2658
; %bb.2657:
	global_load_dword v4, v[2:3], off
	s_waitcnt vmcnt(0)
	v_cvt_f32_f16_e32 v4, v4
	v_cvt_f64_f32_e32 v[4:5], v4
.LBB94_2658:
	s_mov_b64 s[0:1], 0
.LBB94_2659:
	s_andn2_b64 vcc, exec, s[0:1]
	s_cbranch_vccnz .LBB94_2670
; %bb.2660:
	s_cmp_lt_i32 s2, 6
	s_cbranch_scc1 .LBB94_2663
; %bb.2661:
	s_cmp_gt_i32 s2, 6
	s_cbranch_scc0 .LBB94_2664
; %bb.2662:
	global_load_dwordx2 v[4:5], v[2:3], off
	s_mov_b64 s[0:1], 0
	s_branch .LBB94_2665
.LBB94_2663:
	s_mov_b64 s[0:1], -1
                                        ; implicit-def: $vgpr4_vgpr5
	s_branch .LBB94_2668
.LBB94_2664:
	s_mov_b64 s[0:1], -1
                                        ; implicit-def: $vgpr4_vgpr5
.LBB94_2665:
	s_andn2_b64 vcc, exec, s[0:1]
	s_cbranch_vccnz .LBB94_2667
; %bb.2666:
	global_load_dword v4, v[2:3], off
	s_waitcnt vmcnt(0)
	v_cvt_f64_f32_e32 v[4:5], v4
.LBB94_2667:
	s_mov_b64 s[0:1], 0
.LBB94_2668:
	s_andn2_b64 vcc, exec, s[0:1]
	s_cbranch_vccnz .LBB94_2670
; %bb.2669:
	global_load_ushort v4, v[2:3], off
	s_waitcnt vmcnt(0)
	v_cvt_f32_f16_e32 v4, v4
	v_cvt_f64_f32_e32 v[4:5], v4
.LBB94_2670:
	s_mov_b64 s[0:1], 0
.LBB94_2671:
	s_andn2_b64 vcc, exec, s[0:1]
	s_cbranch_vccnz .LBB94_2691
; %bb.2672:
	s_cmp_lt_i32 s2, 2
	s_cbranch_scc1 .LBB94_2676
; %bb.2673:
	s_cmp_lt_i32 s2, 3
	s_cbranch_scc1 .LBB94_2677
; %bb.2674:
	s_cmp_gt_i32 s2, 3
	s_cbranch_scc0 .LBB94_2678
; %bb.2675:
	global_load_dwordx2 v[4:5], v[2:3], off
	s_mov_b64 s[0:1], 0
	s_waitcnt vmcnt(0)
	v_cvt_f64_i32_e32 v[7:8], v5
	v_cvt_f64_u32_e32 v[4:5], v4
	v_ldexp_f64 v[7:8], v[7:8], 32
	v_add_f64 v[4:5], v[7:8], v[4:5]
	s_branch .LBB94_2679
.LBB94_2676:
	s_mov_b64 s[0:1], -1
                                        ; implicit-def: $vgpr4_vgpr5
	s_branch .LBB94_2685
.LBB94_2677:
	s_mov_b64 s[0:1], -1
                                        ; implicit-def: $vgpr4_vgpr5
	s_branch .LBB94_2682
.LBB94_2678:
	s_mov_b64 s[0:1], -1
                                        ; implicit-def: $vgpr4_vgpr5
.LBB94_2679:
	s_andn2_b64 vcc, exec, s[0:1]
	s_cbranch_vccnz .LBB94_2681
; %bb.2680:
	global_load_dword v4, v[2:3], off
	s_waitcnt vmcnt(0)
	v_cvt_f64_i32_e32 v[4:5], v4
.LBB94_2681:
	s_mov_b64 s[0:1], 0
.LBB94_2682:
	s_andn2_b64 vcc, exec, s[0:1]
	s_cbranch_vccnz .LBB94_2684
; %bb.2683:
	global_load_sshort v4, v[2:3], off
	s_waitcnt vmcnt(0)
	v_cvt_f64_i32_e32 v[4:5], v4
.LBB94_2684:
	s_mov_b64 s[0:1], 0
.LBB94_2685:
	s_andn2_b64 vcc, exec, s[0:1]
	s_cbranch_vccnz .LBB94_2691
; %bb.2686:
	s_cmp_gt_i32 s2, 0
	s_cbranch_scc0 .LBB94_2688
; %bb.2687:
	global_load_sbyte v4, v[2:3], off
	s_mov_b64 s[0:1], 0
	s_waitcnt vmcnt(0)
	v_cvt_f64_i32_e32 v[4:5], v4
	s_branch .LBB94_2689
.LBB94_2688:
	s_mov_b64 s[0:1], -1
                                        ; implicit-def: $vgpr4_vgpr5
.LBB94_2689:
	s_andn2_b64 vcc, exec, s[0:1]
	s_cbranch_vccnz .LBB94_2691
; %bb.2690:
	global_load_ubyte v2, v[2:3], off
	s_waitcnt vmcnt(0)
	v_cvt_f64_u32_e32 v[4:5], v2
.LBB94_2691:
	s_mov_b64 s[10:11], -1
.LBB94_2692:
	s_andn2_b64 vcc, exec, s[10:11]
	s_cbranch_vccnz .LBB94_2697
; %bb.2693:
	s_cmp_lt_i32 s15, 1
	s_mov_b64 s[0:1], 0
	s_cbranch_scc1 .LBB94_2743
; %bb.2694:
	s_cmp_gt_i32 s15, 1
	s_cbranch_scc0 .LBB94_2744
; %bb.2695:
	s_cmp_eq_u32 s15, 2
	s_cbranch_scc0 .LBB94_2745
; %bb.2696:
	s_waitcnt vmcnt(0)
	v_cmp_le_f64_e64 s[24:25], v[0:1], v[4:5]
	s_mov_b64 s[2:3], 0
	s_branch .LBB94_2746
.LBB94_2697:
	s_mov_b64 s[0:1], 0
                                        ; implicit-def: $sgpr24_sgpr25
.LBB94_2698:
	s_mov_b64 s[2:3], 0
                                        ; implicit-def: $sgpr28
                                        ; implicit-def: $vgpr0_vgpr1
.LBB94_2699:
	s_and_b64 s[4:5], s[2:3], exec
	s_andn2_b64 s[2:3], s[16:17], exec
	s_and_b64 s[8:9], s[18:19], exec
	s_and_b64 s[0:1], s[0:1], exec
	s_or_b64 s[16:17], s[2:3], s[8:9]
.LBB94_2700:
	s_or_b64 exec, exec, s[6:7]
	s_and_saveexec_b64 s[2:3], s[16:17]
	s_cbranch_execz .LBB94_2703
; %bb.2701:
	; divergent unreachable
	s_or_b64 exec, exec, s[2:3]
	s_and_saveexec_b64 s[2:3], s[4:5]
	s_xor_b64 s[2:3], exec, s[2:3]
	s_cbranch_execnz .LBB94_2704
.LBB94_2702:
	s_or_b64 exec, exec, s[2:3]
	s_and_saveexec_b64 s[2:3], s[0:1]
	s_cbranch_execnz .LBB94_2705
	s_branch .LBB94_2742
.LBB94_2703:
	s_or_b64 exec, exec, s[2:3]
	s_and_saveexec_b64 s[2:3], s[4:5]
	s_xor_b64 s[2:3], exec, s[2:3]
	s_cbranch_execz .LBB94_2702
.LBB94_2704:
	v_cndmask_b32_e64 v2, 0, 1, s[24:25]
	s_waitcnt vmcnt(0)
	global_store_byte v[0:1], v2, off
	s_or_b64 exec, exec, s[2:3]
	s_and_saveexec_b64 s[2:3], s[0:1]
	s_cbranch_execz .LBB94_2742
.LBB94_2705:
	s_sext_i32_i16 s2, s28
	s_cmp_lt_i32 s2, 5
	s_mov_b64 s[0:1], -1
	s_cbranch_scc1 .LBB94_2726
; %bb.2706:
	s_cmp_lt_i32 s2, 8
	s_cbranch_scc1 .LBB94_2716
; %bb.2707:
	s_cmp_lt_i32 s2, 9
	s_cbranch_scc1 .LBB94_2713
; %bb.2708:
	s_cmp_gt_i32 s2, 9
	s_cbranch_scc0 .LBB94_2710
; %bb.2709:
	v_cndmask_b32_e64 v2, 0, 1, s[24:25]
	v_cvt_f64_u32_e32 v[2:3], v2
	s_waitcnt vmcnt(0)
	v_mov_b32_e32 v4, 0
	v_mov_b32_e32 v5, v4
	s_mov_b64 s[0:1], 0
	global_store_dwordx4 v[0:1], v[2:5], off
.LBB94_2710:
	s_andn2_b64 vcc, exec, s[0:1]
	s_cbranch_vccnz .LBB94_2712
; %bb.2711:
	v_cndmask_b32_e64 v2, 0, 1.0, s[24:25]
	v_mov_b32_e32 v3, 0
	s_waitcnt vmcnt(0)
	global_store_dwordx2 v[0:1], v[2:3], off
.LBB94_2712:
	s_mov_b64 s[0:1], 0
.LBB94_2713:
	s_andn2_b64 vcc, exec, s[0:1]
	s_cbranch_vccnz .LBB94_2715
; %bb.2714:
	v_cndmask_b32_e64 v2, 0, 1.0, s[24:25]
	v_cvt_f16_f32_e32 v2, v2
	s_waitcnt vmcnt(0)
	global_store_dword v[0:1], v2, off
.LBB94_2715:
	s_mov_b64 s[0:1], 0
.LBB94_2716:
	s_andn2_b64 vcc, exec, s[0:1]
	s_cbranch_vccnz .LBB94_2725
; %bb.2717:
	s_sext_i32_i16 s2, s28
	s_cmp_lt_i32 s2, 6
	s_mov_b64 s[0:1], -1
	s_cbranch_scc1 .LBB94_2723
; %bb.2718:
	s_cmp_gt_i32 s2, 6
	s_cbranch_scc0 .LBB94_2720
; %bb.2719:
	v_cndmask_b32_e64 v2, 0, 1, s[24:25]
	v_cvt_f64_u32_e32 v[2:3], v2
	s_mov_b64 s[0:1], 0
	s_waitcnt vmcnt(0)
	global_store_dwordx2 v[0:1], v[2:3], off
.LBB94_2720:
	s_andn2_b64 vcc, exec, s[0:1]
	s_cbranch_vccnz .LBB94_2722
; %bb.2721:
	v_cndmask_b32_e64 v2, 0, 1.0, s[24:25]
	s_waitcnt vmcnt(0)
	global_store_dword v[0:1], v2, off
.LBB94_2722:
	s_mov_b64 s[0:1], 0
.LBB94_2723:
	s_andn2_b64 vcc, exec, s[0:1]
	s_cbranch_vccnz .LBB94_2725
; %bb.2724:
	v_cndmask_b32_e64 v2, 0, 1.0, s[24:25]
	v_cvt_f16_f32_e32 v2, v2
	s_waitcnt vmcnt(0)
	global_store_short v[0:1], v2, off
.LBB94_2725:
	s_mov_b64 s[0:1], 0
.LBB94_2726:
	s_andn2_b64 vcc, exec, s[0:1]
	s_cbranch_vccnz .LBB94_2742
; %bb.2727:
	s_sext_i32_i16 s2, s28
	s_cmp_lt_i32 s2, 2
	s_mov_b64 s[0:1], -1
	s_cbranch_scc1 .LBB94_2737
; %bb.2728:
	s_cmp_lt_i32 s2, 3
	s_cbranch_scc1 .LBB94_2734
; %bb.2729:
	s_cmp_gt_i32 s2, 3
	s_cbranch_scc0 .LBB94_2731
; %bb.2730:
	s_mov_b32 s0, 0
	v_cndmask_b32_e64 v2, 0, 1, s[24:25]
	v_mov_b32_e32 v3, s0
	s_waitcnt vmcnt(0)
	global_store_dwordx2 v[0:1], v[2:3], off
	s_mov_b64 s[0:1], 0
.LBB94_2731:
	s_andn2_b64 vcc, exec, s[0:1]
	s_cbranch_vccnz .LBB94_2733
; %bb.2732:
	v_cndmask_b32_e64 v2, 0, 1, s[24:25]
	s_waitcnt vmcnt(0)
	global_store_dword v[0:1], v2, off
.LBB94_2733:
	s_mov_b64 s[0:1], 0
.LBB94_2734:
	s_andn2_b64 vcc, exec, s[0:1]
	s_cbranch_vccnz .LBB94_2736
; %bb.2735:
	v_cndmask_b32_e64 v2, 0, 1, s[24:25]
	s_waitcnt vmcnt(0)
	global_store_short v[0:1], v2, off
.LBB94_2736:
	s_mov_b64 s[0:1], 0
.LBB94_2737:
	s_andn2_b64 vcc, exec, s[0:1]
	s_cbranch_vccnz .LBB94_2742
; %bb.2738:
	s_sext_i32_i16 s2, s28
	s_mov_b64 s[0:1], -1
	s_cmp_gt_i32 s2, 0
	v_cndmask_b32_e64 v2, 0, 1, s[24:25]
	s_cbranch_scc0 .LBB94_2740
; %bb.2739:
	s_waitcnt vmcnt(0)
	global_store_byte v[0:1], v2, off
	s_mov_b64 s[0:1], 0
.LBB94_2740:
	s_andn2_b64 vcc, exec, s[0:1]
	s_cbranch_vccnz .LBB94_2742
; %bb.2741:
	s_waitcnt vmcnt(0)
	global_store_byte v[0:1], v2, off
	s_endpgm
.LBB94_2742:
	s_endpgm
.LBB94_2743:
	s_mov_b64 s[10:11], -1
                                        ; implicit-def: $sgpr24_sgpr25
	s_mov_b64 s[2:3], 0
	s_branch .LBB94_2750
.LBB94_2744:
	s_mov_b64 s[10:11], -1
	s_mov_b64 s[2:3], 0
                                        ; implicit-def: $sgpr24_sgpr25
	s_branch .LBB94_2747
.LBB94_2745:
	s_mov_b64 s[2:3], -1
                                        ; implicit-def: $sgpr24_sgpr25
.LBB94_2746:
	s_mov_b64 s[10:11], 0
.LBB94_2747:
	s_and_b64 vcc, exec, s[10:11]
	s_cbranch_vccz .LBB94_2749
; %bb.2748:
	s_waitcnt vmcnt(0)
	v_cmp_gt_f64_e32 vcc, v[0:1], v[4:5]
	s_andn2_b64 s[10:11], s[24:25], exec
	s_and_b64 s[24:25], vcc, exec
	s_or_b64 s[24:25], s[10:11], s[24:25]
.LBB94_2749:
	s_mov_b64 s[10:11], 0
.LBB94_2750:
	s_and_b64 vcc, exec, s[10:11]
	s_cbranch_vccz .LBB94_2832
; %bb.2751:
	s_cmp_lg_u32 s15, 0
	s_mov_b64 s[0:1], -1
	s_cselect_b64 s[2:3], -1, 0
	s_andn2_b64 vcc, exec, s[2:3]
	s_cbranch_vccz .LBB94_2833
.LBB94_2752:
	s_andn2_b64 vcc, exec, s[0:1]
	s_cbranch_vccnz .LBB94_2754
.LBB94_2753:
	s_waitcnt vmcnt(0)
	v_cmp_ge_f64_e32 vcc, v[0:1], v[4:5]
	s_andn2_b64 s[0:1], s[24:25], exec
	s_and_b64 s[2:3], vcc, exec
	s_or_b64 s[24:25], s[0:1], s[2:3]
.LBB94_2754:
	v_mul_lo_u32 v2, s12, v6
	s_waitcnt vmcnt(0)
	v_mov_b32_e32 v1, s9
	s_and_b32 s28, s33, 0xff
	s_cmp_lt_i32 s28, 11
	v_ashrrev_i32_e32 v3, 31, v2
	v_add_co_u32_e32 v0, vcc, s8, v2
	v_addc_co_u32_e32 v1, vcc, v1, v3, vcc
	s_cbranch_scc1 .LBB94_2834
; %bb.2755:
	s_and_b32 s13, 0xffff, s28
	s_mov_b64 s[14:15], -1
	s_mov_b64 s[2:3], 0
	s_cmp_gt_i32 s13, 25
	s_mov_b64 s[10:11], 0
	s_mov_b64 s[0:1], 0
	s_cbranch_scc0 .LBB94_2788
; %bb.2756:
	s_cmp_gt_i32 s13, 28
	s_cbranch_scc0 .LBB94_2771
; %bb.2757:
	s_cmp_gt_i32 s13, 43
	;; [unrolled: 3-line block ×3, first 2 shown]
	s_cbranch_scc0 .LBB94_2761
; %bb.2759:
	s_mov_b64 s[0:1], -1
	s_mov_b64 s[14:15], 0
	s_cmp_eq_u32 s13, 46
	s_cbranch_scc0 .LBB94_2761
; %bb.2760:
	v_cndmask_b32_e64 v3, 0, 1.0, s[4:5]
	v_bfe_u32 v4, v3, 16, 1
	s_movk_i32 s0, 0x7fff
	v_add3_u32 v3, v3, v4, s0
	v_lshrrev_b32_e32 v3, 16, v3
	global_store_dword v[0:1], v3, off
	s_mov_b64 s[0:1], 0
	s_mov_b64 s[10:11], -1
.LBB94_2761:
	s_and_b64 vcc, exec, s[14:15]
	s_cbranch_vccz .LBB94_2766
; %bb.2762:
	s_cmp_eq_u32 s13, 44
	s_mov_b64 s[0:1], -1
	s_cbranch_scc0 .LBB94_2766
; %bb.2763:
	v_cndmask_b32_e64 v4, 0, 1.0, s[4:5]
	v_lshrrev_b32_e32 v3, 23, v4
	s_movk_i32 s0, 0xff
	v_cmp_ne_u32_e32 vcc, s0, v3
	v_mov_b32_e32 v5, 0xff
	s_and_saveexec_b64 s[10:11], vcc
; %bb.2764:
	s_mov_b32 s0, 0x3fffff
	v_and_b32_e32 v5, 0x400000, v4
	v_and_or_b32 v4, v4, s0, v3
	v_cmp_ne_u32_e32 vcc, 0, v5
	v_cmp_ne_u32_e64 s[0:1], 0, v4
	s_and_b64 s[0:1], vcc, s[0:1]
	v_cndmask_b32_e64 v4, 0, 1, s[0:1]
	v_add_u32_e32 v5, v3, v4
; %bb.2765:
	s_or_b64 exec, exec, s[10:11]
	s_mov_b64 s[0:1], 0
	s_mov_b64 s[10:11], -1
	global_store_byte v[0:1], v5, off
.LBB94_2766:
	s_mov_b64 s[14:15], 0
.LBB94_2767:
	s_and_b64 vcc, exec, s[14:15]
	s_cbranch_vccz .LBB94_2770
; %bb.2768:
	s_cmp_eq_u32 s13, 29
	s_mov_b64 s[0:1], -1
	s_cbranch_scc0 .LBB94_2770
; %bb.2769:
	s_mov_b32 s0, 0
	v_cndmask_b32_e64 v3, 0, 1, s[4:5]
	v_mov_b32_e32 v4, s0
	global_store_dwordx2 v[0:1], v[3:4], off
	s_mov_b64 s[0:1], 0
	s_mov_b64 s[10:11], -1
.LBB94_2770:
	s_mov_b64 s[14:15], 0
.LBB94_2771:
	s_and_b64 vcc, exec, s[14:15]
	s_cbranch_vccz .LBB94_2787
; %bb.2772:
	s_cmp_lt_i32 s13, 27
	s_mov_b64 s[10:11], -1
	s_cbranch_scc1 .LBB94_2778
; %bb.2773:
	s_cmp_gt_i32 s13, 27
	s_cbranch_scc0 .LBB94_2775
; %bb.2774:
	v_cndmask_b32_e64 v3, 0, 1, s[4:5]
	s_mov_b64 s[10:11], 0
	global_store_dword v[0:1], v3, off
.LBB94_2775:
	s_andn2_b64 vcc, exec, s[10:11]
	s_cbranch_vccnz .LBB94_2777
; %bb.2776:
	v_cndmask_b32_e64 v3, 0, 1, s[4:5]
	global_store_short v[0:1], v3, off
.LBB94_2777:
	s_mov_b64 s[10:11], 0
.LBB94_2778:
	s_andn2_b64 vcc, exec, s[10:11]
	s_cbranch_vccnz .LBB94_2786
; %bb.2779:
	v_cndmask_b32_e64 v4, 0, 1.0, s[4:5]
	s_mov_b32 s10, 0x43800000
	v_cmp_gt_u32_e32 vcc, s10, v4
	v_mov_b32_e32 v5, 0x80
	s_and_saveexec_b64 s[10:11], vcc
	s_cbranch_execz .LBB94_2785
; %bb.2780:
	s_mov_b32 s14, 0x3bffffff
	v_cmp_lt_u32_e32 vcc, s14, v4
	s_mov_b64 s[14:15], 0
                                        ; implicit-def: $vgpr3
	s_and_saveexec_b64 s[26:27], vcc
	s_xor_b64 s[26:27], exec, s[26:27]
	s_cbranch_execz .LBB94_3192
; %bb.2781:
	v_bfe_u32 v3, v4, 20, 1
	s_mov_b32 s29, 0x487ffff
	v_add3_u32 v3, v4, v3, s29
	s_mov_b64 s[14:15], exec
	v_lshrrev_b32_e32 v3, 20, v3
                                        ; implicit-def: $vgpr4
	s_andn2_saveexec_b64 s[26:27], s[26:27]
	s_cbranch_execnz .LBB94_3193
.LBB94_2782:
	s_or_b64 exec, exec, s[26:27]
	v_mov_b32_e32 v5, 0
	s_and_saveexec_b64 s[26:27], s[14:15]
.LBB94_2783:
	v_mov_b32_e32 v5, v3
.LBB94_2784:
	s_or_b64 exec, exec, s[26:27]
.LBB94_2785:
	s_or_b64 exec, exec, s[10:11]
	global_store_byte v[0:1], v5, off
.LBB94_2786:
	s_mov_b64 s[10:11], -1
.LBB94_2787:
	s_mov_b64 s[14:15], 0
.LBB94_2788:
	s_and_b64 vcc, exec, s[14:15]
	s_cbranch_vccz .LBB94_2828
; %bb.2789:
	s_cmp_gt_i32 s13, 22
	s_mov_b64 s[2:3], -1
	s_cbranch_scc0 .LBB94_2821
; %bb.2790:
	s_cmp_lt_i32 s13, 24
	s_cbranch_scc1 .LBB94_2810
; %bb.2791:
	s_cmp_gt_i32 s13, 24
	s_cbranch_scc0 .LBB94_2799
; %bb.2792:
	v_cndmask_b32_e64 v4, 0, 1.0, s[4:5]
	s_mov_b32 s2, 0x47800000
	v_cmp_gt_u32_e32 vcc, s2, v4
	v_mov_b32_e32 v5, 0x80
	s_and_saveexec_b64 s[2:3], vcc
	s_cbranch_execz .LBB94_2798
; %bb.2793:
	s_mov_b32 s10, 0x37ffffff
	v_cmp_lt_u32_e32 vcc, s10, v4
	s_mov_b64 s[10:11], 0
                                        ; implicit-def: $vgpr3
	s_and_saveexec_b64 s[14:15], vcc
	s_xor_b64 s[14:15], exec, s[14:15]
	s_cbranch_execz .LBB94_3195
; %bb.2794:
	v_bfe_u32 v3, v4, 21, 1
	s_mov_b32 s26, 0x88fffff
	v_add3_u32 v3, v4, v3, s26
	s_mov_b64 s[10:11], exec
	v_lshrrev_b32_e32 v3, 21, v3
                                        ; implicit-def: $vgpr4
	s_andn2_saveexec_b64 s[14:15], s[14:15]
	s_cbranch_execnz .LBB94_3196
.LBB94_2795:
	s_or_b64 exec, exec, s[14:15]
	v_mov_b32_e32 v5, 0
	s_and_saveexec_b64 s[14:15], s[10:11]
.LBB94_2796:
	v_mov_b32_e32 v5, v3
.LBB94_2797:
	s_or_b64 exec, exec, s[14:15]
.LBB94_2798:
	s_or_b64 exec, exec, s[2:3]
	s_mov_b64 s[2:3], 0
	global_store_byte v[0:1], v5, off
.LBB94_2799:
	s_and_b64 vcc, exec, s[2:3]
	s_cbranch_vccz .LBB94_2809
; %bb.2800:
	v_cndmask_b32_e64 v3, 0, 1.0, s[4:5]
	s_mov_b32 s2, 0x43f00000
	v_cmp_gt_u32_e32 vcc, s2, v3
                                        ; implicit-def: $vgpr4
	s_and_saveexec_b64 s[2:3], vcc
	s_xor_b64 s[2:3], exec, s[2:3]
	s_cbranch_execz .LBB94_2806
; %bb.2801:
	s_mov_b32 s10, 0x3c7fffff
	v_cmp_lt_u32_e32 vcc, s10, v3
                                        ; implicit-def: $vgpr4
	s_and_saveexec_b64 s[10:11], vcc
	s_xor_b64 s[10:11], exec, s[10:11]
; %bb.2802:
	v_bfe_u32 v4, v3, 20, 1
	s_mov_b32 s14, 0x407ffff
	v_add3_u32 v3, v3, v4, s14
	v_lshrrev_b32_e32 v4, 20, v3
	v_and_b32_e32 v3, 0xff00000, v3
	s_mov_b32 s14, 0x7f00000
	v_mov_b32_e32 v5, 0x7e
	v_cmp_ne_u32_e32 vcc, s14, v3
	v_cndmask_b32_e32 v4, v5, v4, vcc
                                        ; implicit-def: $vgpr3
; %bb.2803:
	s_andn2_saveexec_b64 s[10:11], s[10:11]
; %bb.2804:
	v_add_f32_e32 v4, 0x46800000, v3
; %bb.2805:
	s_or_b64 exec, exec, s[10:11]
                                        ; implicit-def: $vgpr3
.LBB94_2806:
	s_andn2_saveexec_b64 s[2:3], s[2:3]
; %bb.2807:
	s_mov_b32 s10, 0x7f800000
	v_mov_b32_e32 v4, 0x7e
	v_mov_b32_e32 v5, 0x7f
	v_cmp_lt_u32_e32 vcc, s10, v3
	v_cndmask_b32_e32 v4, v4, v5, vcc
; %bb.2808:
	s_or_b64 exec, exec, s[2:3]
	global_store_byte v[0:1], v4, off
.LBB94_2809:
	s_mov_b64 s[2:3], 0
.LBB94_2810:
	s_andn2_b64 vcc, exec, s[2:3]
	s_cbranch_vccnz .LBB94_2820
; %bb.2811:
	v_cndmask_b32_e64 v3, 0, 1.0, s[4:5]
	s_mov_b32 s2, 0x47800000
	v_cmp_gt_u32_e32 vcc, s2, v3
                                        ; implicit-def: $vgpr4
	s_and_saveexec_b64 s[2:3], vcc
	s_xor_b64 s[2:3], exec, s[2:3]
	s_cbranch_execz .LBB94_2817
; %bb.2812:
	s_mov_b32 s10, 0x387fffff
	v_cmp_lt_u32_e32 vcc, s10, v3
                                        ; implicit-def: $vgpr4
	s_and_saveexec_b64 s[10:11], vcc
	s_xor_b64 s[10:11], exec, s[10:11]
; %bb.2813:
	v_bfe_u32 v4, v3, 21, 1
	s_mov_b32 s14, 0x80fffff
	v_add3_u32 v3, v3, v4, s14
	v_lshrrev_b32_e32 v4, 21, v3
                                        ; implicit-def: $vgpr3
; %bb.2814:
	s_andn2_saveexec_b64 s[10:11], s[10:11]
; %bb.2815:
	v_add_f32_e32 v4, 0x43000000, v3
; %bb.2816:
	s_or_b64 exec, exec, s[10:11]
                                        ; implicit-def: $vgpr3
.LBB94_2817:
	s_andn2_saveexec_b64 s[2:3], s[2:3]
; %bb.2818:
	s_mov_b32 s10, 0x7f800000
	v_mov_b32_e32 v4, 0x7c
	v_mov_b32_e32 v5, 0x7f
	v_cmp_lt_u32_e32 vcc, s10, v3
	v_cndmask_b32_e32 v4, v4, v5, vcc
; %bb.2819:
	s_or_b64 exec, exec, s[2:3]
	global_store_byte v[0:1], v4, off
.LBB94_2820:
	s_mov_b64 s[2:3], 0
	s_mov_b64 s[10:11], -1
.LBB94_2821:
	s_andn2_b64 vcc, exec, s[2:3]
	s_mov_b64 s[2:3], 0
	s_cbranch_vccnz .LBB94_2828
; %bb.2822:
	s_cmp_gt_i32 s13, 14
	s_mov_b64 s[14:15], -1
	s_cbranch_scc0 .LBB94_2826
; %bb.2823:
	s_cmp_eq_u32 s13, 15
	s_mov_b64 s[0:1], -1
	s_cbranch_scc0 .LBB94_2825
; %bb.2824:
	v_cndmask_b32_e64 v3, 0, 1.0, s[4:5]
	v_bfe_u32 v4, v3, 16, 1
	s_movk_i32 s0, 0x7fff
	v_add3_u32 v3, v3, v4, s0
	global_store_short_d16_hi v[0:1], v3, off
	s_mov_b64 s[0:1], 0
	s_mov_b64 s[10:11], -1
.LBB94_2825:
	s_mov_b64 s[14:15], 0
.LBB94_2826:
	s_and_b64 vcc, exec, s[14:15]
	s_cbranch_vccz .LBB94_2828
; %bb.2827:
	s_cmp_lg_u32 s13, 11
	s_mov_b64 s[2:3], -1
	s_cselect_b64 s[0:1], -1, 0
.LBB94_2828:
	s_and_b64 vcc, exec, s[0:1]
	s_cbranch_vccnz .LBB94_3194
; %bb.2829:
	s_andn2_b64 vcc, exec, s[2:3]
	s_cbranch_vccnz .LBB94_2831
.LBB94_2830:
	v_cndmask_b32_e64 v3, 0, 1, s[4:5]
	s_mov_b64 s[10:11], -1
	global_store_byte v[0:1], v3, off
.LBB94_2831:
	s_mov_b64 s[0:1], 0
	s_branch .LBB94_2835
.LBB94_2832:
	s_andn2_b64 vcc, exec, s[2:3]
	s_cbranch_vccnz .LBB94_2752
.LBB94_2833:
	s_waitcnt vmcnt(0)
	v_cmp_lt_f64_e32 vcc, v[0:1], v[4:5]
	s_andn2_b64 s[2:3], s[24:25], exec
	s_and_b64 s[10:11], vcc, exec
	s_or_b64 s[24:25], s[2:3], s[10:11]
	s_cbranch_execz .LBB94_2753
	s_branch .LBB94_2754
.LBB94_2834:
	s_mov_b64 s[0:1], -1
	s_mov_b64 s[10:11], 0
.LBB94_2835:
	s_and_b64 vcc, exec, s[0:1]
	s_cbranch_vccz .LBB94_2874
; %bb.2836:
	s_and_b32 s2, 0xffff, s28
	s_cmp_lt_i32 s2, 5
	s_mov_b64 s[0:1], -1
	s_cbranch_scc1 .LBB94_2857
; %bb.2837:
	s_cmp_lt_i32 s2, 8
	s_cbranch_scc1 .LBB94_2847
; %bb.2838:
	s_cmp_lt_i32 s2, 9
	s_cbranch_scc1 .LBB94_2844
; %bb.2839:
	s_cmp_gt_i32 s2, 9
	s_cbranch_scc0 .LBB94_2841
; %bb.2840:
	v_cndmask_b32_e64 v3, 0, 1, s[4:5]
	v_cvt_f64_u32_e32 v[3:4], v3
	v_mov_b32_e32 v5, 0
	v_mov_b32_e32 v6, v5
	s_mov_b64 s[0:1], 0
	global_store_dwordx4 v[0:1], v[3:6], off
.LBB94_2841:
	s_andn2_b64 vcc, exec, s[0:1]
	s_cbranch_vccnz .LBB94_2843
; %bb.2842:
	v_cndmask_b32_e64 v3, 0, 1.0, s[4:5]
	v_mov_b32_e32 v4, 0
	global_store_dwordx2 v[0:1], v[3:4], off
.LBB94_2843:
	s_mov_b64 s[0:1], 0
.LBB94_2844:
	s_andn2_b64 vcc, exec, s[0:1]
	s_cbranch_vccnz .LBB94_2846
; %bb.2845:
	v_cndmask_b32_e64 v3, 0, 1.0, s[4:5]
	v_cvt_f16_f32_e32 v3, v3
	global_store_dword v[0:1], v3, off
.LBB94_2846:
	s_mov_b64 s[0:1], 0
.LBB94_2847:
	s_andn2_b64 vcc, exec, s[0:1]
	s_cbranch_vccnz .LBB94_2856
; %bb.2848:
	s_cmp_lt_i32 s2, 6
	s_mov_b64 s[0:1], -1
	s_cbranch_scc1 .LBB94_2854
; %bb.2849:
	s_cmp_gt_i32 s2, 6
	s_cbranch_scc0 .LBB94_2851
; %bb.2850:
	v_cndmask_b32_e64 v3, 0, 1, s[4:5]
	v_cvt_f64_u32_e32 v[3:4], v3
	s_mov_b64 s[0:1], 0
	global_store_dwordx2 v[0:1], v[3:4], off
.LBB94_2851:
	s_andn2_b64 vcc, exec, s[0:1]
	s_cbranch_vccnz .LBB94_2853
; %bb.2852:
	v_cndmask_b32_e64 v3, 0, 1.0, s[4:5]
	global_store_dword v[0:1], v3, off
.LBB94_2853:
	s_mov_b64 s[0:1], 0
.LBB94_2854:
	s_andn2_b64 vcc, exec, s[0:1]
	s_cbranch_vccnz .LBB94_2856
; %bb.2855:
	v_cndmask_b32_e64 v3, 0, 1.0, s[4:5]
	v_cvt_f16_f32_e32 v3, v3
	global_store_short v[0:1], v3, off
.LBB94_2856:
	s_mov_b64 s[0:1], 0
.LBB94_2857:
	s_andn2_b64 vcc, exec, s[0:1]
	s_cbranch_vccnz .LBB94_2873
; %bb.2858:
	s_cmp_lt_i32 s2, 2
	s_mov_b64 s[0:1], -1
	s_cbranch_scc1 .LBB94_2868
; %bb.2859:
	s_cmp_lt_i32 s2, 3
	s_cbranch_scc1 .LBB94_2865
; %bb.2860:
	s_cmp_gt_i32 s2, 3
	s_cbranch_scc0 .LBB94_2862
; %bb.2861:
	s_mov_b32 s0, 0
	v_cndmask_b32_e64 v3, 0, 1, s[4:5]
	v_mov_b32_e32 v4, s0
	global_store_dwordx2 v[0:1], v[3:4], off
	s_mov_b64 s[0:1], 0
.LBB94_2862:
	s_andn2_b64 vcc, exec, s[0:1]
	s_cbranch_vccnz .LBB94_2864
; %bb.2863:
	v_cndmask_b32_e64 v3, 0, 1, s[4:5]
	global_store_dword v[0:1], v3, off
.LBB94_2864:
	s_mov_b64 s[0:1], 0
.LBB94_2865:
	s_andn2_b64 vcc, exec, s[0:1]
	s_cbranch_vccnz .LBB94_2867
; %bb.2866:
	v_cndmask_b32_e64 v3, 0, 1, s[4:5]
	global_store_short v[0:1], v3, off
.LBB94_2867:
	s_mov_b64 s[0:1], 0
.LBB94_2868:
	s_andn2_b64 vcc, exec, s[0:1]
	s_cbranch_vccnz .LBB94_2873
; %bb.2869:
	s_mov_b64 s[0:1], -1
	s_cmp_gt_i32 s2, 0
	v_cndmask_b32_e64 v3, 0, 1, s[4:5]
	s_cbranch_scc0 .LBB94_2871
; %bb.2870:
	global_store_byte v[0:1], v3, off
	s_mov_b64 s[0:1], 0
.LBB94_2871:
	s_andn2_b64 vcc, exec, s[0:1]
	s_cbranch_vccnz .LBB94_2873
; %bb.2872:
	global_store_byte v[0:1], v3, off
.LBB94_2873:
	s_mov_b64 s[10:11], -1
.LBB94_2874:
	s_andn2_b64 vcc, exec, s[10:11]
	s_cbranch_vccnz .LBB94_3189
; %bb.2875:
	s_lshl_b32 s14, s12, 7
	v_add_u32_e32 v2, s14, v2
	v_ashrrev_i32_e32 v1, 31, v2
	v_mov_b32_e32 v3, s9
	v_add_co_u32_e32 v0, vcc, s8, v2
	s_cmp_lt_i32 s28, 11
	v_addc_co_u32_e32 v1, vcc, v3, v1, vcc
	s_cbranch_scc1 .LBB94_2953
; %bb.2876:
	s_and_b32 s15, 0xffff, s28
	s_mov_b64 s[10:11], -1
	s_mov_b64 s[2:3], 0
	s_cmp_gt_i32 s15, 25
	s_mov_b64 s[4:5], 0
	s_mov_b64 s[0:1], 0
	s_cbranch_scc0 .LBB94_2909
; %bb.2877:
	s_cmp_gt_i32 s15, 28
	s_cbranch_scc0 .LBB94_2892
; %bb.2878:
	s_cmp_gt_i32 s15, 43
	;; [unrolled: 3-line block ×3, first 2 shown]
	s_cbranch_scc0 .LBB94_2882
; %bb.2880:
	s_mov_b64 s[0:1], -1
	s_mov_b64 s[10:11], 0
	s_cmp_eq_u32 s15, 46
	s_cbranch_scc0 .LBB94_2882
; %bb.2881:
	v_cndmask_b32_e64 v3, 0, 1.0, s[20:21]
	v_bfe_u32 v4, v3, 16, 1
	s_movk_i32 s0, 0x7fff
	v_add3_u32 v3, v3, v4, s0
	v_lshrrev_b32_e32 v3, 16, v3
	global_store_dword v[0:1], v3, off
	s_mov_b64 s[0:1], 0
	s_mov_b64 s[4:5], -1
.LBB94_2882:
	s_and_b64 vcc, exec, s[10:11]
	s_cbranch_vccz .LBB94_2887
; %bb.2883:
	s_cmp_eq_u32 s15, 44
	s_mov_b64 s[0:1], -1
	s_cbranch_scc0 .LBB94_2887
; %bb.2884:
	v_cndmask_b32_e64 v4, 0, 1.0, s[20:21]
	v_lshrrev_b32_e32 v3, 23, v4
	s_movk_i32 s0, 0xff
	v_cmp_ne_u32_e32 vcc, s0, v3
	v_mov_b32_e32 v5, 0xff
	s_and_saveexec_b64 s[4:5], vcc
; %bb.2885:
	s_mov_b32 s0, 0x3fffff
	v_and_b32_e32 v5, 0x400000, v4
	v_and_or_b32 v4, v4, s0, v3
	v_cmp_ne_u32_e32 vcc, 0, v5
	v_cmp_ne_u32_e64 s[0:1], 0, v4
	s_and_b64 s[0:1], vcc, s[0:1]
	v_cndmask_b32_e64 v4, 0, 1, s[0:1]
	v_add_u32_e32 v5, v3, v4
; %bb.2886:
	s_or_b64 exec, exec, s[4:5]
	s_mov_b64 s[0:1], 0
	s_mov_b64 s[4:5], -1
	global_store_byte v[0:1], v5, off
.LBB94_2887:
	s_mov_b64 s[10:11], 0
.LBB94_2888:
	s_and_b64 vcc, exec, s[10:11]
	s_cbranch_vccz .LBB94_2891
; %bb.2889:
	s_cmp_eq_u32 s15, 29
	s_mov_b64 s[0:1], -1
	s_cbranch_scc0 .LBB94_2891
; %bb.2890:
	s_mov_b32 s0, 0
	v_cndmask_b32_e64 v3, 0, 1, s[20:21]
	v_mov_b32_e32 v4, s0
	global_store_dwordx2 v[0:1], v[3:4], off
	s_mov_b64 s[0:1], 0
	s_mov_b64 s[4:5], -1
.LBB94_2891:
	s_mov_b64 s[10:11], 0
.LBB94_2892:
	s_and_b64 vcc, exec, s[10:11]
	s_cbranch_vccz .LBB94_2908
; %bb.2893:
	s_cmp_lt_i32 s15, 27
	s_mov_b64 s[4:5], -1
	s_cbranch_scc1 .LBB94_2899
; %bb.2894:
	s_cmp_gt_i32 s15, 27
	s_cbranch_scc0 .LBB94_2896
; %bb.2895:
	v_cndmask_b32_e64 v3, 0, 1, s[20:21]
	s_mov_b64 s[4:5], 0
	global_store_dword v[0:1], v3, off
.LBB94_2896:
	s_andn2_b64 vcc, exec, s[4:5]
	s_cbranch_vccnz .LBB94_2898
; %bb.2897:
	v_cndmask_b32_e64 v3, 0, 1, s[20:21]
	global_store_short v[0:1], v3, off
.LBB94_2898:
	s_mov_b64 s[4:5], 0
.LBB94_2899:
	s_andn2_b64 vcc, exec, s[4:5]
	s_cbranch_vccnz .LBB94_2907
; %bb.2900:
	v_cndmask_b32_e64 v4, 0, 1.0, s[20:21]
	s_mov_b32 s4, 0x43800000
	v_cmp_gt_u32_e32 vcc, s4, v4
	v_mov_b32_e32 v5, 0x80
	s_and_saveexec_b64 s[4:5], vcc
	s_cbranch_execz .LBB94_2906
; %bb.2901:
	s_mov_b32 s10, 0x3bffffff
	v_cmp_lt_u32_e32 vcc, s10, v4
	s_mov_b64 s[10:11], 0
                                        ; implicit-def: $vgpr3
	s_and_saveexec_b64 s[12:13], vcc
	s_xor_b64 s[12:13], exec, s[12:13]
	s_cbranch_execz .LBB94_3197
; %bb.2902:
	v_bfe_u32 v3, v4, 20, 1
	s_mov_b32 s26, 0x487ffff
	v_add3_u32 v3, v4, v3, s26
	s_mov_b64 s[10:11], exec
	v_lshrrev_b32_e32 v3, 20, v3
                                        ; implicit-def: $vgpr4
	s_andn2_saveexec_b64 s[12:13], s[12:13]
	s_cbranch_execnz .LBB94_3198
.LBB94_2903:
	s_or_b64 exec, exec, s[12:13]
	v_mov_b32_e32 v5, 0
	s_and_saveexec_b64 s[12:13], s[10:11]
.LBB94_2904:
	v_mov_b32_e32 v5, v3
.LBB94_2905:
	s_or_b64 exec, exec, s[12:13]
.LBB94_2906:
	s_or_b64 exec, exec, s[4:5]
	global_store_byte v[0:1], v5, off
.LBB94_2907:
	s_mov_b64 s[4:5], -1
.LBB94_2908:
	s_mov_b64 s[10:11], 0
.LBB94_2909:
	s_and_b64 vcc, exec, s[10:11]
	s_cbranch_vccz .LBB94_2949
; %bb.2910:
	s_cmp_gt_i32 s15, 22
	s_mov_b64 s[2:3], -1
	s_cbranch_scc0 .LBB94_2942
; %bb.2911:
	s_cmp_lt_i32 s15, 24
	s_cbranch_scc1 .LBB94_2931
; %bb.2912:
	s_cmp_gt_i32 s15, 24
	s_cbranch_scc0 .LBB94_2920
; %bb.2913:
	v_cndmask_b32_e64 v4, 0, 1.0, s[20:21]
	s_mov_b32 s2, 0x47800000
	v_cmp_gt_u32_e32 vcc, s2, v4
	v_mov_b32_e32 v5, 0x80
	s_and_saveexec_b64 s[2:3], vcc
	s_cbranch_execz .LBB94_2919
; %bb.2914:
	s_mov_b32 s4, 0x37ffffff
	v_cmp_lt_u32_e32 vcc, s4, v4
	s_mov_b64 s[4:5], 0
                                        ; implicit-def: $vgpr3
	s_and_saveexec_b64 s[10:11], vcc
	s_xor_b64 s[10:11], exec, s[10:11]
	s_cbranch_execz .LBB94_3200
; %bb.2915:
	v_bfe_u32 v3, v4, 21, 1
	s_mov_b32 s12, 0x88fffff
	v_add3_u32 v3, v4, v3, s12
	s_mov_b64 s[4:5], exec
	v_lshrrev_b32_e32 v3, 21, v3
                                        ; implicit-def: $vgpr4
	s_andn2_saveexec_b64 s[10:11], s[10:11]
	s_cbranch_execnz .LBB94_3201
.LBB94_2916:
	s_or_b64 exec, exec, s[10:11]
	v_mov_b32_e32 v5, 0
	s_and_saveexec_b64 s[10:11], s[4:5]
.LBB94_2917:
	v_mov_b32_e32 v5, v3
.LBB94_2918:
	s_or_b64 exec, exec, s[10:11]
.LBB94_2919:
	s_or_b64 exec, exec, s[2:3]
	s_mov_b64 s[2:3], 0
	global_store_byte v[0:1], v5, off
.LBB94_2920:
	s_and_b64 vcc, exec, s[2:3]
	s_cbranch_vccz .LBB94_2930
; %bb.2921:
	v_cndmask_b32_e64 v3, 0, 1.0, s[20:21]
	s_mov_b32 s2, 0x43f00000
	v_cmp_gt_u32_e32 vcc, s2, v3
                                        ; implicit-def: $vgpr4
	s_and_saveexec_b64 s[2:3], vcc
	s_xor_b64 s[2:3], exec, s[2:3]
	s_cbranch_execz .LBB94_2927
; %bb.2922:
	s_mov_b32 s4, 0x3c7fffff
	v_cmp_lt_u32_e32 vcc, s4, v3
                                        ; implicit-def: $vgpr4
	s_and_saveexec_b64 s[4:5], vcc
	s_xor_b64 s[4:5], exec, s[4:5]
; %bb.2923:
	v_bfe_u32 v4, v3, 20, 1
	s_mov_b32 s10, 0x407ffff
	v_add3_u32 v3, v3, v4, s10
	v_lshrrev_b32_e32 v4, 20, v3
	v_and_b32_e32 v3, 0xff00000, v3
	s_mov_b32 s10, 0x7f00000
	v_mov_b32_e32 v5, 0x7e
	v_cmp_ne_u32_e32 vcc, s10, v3
	v_cndmask_b32_e32 v4, v5, v4, vcc
                                        ; implicit-def: $vgpr3
; %bb.2924:
	s_andn2_saveexec_b64 s[4:5], s[4:5]
; %bb.2925:
	v_add_f32_e32 v4, 0x46800000, v3
; %bb.2926:
	s_or_b64 exec, exec, s[4:5]
                                        ; implicit-def: $vgpr3
.LBB94_2927:
	s_andn2_saveexec_b64 s[2:3], s[2:3]
; %bb.2928:
	s_mov_b32 s4, 0x7f800000
	v_mov_b32_e32 v4, 0x7e
	v_mov_b32_e32 v5, 0x7f
	v_cmp_lt_u32_e32 vcc, s4, v3
	v_cndmask_b32_e32 v4, v4, v5, vcc
; %bb.2929:
	s_or_b64 exec, exec, s[2:3]
	global_store_byte v[0:1], v4, off
.LBB94_2930:
	s_mov_b64 s[2:3], 0
.LBB94_2931:
	s_andn2_b64 vcc, exec, s[2:3]
	s_cbranch_vccnz .LBB94_2941
; %bb.2932:
	v_cndmask_b32_e64 v3, 0, 1.0, s[20:21]
	s_mov_b32 s2, 0x47800000
	v_cmp_gt_u32_e32 vcc, s2, v3
                                        ; implicit-def: $vgpr4
	s_and_saveexec_b64 s[2:3], vcc
	s_xor_b64 s[2:3], exec, s[2:3]
	s_cbranch_execz .LBB94_2938
; %bb.2933:
	s_mov_b32 s4, 0x387fffff
	v_cmp_lt_u32_e32 vcc, s4, v3
                                        ; implicit-def: $vgpr4
	s_and_saveexec_b64 s[4:5], vcc
	s_xor_b64 s[4:5], exec, s[4:5]
; %bb.2934:
	v_bfe_u32 v4, v3, 21, 1
	s_mov_b32 s10, 0x80fffff
	v_add3_u32 v3, v3, v4, s10
	v_lshrrev_b32_e32 v4, 21, v3
                                        ; implicit-def: $vgpr3
; %bb.2935:
	s_andn2_saveexec_b64 s[4:5], s[4:5]
; %bb.2936:
	v_add_f32_e32 v4, 0x43000000, v3
; %bb.2937:
	s_or_b64 exec, exec, s[4:5]
                                        ; implicit-def: $vgpr3
.LBB94_2938:
	s_andn2_saveexec_b64 s[2:3], s[2:3]
; %bb.2939:
	s_mov_b32 s4, 0x7f800000
	v_mov_b32_e32 v4, 0x7c
	v_mov_b32_e32 v5, 0x7f
	v_cmp_lt_u32_e32 vcc, s4, v3
	v_cndmask_b32_e32 v4, v4, v5, vcc
; %bb.2940:
	s_or_b64 exec, exec, s[2:3]
	global_store_byte v[0:1], v4, off
.LBB94_2941:
	s_mov_b64 s[2:3], 0
	s_mov_b64 s[4:5], -1
.LBB94_2942:
	s_andn2_b64 vcc, exec, s[2:3]
	s_mov_b64 s[2:3], 0
	s_cbranch_vccnz .LBB94_2949
; %bb.2943:
	s_cmp_gt_i32 s15, 14
	s_mov_b64 s[10:11], -1
	s_cbranch_scc0 .LBB94_2947
; %bb.2944:
	s_cmp_eq_u32 s15, 15
	s_mov_b64 s[0:1], -1
	s_cbranch_scc0 .LBB94_2946
; %bb.2945:
	v_cndmask_b32_e64 v3, 0, 1.0, s[20:21]
	v_bfe_u32 v4, v3, 16, 1
	s_movk_i32 s0, 0x7fff
	v_add3_u32 v3, v3, v4, s0
	global_store_short_d16_hi v[0:1], v3, off
	s_mov_b64 s[0:1], 0
	s_mov_b64 s[4:5], -1
.LBB94_2946:
	s_mov_b64 s[10:11], 0
.LBB94_2947:
	s_and_b64 vcc, exec, s[10:11]
	s_cbranch_vccz .LBB94_2949
; %bb.2948:
	s_cmp_lg_u32 s15, 11
	s_mov_b64 s[2:3], -1
	s_cselect_b64 s[0:1], -1, 0
.LBB94_2949:
	s_and_b64 vcc, exec, s[0:1]
	s_cbranch_vccnz .LBB94_3199
; %bb.2950:
	s_andn2_b64 vcc, exec, s[2:3]
	s_cbranch_vccnz .LBB94_2952
.LBB94_2951:
	v_cndmask_b32_e64 v3, 0, 1, s[20:21]
	s_mov_b64 s[4:5], -1
	global_store_byte v[0:1], v3, off
.LBB94_2952:
	s_mov_b64 s[0:1], 0
	s_branch .LBB94_2954
.LBB94_2953:
	s_mov_b64 s[0:1], -1
	s_mov_b64 s[4:5], 0
.LBB94_2954:
	s_and_b64 vcc, exec, s[0:1]
	s_cbranch_vccz .LBB94_2993
; %bb.2955:
	s_and_b32 s2, 0xffff, s28
	s_cmp_lt_i32 s2, 5
	s_mov_b64 s[0:1], -1
	s_cbranch_scc1 .LBB94_2976
; %bb.2956:
	s_cmp_lt_i32 s2, 8
	s_cbranch_scc1 .LBB94_2966
; %bb.2957:
	s_cmp_lt_i32 s2, 9
	s_cbranch_scc1 .LBB94_2963
; %bb.2958:
	s_cmp_gt_i32 s2, 9
	s_cbranch_scc0 .LBB94_2960
; %bb.2959:
	v_cndmask_b32_e64 v3, 0, 1, s[20:21]
	v_cvt_f64_u32_e32 v[3:4], v3
	v_mov_b32_e32 v5, 0
	v_mov_b32_e32 v6, v5
	s_mov_b64 s[0:1], 0
	global_store_dwordx4 v[0:1], v[3:6], off
.LBB94_2960:
	s_andn2_b64 vcc, exec, s[0:1]
	s_cbranch_vccnz .LBB94_2962
; %bb.2961:
	v_cndmask_b32_e64 v3, 0, 1.0, s[20:21]
	v_mov_b32_e32 v4, 0
	global_store_dwordx2 v[0:1], v[3:4], off
.LBB94_2962:
	s_mov_b64 s[0:1], 0
.LBB94_2963:
	s_andn2_b64 vcc, exec, s[0:1]
	s_cbranch_vccnz .LBB94_2965
; %bb.2964:
	v_cndmask_b32_e64 v3, 0, 1.0, s[20:21]
	v_cvt_f16_f32_e32 v3, v3
	global_store_dword v[0:1], v3, off
.LBB94_2965:
	s_mov_b64 s[0:1], 0
.LBB94_2966:
	s_andn2_b64 vcc, exec, s[0:1]
	s_cbranch_vccnz .LBB94_2975
; %bb.2967:
	s_cmp_lt_i32 s2, 6
	s_mov_b64 s[0:1], -1
	s_cbranch_scc1 .LBB94_2973
; %bb.2968:
	s_cmp_gt_i32 s2, 6
	s_cbranch_scc0 .LBB94_2970
; %bb.2969:
	v_cndmask_b32_e64 v3, 0, 1, s[20:21]
	v_cvt_f64_u32_e32 v[3:4], v3
	s_mov_b64 s[0:1], 0
	global_store_dwordx2 v[0:1], v[3:4], off
.LBB94_2970:
	s_andn2_b64 vcc, exec, s[0:1]
	s_cbranch_vccnz .LBB94_2972
; %bb.2971:
	v_cndmask_b32_e64 v3, 0, 1.0, s[20:21]
	global_store_dword v[0:1], v3, off
.LBB94_2972:
	s_mov_b64 s[0:1], 0
.LBB94_2973:
	s_andn2_b64 vcc, exec, s[0:1]
	s_cbranch_vccnz .LBB94_2975
; %bb.2974:
	v_cndmask_b32_e64 v3, 0, 1.0, s[20:21]
	v_cvt_f16_f32_e32 v3, v3
	global_store_short v[0:1], v3, off
.LBB94_2975:
	s_mov_b64 s[0:1], 0
.LBB94_2976:
	s_andn2_b64 vcc, exec, s[0:1]
	s_cbranch_vccnz .LBB94_2992
; %bb.2977:
	s_cmp_lt_i32 s2, 2
	s_mov_b64 s[0:1], -1
	s_cbranch_scc1 .LBB94_2987
; %bb.2978:
	s_cmp_lt_i32 s2, 3
	s_cbranch_scc1 .LBB94_2984
; %bb.2979:
	s_cmp_gt_i32 s2, 3
	s_cbranch_scc0 .LBB94_2981
; %bb.2980:
	s_mov_b32 s0, 0
	v_cndmask_b32_e64 v3, 0, 1, s[20:21]
	v_mov_b32_e32 v4, s0
	global_store_dwordx2 v[0:1], v[3:4], off
	s_mov_b64 s[0:1], 0
.LBB94_2981:
	s_andn2_b64 vcc, exec, s[0:1]
	s_cbranch_vccnz .LBB94_2983
; %bb.2982:
	v_cndmask_b32_e64 v3, 0, 1, s[20:21]
	global_store_dword v[0:1], v3, off
.LBB94_2983:
	s_mov_b64 s[0:1], 0
.LBB94_2984:
	s_andn2_b64 vcc, exec, s[0:1]
	s_cbranch_vccnz .LBB94_2986
; %bb.2985:
	v_cndmask_b32_e64 v3, 0, 1, s[20:21]
	global_store_short v[0:1], v3, off
.LBB94_2986:
	s_mov_b64 s[0:1], 0
.LBB94_2987:
	s_andn2_b64 vcc, exec, s[0:1]
	s_cbranch_vccnz .LBB94_2992
; %bb.2988:
	s_mov_b64 s[0:1], -1
	s_cmp_gt_i32 s2, 0
	v_cndmask_b32_e64 v3, 0, 1, s[20:21]
	s_cbranch_scc0 .LBB94_2990
; %bb.2989:
	global_store_byte v[0:1], v3, off
	s_mov_b64 s[0:1], 0
.LBB94_2990:
	s_andn2_b64 vcc, exec, s[0:1]
	s_cbranch_vccnz .LBB94_2992
; %bb.2991:
	global_store_byte v[0:1], v3, off
.LBB94_2992:
	s_mov_b64 s[4:5], -1
.LBB94_2993:
	s_andn2_b64 vcc, exec, s[4:5]
	s_cbranch_vccnz .LBB94_3189
; %bb.2994:
	v_add_u32_e32 v2, s14, v2
	v_ashrrev_i32_e32 v1, 31, v2
	v_mov_b32_e32 v3, s9
	v_add_co_u32_e32 v0, vcc, s8, v2
	s_cmp_lt_i32 s28, 11
	v_addc_co_u32_e32 v1, vcc, v3, v1, vcc
	s_cbranch_scc1 .LBB94_3072
; %bb.2995:
	s_and_b32 s15, 0xffff, s28
	s_mov_b64 s[10:11], -1
	s_mov_b64 s[2:3], 0
	s_cmp_gt_i32 s15, 25
	s_mov_b64 s[4:5], 0
	s_mov_b64 s[0:1], 0
	s_cbranch_scc0 .LBB94_3028
; %bb.2996:
	s_cmp_gt_i32 s15, 28
	s_cbranch_scc0 .LBB94_3011
; %bb.2997:
	s_cmp_gt_i32 s15, 43
	;; [unrolled: 3-line block ×3, first 2 shown]
	s_cbranch_scc0 .LBB94_3001
; %bb.2999:
	s_mov_b64 s[0:1], -1
	s_mov_b64 s[10:11], 0
	s_cmp_eq_u32 s15, 46
	s_cbranch_scc0 .LBB94_3001
; %bb.3000:
	v_cndmask_b32_e64 v3, 0, 1.0, s[22:23]
	v_bfe_u32 v4, v3, 16, 1
	s_movk_i32 s0, 0x7fff
	v_add3_u32 v3, v3, v4, s0
	v_lshrrev_b32_e32 v3, 16, v3
	global_store_dword v[0:1], v3, off
	s_mov_b64 s[0:1], 0
	s_mov_b64 s[4:5], -1
.LBB94_3001:
	s_and_b64 vcc, exec, s[10:11]
	s_cbranch_vccz .LBB94_3006
; %bb.3002:
	s_cmp_eq_u32 s15, 44
	s_mov_b64 s[0:1], -1
	s_cbranch_scc0 .LBB94_3006
; %bb.3003:
	v_cndmask_b32_e64 v4, 0, 1.0, s[22:23]
	v_lshrrev_b32_e32 v3, 23, v4
	s_movk_i32 s0, 0xff
	v_cmp_ne_u32_e32 vcc, s0, v3
	v_mov_b32_e32 v5, 0xff
	s_and_saveexec_b64 s[4:5], vcc
; %bb.3004:
	s_mov_b32 s0, 0x3fffff
	v_and_b32_e32 v5, 0x400000, v4
	v_and_or_b32 v4, v4, s0, v3
	v_cmp_ne_u32_e32 vcc, 0, v5
	v_cmp_ne_u32_e64 s[0:1], 0, v4
	s_and_b64 s[0:1], vcc, s[0:1]
	v_cndmask_b32_e64 v4, 0, 1, s[0:1]
	v_add_u32_e32 v5, v3, v4
; %bb.3005:
	s_or_b64 exec, exec, s[4:5]
	s_mov_b64 s[0:1], 0
	s_mov_b64 s[4:5], -1
	global_store_byte v[0:1], v5, off
.LBB94_3006:
	s_mov_b64 s[10:11], 0
.LBB94_3007:
	s_and_b64 vcc, exec, s[10:11]
	s_cbranch_vccz .LBB94_3010
; %bb.3008:
	s_cmp_eq_u32 s15, 29
	s_mov_b64 s[0:1], -1
	s_cbranch_scc0 .LBB94_3010
; %bb.3009:
	s_mov_b32 s0, 0
	v_cndmask_b32_e64 v3, 0, 1, s[22:23]
	v_mov_b32_e32 v4, s0
	global_store_dwordx2 v[0:1], v[3:4], off
	s_mov_b64 s[0:1], 0
	s_mov_b64 s[4:5], -1
.LBB94_3010:
	s_mov_b64 s[10:11], 0
.LBB94_3011:
	s_and_b64 vcc, exec, s[10:11]
	s_cbranch_vccz .LBB94_3027
; %bb.3012:
	s_cmp_lt_i32 s15, 27
	s_mov_b64 s[4:5], -1
	s_cbranch_scc1 .LBB94_3018
; %bb.3013:
	s_cmp_gt_i32 s15, 27
	s_cbranch_scc0 .LBB94_3015
; %bb.3014:
	v_cndmask_b32_e64 v3, 0, 1, s[22:23]
	s_mov_b64 s[4:5], 0
	global_store_dword v[0:1], v3, off
.LBB94_3015:
	s_andn2_b64 vcc, exec, s[4:5]
	s_cbranch_vccnz .LBB94_3017
; %bb.3016:
	v_cndmask_b32_e64 v3, 0, 1, s[22:23]
	global_store_short v[0:1], v3, off
.LBB94_3017:
	s_mov_b64 s[4:5], 0
.LBB94_3018:
	s_andn2_b64 vcc, exec, s[4:5]
	s_cbranch_vccnz .LBB94_3026
; %bb.3019:
	v_cndmask_b32_e64 v4, 0, 1.0, s[22:23]
	s_mov_b32 s4, 0x43800000
	v_cmp_gt_u32_e32 vcc, s4, v4
	v_mov_b32_e32 v5, 0x80
	s_and_saveexec_b64 s[4:5], vcc
	s_cbranch_execz .LBB94_3025
; %bb.3020:
	s_mov_b32 s10, 0x3bffffff
	v_cmp_lt_u32_e32 vcc, s10, v4
	s_mov_b64 s[10:11], 0
                                        ; implicit-def: $vgpr3
	s_and_saveexec_b64 s[12:13], vcc
	s_xor_b64 s[12:13], exec, s[12:13]
	s_cbranch_execz .LBB94_3202
; %bb.3021:
	v_bfe_u32 v3, v4, 20, 1
	s_mov_b32 s20, 0x487ffff
	v_add3_u32 v3, v4, v3, s20
	s_mov_b64 s[10:11], exec
	v_lshrrev_b32_e32 v3, 20, v3
                                        ; implicit-def: $vgpr4
	s_andn2_saveexec_b64 s[12:13], s[12:13]
	s_cbranch_execnz .LBB94_3203
.LBB94_3022:
	s_or_b64 exec, exec, s[12:13]
	v_mov_b32_e32 v5, 0
	s_and_saveexec_b64 s[12:13], s[10:11]
.LBB94_3023:
	v_mov_b32_e32 v5, v3
.LBB94_3024:
	s_or_b64 exec, exec, s[12:13]
.LBB94_3025:
	s_or_b64 exec, exec, s[4:5]
	global_store_byte v[0:1], v5, off
.LBB94_3026:
	s_mov_b64 s[4:5], -1
.LBB94_3027:
	s_mov_b64 s[10:11], 0
.LBB94_3028:
	s_and_b64 vcc, exec, s[10:11]
	s_cbranch_vccz .LBB94_3068
; %bb.3029:
	s_cmp_gt_i32 s15, 22
	s_mov_b64 s[2:3], -1
	s_cbranch_scc0 .LBB94_3061
; %bb.3030:
	s_cmp_lt_i32 s15, 24
	s_cbranch_scc1 .LBB94_3050
; %bb.3031:
	s_cmp_gt_i32 s15, 24
	s_cbranch_scc0 .LBB94_3039
; %bb.3032:
	v_cndmask_b32_e64 v4, 0, 1.0, s[22:23]
	s_mov_b32 s2, 0x47800000
	v_cmp_gt_u32_e32 vcc, s2, v4
	v_mov_b32_e32 v5, 0x80
	s_and_saveexec_b64 s[2:3], vcc
	s_cbranch_execz .LBB94_3038
; %bb.3033:
	s_mov_b32 s4, 0x37ffffff
	v_cmp_lt_u32_e32 vcc, s4, v4
	s_mov_b64 s[4:5], 0
                                        ; implicit-def: $vgpr3
	s_and_saveexec_b64 s[10:11], vcc
	s_xor_b64 s[10:11], exec, s[10:11]
	s_cbranch_execz .LBB94_3205
; %bb.3034:
	v_bfe_u32 v3, v4, 21, 1
	s_mov_b32 s12, 0x88fffff
	v_add3_u32 v3, v4, v3, s12
	s_mov_b64 s[4:5], exec
	v_lshrrev_b32_e32 v3, 21, v3
                                        ; implicit-def: $vgpr4
	s_andn2_saveexec_b64 s[10:11], s[10:11]
	s_cbranch_execnz .LBB94_3206
.LBB94_3035:
	s_or_b64 exec, exec, s[10:11]
	v_mov_b32_e32 v5, 0
	s_and_saveexec_b64 s[10:11], s[4:5]
.LBB94_3036:
	v_mov_b32_e32 v5, v3
.LBB94_3037:
	s_or_b64 exec, exec, s[10:11]
.LBB94_3038:
	s_or_b64 exec, exec, s[2:3]
	s_mov_b64 s[2:3], 0
	global_store_byte v[0:1], v5, off
.LBB94_3039:
	s_and_b64 vcc, exec, s[2:3]
	s_cbranch_vccz .LBB94_3049
; %bb.3040:
	v_cndmask_b32_e64 v3, 0, 1.0, s[22:23]
	s_mov_b32 s2, 0x43f00000
	v_cmp_gt_u32_e32 vcc, s2, v3
                                        ; implicit-def: $vgpr4
	s_and_saveexec_b64 s[2:3], vcc
	s_xor_b64 s[2:3], exec, s[2:3]
	s_cbranch_execz .LBB94_3046
; %bb.3041:
	s_mov_b32 s4, 0x3c7fffff
	v_cmp_lt_u32_e32 vcc, s4, v3
                                        ; implicit-def: $vgpr4
	s_and_saveexec_b64 s[4:5], vcc
	s_xor_b64 s[4:5], exec, s[4:5]
; %bb.3042:
	v_bfe_u32 v4, v3, 20, 1
	s_mov_b32 s10, 0x407ffff
	v_add3_u32 v3, v3, v4, s10
	v_lshrrev_b32_e32 v4, 20, v3
	v_and_b32_e32 v3, 0xff00000, v3
	s_mov_b32 s10, 0x7f00000
	v_mov_b32_e32 v5, 0x7e
	v_cmp_ne_u32_e32 vcc, s10, v3
	v_cndmask_b32_e32 v4, v5, v4, vcc
                                        ; implicit-def: $vgpr3
; %bb.3043:
	s_andn2_saveexec_b64 s[4:5], s[4:5]
; %bb.3044:
	v_add_f32_e32 v4, 0x46800000, v3
; %bb.3045:
	s_or_b64 exec, exec, s[4:5]
                                        ; implicit-def: $vgpr3
.LBB94_3046:
	s_andn2_saveexec_b64 s[2:3], s[2:3]
; %bb.3047:
	s_mov_b32 s4, 0x7f800000
	v_mov_b32_e32 v4, 0x7e
	v_mov_b32_e32 v5, 0x7f
	v_cmp_lt_u32_e32 vcc, s4, v3
	v_cndmask_b32_e32 v4, v4, v5, vcc
; %bb.3048:
	s_or_b64 exec, exec, s[2:3]
	global_store_byte v[0:1], v4, off
.LBB94_3049:
	s_mov_b64 s[2:3], 0
.LBB94_3050:
	s_andn2_b64 vcc, exec, s[2:3]
	s_cbranch_vccnz .LBB94_3060
; %bb.3051:
	v_cndmask_b32_e64 v3, 0, 1.0, s[22:23]
	s_mov_b32 s2, 0x47800000
	v_cmp_gt_u32_e32 vcc, s2, v3
                                        ; implicit-def: $vgpr4
	s_and_saveexec_b64 s[2:3], vcc
	s_xor_b64 s[2:3], exec, s[2:3]
	s_cbranch_execz .LBB94_3057
; %bb.3052:
	s_mov_b32 s4, 0x387fffff
	v_cmp_lt_u32_e32 vcc, s4, v3
                                        ; implicit-def: $vgpr4
	s_and_saveexec_b64 s[4:5], vcc
	s_xor_b64 s[4:5], exec, s[4:5]
; %bb.3053:
	v_bfe_u32 v4, v3, 21, 1
	s_mov_b32 s10, 0x80fffff
	v_add3_u32 v3, v3, v4, s10
	v_lshrrev_b32_e32 v4, 21, v3
                                        ; implicit-def: $vgpr3
; %bb.3054:
	s_andn2_saveexec_b64 s[4:5], s[4:5]
; %bb.3055:
	v_add_f32_e32 v4, 0x43000000, v3
; %bb.3056:
	s_or_b64 exec, exec, s[4:5]
                                        ; implicit-def: $vgpr3
.LBB94_3057:
	s_andn2_saveexec_b64 s[2:3], s[2:3]
; %bb.3058:
	s_mov_b32 s4, 0x7f800000
	v_mov_b32_e32 v4, 0x7c
	v_mov_b32_e32 v5, 0x7f
	v_cmp_lt_u32_e32 vcc, s4, v3
	v_cndmask_b32_e32 v4, v4, v5, vcc
; %bb.3059:
	s_or_b64 exec, exec, s[2:3]
	global_store_byte v[0:1], v4, off
.LBB94_3060:
	s_mov_b64 s[2:3], 0
	s_mov_b64 s[4:5], -1
.LBB94_3061:
	s_andn2_b64 vcc, exec, s[2:3]
	s_mov_b64 s[2:3], 0
	s_cbranch_vccnz .LBB94_3068
; %bb.3062:
	s_cmp_gt_i32 s15, 14
	s_mov_b64 s[10:11], -1
	s_cbranch_scc0 .LBB94_3066
; %bb.3063:
	s_cmp_eq_u32 s15, 15
	s_mov_b64 s[0:1], -1
	s_cbranch_scc0 .LBB94_3065
; %bb.3064:
	v_cndmask_b32_e64 v3, 0, 1.0, s[22:23]
	v_bfe_u32 v4, v3, 16, 1
	s_movk_i32 s0, 0x7fff
	v_add3_u32 v3, v3, v4, s0
	global_store_short_d16_hi v[0:1], v3, off
	s_mov_b64 s[0:1], 0
	s_mov_b64 s[4:5], -1
.LBB94_3065:
	s_mov_b64 s[10:11], 0
.LBB94_3066:
	s_and_b64 vcc, exec, s[10:11]
	s_cbranch_vccz .LBB94_3068
; %bb.3067:
	s_cmp_lg_u32 s15, 11
	s_mov_b64 s[2:3], -1
	s_cselect_b64 s[0:1], -1, 0
.LBB94_3068:
	s_and_b64 vcc, exec, s[0:1]
	s_cbranch_vccnz .LBB94_3204
; %bb.3069:
	s_andn2_b64 vcc, exec, s[2:3]
	s_cbranch_vccnz .LBB94_3071
.LBB94_3070:
	v_cndmask_b32_e64 v3, 0, 1, s[22:23]
	s_mov_b64 s[4:5], -1
	global_store_byte v[0:1], v3, off
.LBB94_3071:
	s_mov_b64 s[0:1], 0
	s_branch .LBB94_3073
.LBB94_3072:
	s_mov_b64 s[0:1], -1
	s_mov_b64 s[4:5], 0
.LBB94_3073:
	s_and_b64 vcc, exec, s[0:1]
	s_cbranch_vccz .LBB94_3112
; %bb.3074:
	s_and_b32 s2, 0xffff, s28
	s_cmp_lt_i32 s2, 5
	s_mov_b64 s[0:1], -1
	s_cbranch_scc1 .LBB94_3095
; %bb.3075:
	s_cmp_lt_i32 s2, 8
	s_cbranch_scc1 .LBB94_3085
; %bb.3076:
	s_cmp_lt_i32 s2, 9
	s_cbranch_scc1 .LBB94_3082
; %bb.3077:
	s_cmp_gt_i32 s2, 9
	s_cbranch_scc0 .LBB94_3079
; %bb.3078:
	v_cndmask_b32_e64 v3, 0, 1, s[22:23]
	v_cvt_f64_u32_e32 v[3:4], v3
	v_mov_b32_e32 v5, 0
	v_mov_b32_e32 v6, v5
	s_mov_b64 s[0:1], 0
	global_store_dwordx4 v[0:1], v[3:6], off
.LBB94_3079:
	s_andn2_b64 vcc, exec, s[0:1]
	s_cbranch_vccnz .LBB94_3081
; %bb.3080:
	v_cndmask_b32_e64 v3, 0, 1.0, s[22:23]
	v_mov_b32_e32 v4, 0
	global_store_dwordx2 v[0:1], v[3:4], off
.LBB94_3081:
	s_mov_b64 s[0:1], 0
.LBB94_3082:
	s_andn2_b64 vcc, exec, s[0:1]
	s_cbranch_vccnz .LBB94_3084
; %bb.3083:
	v_cndmask_b32_e64 v3, 0, 1.0, s[22:23]
	v_cvt_f16_f32_e32 v3, v3
	global_store_dword v[0:1], v3, off
.LBB94_3084:
	s_mov_b64 s[0:1], 0
.LBB94_3085:
	s_andn2_b64 vcc, exec, s[0:1]
	s_cbranch_vccnz .LBB94_3094
; %bb.3086:
	s_cmp_lt_i32 s2, 6
	s_mov_b64 s[0:1], -1
	s_cbranch_scc1 .LBB94_3092
; %bb.3087:
	s_cmp_gt_i32 s2, 6
	s_cbranch_scc0 .LBB94_3089
; %bb.3088:
	v_cndmask_b32_e64 v3, 0, 1, s[22:23]
	v_cvt_f64_u32_e32 v[3:4], v3
	s_mov_b64 s[0:1], 0
	global_store_dwordx2 v[0:1], v[3:4], off
.LBB94_3089:
	s_andn2_b64 vcc, exec, s[0:1]
	s_cbranch_vccnz .LBB94_3091
; %bb.3090:
	v_cndmask_b32_e64 v3, 0, 1.0, s[22:23]
	global_store_dword v[0:1], v3, off
.LBB94_3091:
	s_mov_b64 s[0:1], 0
.LBB94_3092:
	s_andn2_b64 vcc, exec, s[0:1]
	s_cbranch_vccnz .LBB94_3094
; %bb.3093:
	v_cndmask_b32_e64 v3, 0, 1.0, s[22:23]
	v_cvt_f16_f32_e32 v3, v3
	global_store_short v[0:1], v3, off
.LBB94_3094:
	s_mov_b64 s[0:1], 0
.LBB94_3095:
	s_andn2_b64 vcc, exec, s[0:1]
	s_cbranch_vccnz .LBB94_3111
; %bb.3096:
	s_cmp_lt_i32 s2, 2
	s_mov_b64 s[0:1], -1
	s_cbranch_scc1 .LBB94_3106
; %bb.3097:
	s_cmp_lt_i32 s2, 3
	s_cbranch_scc1 .LBB94_3103
; %bb.3098:
	s_cmp_gt_i32 s2, 3
	s_cbranch_scc0 .LBB94_3100
; %bb.3099:
	s_mov_b32 s0, 0
	v_cndmask_b32_e64 v3, 0, 1, s[22:23]
	v_mov_b32_e32 v4, s0
	global_store_dwordx2 v[0:1], v[3:4], off
	s_mov_b64 s[0:1], 0
.LBB94_3100:
	s_andn2_b64 vcc, exec, s[0:1]
	s_cbranch_vccnz .LBB94_3102
; %bb.3101:
	v_cndmask_b32_e64 v3, 0, 1, s[22:23]
	global_store_dword v[0:1], v3, off
.LBB94_3102:
	s_mov_b64 s[0:1], 0
.LBB94_3103:
	s_andn2_b64 vcc, exec, s[0:1]
	s_cbranch_vccnz .LBB94_3105
; %bb.3104:
	v_cndmask_b32_e64 v3, 0, 1, s[22:23]
	global_store_short v[0:1], v3, off
.LBB94_3105:
	s_mov_b64 s[0:1], 0
.LBB94_3106:
	s_andn2_b64 vcc, exec, s[0:1]
	s_cbranch_vccnz .LBB94_3111
; %bb.3107:
	s_mov_b64 s[0:1], -1
	s_cmp_gt_i32 s2, 0
	v_cndmask_b32_e64 v3, 0, 1, s[22:23]
	s_cbranch_scc0 .LBB94_3109
; %bb.3108:
	global_store_byte v[0:1], v3, off
	s_mov_b64 s[0:1], 0
.LBB94_3109:
	s_andn2_b64 vcc, exec, s[0:1]
	s_cbranch_vccnz .LBB94_3111
; %bb.3110:
	global_store_byte v[0:1], v3, off
.LBB94_3111:
	s_mov_b64 s[4:5], -1
.LBB94_3112:
	s_andn2_b64 vcc, exec, s[4:5]
	s_cbranch_vccnz .LBB94_3189
; %bb.3113:
	v_add_u32_e32 v0, s14, v2
	v_ashrrev_i32_e32 v1, 31, v0
	v_mov_b32_e32 v2, s9
	v_add_co_u32_e32 v0, vcc, s8, v0
	s_cmp_lt_i32 s28, 11
	v_addc_co_u32_e32 v1, vcc, v2, v1, vcc
	s_cbranch_scc1 .LBB94_3190
; %bb.3114:
	s_and_b32 s12, 0xffff, s28
	s_mov_b64 s[4:5], -1
	s_mov_b64 s[2:3], 0
	s_cmp_gt_i32 s12, 25
	s_mov_b64 s[0:1], 0
	s_cbranch_scc0 .LBB94_3147
; %bb.3115:
	s_cmp_gt_i32 s12, 28
	s_cbranch_scc0 .LBB94_3131
; %bb.3116:
	s_cmp_gt_i32 s12, 43
	s_cbranch_scc0 .LBB94_3127
; %bb.3117:
	s_cmp_gt_i32 s12, 45
	s_cbranch_scc0 .LBB94_3121
; %bb.3118:
	s_cmp_eq_u32 s12, 46
	s_mov_b64 s[0:1], -1
	s_cbranch_scc0 .LBB94_3120
; %bb.3119:
	v_cndmask_b32_e64 v2, 0, 1.0, s[24:25]
	v_bfe_u32 v3, v2, 16, 1
	s_movk_i32 s0, 0x7fff
	v_add3_u32 v2, v2, v3, s0
	v_lshrrev_b32_e32 v2, 16, v2
	global_store_dword v[0:1], v2, off
	s_mov_b64 s[0:1], 0
.LBB94_3120:
	s_mov_b64 s[4:5], 0
.LBB94_3121:
	s_and_b64 vcc, exec, s[4:5]
	s_cbranch_vccz .LBB94_3126
; %bb.3122:
	s_cmp_eq_u32 s12, 44
	s_mov_b64 s[0:1], -1
	s_cbranch_scc0 .LBB94_3126
; %bb.3123:
	v_cndmask_b32_e64 v3, 0, 1.0, s[24:25]
	v_lshrrev_b32_e32 v2, 23, v3
	s_movk_i32 s0, 0xff
	v_cmp_ne_u32_e32 vcc, s0, v2
	v_mov_b32_e32 v4, 0xff
	s_and_saveexec_b64 s[4:5], vcc
; %bb.3124:
	s_mov_b32 s0, 0x3fffff
	v_and_b32_e32 v4, 0x400000, v3
	v_and_or_b32 v3, v3, s0, v2
	v_cmp_ne_u32_e32 vcc, 0, v4
	v_cmp_ne_u32_e64 s[0:1], 0, v3
	s_and_b64 s[0:1], vcc, s[0:1]
	v_cndmask_b32_e64 v3, 0, 1, s[0:1]
	v_add_u32_e32 v4, v2, v3
; %bb.3125:
	s_or_b64 exec, exec, s[4:5]
	s_mov_b64 s[0:1], 0
	global_store_byte v[0:1], v4, off
.LBB94_3126:
	s_mov_b64 s[4:5], 0
.LBB94_3127:
	s_and_b64 vcc, exec, s[4:5]
	s_cbranch_vccz .LBB94_3130
; %bb.3128:
	s_cmp_eq_u32 s12, 29
	s_mov_b64 s[0:1], -1
	s_cbranch_scc0 .LBB94_3130
; %bb.3129:
	s_mov_b32 s0, 0
	v_cndmask_b32_e64 v2, 0, 1, s[24:25]
	v_mov_b32_e32 v3, s0
	global_store_dwordx2 v[0:1], v[2:3], off
	s_mov_b64 s[0:1], 0
.LBB94_3130:
	s_mov_b64 s[4:5], 0
.LBB94_3131:
	s_and_b64 vcc, exec, s[4:5]
	s_cbranch_vccz .LBB94_3146
; %bb.3132:
	s_cmp_lt_i32 s12, 27
	s_mov_b64 s[4:5], -1
	s_cbranch_scc1 .LBB94_3138
; %bb.3133:
	s_cmp_gt_i32 s12, 27
	v_cndmask_b32_e64 v2, 0, 1, s[24:25]
	s_cbranch_scc0 .LBB94_3135
; %bb.3134:
	global_store_dword v[0:1], v2, off
	s_mov_b64 s[4:5], 0
.LBB94_3135:
	s_andn2_b64 vcc, exec, s[4:5]
	s_cbranch_vccnz .LBB94_3137
; %bb.3136:
	global_store_short v[0:1], v2, off
.LBB94_3137:
	s_mov_b64 s[4:5], 0
.LBB94_3138:
	s_andn2_b64 vcc, exec, s[4:5]
	s_cbranch_vccnz .LBB94_3146
; %bb.3139:
	v_cndmask_b32_e64 v3, 0, 1.0, s[24:25]
	s_mov_b32 s4, 0x43800000
	v_cmp_gt_u32_e32 vcc, s4, v3
	v_mov_b32_e32 v4, 0x80
	s_and_saveexec_b64 s[4:5], vcc
	s_cbranch_execz .LBB94_3145
; %bb.3140:
	s_mov_b32 s8, 0x3bffffff
	v_cmp_lt_u32_e32 vcc, s8, v3
	s_mov_b64 s[8:9], 0
                                        ; implicit-def: $vgpr2
	s_and_saveexec_b64 s[10:11], vcc
	s_xor_b64 s[10:11], exec, s[10:11]
	s_cbranch_execz .LBB94_3207
; %bb.3141:
	v_bfe_u32 v2, v3, 20, 1
	s_mov_b32 s13, 0x487ffff
	v_add3_u32 v2, v3, v2, s13
	s_mov_b64 s[8:9], exec
	v_lshrrev_b32_e32 v2, 20, v2
                                        ; implicit-def: $vgpr3
	s_andn2_saveexec_b64 s[10:11], s[10:11]
	s_cbranch_execnz .LBB94_3208
.LBB94_3142:
	s_or_b64 exec, exec, s[10:11]
	v_mov_b32_e32 v4, 0
	s_and_saveexec_b64 s[10:11], s[8:9]
.LBB94_3143:
	v_mov_b32_e32 v4, v2
.LBB94_3144:
	s_or_b64 exec, exec, s[10:11]
.LBB94_3145:
	s_or_b64 exec, exec, s[4:5]
	global_store_byte v[0:1], v4, off
.LBB94_3146:
	s_mov_b64 s[4:5], 0
.LBB94_3147:
	s_and_b64 vcc, exec, s[4:5]
	s_cbranch_vccz .LBB94_3187
; %bb.3148:
	s_cmp_gt_i32 s12, 22
	s_mov_b64 s[2:3], -1
	s_cbranch_scc0 .LBB94_3180
; %bb.3149:
	s_cmp_lt_i32 s12, 24
	s_cbranch_scc1 .LBB94_3169
; %bb.3150:
	s_cmp_gt_i32 s12, 24
	s_cbranch_scc0 .LBB94_3158
; %bb.3151:
	v_cndmask_b32_e64 v3, 0, 1.0, s[24:25]
	s_mov_b32 s2, 0x47800000
	v_cmp_gt_u32_e32 vcc, s2, v3
	v_mov_b32_e32 v4, 0x80
	s_and_saveexec_b64 s[2:3], vcc
	s_cbranch_execz .LBB94_3157
; %bb.3152:
	s_mov_b32 s4, 0x37ffffff
	v_cmp_lt_u32_e32 vcc, s4, v3
	s_mov_b64 s[4:5], 0
                                        ; implicit-def: $vgpr2
	s_and_saveexec_b64 s[8:9], vcc
	s_xor_b64 s[8:9], exec, s[8:9]
	s_cbranch_execz .LBB94_3210
; %bb.3153:
	v_bfe_u32 v2, v3, 21, 1
	s_mov_b32 s10, 0x88fffff
	v_add3_u32 v2, v3, v2, s10
	s_mov_b64 s[4:5], exec
	v_lshrrev_b32_e32 v2, 21, v2
                                        ; implicit-def: $vgpr3
	s_andn2_saveexec_b64 s[8:9], s[8:9]
	s_cbranch_execnz .LBB94_3211
.LBB94_3154:
	s_or_b64 exec, exec, s[8:9]
	v_mov_b32_e32 v4, 0
	s_and_saveexec_b64 s[8:9], s[4:5]
.LBB94_3155:
	v_mov_b32_e32 v4, v2
.LBB94_3156:
	s_or_b64 exec, exec, s[8:9]
.LBB94_3157:
	s_or_b64 exec, exec, s[2:3]
	s_mov_b64 s[2:3], 0
	global_store_byte v[0:1], v4, off
.LBB94_3158:
	s_and_b64 vcc, exec, s[2:3]
	s_cbranch_vccz .LBB94_3168
; %bb.3159:
	v_cndmask_b32_e64 v2, 0, 1.0, s[24:25]
	s_mov_b32 s2, 0x43f00000
	v_cmp_gt_u32_e32 vcc, s2, v2
                                        ; implicit-def: $vgpr3
	s_and_saveexec_b64 s[2:3], vcc
	s_xor_b64 s[2:3], exec, s[2:3]
	s_cbranch_execz .LBB94_3165
; %bb.3160:
	s_mov_b32 s4, 0x3c7fffff
	v_cmp_lt_u32_e32 vcc, s4, v2
                                        ; implicit-def: $vgpr3
	s_and_saveexec_b64 s[4:5], vcc
	s_xor_b64 s[4:5], exec, s[4:5]
; %bb.3161:
	v_bfe_u32 v3, v2, 20, 1
	s_mov_b32 s8, 0x407ffff
	v_add3_u32 v2, v2, v3, s8
	v_lshrrev_b32_e32 v3, 20, v2
	v_and_b32_e32 v2, 0xff00000, v2
	s_mov_b32 s8, 0x7f00000
	v_mov_b32_e32 v4, 0x7e
	v_cmp_ne_u32_e32 vcc, s8, v2
	v_cndmask_b32_e32 v3, v4, v3, vcc
                                        ; implicit-def: $vgpr2
; %bb.3162:
	s_andn2_saveexec_b64 s[4:5], s[4:5]
; %bb.3163:
	v_add_f32_e32 v3, 0x46800000, v2
; %bb.3164:
	s_or_b64 exec, exec, s[4:5]
                                        ; implicit-def: $vgpr2
.LBB94_3165:
	s_andn2_saveexec_b64 s[2:3], s[2:3]
; %bb.3166:
	s_mov_b32 s4, 0x7f800000
	v_mov_b32_e32 v3, 0x7e
	v_mov_b32_e32 v4, 0x7f
	v_cmp_lt_u32_e32 vcc, s4, v2
	v_cndmask_b32_e32 v3, v3, v4, vcc
; %bb.3167:
	s_or_b64 exec, exec, s[2:3]
	global_store_byte v[0:1], v3, off
.LBB94_3168:
	s_mov_b64 s[2:3], 0
.LBB94_3169:
	s_andn2_b64 vcc, exec, s[2:3]
	s_cbranch_vccnz .LBB94_3179
; %bb.3170:
	v_cndmask_b32_e64 v2, 0, 1.0, s[24:25]
	s_mov_b32 s2, 0x47800000
	v_cmp_gt_u32_e32 vcc, s2, v2
                                        ; implicit-def: $vgpr3
	s_and_saveexec_b64 s[2:3], vcc
	s_xor_b64 s[2:3], exec, s[2:3]
	s_cbranch_execz .LBB94_3176
; %bb.3171:
	s_mov_b32 s4, 0x387fffff
	v_cmp_lt_u32_e32 vcc, s4, v2
                                        ; implicit-def: $vgpr3
	s_and_saveexec_b64 s[4:5], vcc
	s_xor_b64 s[4:5], exec, s[4:5]
; %bb.3172:
	v_bfe_u32 v3, v2, 21, 1
	s_mov_b32 s8, 0x80fffff
	v_add3_u32 v2, v2, v3, s8
	v_lshrrev_b32_e32 v3, 21, v2
                                        ; implicit-def: $vgpr2
; %bb.3173:
	s_andn2_saveexec_b64 s[4:5], s[4:5]
; %bb.3174:
	v_add_f32_e32 v3, 0x43000000, v2
; %bb.3175:
	s_or_b64 exec, exec, s[4:5]
                                        ; implicit-def: $vgpr2
.LBB94_3176:
	s_andn2_saveexec_b64 s[2:3], s[2:3]
; %bb.3177:
	s_mov_b32 s4, 0x7f800000
	v_mov_b32_e32 v3, 0x7c
	v_mov_b32_e32 v4, 0x7f
	v_cmp_lt_u32_e32 vcc, s4, v2
	v_cndmask_b32_e32 v3, v3, v4, vcc
; %bb.3178:
	s_or_b64 exec, exec, s[2:3]
	global_store_byte v[0:1], v3, off
.LBB94_3179:
	s_mov_b64 s[2:3], 0
.LBB94_3180:
	s_andn2_b64 vcc, exec, s[2:3]
	s_mov_b64 s[2:3], 0
	s_cbranch_vccnz .LBB94_3187
; %bb.3181:
	s_cmp_gt_i32 s12, 14
	s_mov_b64 s[4:5], -1
	s_cbranch_scc0 .LBB94_3185
; %bb.3182:
	s_cmp_eq_u32 s12, 15
	s_mov_b64 s[0:1], -1
	s_cbranch_scc0 .LBB94_3184
; %bb.3183:
	v_cndmask_b32_e64 v2, 0, 1.0, s[24:25]
	v_bfe_u32 v3, v2, 16, 1
	s_movk_i32 s0, 0x7fff
	v_add3_u32 v2, v2, v3, s0
	global_store_short_d16_hi v[0:1], v2, off
	s_mov_b64 s[0:1], 0
.LBB94_3184:
	s_mov_b64 s[4:5], 0
.LBB94_3185:
	s_and_b64 vcc, exec, s[4:5]
	s_cbranch_vccz .LBB94_3187
; %bb.3186:
	s_cmp_lg_u32 s12, 11
	s_mov_b64 s[2:3], -1
	s_cselect_b64 s[0:1], -1, 0
.LBB94_3187:
	s_and_b64 vcc, exec, s[0:1]
	s_cbranch_vccnz .LBB94_3209
.LBB94_3188:
	s_mov_b64 s[0:1], 0
	s_branch .LBB94_2699
.LBB94_3189:
	s_mov_b64 s[0:1], 0
	s_branch .LBB94_2698
.LBB94_3190:
	s_mov_b64 s[2:3], 0
	s_mov_b64 s[0:1], -1
	s_branch .LBB94_2699
.LBB94_3191:
	s_trap 2
	s_or_b64 s[18:19], s[18:19], exec
	s_cbranch_execz .LBB94_2641
	s_branch .LBB94_2642
.LBB94_3192:
	s_andn2_saveexec_b64 s[26:27], s[26:27]
	s_cbranch_execz .LBB94_2782
.LBB94_3193:
	v_add_f32_e32 v3, 0x46000000, v4
	v_and_b32_e32 v3, 0xff, v3
	v_cmp_ne_u32_e32 vcc, 0, v3
	s_andn2_b64 s[14:15], s[14:15], exec
	s_and_b64 s[30:31], vcc, exec
	s_or_b64 s[14:15], s[14:15], s[30:31]
	s_or_b64 exec, exec, s[26:27]
	v_mov_b32_e32 v5, 0
	s_and_saveexec_b64 s[26:27], s[14:15]
	s_cbranch_execnz .LBB94_2783
	s_branch .LBB94_2784
.LBB94_3194:
	s_trap 2
	s_or_b64 s[18:19], s[18:19], exec
	s_cbranch_execz .LBB94_2830
	s_branch .LBB94_2831
.LBB94_3195:
	s_andn2_saveexec_b64 s[14:15], s[14:15]
	s_cbranch_execz .LBB94_2795
.LBB94_3196:
	v_add_f32_e32 v3, 0x42800000, v4
	v_and_b32_e32 v3, 0xff, v3
	v_cmp_ne_u32_e32 vcc, 0, v3
	s_andn2_b64 s[10:11], s[10:11], exec
	s_and_b64 s[26:27], vcc, exec
	s_or_b64 s[10:11], s[10:11], s[26:27]
	s_or_b64 exec, exec, s[14:15]
	v_mov_b32_e32 v5, 0
	s_and_saveexec_b64 s[14:15], s[10:11]
	s_cbranch_execnz .LBB94_2796
	s_branch .LBB94_2797
.LBB94_3197:
	s_andn2_saveexec_b64 s[12:13], s[12:13]
	s_cbranch_execz .LBB94_2903
.LBB94_3198:
	v_add_f32_e32 v3, 0x46000000, v4
	v_and_b32_e32 v3, 0xff, v3
	v_cmp_ne_u32_e32 vcc, 0, v3
	s_andn2_b64 s[10:11], s[10:11], exec
	s_and_b64 s[26:27], vcc, exec
	s_or_b64 s[10:11], s[10:11], s[26:27]
	s_or_b64 exec, exec, s[12:13]
	v_mov_b32_e32 v5, 0
	s_and_saveexec_b64 s[12:13], s[10:11]
	s_cbranch_execnz .LBB94_2904
	s_branch .LBB94_2905
.LBB94_3199:
	s_trap 2
	s_or_b64 s[18:19], s[18:19], exec
	s_cbranch_execz .LBB94_2951
	s_branch .LBB94_2952
.LBB94_3200:
	s_andn2_saveexec_b64 s[10:11], s[10:11]
	s_cbranch_execz .LBB94_2916
.LBB94_3201:
	v_add_f32_e32 v3, 0x42800000, v4
	v_and_b32_e32 v3, 0xff, v3
	v_cmp_ne_u32_e32 vcc, 0, v3
	s_andn2_b64 s[4:5], s[4:5], exec
	s_and_b64 s[12:13], vcc, exec
	s_or_b64 s[4:5], s[4:5], s[12:13]
	s_or_b64 exec, exec, s[10:11]
	v_mov_b32_e32 v5, 0
	s_and_saveexec_b64 s[10:11], s[4:5]
	s_cbranch_execnz .LBB94_2917
	s_branch .LBB94_2918
.LBB94_3202:
	s_andn2_saveexec_b64 s[12:13], s[12:13]
	s_cbranch_execz .LBB94_3022
.LBB94_3203:
	v_add_f32_e32 v3, 0x46000000, v4
	v_and_b32_e32 v3, 0xff, v3
	v_cmp_ne_u32_e32 vcc, 0, v3
	s_andn2_b64 s[10:11], s[10:11], exec
	s_and_b64 s[20:21], vcc, exec
	s_or_b64 s[10:11], s[10:11], s[20:21]
	s_or_b64 exec, exec, s[12:13]
	v_mov_b32_e32 v5, 0
	s_and_saveexec_b64 s[12:13], s[10:11]
	s_cbranch_execnz .LBB94_3023
	s_branch .LBB94_3024
.LBB94_3204:
	s_trap 2
	s_or_b64 s[18:19], s[18:19], exec
	s_cbranch_execz .LBB94_3070
	s_branch .LBB94_3071
.LBB94_3205:
	s_andn2_saveexec_b64 s[10:11], s[10:11]
	s_cbranch_execz .LBB94_3035
.LBB94_3206:
	v_add_f32_e32 v3, 0x42800000, v4
	v_and_b32_e32 v3, 0xff, v3
	v_cmp_ne_u32_e32 vcc, 0, v3
	s_andn2_b64 s[4:5], s[4:5], exec
	s_and_b64 s[12:13], vcc, exec
	s_or_b64 s[4:5], s[4:5], s[12:13]
	s_or_b64 exec, exec, s[10:11]
	v_mov_b32_e32 v5, 0
	s_and_saveexec_b64 s[10:11], s[4:5]
	s_cbranch_execnz .LBB94_3036
	s_branch .LBB94_3037
.LBB94_3207:
	s_andn2_saveexec_b64 s[10:11], s[10:11]
	s_cbranch_execz .LBB94_3142
.LBB94_3208:
	v_add_f32_e32 v2, 0x46000000, v3
	v_and_b32_e32 v2, 0xff, v2
	v_cmp_ne_u32_e32 vcc, 0, v2
	s_andn2_b64 s[8:9], s[8:9], exec
	s_and_b64 s[14:15], vcc, exec
	s_or_b64 s[8:9], s[8:9], s[14:15]
	s_or_b64 exec, exec, s[10:11]
	v_mov_b32_e32 v4, 0
	s_and_saveexec_b64 s[10:11], s[8:9]
	s_cbranch_execnz .LBB94_3143
	s_branch .LBB94_3144
.LBB94_3209:
	s_mov_b64 s[2:3], 0
	s_or_b64 s[18:19], s[18:19], exec
	s_trap 2
	s_branch .LBB94_3188
.LBB94_3210:
	s_andn2_saveexec_b64 s[8:9], s[8:9]
	s_cbranch_execz .LBB94_3154
.LBB94_3211:
	v_add_f32_e32 v2, 0x42800000, v3
	v_and_b32_e32 v2, 0xff, v2
	v_cmp_ne_u32_e32 vcc, 0, v2
	s_andn2_b64 s[4:5], s[4:5], exec
	s_and_b64 s[10:11], vcc, exec
	s_or_b64 s[4:5], s[4:5], s[10:11]
	s_or_b64 exec, exec, s[8:9]
	v_mov_b32_e32 v4, 0
	s_and_saveexec_b64 s[8:9], s[4:5]
	s_cbranch_execnz .LBB94_3155
	s_branch .LBB94_3156
	.section	.rodata,"a",@progbits
	.p2align	6, 0x0
	.amdhsa_kernel _ZN2at6native32elementwise_kernel_manual_unrollILi128ELi4EZNS0_15gpu_kernel_implINS0_12_GLOBAL__N_114CompareFunctorIdEEEEvRNS_18TensorIteratorBaseERKT_EUlibE_EEviT1_
		.amdhsa_group_segment_fixed_size 0
		.amdhsa_private_segment_fixed_size 0
		.amdhsa_kernarg_size 56
		.amdhsa_user_sgpr_count 6
		.amdhsa_user_sgpr_private_segment_buffer 1
		.amdhsa_user_sgpr_dispatch_ptr 0
		.amdhsa_user_sgpr_queue_ptr 0
		.amdhsa_user_sgpr_kernarg_segment_ptr 1
		.amdhsa_user_sgpr_dispatch_id 0
		.amdhsa_user_sgpr_flat_scratch_init 0
		.amdhsa_user_sgpr_private_segment_size 0
		.amdhsa_uses_dynamic_stack 0
		.amdhsa_system_sgpr_private_segment_wavefront_offset 0
		.amdhsa_system_sgpr_workgroup_id_x 1
		.amdhsa_system_sgpr_workgroup_id_y 0
		.amdhsa_system_sgpr_workgroup_id_z 0
		.amdhsa_system_sgpr_workgroup_info 0
		.amdhsa_system_vgpr_workitem_id 0
		.amdhsa_next_free_vgpr 13
		.amdhsa_next_free_sgpr 57
		.amdhsa_reserve_vcc 1
		.amdhsa_reserve_flat_scratch 0
		.amdhsa_float_round_mode_32 0
		.amdhsa_float_round_mode_16_64 0
		.amdhsa_float_denorm_mode_32 3
		.amdhsa_float_denorm_mode_16_64 3
		.amdhsa_dx10_clamp 1
		.amdhsa_ieee_mode 1
		.amdhsa_fp16_overflow 0
		.amdhsa_exception_fp_ieee_invalid_op 0
		.amdhsa_exception_fp_denorm_src 0
		.amdhsa_exception_fp_ieee_div_zero 0
		.amdhsa_exception_fp_ieee_overflow 0
		.amdhsa_exception_fp_ieee_underflow 0
		.amdhsa_exception_fp_ieee_inexact 0
		.amdhsa_exception_int_div_zero 0
	.end_amdhsa_kernel
	.section	.text._ZN2at6native32elementwise_kernel_manual_unrollILi128ELi4EZNS0_15gpu_kernel_implINS0_12_GLOBAL__N_114CompareFunctorIdEEEEvRNS_18TensorIteratorBaseERKT_EUlibE_EEviT1_,"axG",@progbits,_ZN2at6native32elementwise_kernel_manual_unrollILi128ELi4EZNS0_15gpu_kernel_implINS0_12_GLOBAL__N_114CompareFunctorIdEEEEvRNS_18TensorIteratorBaseERKT_EUlibE_EEviT1_,comdat
.Lfunc_end94:
	.size	_ZN2at6native32elementwise_kernel_manual_unrollILi128ELi4EZNS0_15gpu_kernel_implINS0_12_GLOBAL__N_114CompareFunctorIdEEEEvRNS_18TensorIteratorBaseERKT_EUlibE_EEviT1_, .Lfunc_end94-_ZN2at6native32elementwise_kernel_manual_unrollILi128ELi4EZNS0_15gpu_kernel_implINS0_12_GLOBAL__N_114CompareFunctorIdEEEEvRNS_18TensorIteratorBaseERKT_EUlibE_EEviT1_
                                        ; -- End function
	.set _ZN2at6native32elementwise_kernel_manual_unrollILi128ELi4EZNS0_15gpu_kernel_implINS0_12_GLOBAL__N_114CompareFunctorIdEEEEvRNS_18TensorIteratorBaseERKT_EUlibE_EEviT1_.num_vgpr, 13
	.set _ZN2at6native32elementwise_kernel_manual_unrollILi128ELi4EZNS0_15gpu_kernel_implINS0_12_GLOBAL__N_114CompareFunctorIdEEEEvRNS_18TensorIteratorBaseERKT_EUlibE_EEviT1_.num_agpr, 0
	.set _ZN2at6native32elementwise_kernel_manual_unrollILi128ELi4EZNS0_15gpu_kernel_implINS0_12_GLOBAL__N_114CompareFunctorIdEEEEvRNS_18TensorIteratorBaseERKT_EUlibE_EEviT1_.numbered_sgpr, 57
	.set _ZN2at6native32elementwise_kernel_manual_unrollILi128ELi4EZNS0_15gpu_kernel_implINS0_12_GLOBAL__N_114CompareFunctorIdEEEEvRNS_18TensorIteratorBaseERKT_EUlibE_EEviT1_.num_named_barrier, 0
	.set _ZN2at6native32elementwise_kernel_manual_unrollILi128ELi4EZNS0_15gpu_kernel_implINS0_12_GLOBAL__N_114CompareFunctorIdEEEEvRNS_18TensorIteratorBaseERKT_EUlibE_EEviT1_.private_seg_size, 0
	.set _ZN2at6native32elementwise_kernel_manual_unrollILi128ELi4EZNS0_15gpu_kernel_implINS0_12_GLOBAL__N_114CompareFunctorIdEEEEvRNS_18TensorIteratorBaseERKT_EUlibE_EEviT1_.uses_vcc, 1
	.set _ZN2at6native32elementwise_kernel_manual_unrollILi128ELi4EZNS0_15gpu_kernel_implINS0_12_GLOBAL__N_114CompareFunctorIdEEEEvRNS_18TensorIteratorBaseERKT_EUlibE_EEviT1_.uses_flat_scratch, 0
	.set _ZN2at6native32elementwise_kernel_manual_unrollILi128ELi4EZNS0_15gpu_kernel_implINS0_12_GLOBAL__N_114CompareFunctorIdEEEEvRNS_18TensorIteratorBaseERKT_EUlibE_EEviT1_.has_dyn_sized_stack, 0
	.set _ZN2at6native32elementwise_kernel_manual_unrollILi128ELi4EZNS0_15gpu_kernel_implINS0_12_GLOBAL__N_114CompareFunctorIdEEEEvRNS_18TensorIteratorBaseERKT_EUlibE_EEviT1_.has_recursion, 0
	.set _ZN2at6native32elementwise_kernel_manual_unrollILi128ELi4EZNS0_15gpu_kernel_implINS0_12_GLOBAL__N_114CompareFunctorIdEEEEvRNS_18TensorIteratorBaseERKT_EUlibE_EEviT1_.has_indirect_call, 0
	.section	.AMDGPU.csdata,"",@progbits
; Kernel info:
; codeLenInByte = 47292
; TotalNumSgprs: 61
; NumVgprs: 13
; ScratchSize: 0
; MemoryBound: 1
; FloatMode: 240
; IeeeMode: 1
; LDSByteSize: 0 bytes/workgroup (compile time only)
; SGPRBlocks: 7
; VGPRBlocks: 3
; NumSGPRsForWavesPerEU: 61
; NumVGPRsForWavesPerEU: 13
; Occupancy: 10
; WaveLimiterHint : 0
; COMPUTE_PGM_RSRC2:SCRATCH_EN: 0
; COMPUTE_PGM_RSRC2:USER_SGPR: 6
; COMPUTE_PGM_RSRC2:TRAP_HANDLER: 0
; COMPUTE_PGM_RSRC2:TGID_X_EN: 1
; COMPUTE_PGM_RSRC2:TGID_Y_EN: 0
; COMPUTE_PGM_RSRC2:TGID_Z_EN: 0
; COMPUTE_PGM_RSRC2:TIDIG_COMP_CNT: 0
	.section	.text._ZN2at6native32elementwise_kernel_manual_unrollILi128ELi4EZNS0_15gpu_kernel_implINS0_12_GLOBAL__N_114CompareFunctorIdEEEEvRNS_18TensorIteratorBaseERKT_EUlibE0_EEviT1_,"axG",@progbits,_ZN2at6native32elementwise_kernel_manual_unrollILi128ELi4EZNS0_15gpu_kernel_implINS0_12_GLOBAL__N_114CompareFunctorIdEEEEvRNS_18TensorIteratorBaseERKT_EUlibE0_EEviT1_,comdat
	.globl	_ZN2at6native32elementwise_kernel_manual_unrollILi128ELi4EZNS0_15gpu_kernel_implINS0_12_GLOBAL__N_114CompareFunctorIdEEEEvRNS_18TensorIteratorBaseERKT_EUlibE0_EEviT1_ ; -- Begin function _ZN2at6native32elementwise_kernel_manual_unrollILi128ELi4EZNS0_15gpu_kernel_implINS0_12_GLOBAL__N_114CompareFunctorIdEEEEvRNS_18TensorIteratorBaseERKT_EUlibE0_EEviT1_
	.p2align	8
	.type	_ZN2at6native32elementwise_kernel_manual_unrollILi128ELi4EZNS0_15gpu_kernel_implINS0_12_GLOBAL__N_114CompareFunctorIdEEEEvRNS_18TensorIteratorBaseERKT_EUlibE0_EEviT1_,@function
_ZN2at6native32elementwise_kernel_manual_unrollILi128ELi4EZNS0_15gpu_kernel_implINS0_12_GLOBAL__N_114CompareFunctorIdEEEEvRNS_18TensorIteratorBaseERKT_EUlibE0_EEviT1_: ; @_ZN2at6native32elementwise_kernel_manual_unrollILi128ELi4EZNS0_15gpu_kernel_implINS0_12_GLOBAL__N_114CompareFunctorIdEEEEvRNS_18TensorIteratorBaseERKT_EUlibE0_EEviT1_
; %bb.0:
	s_load_dword s68, s[4:5], 0x0
	s_load_dword s33, s[4:5], 0x8
	s_add_u32 s2, s4, 8
	s_addc_u32 s3, s5, 0
	v_lshl_or_b32 v8, s6, 9, v0
	v_or_b32_e32 v23, 0x180, v8
	s_waitcnt lgkmcnt(0)
	s_add_i32 s70, s33, -1
	s_cmp_gt_u32 s70, 1
	v_cmp_le_i32_e32 vcc, s68, v23
	s_cselect_b64 s[24:25], -1, 0
	s_mov_b64 s[6:7], 0
	s_mov_b64 s[12:13], 0
	s_and_saveexec_b64 s[0:1], vcc
	s_xor_b64 s[26:27], exec, s[0:1]
	s_cbranch_execz .LBB95_1655
; %bb.1:
	s_cmp_lg_u32 s33, 0
	s_load_dwordx4 s[16:19], s[2:3], 0x4
	s_load_dwordx2 s[30:31], s[2:3], 0x14
	s_load_dwordx8 s[8:15], s[2:3], 0x188
	s_load_dwordx4 s[20:23], s[2:3], 0xc4
	s_load_dwordx2 s[28:29], s[2:3], 0xd4
	s_cselect_b64 s[36:37], -1, 0
	s_min_u32 s73, s70, 15
	s_cmp_gt_u32 s33, 1
	s_cselect_b64 s[34:35], -1, 0
	s_waitcnt lgkmcnt(0)
	s_lshr_b32 s72, s15, 8
	s_lshr_b32 s71, s15, 16
	v_cmp_gt_i32_e32 vcc, s68, v8
	s_mov_b64 s[0:1], -1
	s_mov_b64 s[48:49], 0
	s_mov_b64 s[42:43], 0
	;; [unrolled: 1-line block ×4, first 2 shown]
	s_and_saveexec_b64 s[44:45], vcc
	s_cbranch_execz .LBB95_410
; %bb.2:
	s_andn2_b64 vcc, exec, s[24:25]
	s_cbranch_vccnz .LBB95_8
; %bb.3:
	s_andn2_b64 vcc, exec, s[36:37]
	s_cbranch_vccnz .LBB95_9
; %bb.4:
	s_add_i32 s0, s73, 1
	s_and_b32 s38, s0, 30
	s_add_u32 s0, s2, 0xffffffe8
	s_addc_u32 s1, s3, -1
	v_mov_b32_e32 v3, 0
	v_mov_b32_e32 v5, 0
	;; [unrolled: 1-line block ×4, first 2 shown]
.LBB95_5:                               ; =>This Inner Loop Header: Depth=1
	s_load_dwordx4 s[40:43], s[0:1], 0x1c
	s_load_dwordx2 s[46:47], s[0:1], 0x2c
	s_load_dwordx2 s[50:51], s[0:1], 0xec
	s_load_dwordx4 s[52:55], s[0:1], 0xdc
	s_add_u32 s0, s0, 24
	s_waitcnt lgkmcnt(0)
	v_mul_hi_u32 v2, s41, v1
	s_addc_u32 s1, s1, 0
	s_add_i32 s38, s38, -2
	s_cmp_lg_u32 s38, 0
	v_add_u32_e32 v2, v1, v2
	v_lshrrev_b32_e32 v2, s42, v2
	v_mul_lo_u32 v4, v2, s40
	v_mul_hi_u32 v6, s46, v2
	v_sub_u32_e32 v4, v1, v4
	v_add_u32_e32 v1, v2, v6
	v_lshrrev_b32_e32 v1, s47, v1
	v_mul_lo_u32 v9, v1, s43
	v_mul_lo_u32 v6, v4, s52
	;; [unrolled: 1-line block ×4, first 2 shown]
	v_sub_u32_e32 v2, v2, v9
	v_mul_lo_u32 v9, v2, s55
	v_mul_lo_u32 v10, v2, s50
	;; [unrolled: 1-line block ×3, first 2 shown]
	v_add3_u32 v0, v6, v0, v9
	v_add3_u32 v5, v7, v5, v10
	v_add3_u32 v3, v4, v3, v2
	s_cbranch_scc1 .LBB95_5
; %bb.6:
	s_bitcmp1_b32 s73, 0
	s_cselect_b64 s[38:39], -1, 0
	s_and_b64 vcc, exec, s[38:39]
	s_cbranch_vccnz .LBB95_10
; %bb.7:
	s_load_dwordx2 s[38:39], s[0:1], 0x1c
	s_load_dword s42, s[0:1], 0x24
	s_load_dwordx2 s[40:41], s[0:1], 0xdc
	s_waitcnt lgkmcnt(0)
	v_mul_hi_u32 v2, s39, v1
	v_add_u32_e32 v2, v1, v2
	v_lshrrev_b32_e32 v2, s42, v2
	v_mul_lo_u32 v2, v2, s38
	s_load_dword s38, s[0:1], 0xe4
	v_sub_u32_e32 v2, v1, v2
	v_mad_u64_u32 v[0:1], s[0:1], v2, s40, v[0:1]
	v_mad_u64_u32 v[5:6], s[0:1], v2, s41, v[5:6]
	s_waitcnt lgkmcnt(0)
	v_mad_u64_u32 v[3:4], s[0:1], v2, s38, v[3:4]
	s_cbranch_execz .LBB95_11
	s_branch .LBB95_13
.LBB95_8:
                                        ; implicit-def: $vgpr0
                                        ; implicit-def: $vgpr5
                                        ; implicit-def: $vgpr3
	s_andn2_b64 vcc, exec, s[0:1]
	s_cbranch_vccz .LBB95_11
	s_branch .LBB95_13
.LBB95_9:
	v_mov_b32_e32 v0, 0
	v_mov_b32_e32 v5, 0
	;; [unrolled: 1-line block ×3, first 2 shown]
.LBB95_10:
	s_cbranch_execnz .LBB95_13
.LBB95_11:
	v_mul_hi_u32 v0, s17, v8
	s_andn2_b64 vcc, exec, s[34:35]
	v_add_u32_e32 v0, v8, v0
	v_lshrrev_b32_e32 v1, s18, v0
	v_mul_lo_u32 v0, v1, s16
	v_sub_u32_e32 v2, v8, v0
	v_mul_lo_u32 v0, v2, s20
	v_mul_lo_u32 v5, v2, s21
	;; [unrolled: 1-line block ×3, first 2 shown]
	s_cbranch_vccnz .LBB95_13
; %bb.12:
	v_mul_hi_u32 v2, s30, v1
	v_add_u32_e32 v2, v1, v2
	v_lshrrev_b32_e32 v2, s31, v2
	v_mul_lo_u32 v2, v2, s19
	v_sub_u32_e32 v2, v1, v2
	v_mad_u64_u32 v[0:1], s[0:1], v2, s23, v[0:1]
	v_mad_u64_u32 v[5:6], s[0:1], v2, s28, v[5:6]
	;; [unrolled: 1-line block ×3, first 2 shown]
.LBB95_13:
	v_mov_b32_e32 v1, s11
	s_and_b32 s46, s72, 0xff
	v_add_co_u32_e32 v4, vcc, s10, v5
	s_cmp_lt_i32 s46, 11
	v_addc_co_u32_e32 v5, vcc, 0, v1, vcc
	s_cbranch_scc1 .LBB95_20
; %bb.14:
	s_and_b32 s47, 0xffff, s46
	s_cmp_gt_i32 s47, 25
	s_cbranch_scc0 .LBB95_29
; %bb.15:
	s_cmp_gt_i32 s47, 28
	s_cbranch_scc0 .LBB95_36
; %bb.16:
	s_cmp_gt_i32 s47, 43
	s_cbranch_scc0 .LBB95_41
; %bb.17:
	s_cmp_gt_i32 s47, 45
	s_cbranch_scc0 .LBB95_44
; %bb.18:
	s_cmp_eq_u32 s47, 46
	s_mov_b64 s[38:39], 0
	s_cbranch_scc0 .LBB95_64
; %bb.19:
	global_load_dword v1, v[4:5], off
	s_mov_b64 s[0:1], -1
	s_mov_b64 s[42:43], 0
	s_waitcnt vmcnt(0)
	v_lshlrev_b32_e32 v1, 16, v1
	v_cvt_f64_f32_e32 v[1:2], v1
	s_branch .LBB95_66
.LBB95_20:
	s_mov_b64 s[42:43], 0
                                        ; implicit-def: $vgpr1_vgpr2
	s_mov_b64 s[0:1], 0
	s_cbranch_execnz .LBB95_132
.LBB95_21:
	s_andn2_b64 vcc, exec, s[0:1]
	s_cbranch_vccnz .LBB95_179
.LBB95_22:
	v_mov_b32_e32 v4, s13
	s_and_b32 s50, s71, 0xff
	v_add_co_u32_e32 v3, vcc, s12, v3
	s_cmp_lt_i32 s50, 11
	v_addc_co_u32_e32 v4, vcc, 0, v4, vcc
	s_cbranch_scc1 .LBB95_30
; %bb.23:
	s_and_b32 s51, 0xffff, s50
	s_cmp_gt_i32 s51, 25
	s_cbranch_scc0 .LBB95_37
; %bb.24:
	s_cmp_gt_i32 s51, 28
	s_cbranch_scc0 .LBB95_42
; %bb.25:
	;; [unrolled: 3-line block ×4, first 2 shown]
	s_cmp_eq_u32 s51, 46
	s_mov_b64 s[38:39], 0
	s_cbranch_scc0 .LBB95_180
; %bb.28:
	global_load_dword v5, v[3:4], off
	s_mov_b64 s[0:1], -1
	s_mov_b64 s[40:41], 0
	s_waitcnt vmcnt(0)
	v_lshlrev_b32_e32 v5, 16, v5
	v_cvt_f64_f32_e32 v[5:6], v5
	s_branch .LBB95_182
.LBB95_29:
	s_mov_b64 s[42:43], 0
	s_mov_b64 s[0:1], 0
                                        ; implicit-def: $vgpr1_vgpr2
	s_cbranch_execnz .LBB95_99
	s_branch .LBB95_131
.LBB95_30:
	s_mov_b64 s[40:41], 0
                                        ; implicit-def: $vgpr5_vgpr6
	s_mov_b64 s[0:1], 0
	s_cbranch_execnz .LBB95_359
.LBB95_31:
	s_andn2_b64 vcc, exec, s[0:1]
	s_cbranch_vccnz .LBB95_407
.LBB95_32:
	s_cmp_lt_i32 s14, 1
	s_mov_b64 s[0:1], 0
	s_cbranch_scc1 .LBB95_38
; %bb.33:
	s_cmp_gt_i32 s14, 1
	s_cbranch_scc0 .LBB95_43
; %bb.34:
	s_cmp_eq_u32 s14, 2
	s_cbranch_scc0 .LBB95_46
; %bb.35:
	s_waitcnt vmcnt(0)
	v_cmp_le_f64_e64 s[38:39], v[1:2], v[5:6]
	s_mov_b64 s[46:47], 0
	s_branch .LBB95_47
.LBB95_36:
	s_mov_b64 s[38:39], -1
	s_mov_b64 s[42:43], 0
	s_mov_b64 s[0:1], 0
                                        ; implicit-def: $vgpr1_vgpr2
	s_branch .LBB95_78
.LBB95_37:
	s_mov_b64 s[38:39], -1
	s_mov_b64 s[40:41], 0
	s_mov_b64 s[0:1], 0
                                        ; implicit-def: $vgpr5_vgpr6
	s_branch .LBB95_325
.LBB95_38:
                                        ; implicit-def: $sgpr38_sgpr39
	s_mov_b64 s[46:47], 0
	s_cbranch_execnz .LBB95_51
.LBB95_39:
	s_andn2_b64 vcc, exec, s[46:47]
	s_cbranch_vccnz .LBB95_52
.LBB95_40:
	s_waitcnt vmcnt(0)
	v_cmp_lt_f64_e32 vcc, v[1:2], v[5:6]
	s_andn2_b64 s[38:39], s[38:39], exec
	s_and_b64 s[46:47], vcc, exec
	s_or_b64 s[38:39], s[38:39], s[46:47]
	s_cbranch_execz .LBB95_53
	s_branch .LBB95_54
.LBB95_41:
	s_mov_b64 s[38:39], -1
	s_mov_b64 s[42:43], 0
	s_mov_b64 s[0:1], 0
                                        ; implicit-def: $vgpr1_vgpr2
	s_branch .LBB95_73
.LBB95_42:
	s_mov_b64 s[38:39], -1
	s_mov_b64 s[40:41], 0
	s_mov_b64 s[0:1], 0
                                        ; implicit-def: $vgpr5_vgpr6
	s_branch .LBB95_304
.LBB95_43:
	s_mov_b64 s[50:51], -1
	s_mov_b64 s[46:47], 0
                                        ; implicit-def: $sgpr38_sgpr39
	s_branch .LBB95_48
.LBB95_44:
	s_mov_b64 s[38:39], -1
	s_mov_b64 s[42:43], 0
	s_branch .LBB95_65
.LBB95_45:
	s_mov_b64 s[38:39], -1
	s_mov_b64 s[40:41], 0
	s_mov_b64 s[0:1], 0
                                        ; implicit-def: $vgpr5_vgpr6
	s_branch .LBB95_299
.LBB95_46:
	s_mov_b64 s[46:47], -1
                                        ; implicit-def: $sgpr38_sgpr39
.LBB95_47:
	s_mov_b64 s[50:51], 0
.LBB95_48:
	s_and_b64 vcc, exec, s[50:51]
	s_cbranch_vccz .LBB95_50
; %bb.49:
	s_waitcnt vmcnt(0)
	v_cmp_gt_f64_e32 vcc, v[1:2], v[5:6]
	s_andn2_b64 s[38:39], s[38:39], exec
	s_and_b64 s[50:51], vcc, exec
	s_or_b64 s[38:39], s[38:39], s[50:51]
.LBB95_50:
	s_branch .LBB95_39
.LBB95_51:
	s_cmp_lg_u32 s14, 0
	s_mov_b64 s[0:1], -1
	s_cselect_b64 s[46:47], -1, 0
	s_andn2_b64 vcc, exec, s[46:47]
	s_cbranch_vccz .LBB95_40
.LBB95_52:
	s_andn2_b64 vcc, exec, s[0:1]
	s_cbranch_vccnz .LBB95_54
.LBB95_53:
	s_waitcnt vmcnt(0)
	v_cmp_ge_f64_e32 vcc, v[1:2], v[5:6]
	s_andn2_b64 s[0:1], s[38:39], exec
	s_and_b64 s[38:39], vcc, exec
	s_or_b64 s[38:39], s[0:1], s[38:39]
.LBB95_54:
	s_waitcnt vmcnt(0)
	v_mov_b32_e32 v1, s9
	s_and_b32 s54, s15, 0xff
	v_add_co_u32_e32 v0, vcc, s8, v0
	s_cmp_lt_i32 s54, 11
	v_addc_co_u32_e32 v1, vcc, 0, v1, vcc
	s_cbranch_scc1 .LBB95_61
; %bb.55:
	s_and_b32 s55, 0xffff, s54
	s_cmp_gt_i32 s55, 25
	s_cbranch_scc0 .LBB95_62
; %bb.56:
	s_cmp_gt_i32 s55, 28
	s_cbranch_scc0 .LBB95_63
; %bb.57:
	;; [unrolled: 3-line block ×4, first 2 shown]
	s_mov_b64 s[50:51], 0
	s_mov_b64 s[0:1], -1
	s_cmp_eq_u32 s55, 46
	s_mov_b64 s[46:47], 0
	s_cbranch_scc0 .LBB95_186
; %bb.60:
	v_cndmask_b32_e64 v2, 0, 1.0, s[38:39]
	v_bfe_u32 v3, v2, 16, 1
	s_movk_i32 s0, 0x7fff
	v_add3_u32 v2, v2, v3, s0
	v_lshrrev_b32_e32 v2, 16, v2
	global_store_dword v[0:1], v2, off
	s_mov_b64 s[46:47], -1
	s_mov_b64 s[0:1], 0
	s_branch .LBB95_186
.LBB95_61:
	s_mov_b64 s[50:51], -1
	s_mov_b64 s[0:1], 0
	s_mov_b64 s[46:47], 0
	s_branch .LBB95_255
.LBB95_62:
	s_mov_b64 s[50:51], -1
	s_mov_b64 s[0:1], 0
	s_mov_b64 s[46:47], 0
	s_branch .LBB95_213
.LBB95_63:
	s_mov_b64 s[50:51], -1
	s_mov_b64 s[0:1], 0
	s_mov_b64 s[46:47], 0
	s_branch .LBB95_196
.LBB95_64:
	s_mov_b64 s[42:43], -1
.LBB95_65:
	s_mov_b64 s[0:1], 0
                                        ; implicit-def: $vgpr1_vgpr2
.LBB95_66:
	s_and_b64 vcc, exec, s[38:39]
	s_cbranch_vccz .LBB95_72
; %bb.67:
	s_cmp_eq_u32 s47, 44
	s_cbranch_scc0 .LBB95_71
; %bb.68:
	global_load_ubyte v6, v[4:5], off
	s_movk_i32 s38, 0xff
	v_bfrev_b32_e32 v7, 4
	v_mov_b32_e32 v9, 0x7ff80000
	v_bfrev_b32_e32 v10, 28
	s_mov_b64 s[0:1], -1
	s_mov_b64 s[42:43], 0
	s_waitcnt vmcnt(0)
	v_lshlrev_b32_e32 v1, 23, v6
	v_cvt_f64_f32_e32 v[1:2], v1
	v_cmp_ne_u32_e32 vcc, s38, v6
	v_cndmask_b32_e32 v1, v7, v1, vcc
	v_cndmask_b32_e32 v2, v9, v2, vcc
	v_cmp_ne_u32_e32 vcc, 0, v6
	v_cndmask_b32_e32 v2, v10, v2, vcc
	v_cndmask_b32_e32 v1, 0, v1, vcc
	s_branch .LBB95_72
.LBB95_69:
	s_mov_b64 s[38:39], -1
	s_mov_b64 s[40:41], 0
	s_branch .LBB95_181
.LBB95_70:
	s_mov_b64 s[50:51], -1
	s_mov_b64 s[0:1], 0
	s_mov_b64 s[46:47], 0
	s_branch .LBB95_192
.LBB95_71:
	s_mov_b64 s[42:43], -1
                                        ; implicit-def: $vgpr1_vgpr2
.LBB95_72:
	s_mov_b64 s[38:39], 0
.LBB95_73:
	s_and_b64 vcc, exec, s[38:39]
	s_cbranch_vccz .LBB95_77
; %bb.74:
	s_cmp_eq_u32 s47, 29
	s_cbranch_scc0 .LBB95_76
; %bb.75:
	global_load_dwordx2 v[1:2], v[4:5], off
	s_mov_b64 s[0:1], -1
	s_mov_b64 s[42:43], 0
	s_mov_b64 s[38:39], 0
	s_waitcnt vmcnt(0)
	v_cvt_f64_u32_e32 v[6:7], v2
	v_cvt_f64_u32_e32 v[1:2], v1
	v_ldexp_f64 v[6:7], v[6:7], 32
	v_add_f64 v[1:2], v[6:7], v[1:2]
	s_branch .LBB95_78
.LBB95_76:
	s_mov_b64 s[42:43], -1
                                        ; implicit-def: $vgpr1_vgpr2
.LBB95_77:
	s_mov_b64 s[38:39], 0
.LBB95_78:
	s_and_b64 vcc, exec, s[38:39]
	s_cbranch_vccz .LBB95_98
; %bb.79:
	s_cmp_lt_i32 s47, 27
	s_cbranch_scc1 .LBB95_82
; %bb.80:
	s_cmp_gt_i32 s47, 27
	s_cbranch_scc0 .LBB95_83
; %bb.81:
	global_load_dword v1, v[4:5], off
	s_mov_b64 s[0:1], 0
	s_waitcnt vmcnt(0)
	v_cvt_f64_u32_e32 v[1:2], v1
	s_branch .LBB95_84
.LBB95_82:
	s_mov_b64 s[0:1], -1
                                        ; implicit-def: $vgpr1_vgpr2
	s_branch .LBB95_87
.LBB95_83:
	s_mov_b64 s[0:1], -1
                                        ; implicit-def: $vgpr1_vgpr2
.LBB95_84:
	s_andn2_b64 vcc, exec, s[0:1]
	s_cbranch_vccnz .LBB95_86
; %bb.85:
	global_load_ushort v1, v[4:5], off
	s_waitcnt vmcnt(0)
	v_cvt_f64_u32_e32 v[1:2], v1
.LBB95_86:
	s_mov_b64 s[0:1], 0
.LBB95_87:
	s_andn2_b64 vcc, exec, s[0:1]
	s_cbranch_vccnz .LBB95_97
; %bb.88:
	global_load_ubyte v6, v[4:5], off
	s_movk_i32 s0, 0x7f
	s_waitcnt vmcnt(0)
	v_cmp_lt_i16_e32 vcc, s0, v6
	s_mov_b64 s[0:1], 0
	s_and_saveexec_b64 s[38:39], vcc
	s_xor_b64 s[38:39], exec, s[38:39]
	s_cbranch_execz .LBB95_92
; %bb.89:
	s_movk_i32 s0, 0x80
	v_cmp_eq_u16_e32 vcc, s0, v6
	s_mov_b64 s[0:1], -1
	s_and_saveexec_b64 s[40:41], vcc
; %bb.90:
	s_xor_b64 s[0:1], exec, -1
; %bb.91:
	s_or_b64 exec, exec, s[40:41]
	s_and_b64 s[0:1], s[0:1], exec
.LBB95_92:
	s_or_saveexec_b64 s[38:39], s[38:39]
	v_bfrev_b32_e32 v1, 4
	v_mov_b32_e32 v2, 0x7ff80000
	s_xor_b64 exec, exec, s[38:39]
; %bb.93:
	v_cmp_ne_u16_e32 vcc, 0, v6
	v_mov_b32_e32 v1, 0
	s_andn2_b64 s[0:1], s[0:1], exec
	s_and_b64 s[40:41], vcc, exec
	v_mov_b32_e32 v2, 0
	s_or_b64 s[0:1], s[0:1], s[40:41]
; %bb.94:
	s_or_b64 exec, exec, s[38:39]
	s_and_saveexec_b64 s[38:39], s[0:1]
	s_cbranch_execz .LBB95_96
; %bb.95:
	v_and_b32_e32 v2, 0xffff, v6
	v_lshlrev_b32_e32 v1, 24, v6
	v_and_b32_e32 v6, 7, v2
	v_ffbh_u32_e32 v9, v6
	v_min_u32_e32 v9, 32, v9
	v_subrev_u32_e32 v10, 28, v9
	v_bfe_u32 v7, v2, 3, 4
	v_lshlrev_b32_e32 v2, v10, v2
	v_sub_u32_e32 v9, 29, v9
	v_and_b32_e32 v2, 7, v2
	v_cmp_eq_u32_e32 vcc, 0, v7
	v_cndmask_b32_e32 v7, v7, v9, vcc
	v_cndmask_b32_e32 v2, v6, v2, vcc
	v_mov_b32_e32 v6, 0x3b800000
	v_lshlrev_b32_e32 v2, 20, v2
	v_and_b32_e32 v1, 0x80000000, v1
	v_lshl_add_u32 v6, v7, 23, v6
	v_or3_b32 v1, v1, v6, v2
	v_cvt_f64_f32_e32 v[1:2], v1
.LBB95_96:
	s_or_b64 exec, exec, s[38:39]
.LBB95_97:
	s_mov_b64 s[0:1], -1
.LBB95_98:
	s_branch .LBB95_131
.LBB95_99:
	s_cmp_gt_i32 s47, 22
	s_cbranch_scc0 .LBB95_111
; %bb.100:
	s_cmp_lt_i32 s47, 24
	s_cbranch_scc1 .LBB95_112
; %bb.101:
	s_cmp_gt_i32 s47, 24
	s_cbranch_scc0 .LBB95_113
; %bb.102:
	global_load_ubyte v6, v[4:5], off
	s_movk_i32 s0, 0x7f
	s_waitcnt vmcnt(0)
	v_cmp_lt_i16_e32 vcc, s0, v6
	s_mov_b64 s[0:1], 0
	s_and_saveexec_b64 s[38:39], vcc
	s_xor_b64 s[38:39], exec, s[38:39]
	s_cbranch_execz .LBB95_106
; %bb.103:
	s_movk_i32 s0, 0x80
	v_cmp_eq_u16_e32 vcc, s0, v6
	s_mov_b64 s[0:1], -1
	s_and_saveexec_b64 s[40:41], vcc
; %bb.104:
	s_xor_b64 s[0:1], exec, -1
; %bb.105:
	s_or_b64 exec, exec, s[40:41]
	s_and_b64 s[0:1], s[0:1], exec
.LBB95_106:
	s_or_saveexec_b64 s[38:39], s[38:39]
	v_bfrev_b32_e32 v1, 4
	v_mov_b32_e32 v2, 0x7ff80000
	s_xor_b64 exec, exec, s[38:39]
; %bb.107:
	v_cmp_ne_u16_e32 vcc, 0, v6
	v_mov_b32_e32 v1, 0
	s_andn2_b64 s[0:1], s[0:1], exec
	s_and_b64 s[40:41], vcc, exec
	v_mov_b32_e32 v2, 0
	s_or_b64 s[0:1], s[0:1], s[40:41]
; %bb.108:
	s_or_b64 exec, exec, s[38:39]
	s_and_saveexec_b64 s[38:39], s[0:1]
	s_cbranch_execz .LBB95_110
; %bb.109:
	v_and_b32_e32 v2, 0xffff, v6
	v_lshlrev_b32_e32 v1, 24, v6
	v_and_b32_e32 v6, 3, v2
	v_ffbh_u32_e32 v9, v6
	v_min_u32_e32 v9, 32, v9
	v_subrev_u32_e32 v10, 29, v9
	v_bfe_u32 v7, v2, 2, 5
	v_lshlrev_b32_e32 v2, v10, v2
	v_sub_u32_e32 v9, 30, v9
	v_and_b32_e32 v2, 3, v2
	v_cmp_eq_u32_e32 vcc, 0, v7
	v_cndmask_b32_e32 v7, v7, v9, vcc
	v_cndmask_b32_e32 v2, v6, v2, vcc
	v_mov_b32_e32 v6, 0x37800000
	v_lshlrev_b32_e32 v2, 21, v2
	v_and_b32_e32 v1, 0x80000000, v1
	v_lshl_add_u32 v6, v7, 23, v6
	v_or3_b32 v1, v1, v6, v2
	v_cvt_f64_f32_e32 v[1:2], v1
.LBB95_110:
	s_or_b64 exec, exec, s[38:39]
	s_mov_b64 s[0:1], 0
	s_branch .LBB95_114
.LBB95_111:
	s_mov_b64 s[38:39], -1
                                        ; implicit-def: $vgpr1_vgpr2
	s_branch .LBB95_120
.LBB95_112:
	s_mov_b64 s[0:1], -1
                                        ; implicit-def: $vgpr1_vgpr2
	s_branch .LBB95_117
.LBB95_113:
	s_mov_b64 s[0:1], -1
                                        ; implicit-def: $vgpr1_vgpr2
.LBB95_114:
	s_and_b64 vcc, exec, s[0:1]
	s_cbranch_vccz .LBB95_116
; %bb.115:
	global_load_ubyte v1, v[4:5], off
	s_mov_b32 s0, 0x7f800000
	s_waitcnt vmcnt(0)
	v_lshlrev_b32_e32 v1, 24, v1
	v_and_b32_e32 v2, 0x7f000000, v1
	v_ffbh_u32_e32 v6, v2
	v_min_u32_e32 v6, 32, v6
	v_sub_u32_e64 v6, v6, 4 clamp
	v_lshlrev_b32_e32 v9, v6, v2
	v_lshlrev_b32_e32 v6, 23, v6
	v_lshrrev_b32_e32 v9, 4, v9
	v_add_u32_e32 v7, 0x1000000, v2
	v_sub_u32_e32 v6, v9, v6
	v_ashrrev_i32_e32 v7, 8, v7
	v_add_u32_e32 v6, 0x3c000000, v6
	v_and_or_b32 v6, v7, s0, v6
	v_cmp_ne_u32_e32 vcc, 0, v2
	v_cndmask_b32_e32 v2, 0, v6, vcc
	s_brev_b32 s0, 1
	v_and_or_b32 v1, v1, s0, v2
	v_cvt_f64_f32_e32 v[1:2], v1
.LBB95_116:
	s_mov_b64 s[0:1], 0
.LBB95_117:
	s_andn2_b64 vcc, exec, s[0:1]
	s_cbranch_vccnz .LBB95_119
; %bb.118:
	global_load_ubyte v1, v[4:5], off
	s_movk_i32 s0, 0x7f00
	s_brev_b32 s1, 16
	s_waitcnt vmcnt(0)
	v_lshlrev_b16_e32 v2, 8, v1
	v_lshlrev_b32_e32 v1, 25, v1
	v_lshrrev_b32_e32 v6, 4, v1
	v_and_or_b32 v7, v2, s0, 0.5
	v_or_b32_e32 v6, 0x70000000, v6
	v_add_f32_e32 v7, -0.5, v7
	v_mul_f32_e32 v6, 0x7800000, v6
	v_cmp_gt_u32_e32 vcc, s1, v1
	v_bfe_i32 v2, v2, 0, 16
	v_cndmask_b32_e32 v1, v6, v7, vcc
	s_brev_b32 s0, 1
	v_and_or_b32 v1, v2, s0, v1
	v_cvt_f64_f32_e32 v[1:2], v1
.LBB95_119:
	s_mov_b64 s[38:39], 0
	s_mov_b64 s[0:1], -1
.LBB95_120:
	s_andn2_b64 vcc, exec, s[38:39]
	s_cbranch_vccnz .LBB95_131
; %bb.121:
	s_cmp_gt_i32 s47, 14
	s_cbranch_scc0 .LBB95_124
; %bb.122:
	s_cmp_eq_u32 s47, 15
	s_cbranch_scc0 .LBB95_125
; %bb.123:
	global_load_ushort v1, v[4:5], off
	s_mov_b64 s[0:1], -1
	s_mov_b64 s[42:43], 0
	s_waitcnt vmcnt(0)
	v_lshlrev_b32_e32 v1, 16, v1
	v_cvt_f64_f32_e32 v[1:2], v1
	s_branch .LBB95_126
.LBB95_124:
	s_mov_b64 s[38:39], -1
                                        ; implicit-def: $vgpr1_vgpr2
	s_branch .LBB95_127
.LBB95_125:
	s_mov_b64 s[42:43], -1
                                        ; implicit-def: $vgpr1_vgpr2
.LBB95_126:
	s_mov_b64 s[38:39], 0
.LBB95_127:
	s_and_b64 vcc, exec, s[38:39]
	s_cbranch_vccz .LBB95_131
; %bb.128:
	s_cmp_eq_u32 s47, 11
	s_cbranch_scc0 .LBB95_130
; %bb.129:
	global_load_ubyte v2, v[4:5], off
	v_mov_b32_e32 v6, 0x3ff00000
	v_mov_b32_e32 v1, 0
	s_mov_b64 s[0:1], -1
	s_mov_b64 s[42:43], 0
	s_waitcnt vmcnt(0)
	v_cmp_ne_u16_e32 vcc, 0, v2
	v_cndmask_b32_e32 v2, 0, v6, vcc
	s_branch .LBB95_131
.LBB95_130:
	s_mov_b64 s[42:43], -1
                                        ; implicit-def: $vgpr1_vgpr2
.LBB95_131:
	s_branch .LBB95_21
.LBB95_132:
	s_and_b32 s38, 0xffff, s46
	s_cmp_lt_i32 s38, 5
	s_cbranch_scc1 .LBB95_137
; %bb.133:
	s_cmp_lt_i32 s38, 8
	s_cbranch_scc1 .LBB95_138
; %bb.134:
	;; [unrolled: 3-line block ×3, first 2 shown]
	s_cmp_gt_i32 s38, 9
	s_cbranch_scc0 .LBB95_140
; %bb.136:
	global_load_dwordx2 v[1:2], v[4:5], off
	s_mov_b64 s[0:1], 0
	s_branch .LBB95_141
.LBB95_137:
                                        ; implicit-def: $vgpr1_vgpr2
	s_branch .LBB95_159
.LBB95_138:
	s_mov_b64 s[0:1], -1
                                        ; implicit-def: $vgpr1_vgpr2
	s_branch .LBB95_147
.LBB95_139:
	s_mov_b64 s[0:1], -1
                                        ; implicit-def: $vgpr1_vgpr2
	s_branch .LBB95_144
.LBB95_140:
	s_mov_b64 s[0:1], -1
                                        ; implicit-def: $vgpr1_vgpr2
.LBB95_141:
	s_andn2_b64 vcc, exec, s[0:1]
	s_cbranch_vccnz .LBB95_143
; %bb.142:
	global_load_dword v1, v[4:5], off
	s_waitcnt vmcnt(0)
	v_cvt_f64_f32_e32 v[1:2], v1
.LBB95_143:
	s_mov_b64 s[0:1], 0
.LBB95_144:
	s_andn2_b64 vcc, exec, s[0:1]
	s_cbranch_vccnz .LBB95_146
; %bb.145:
	global_load_dword v1, v[4:5], off
	s_waitcnt vmcnt(0)
	v_cvt_f32_f16_e32 v1, v1
	v_cvt_f64_f32_e32 v[1:2], v1
.LBB95_146:
	s_mov_b64 s[0:1], 0
.LBB95_147:
	s_andn2_b64 vcc, exec, s[0:1]
	s_cbranch_vccnz .LBB95_158
; %bb.148:
	s_cmp_lt_i32 s38, 6
	s_cbranch_scc1 .LBB95_151
; %bb.149:
	s_cmp_gt_i32 s38, 6
	s_cbranch_scc0 .LBB95_152
; %bb.150:
	global_load_dwordx2 v[1:2], v[4:5], off
	s_mov_b64 s[0:1], 0
	s_branch .LBB95_153
.LBB95_151:
	s_mov_b64 s[0:1], -1
                                        ; implicit-def: $vgpr1_vgpr2
	s_branch .LBB95_156
.LBB95_152:
	s_mov_b64 s[0:1], -1
                                        ; implicit-def: $vgpr1_vgpr2
.LBB95_153:
	s_andn2_b64 vcc, exec, s[0:1]
	s_cbranch_vccnz .LBB95_155
; %bb.154:
	global_load_dword v1, v[4:5], off
	s_waitcnt vmcnt(0)
	v_cvt_f64_f32_e32 v[1:2], v1
.LBB95_155:
	s_mov_b64 s[0:1], 0
.LBB95_156:
	s_andn2_b64 vcc, exec, s[0:1]
	s_cbranch_vccnz .LBB95_158
; %bb.157:
	global_load_ushort v1, v[4:5], off
	s_waitcnt vmcnt(0)
	v_cvt_f32_f16_e32 v1, v1
	v_cvt_f64_f32_e32 v[1:2], v1
.LBB95_158:
	s_cbranch_execnz .LBB95_178
.LBB95_159:
	s_cmp_lt_i32 s38, 2
	s_cbranch_scc1 .LBB95_163
; %bb.160:
	s_cmp_lt_i32 s38, 3
	s_cbranch_scc1 .LBB95_164
; %bb.161:
	s_cmp_gt_i32 s38, 3
	s_cbranch_scc0 .LBB95_165
; %bb.162:
	global_load_dwordx2 v[1:2], v[4:5], off
	s_mov_b64 s[0:1], 0
	s_waitcnt vmcnt(0)
	v_cvt_f64_i32_e32 v[6:7], v2
	v_cvt_f64_u32_e32 v[1:2], v1
	v_ldexp_f64 v[6:7], v[6:7], 32
	v_add_f64 v[1:2], v[6:7], v[1:2]
	s_branch .LBB95_166
.LBB95_163:
	s_mov_b64 s[0:1], -1
                                        ; implicit-def: $vgpr1_vgpr2
	s_branch .LBB95_172
.LBB95_164:
	s_mov_b64 s[0:1], -1
                                        ; implicit-def: $vgpr1_vgpr2
	s_branch .LBB95_169
.LBB95_165:
	s_mov_b64 s[0:1], -1
                                        ; implicit-def: $vgpr1_vgpr2
.LBB95_166:
	s_andn2_b64 vcc, exec, s[0:1]
	s_cbranch_vccnz .LBB95_168
; %bb.167:
	global_load_dword v1, v[4:5], off
	s_waitcnt vmcnt(0)
	v_cvt_f64_i32_e32 v[1:2], v1
.LBB95_168:
	s_mov_b64 s[0:1], 0
.LBB95_169:
	s_andn2_b64 vcc, exec, s[0:1]
	s_cbranch_vccnz .LBB95_171
; %bb.170:
	global_load_sshort v1, v[4:5], off
	s_waitcnt vmcnt(0)
	v_cvt_f64_i32_e32 v[1:2], v1
.LBB95_171:
	s_mov_b64 s[0:1], 0
.LBB95_172:
	s_andn2_b64 vcc, exec, s[0:1]
	s_cbranch_vccnz .LBB95_178
; %bb.173:
	s_cmp_gt_i32 s38, 0
	s_cbranch_scc0 .LBB95_175
; %bb.174:
	global_load_sbyte v1, v[4:5], off
	s_mov_b64 s[0:1], 0
	s_waitcnt vmcnt(0)
	v_cvt_f64_i32_e32 v[1:2], v1
	s_branch .LBB95_176
.LBB95_175:
	s_mov_b64 s[0:1], -1
                                        ; implicit-def: $vgpr1_vgpr2
.LBB95_176:
	s_andn2_b64 vcc, exec, s[0:1]
	s_cbranch_vccnz .LBB95_178
; %bb.177:
	global_load_ubyte v1, v[4:5], off
	s_waitcnt vmcnt(0)
	v_cvt_f64_u32_e32 v[1:2], v1
.LBB95_178:
	s_branch .LBB95_22
.LBB95_179:
	s_mov_b64 s[0:1], 0
	s_mov_b64 s[40:41], 0
	s_branch .LBB95_408
.LBB95_180:
	s_mov_b64 s[40:41], -1
.LBB95_181:
	s_mov_b64 s[0:1], 0
                                        ; implicit-def: $vgpr5_vgpr6
.LBB95_182:
	s_and_b64 vcc, exec, s[38:39]
	s_cbranch_vccz .LBB95_298
; %bb.183:
	s_cmp_eq_u32 s51, 44
	s_cbranch_scc0 .LBB95_297
; %bb.184:
	global_load_ubyte v7, v[3:4], off
	s_movk_i32 s38, 0xff
	v_bfrev_b32_e32 v9, 4
	v_mov_b32_e32 v10, 0x7ff80000
	v_bfrev_b32_e32 v11, 28
	s_mov_b64 s[0:1], -1
	s_mov_b64 s[40:41], 0
	s_waitcnt vmcnt(0)
	v_lshlrev_b32_e32 v5, 23, v7
	v_cvt_f64_f32_e32 v[5:6], v5
	v_cmp_ne_u32_e32 vcc, s38, v7
	v_cndmask_b32_e32 v5, v9, v5, vcc
	v_cndmask_b32_e32 v6, v10, v6, vcc
	v_cmp_ne_u32_e32 vcc, 0, v7
	v_cndmask_b32_e32 v6, v11, v6, vcc
	v_cndmask_b32_e32 v5, 0, v5, vcc
	s_branch .LBB95_298
.LBB95_185:
	s_mov_b64 s[50:51], -1
	s_mov_b64 s[0:1], 0
	s_mov_b64 s[46:47], 0
.LBB95_186:
	s_and_b64 vcc, exec, s[50:51]
	s_cbranch_vccz .LBB95_191
; %bb.187:
	s_cmp_eq_u32 s55, 44
	s_mov_b64 s[0:1], -1
	s_cbranch_scc0 .LBB95_191
; %bb.188:
	v_cndmask_b32_e64 v3, 0, 1.0, s[38:39]
	v_lshrrev_b32_e32 v2, 23, v3
	s_movk_i32 s0, 0xff
	v_cmp_ne_u32_e32 vcc, s0, v2
	v_mov_b32_e32 v4, 0xff
	s_and_saveexec_b64 s[46:47], vcc
; %bb.189:
	s_mov_b32 s0, 0x3fffff
	v_and_b32_e32 v4, 0x400000, v3
	v_and_or_b32 v3, v3, s0, v2
	v_cmp_ne_u32_e32 vcc, 0, v4
	v_cmp_ne_u32_e64 s[0:1], 0, v3
	s_and_b64 s[0:1], vcc, s[0:1]
	v_cndmask_b32_e64 v3, 0, 1, s[0:1]
	v_add_u32_e32 v4, v2, v3
; %bb.190:
	s_or_b64 exec, exec, s[46:47]
	s_mov_b64 s[46:47], -1
	s_mov_b64 s[0:1], 0
	global_store_byte v[0:1], v4, off
.LBB95_191:
	s_mov_b64 s[50:51], 0
.LBB95_192:
	s_and_b64 vcc, exec, s[50:51]
	s_cbranch_vccz .LBB95_195
; %bb.193:
	s_cmp_eq_u32 s55, 29
	s_mov_b64 s[0:1], -1
	s_cbranch_scc0 .LBB95_195
; %bb.194:
	s_mov_b32 s0, 0
	v_cndmask_b32_e64 v2, 0, 1, s[38:39]
	v_mov_b32_e32 v3, s0
	global_store_dwordx2 v[0:1], v[2:3], off
	s_mov_b64 s[46:47], -1
	s_mov_b64 s[0:1], 0
.LBB95_195:
	s_mov_b64 s[50:51], 0
.LBB95_196:
	s_and_b64 vcc, exec, s[50:51]
	s_cbranch_vccz .LBB95_212
; %bb.197:
	s_cmp_lt_i32 s55, 27
	s_mov_b64 s[46:47], -1
	s_cbranch_scc1 .LBB95_203
; %bb.198:
	s_cmp_gt_i32 s55, 27
	s_cbranch_scc0 .LBB95_200
; %bb.199:
	v_cndmask_b32_e64 v2, 0, 1, s[38:39]
	s_mov_b64 s[46:47], 0
	global_store_dword v[0:1], v2, off
.LBB95_200:
	s_andn2_b64 vcc, exec, s[46:47]
	s_cbranch_vccnz .LBB95_202
; %bb.201:
	v_cndmask_b32_e64 v2, 0, 1, s[38:39]
	global_store_short v[0:1], v2, off
.LBB95_202:
	s_mov_b64 s[46:47], 0
.LBB95_203:
	s_andn2_b64 vcc, exec, s[46:47]
	s_cbranch_vccnz .LBB95_211
; %bb.204:
	v_cndmask_b32_e64 v3, 0, 1.0, s[38:39]
	s_mov_b32 s46, 0x43800000
	v_cmp_gt_u32_e32 vcc, s46, v3
	v_mov_b32_e32 v4, 0x80
	s_and_saveexec_b64 s[46:47], vcc
	s_cbranch_execz .LBB95_210
; %bb.205:
	s_mov_b32 s50, 0x3bffffff
	v_cmp_lt_u32_e32 vcc, s50, v3
	s_mov_b64 s[50:51], 0
                                        ; implicit-def: $vgpr2
	s_and_saveexec_b64 s[52:53], vcc
	s_xor_b64 s[52:53], exec, s[52:53]
	s_cbranch_execz .LBB95_450
; %bb.206:
	v_bfe_u32 v2, v3, 20, 1
	s_mov_b32 s56, 0x487ffff
	v_add3_u32 v2, v3, v2, s56
	s_mov_b64 s[50:51], exec
	v_lshrrev_b32_e32 v2, 20, v2
                                        ; implicit-def: $vgpr3
	s_andn2_saveexec_b64 s[52:53], s[52:53]
	s_cbranch_execnz .LBB95_451
.LBB95_207:
	s_or_b64 exec, exec, s[52:53]
	v_mov_b32_e32 v4, 0
	s_and_saveexec_b64 s[52:53], s[50:51]
.LBB95_208:
	v_mov_b32_e32 v4, v2
.LBB95_209:
	s_or_b64 exec, exec, s[52:53]
.LBB95_210:
	s_or_b64 exec, exec, s[46:47]
	global_store_byte v[0:1], v4, off
.LBB95_211:
	s_mov_b64 s[46:47], -1
.LBB95_212:
	s_mov_b64 s[50:51], 0
.LBB95_213:
	s_and_b64 vcc, exec, s[50:51]
	s_cbranch_vccz .LBB95_254
; %bb.214:
	s_cmp_gt_i32 s55, 22
	s_mov_b64 s[50:51], -1
	s_cbranch_scc0 .LBB95_246
; %bb.215:
	s_cmp_lt_i32 s55, 24
	s_mov_b64 s[46:47], -1
	s_cbranch_scc1 .LBB95_235
; %bb.216:
	s_cmp_gt_i32 s55, 24
	s_cbranch_scc0 .LBB95_224
; %bb.217:
	v_cndmask_b32_e64 v3, 0, 1.0, s[38:39]
	s_mov_b32 s46, 0x47800000
	v_cmp_gt_u32_e32 vcc, s46, v3
	v_mov_b32_e32 v4, 0x80
	s_and_saveexec_b64 s[46:47], vcc
	s_cbranch_execz .LBB95_223
; %bb.218:
	s_mov_b32 s50, 0x37ffffff
	v_cmp_lt_u32_e32 vcc, s50, v3
	s_mov_b64 s[50:51], 0
                                        ; implicit-def: $vgpr2
	s_and_saveexec_b64 s[52:53], vcc
	s_xor_b64 s[52:53], exec, s[52:53]
	s_cbranch_execz .LBB95_569
; %bb.219:
	v_bfe_u32 v2, v3, 21, 1
	s_mov_b32 s56, 0x88fffff
	v_add3_u32 v2, v3, v2, s56
	s_mov_b64 s[50:51], exec
	v_lshrrev_b32_e32 v2, 21, v2
                                        ; implicit-def: $vgpr3
	s_andn2_saveexec_b64 s[52:53], s[52:53]
	s_cbranch_execnz .LBB95_570
.LBB95_220:
	s_or_b64 exec, exec, s[52:53]
	v_mov_b32_e32 v4, 0
	s_and_saveexec_b64 s[52:53], s[50:51]
.LBB95_221:
	v_mov_b32_e32 v4, v2
.LBB95_222:
	s_or_b64 exec, exec, s[52:53]
.LBB95_223:
	s_or_b64 exec, exec, s[46:47]
	s_mov_b64 s[46:47], 0
	global_store_byte v[0:1], v4, off
.LBB95_224:
	s_and_b64 vcc, exec, s[46:47]
	s_cbranch_vccz .LBB95_234
; %bb.225:
	v_cndmask_b32_e64 v2, 0, 1.0, s[38:39]
	s_mov_b32 s46, 0x43f00000
	v_cmp_gt_u32_e32 vcc, s46, v2
                                        ; implicit-def: $vgpr3
	s_and_saveexec_b64 s[46:47], vcc
	s_xor_b64 s[46:47], exec, s[46:47]
	s_cbranch_execz .LBB95_231
; %bb.226:
	s_mov_b32 s50, 0x3c7fffff
	v_cmp_lt_u32_e32 vcc, s50, v2
                                        ; implicit-def: $vgpr3
	s_and_saveexec_b64 s[50:51], vcc
	s_xor_b64 s[50:51], exec, s[50:51]
; %bb.227:
	v_bfe_u32 v3, v2, 20, 1
	s_mov_b32 s52, 0x407ffff
	v_add3_u32 v2, v2, v3, s52
	v_lshrrev_b32_e32 v3, 20, v2
	v_and_b32_e32 v2, 0xff00000, v2
	s_mov_b32 s52, 0x7f00000
	v_mov_b32_e32 v4, 0x7e
	v_cmp_ne_u32_e32 vcc, s52, v2
	v_cndmask_b32_e32 v3, v4, v3, vcc
                                        ; implicit-def: $vgpr2
; %bb.228:
	s_andn2_saveexec_b64 s[50:51], s[50:51]
; %bb.229:
	v_add_f32_e32 v3, 0x46800000, v2
; %bb.230:
	s_or_b64 exec, exec, s[50:51]
                                        ; implicit-def: $vgpr2
.LBB95_231:
	s_andn2_saveexec_b64 s[46:47], s[46:47]
; %bb.232:
	s_mov_b32 s50, 0x7f800000
	v_mov_b32_e32 v3, 0x7e
	v_mov_b32_e32 v4, 0x7f
	v_cmp_lt_u32_e32 vcc, s50, v2
	v_cndmask_b32_e32 v3, v3, v4, vcc
; %bb.233:
	s_or_b64 exec, exec, s[46:47]
	global_store_byte v[0:1], v3, off
.LBB95_234:
	s_mov_b64 s[46:47], 0
.LBB95_235:
	s_andn2_b64 vcc, exec, s[46:47]
	s_cbranch_vccnz .LBB95_245
; %bb.236:
	v_cndmask_b32_e64 v2, 0, 1.0, s[38:39]
	s_mov_b32 s46, 0x47800000
	v_cmp_gt_u32_e32 vcc, s46, v2
                                        ; implicit-def: $vgpr3
	s_and_saveexec_b64 s[46:47], vcc
	s_xor_b64 s[46:47], exec, s[46:47]
	s_cbranch_execz .LBB95_242
; %bb.237:
	s_mov_b32 s50, 0x387fffff
	v_cmp_lt_u32_e32 vcc, s50, v2
                                        ; implicit-def: $vgpr3
	s_and_saveexec_b64 s[50:51], vcc
	s_xor_b64 s[50:51], exec, s[50:51]
; %bb.238:
	v_bfe_u32 v3, v2, 21, 1
	s_mov_b32 s52, 0x80fffff
	v_add3_u32 v2, v2, v3, s52
	v_lshrrev_b32_e32 v3, 21, v2
                                        ; implicit-def: $vgpr2
; %bb.239:
	s_andn2_saveexec_b64 s[50:51], s[50:51]
; %bb.240:
	v_add_f32_e32 v3, 0x43000000, v2
; %bb.241:
	s_or_b64 exec, exec, s[50:51]
                                        ; implicit-def: $vgpr2
.LBB95_242:
	s_andn2_saveexec_b64 s[46:47], s[46:47]
; %bb.243:
	s_mov_b32 s50, 0x7f800000
	v_mov_b32_e32 v3, 0x7c
	v_mov_b32_e32 v4, 0x7f
	v_cmp_lt_u32_e32 vcc, s50, v2
	v_cndmask_b32_e32 v3, v3, v4, vcc
; %bb.244:
	s_or_b64 exec, exec, s[46:47]
	global_store_byte v[0:1], v3, off
.LBB95_245:
	s_mov_b64 s[50:51], 0
	s_mov_b64 s[46:47], -1
.LBB95_246:
	s_andn2_b64 vcc, exec, s[50:51]
	s_cbranch_vccnz .LBB95_254
; %bb.247:
	s_cmp_gt_i32 s55, 14
	s_mov_b64 s[50:51], -1
	s_cbranch_scc0 .LBB95_251
; %bb.248:
	s_cmp_eq_u32 s55, 15
	s_mov_b64 s[0:1], -1
	s_cbranch_scc0 .LBB95_250
; %bb.249:
	v_cndmask_b32_e64 v2, 0, 1.0, s[38:39]
	v_bfe_u32 v3, v2, 16, 1
	s_movk_i32 s0, 0x7fff
	v_add3_u32 v2, v2, v3, s0
	global_store_short_d16_hi v[0:1], v2, off
	s_mov_b64 s[46:47], -1
	s_mov_b64 s[0:1], 0
.LBB95_250:
	s_mov_b64 s[50:51], 0
.LBB95_251:
	s_and_b64 vcc, exec, s[50:51]
	s_cbranch_vccz .LBB95_254
; %bb.252:
	s_cmp_eq_u32 s55, 11
	s_mov_b64 s[0:1], -1
	s_cbranch_scc0 .LBB95_254
; %bb.253:
	v_cndmask_b32_e64 v2, 0, 1, s[38:39]
	s_mov_b64 s[46:47], -1
	s_mov_b64 s[0:1], 0
	global_store_byte v[0:1], v2, off
.LBB95_254:
	s_mov_b64 s[50:51], 0
.LBB95_255:
	s_and_b64 vcc, exec, s[50:51]
	s_cbranch_vccz .LBB95_294
; %bb.256:
	s_and_b32 s50, 0xffff, s54
	s_cmp_lt_i32 s50, 5
	s_mov_b64 s[46:47], -1
	s_cbranch_scc1 .LBB95_277
; %bb.257:
	s_cmp_lt_i32 s50, 8
	s_cbranch_scc1 .LBB95_267
; %bb.258:
	s_cmp_lt_i32 s50, 9
	s_cbranch_scc1 .LBB95_264
; %bb.259:
	s_cmp_gt_i32 s50, 9
	s_cbranch_scc0 .LBB95_261
; %bb.260:
	v_cndmask_b32_e64 v2, 0, 1, s[38:39]
	v_cvt_f64_u32_e32 v[2:3], v2
	v_mov_b32_e32 v4, 0
	v_mov_b32_e32 v5, v4
	s_mov_b64 s[46:47], 0
	global_store_dwordx4 v[0:1], v[2:5], off
.LBB95_261:
	s_andn2_b64 vcc, exec, s[46:47]
	s_cbranch_vccnz .LBB95_263
; %bb.262:
	v_cndmask_b32_e64 v2, 0, 1.0, s[38:39]
	v_mov_b32_e32 v3, 0
	global_store_dwordx2 v[0:1], v[2:3], off
.LBB95_263:
	s_mov_b64 s[46:47], 0
.LBB95_264:
	s_andn2_b64 vcc, exec, s[46:47]
	s_cbranch_vccnz .LBB95_266
; %bb.265:
	v_cndmask_b32_e64 v2, 0, 1.0, s[38:39]
	v_cvt_f16_f32_e32 v2, v2
	global_store_dword v[0:1], v2, off
.LBB95_266:
	s_mov_b64 s[46:47], 0
.LBB95_267:
	s_andn2_b64 vcc, exec, s[46:47]
	s_cbranch_vccnz .LBB95_276
; %bb.268:
	s_cmp_lt_i32 s50, 6
	s_mov_b64 s[46:47], -1
	s_cbranch_scc1 .LBB95_274
; %bb.269:
	s_cmp_gt_i32 s50, 6
	s_cbranch_scc0 .LBB95_271
; %bb.270:
	v_cndmask_b32_e64 v2, 0, 1, s[38:39]
	v_cvt_f64_u32_e32 v[2:3], v2
	s_mov_b64 s[46:47], 0
	global_store_dwordx2 v[0:1], v[2:3], off
.LBB95_271:
	s_andn2_b64 vcc, exec, s[46:47]
	s_cbranch_vccnz .LBB95_273
; %bb.272:
	v_cndmask_b32_e64 v2, 0, 1.0, s[38:39]
	global_store_dword v[0:1], v2, off
.LBB95_273:
	s_mov_b64 s[46:47], 0
.LBB95_274:
	s_andn2_b64 vcc, exec, s[46:47]
	s_cbranch_vccnz .LBB95_276
; %bb.275:
	v_cndmask_b32_e64 v2, 0, 1.0, s[38:39]
	v_cvt_f16_f32_e32 v2, v2
	global_store_short v[0:1], v2, off
.LBB95_276:
	s_mov_b64 s[46:47], 0
.LBB95_277:
	s_andn2_b64 vcc, exec, s[46:47]
	s_cbranch_vccnz .LBB95_293
; %bb.278:
	s_cmp_lt_i32 s50, 2
	s_mov_b64 s[46:47], -1
	s_cbranch_scc1 .LBB95_288
; %bb.279:
	s_cmp_lt_i32 s50, 3
	s_cbranch_scc1 .LBB95_285
; %bb.280:
	s_cmp_gt_i32 s50, 3
	s_cbranch_scc0 .LBB95_282
; %bb.281:
	s_mov_b32 s46, 0
	v_cndmask_b32_e64 v2, 0, 1, s[38:39]
	v_mov_b32_e32 v3, s46
	global_store_dwordx2 v[0:1], v[2:3], off
	s_mov_b64 s[46:47], 0
.LBB95_282:
	s_andn2_b64 vcc, exec, s[46:47]
	s_cbranch_vccnz .LBB95_284
; %bb.283:
	v_cndmask_b32_e64 v2, 0, 1, s[38:39]
	global_store_dword v[0:1], v2, off
.LBB95_284:
	s_mov_b64 s[46:47], 0
.LBB95_285:
	s_andn2_b64 vcc, exec, s[46:47]
	s_cbranch_vccnz .LBB95_287
; %bb.286:
	v_cndmask_b32_e64 v2, 0, 1, s[38:39]
	global_store_short v[0:1], v2, off
.LBB95_287:
	s_mov_b64 s[46:47], 0
.LBB95_288:
	s_andn2_b64 vcc, exec, s[46:47]
	s_cbranch_vccnz .LBB95_293
; %bb.289:
	s_cmp_gt_i32 s50, 0
	s_mov_b64 s[46:47], -1
	s_cbranch_scc0 .LBB95_291
; %bb.290:
	v_cndmask_b32_e64 v2, 0, 1, s[38:39]
	global_store_byte v[0:1], v2, off
	s_mov_b64 s[46:47], 0
.LBB95_291:
	s_andn2_b64 vcc, exec, s[46:47]
	s_cbranch_vccnz .LBB95_293
; %bb.292:
	v_cndmask_b32_e64 v2, 0, 1, s[38:39]
	global_store_byte v[0:1], v2, off
.LBB95_293:
	s_mov_b64 s[46:47], -1
.LBB95_294:
	s_andn2_b64 vcc, exec, s[46:47]
	s_cbranch_vccnz .LBB95_296
; %bb.295:
	v_add_u32_e32 v8, 0x80, v8
	s_mov_b64 s[46:47], -1
	s_branch .LBB95_409
.LBB95_296:
	s_mov_b64 s[46:47], 0
                                        ; implicit-def: $vgpr8
	s_branch .LBB95_409
.LBB95_297:
	s_mov_b64 s[40:41], -1
                                        ; implicit-def: $vgpr5_vgpr6
.LBB95_298:
	s_mov_b64 s[38:39], 0
.LBB95_299:
	s_and_b64 vcc, exec, s[38:39]
	s_cbranch_vccz .LBB95_303
; %bb.300:
	s_cmp_eq_u32 s51, 29
	s_cbranch_scc0 .LBB95_302
; %bb.301:
	global_load_dwordx2 v[5:6], v[3:4], off
	s_mov_b64 s[0:1], -1
	s_mov_b64 s[40:41], 0
	s_mov_b64 s[38:39], 0
	s_waitcnt vmcnt(0)
	v_cvt_f64_u32_e32 v[6:7], v6
	v_cvt_f64_u32_e32 v[9:10], v5
	v_ldexp_f64 v[6:7], v[6:7], 32
	v_add_f64 v[5:6], v[6:7], v[9:10]
	s_branch .LBB95_304
.LBB95_302:
	s_mov_b64 s[40:41], -1
                                        ; implicit-def: $vgpr5_vgpr6
.LBB95_303:
	s_mov_b64 s[38:39], 0
.LBB95_304:
	s_and_b64 vcc, exec, s[38:39]
	s_cbranch_vccz .LBB95_324
; %bb.305:
	s_cmp_lt_i32 s51, 27
	s_cbranch_scc1 .LBB95_308
; %bb.306:
	s_cmp_gt_i32 s51, 27
	s_cbranch_scc0 .LBB95_309
; %bb.307:
	global_load_dword v5, v[3:4], off
	s_mov_b64 s[0:1], 0
	s_waitcnt vmcnt(0)
	v_cvt_f64_u32_e32 v[5:6], v5
	s_branch .LBB95_310
.LBB95_308:
	s_mov_b64 s[0:1], -1
                                        ; implicit-def: $vgpr5_vgpr6
	s_branch .LBB95_313
.LBB95_309:
	s_mov_b64 s[0:1], -1
                                        ; implicit-def: $vgpr5_vgpr6
.LBB95_310:
	s_andn2_b64 vcc, exec, s[0:1]
	s_cbranch_vccnz .LBB95_312
; %bb.311:
	global_load_ushort v5, v[3:4], off
	s_waitcnt vmcnt(0)
	v_cvt_f64_u32_e32 v[5:6], v5
.LBB95_312:
	s_mov_b64 s[0:1], 0
.LBB95_313:
	s_andn2_b64 vcc, exec, s[0:1]
	s_cbranch_vccnz .LBB95_323
; %bb.314:
	global_load_ubyte v7, v[3:4], off
	s_movk_i32 s0, 0x7f
	s_waitcnt vmcnt(0)
	v_cmp_lt_i16_e32 vcc, s0, v7
	s_mov_b64 s[0:1], 0
	s_and_saveexec_b64 s[38:39], vcc
	s_xor_b64 s[38:39], exec, s[38:39]
	s_cbranch_execz .LBB95_318
; %bb.315:
	s_movk_i32 s0, 0x80
	v_cmp_eq_u16_e32 vcc, s0, v7
	s_mov_b64 s[0:1], -1
	s_and_saveexec_b64 s[46:47], vcc
; %bb.316:
	s_xor_b64 s[0:1], exec, -1
; %bb.317:
	s_or_b64 exec, exec, s[46:47]
	s_and_b64 s[0:1], s[0:1], exec
.LBB95_318:
	s_or_saveexec_b64 s[38:39], s[38:39]
	v_bfrev_b32_e32 v5, 4
	v_mov_b32_e32 v6, 0x7ff80000
	s_xor_b64 exec, exec, s[38:39]
; %bb.319:
	v_cmp_ne_u16_e32 vcc, 0, v7
	v_mov_b32_e32 v5, 0
	s_andn2_b64 s[0:1], s[0:1], exec
	s_and_b64 s[46:47], vcc, exec
	v_mov_b32_e32 v6, 0
	s_or_b64 s[0:1], s[0:1], s[46:47]
; %bb.320:
	s_or_b64 exec, exec, s[38:39]
	s_and_saveexec_b64 s[38:39], s[0:1]
	s_cbranch_execz .LBB95_322
; %bb.321:
	v_and_b32_e32 v6, 0xffff, v7
	v_lshlrev_b32_e32 v5, 24, v7
	v_and_b32_e32 v7, 7, v6
	v_ffbh_u32_e32 v10, v7
	v_min_u32_e32 v10, 32, v10
	v_subrev_u32_e32 v11, 28, v10
	v_bfe_u32 v9, v6, 3, 4
	v_lshlrev_b32_e32 v6, v11, v6
	v_sub_u32_e32 v10, 29, v10
	v_and_b32_e32 v6, 7, v6
	v_cmp_eq_u32_e32 vcc, 0, v9
	v_cndmask_b32_e32 v9, v9, v10, vcc
	v_cndmask_b32_e32 v6, v7, v6, vcc
	v_mov_b32_e32 v7, 0x3b800000
	v_lshlrev_b32_e32 v6, 20, v6
	v_and_b32_e32 v5, 0x80000000, v5
	v_lshl_add_u32 v7, v9, 23, v7
	v_or3_b32 v5, v5, v7, v6
	v_cvt_f64_f32_e32 v[5:6], v5
.LBB95_322:
	s_or_b64 exec, exec, s[38:39]
.LBB95_323:
	s_mov_b64 s[0:1], -1
.LBB95_324:
	s_mov_b64 s[38:39], 0
.LBB95_325:
	s_and_b64 vcc, exec, s[38:39]
	s_cbranch_vccz .LBB95_358
; %bb.326:
	s_cmp_gt_i32 s51, 22
	s_cbranch_scc0 .LBB95_338
; %bb.327:
	s_cmp_lt_i32 s51, 24
	s_cbranch_scc1 .LBB95_339
; %bb.328:
	s_cmp_gt_i32 s51, 24
	s_cbranch_scc0 .LBB95_340
; %bb.329:
	global_load_ubyte v7, v[3:4], off
	s_movk_i32 s0, 0x7f
	s_waitcnt vmcnt(0)
	v_cmp_lt_i16_e32 vcc, s0, v7
	s_mov_b64 s[0:1], 0
	s_and_saveexec_b64 s[38:39], vcc
	s_xor_b64 s[38:39], exec, s[38:39]
	s_cbranch_execz .LBB95_333
; %bb.330:
	s_movk_i32 s0, 0x80
	v_cmp_eq_u16_e32 vcc, s0, v7
	s_mov_b64 s[0:1], -1
	s_and_saveexec_b64 s[46:47], vcc
; %bb.331:
	s_xor_b64 s[0:1], exec, -1
; %bb.332:
	s_or_b64 exec, exec, s[46:47]
	s_and_b64 s[0:1], s[0:1], exec
.LBB95_333:
	s_or_saveexec_b64 s[38:39], s[38:39]
	v_bfrev_b32_e32 v5, 4
	v_mov_b32_e32 v6, 0x7ff80000
	s_xor_b64 exec, exec, s[38:39]
; %bb.334:
	v_cmp_ne_u16_e32 vcc, 0, v7
	v_mov_b32_e32 v5, 0
	s_andn2_b64 s[0:1], s[0:1], exec
	s_and_b64 s[46:47], vcc, exec
	v_mov_b32_e32 v6, 0
	s_or_b64 s[0:1], s[0:1], s[46:47]
; %bb.335:
	s_or_b64 exec, exec, s[38:39]
	s_and_saveexec_b64 s[38:39], s[0:1]
	s_cbranch_execz .LBB95_337
; %bb.336:
	v_and_b32_e32 v6, 0xffff, v7
	v_lshlrev_b32_e32 v5, 24, v7
	v_and_b32_e32 v7, 3, v6
	v_ffbh_u32_e32 v10, v7
	v_min_u32_e32 v10, 32, v10
	v_subrev_u32_e32 v11, 29, v10
	v_bfe_u32 v9, v6, 2, 5
	v_lshlrev_b32_e32 v6, v11, v6
	v_sub_u32_e32 v10, 30, v10
	v_and_b32_e32 v6, 3, v6
	v_cmp_eq_u32_e32 vcc, 0, v9
	v_cndmask_b32_e32 v9, v9, v10, vcc
	v_cndmask_b32_e32 v6, v7, v6, vcc
	v_mov_b32_e32 v7, 0x37800000
	v_lshlrev_b32_e32 v6, 21, v6
	v_and_b32_e32 v5, 0x80000000, v5
	v_lshl_add_u32 v7, v9, 23, v7
	v_or3_b32 v5, v5, v7, v6
	v_cvt_f64_f32_e32 v[5:6], v5
.LBB95_337:
	s_or_b64 exec, exec, s[38:39]
	s_mov_b64 s[0:1], 0
	s_branch .LBB95_341
.LBB95_338:
	s_mov_b64 s[38:39], -1
                                        ; implicit-def: $vgpr5_vgpr6
	s_branch .LBB95_347
.LBB95_339:
	s_mov_b64 s[0:1], -1
                                        ; implicit-def: $vgpr5_vgpr6
	s_branch .LBB95_344
.LBB95_340:
	s_mov_b64 s[0:1], -1
                                        ; implicit-def: $vgpr5_vgpr6
.LBB95_341:
	s_and_b64 vcc, exec, s[0:1]
	s_cbranch_vccz .LBB95_343
; %bb.342:
	global_load_ubyte v5, v[3:4], off
	s_mov_b32 s0, 0x7f800000
	s_waitcnt vmcnt(0)
	v_lshlrev_b32_e32 v5, 24, v5
	v_and_b32_e32 v6, 0x7f000000, v5
	v_ffbh_u32_e32 v7, v6
	v_min_u32_e32 v7, 32, v7
	v_sub_u32_e64 v7, v7, 4 clamp
	v_lshlrev_b32_e32 v10, v7, v6
	v_lshlrev_b32_e32 v7, 23, v7
	v_lshrrev_b32_e32 v10, 4, v10
	v_add_u32_e32 v9, 0x1000000, v6
	v_sub_u32_e32 v7, v10, v7
	v_ashrrev_i32_e32 v9, 8, v9
	v_add_u32_e32 v7, 0x3c000000, v7
	v_and_or_b32 v7, v9, s0, v7
	v_cmp_ne_u32_e32 vcc, 0, v6
	v_cndmask_b32_e32 v6, 0, v7, vcc
	s_brev_b32 s0, 1
	v_and_or_b32 v5, v5, s0, v6
	v_cvt_f64_f32_e32 v[5:6], v5
.LBB95_343:
	s_mov_b64 s[0:1], 0
.LBB95_344:
	s_andn2_b64 vcc, exec, s[0:1]
	s_cbranch_vccnz .LBB95_346
; %bb.345:
	global_load_ubyte v5, v[3:4], off
	s_movk_i32 s0, 0x7f00
	s_brev_b32 s1, 16
	s_waitcnt vmcnt(0)
	v_lshlrev_b16_e32 v6, 8, v5
	v_lshlrev_b32_e32 v5, 25, v5
	v_lshrrev_b32_e32 v7, 4, v5
	v_and_or_b32 v9, v6, s0, 0.5
	v_or_b32_e32 v7, 0x70000000, v7
	v_add_f32_e32 v9, -0.5, v9
	v_mul_f32_e32 v7, 0x7800000, v7
	v_cmp_gt_u32_e32 vcc, s1, v5
	v_bfe_i32 v6, v6, 0, 16
	v_cndmask_b32_e32 v5, v7, v9, vcc
	s_brev_b32 s0, 1
	v_and_or_b32 v5, v6, s0, v5
	v_cvt_f64_f32_e32 v[5:6], v5
.LBB95_346:
	s_mov_b64 s[38:39], 0
	s_mov_b64 s[0:1], -1
.LBB95_347:
	s_andn2_b64 vcc, exec, s[38:39]
	s_cbranch_vccnz .LBB95_358
; %bb.348:
	s_cmp_gt_i32 s51, 14
	s_cbranch_scc0 .LBB95_351
; %bb.349:
	s_cmp_eq_u32 s51, 15
	s_cbranch_scc0 .LBB95_352
; %bb.350:
	global_load_ushort v5, v[3:4], off
	s_mov_b64 s[0:1], -1
	s_mov_b64 s[40:41], 0
	s_waitcnt vmcnt(0)
	v_lshlrev_b32_e32 v5, 16, v5
	v_cvt_f64_f32_e32 v[5:6], v5
	s_branch .LBB95_353
.LBB95_351:
	s_mov_b64 s[38:39], -1
                                        ; implicit-def: $vgpr5_vgpr6
	s_branch .LBB95_354
.LBB95_352:
	s_mov_b64 s[40:41], -1
                                        ; implicit-def: $vgpr5_vgpr6
.LBB95_353:
	s_mov_b64 s[38:39], 0
.LBB95_354:
	s_and_b64 vcc, exec, s[38:39]
	s_cbranch_vccz .LBB95_358
; %bb.355:
	s_cmp_eq_u32 s51, 11
	s_cbranch_scc0 .LBB95_357
; %bb.356:
	global_load_ubyte v6, v[3:4], off
	v_mov_b32_e32 v7, 0x3ff00000
	v_mov_b32_e32 v5, 0
	s_mov_b64 s[0:1], -1
	s_mov_b64 s[40:41], 0
	s_waitcnt vmcnt(0)
	v_cmp_ne_u16_e32 vcc, 0, v6
	v_cndmask_b32_e32 v6, 0, v7, vcc
	s_branch .LBB95_358
.LBB95_357:
	s_mov_b64 s[40:41], -1
                                        ; implicit-def: $vgpr5_vgpr6
.LBB95_358:
	s_branch .LBB95_31
.LBB95_359:
	s_and_b32 s38, 0xffff, s50
	s_cmp_lt_i32 s38, 5
	s_cbranch_scc1 .LBB95_364
; %bb.360:
	s_cmp_lt_i32 s38, 8
	s_cbranch_scc1 .LBB95_365
; %bb.361:
	s_cmp_lt_i32 s38, 9
	s_cbranch_scc1 .LBB95_366
; %bb.362:
	s_cmp_gt_i32 s38, 9
	s_cbranch_scc0 .LBB95_367
; %bb.363:
	global_load_dwordx2 v[5:6], v[3:4], off
	s_mov_b64 s[0:1], 0
	s_branch .LBB95_368
.LBB95_364:
	s_mov_b64 s[0:1], -1
                                        ; implicit-def: $vgpr5_vgpr6
	s_branch .LBB95_386
.LBB95_365:
	s_mov_b64 s[0:1], -1
                                        ; implicit-def: $vgpr5_vgpr6
	s_branch .LBB95_374
.LBB95_366:
	s_mov_b64 s[0:1], -1
                                        ; implicit-def: $vgpr5_vgpr6
	s_branch .LBB95_371
.LBB95_367:
	s_mov_b64 s[0:1], -1
                                        ; implicit-def: $vgpr5_vgpr6
.LBB95_368:
	s_andn2_b64 vcc, exec, s[0:1]
	s_cbranch_vccnz .LBB95_370
; %bb.369:
	global_load_dword v5, v[3:4], off
	s_waitcnt vmcnt(0)
	v_cvt_f64_f32_e32 v[5:6], v5
.LBB95_370:
	s_mov_b64 s[0:1], 0
.LBB95_371:
	s_andn2_b64 vcc, exec, s[0:1]
	s_cbranch_vccnz .LBB95_373
; %bb.372:
	global_load_dword v5, v[3:4], off
	s_waitcnt vmcnt(0)
	v_cvt_f32_f16_e32 v5, v5
	v_cvt_f64_f32_e32 v[5:6], v5
.LBB95_373:
	s_mov_b64 s[0:1], 0
.LBB95_374:
	s_andn2_b64 vcc, exec, s[0:1]
	s_cbranch_vccnz .LBB95_385
; %bb.375:
	s_cmp_lt_i32 s38, 6
	s_cbranch_scc1 .LBB95_378
; %bb.376:
	s_cmp_gt_i32 s38, 6
	s_cbranch_scc0 .LBB95_379
; %bb.377:
	global_load_dwordx2 v[5:6], v[3:4], off
	s_mov_b64 s[0:1], 0
	s_branch .LBB95_380
.LBB95_378:
	s_mov_b64 s[0:1], -1
                                        ; implicit-def: $vgpr5_vgpr6
	s_branch .LBB95_383
.LBB95_379:
	s_mov_b64 s[0:1], -1
                                        ; implicit-def: $vgpr5_vgpr6
.LBB95_380:
	s_andn2_b64 vcc, exec, s[0:1]
	s_cbranch_vccnz .LBB95_382
; %bb.381:
	global_load_dword v5, v[3:4], off
	s_waitcnt vmcnt(0)
	v_cvt_f64_f32_e32 v[5:6], v5
.LBB95_382:
	s_mov_b64 s[0:1], 0
.LBB95_383:
	s_andn2_b64 vcc, exec, s[0:1]
	s_cbranch_vccnz .LBB95_385
; %bb.384:
	global_load_ushort v5, v[3:4], off
	s_waitcnt vmcnt(0)
	v_cvt_f32_f16_e32 v5, v5
	v_cvt_f64_f32_e32 v[5:6], v5
.LBB95_385:
	s_mov_b64 s[0:1], 0
.LBB95_386:
	s_andn2_b64 vcc, exec, s[0:1]
	s_cbranch_vccnz .LBB95_406
; %bb.387:
	s_cmp_lt_i32 s38, 2
	s_cbranch_scc1 .LBB95_391
; %bb.388:
	s_cmp_lt_i32 s38, 3
	s_cbranch_scc1 .LBB95_392
; %bb.389:
	s_cmp_gt_i32 s38, 3
	s_cbranch_scc0 .LBB95_393
; %bb.390:
	global_load_dwordx2 v[5:6], v[3:4], off
	s_mov_b64 s[0:1], 0
	s_waitcnt vmcnt(0)
	v_cvt_f64_i32_e32 v[6:7], v6
	v_cvt_f64_u32_e32 v[9:10], v5
	v_ldexp_f64 v[6:7], v[6:7], 32
	v_add_f64 v[5:6], v[6:7], v[9:10]
	s_branch .LBB95_394
.LBB95_391:
	s_mov_b64 s[0:1], -1
                                        ; implicit-def: $vgpr5_vgpr6
	s_branch .LBB95_400
.LBB95_392:
	s_mov_b64 s[0:1], -1
                                        ; implicit-def: $vgpr5_vgpr6
	s_branch .LBB95_397
.LBB95_393:
	s_mov_b64 s[0:1], -1
                                        ; implicit-def: $vgpr5_vgpr6
.LBB95_394:
	s_andn2_b64 vcc, exec, s[0:1]
	s_cbranch_vccnz .LBB95_396
; %bb.395:
	global_load_dword v5, v[3:4], off
	s_waitcnt vmcnt(0)
	v_cvt_f64_i32_e32 v[5:6], v5
.LBB95_396:
	s_mov_b64 s[0:1], 0
.LBB95_397:
	s_andn2_b64 vcc, exec, s[0:1]
	s_cbranch_vccnz .LBB95_399
; %bb.398:
	global_load_sshort v5, v[3:4], off
	s_waitcnt vmcnt(0)
	v_cvt_f64_i32_e32 v[5:6], v5
.LBB95_399:
	s_mov_b64 s[0:1], 0
.LBB95_400:
	s_andn2_b64 vcc, exec, s[0:1]
	s_cbranch_vccnz .LBB95_406
; %bb.401:
	s_cmp_gt_i32 s38, 0
	s_cbranch_scc0 .LBB95_403
; %bb.402:
	global_load_sbyte v5, v[3:4], off
	s_mov_b64 s[0:1], 0
	s_waitcnt vmcnt(0)
	v_cvt_f64_i32_e32 v[5:6], v5
	s_branch .LBB95_404
.LBB95_403:
	s_mov_b64 s[0:1], -1
                                        ; implicit-def: $vgpr5_vgpr6
.LBB95_404:
	s_andn2_b64 vcc, exec, s[0:1]
	s_cbranch_vccnz .LBB95_406
; %bb.405:
	global_load_ubyte v3, v[3:4], off
	s_waitcnt vmcnt(0)
	v_cvt_f64_u32_e32 v[5:6], v3
.LBB95_406:
	s_branch .LBB95_32
.LBB95_407:
	s_mov_b64 s[0:1], 0
.LBB95_408:
                                        ; implicit-def: $vgpr8
	s_mov_b64 s[46:47], 0
.LBB95_409:
	s_and_b64 s[38:39], s[0:1], exec
	s_and_b64 s[40:41], s[40:41], exec
	;; [unrolled: 1-line block ×3, first 2 shown]
	s_orn2_b64 s[0:1], s[46:47], exec
.LBB95_410:
	s_or_b64 exec, exec, s[44:45]
	s_mov_b64 s[52:53], 0
	s_mov_b64 s[50:51], 0
                                        ; implicit-def: $sgpr74
                                        ; implicit-def: $vgpr4_vgpr5
                                        ; implicit-def: $vgpr0
                                        ; implicit-def: $vgpr3
                                        ; implicit-def: $vgpr1_vgpr2
	s_and_saveexec_b64 s[44:45], s[0:1]
	s_cbranch_execz .LBB95_418
; %bb.411:
	v_cmp_gt_i32_e32 vcc, s68, v8
	s_mov_b64 s[0:1], -1
	s_mov_b64 s[46:47], s[42:43]
	s_mov_b64 s[48:49], s[40:41]
	;; [unrolled: 1-line block ×3, first 2 shown]
	s_and_saveexec_b64 s[52:53], vcc
	s_cbranch_execz .LBB95_828
; %bb.412:
	s_andn2_b64 vcc, exec, s[24:25]
	s_cbranch_vccnz .LBB95_421
; %bb.413:
	s_andn2_b64 vcc, exec, s[36:37]
	s_cbranch_vccnz .LBB95_422
; %bb.414:
	s_add_i32 s0, s73, 1
	s_and_b32 s46, s0, 30
	s_add_u32 s0, s2, 0xffffffe8
	s_addc_u32 s1, s3, -1
	v_mov_b32_e32 v3, 0
	s_waitcnt vmcnt(0)
	v_mov_b32_e32 v5, 0
	v_mov_b32_e32 v0, 0
	;; [unrolled: 1-line block ×3, first 2 shown]
.LBB95_415:                             ; =>This Inner Loop Header: Depth=1
	s_load_dwordx4 s[48:51], s[0:1], 0x1c
	s_load_dwordx2 s[54:55], s[0:1], 0x2c
	s_load_dwordx2 s[60:61], s[0:1], 0xec
	s_load_dwordx4 s[56:59], s[0:1], 0xdc
	s_add_u32 s0, s0, 24
	s_waitcnt lgkmcnt(0)
	v_mul_hi_u32 v2, s49, v1
	s_addc_u32 s1, s1, 0
	s_add_i32 s46, s46, -2
	s_cmp_eq_u32 s46, 0
	v_add_u32_e32 v2, v1, v2
	v_lshrrev_b32_e32 v2, s50, v2
	v_mul_lo_u32 v4, v2, s48
	v_mul_hi_u32 v6, s54, v2
	v_sub_u32_e32 v4, v1, v4
	v_add_u32_e32 v1, v2, v6
	v_lshrrev_b32_e32 v1, s55, v1
	v_mul_lo_u32 v9, v1, s51
	v_mul_lo_u32 v6, v4, s56
	;; [unrolled: 1-line block ×4, first 2 shown]
	v_sub_u32_e32 v2, v2, v9
	v_mul_lo_u32 v9, v2, s59
	v_mul_lo_u32 v10, v2, s60
	;; [unrolled: 1-line block ×3, first 2 shown]
	v_add3_u32 v0, v6, v0, v9
	v_add3_u32 v5, v7, v5, v10
	;; [unrolled: 1-line block ×3, first 2 shown]
	s_cbranch_scc0 .LBB95_415
; %bb.416:
	s_bitcmp1_b32 s73, 0
	s_cselect_b64 s[46:47], -1, 0
	s_and_b64 vcc, exec, s[46:47]
	s_cbranch_vccnz .LBB95_423
; %bb.417:
	s_load_dwordx2 s[46:47], s[0:1], 0x1c
	s_load_dword s50, s[0:1], 0x24
	s_load_dwordx2 s[48:49], s[0:1], 0xdc
	s_waitcnt lgkmcnt(0)
	v_mul_hi_u32 v2, s47, v1
	v_add_u32_e32 v2, v1, v2
	v_lshrrev_b32_e32 v2, s50, v2
	v_mul_lo_u32 v2, v2, s46
	s_load_dword s46, s[0:1], 0xe4
	v_sub_u32_e32 v2, v1, v2
	v_mad_u64_u32 v[0:1], s[0:1], v2, s48, v[0:1]
	v_mad_u64_u32 v[5:6], s[0:1], v2, s49, v[5:6]
	s_waitcnt lgkmcnt(0)
	v_mad_u64_u32 v[3:4], s[0:1], v2, s46, v[3:4]
	s_branch .LBB95_423
.LBB95_418:
	s_or_b64 exec, exec, s[44:45]
	s_mov_b64 s[10:11], 0
	s_and_saveexec_b64 s[0:1], s[42:43]
	s_cbranch_execnz .LBB95_1343
.LBB95_419:
	s_or_b64 exec, exec, s[0:1]
	s_and_saveexec_b64 s[0:1], s[48:49]
	s_xor_b64 s[0:1], exec, s[0:1]
	s_cbranch_execz .LBB95_1344
.LBB95_420:
	s_waitcnt vmcnt(0)
	global_load_ubyte v2, v[4:5], off
	v_mov_b32_e32 v6, 0x3ff00000
	v_mov_b32_e32 v1, 0
	s_or_b64 s[50:51], s[50:51], exec
	s_waitcnt vmcnt(0)
	v_cmp_ne_u16_e32 vcc, 0, v2
	v_cndmask_b32_e32 v2, 0, v6, vcc
	s_or_b64 exec, exec, s[0:1]
	s_and_saveexec_b64 s[0:1], s[52:53]
	s_cbranch_execz .LBB95_1390
	s_branch .LBB95_1345
.LBB95_421:
                                        ; implicit-def: $vgpr0
                                        ; implicit-def: $vgpr5
                                        ; implicit-def: $vgpr3
	s_andn2_b64 vcc, exec, s[0:1]
	s_cbranch_vccz .LBB95_424
	s_branch .LBB95_426
.LBB95_422:
	v_mov_b32_e32 v0, 0
	s_waitcnt vmcnt(0)
	v_mov_b32_e32 v5, 0
	v_mov_b32_e32 v3, 0
.LBB95_423:
	s_cbranch_execnz .LBB95_426
.LBB95_424:
	v_mul_hi_u32 v0, s17, v8
	s_andn2_b64 vcc, exec, s[34:35]
	v_add_u32_e32 v0, v8, v0
	s_waitcnt vmcnt(0)
	v_lshrrev_b32_e32 v1, s18, v0
	v_mul_lo_u32 v0, v1, s16
	v_sub_u32_e32 v2, v8, v0
	v_mul_lo_u32 v0, v2, s20
	v_mul_lo_u32 v5, v2, s21
	;; [unrolled: 1-line block ×3, first 2 shown]
	s_cbranch_vccnz .LBB95_426
; %bb.425:
	v_mul_hi_u32 v2, s30, v1
	v_add_u32_e32 v2, v1, v2
	v_lshrrev_b32_e32 v2, s31, v2
	v_mul_lo_u32 v2, v2, s19
	v_sub_u32_e32 v2, v1, v2
	v_mad_u64_u32 v[0:1], s[0:1], v2, s23, v[0:1]
	v_mad_u64_u32 v[5:6], s[0:1], v2, s28, v[5:6]
	;; [unrolled: 1-line block ×3, first 2 shown]
.LBB95_426:
	s_waitcnt vmcnt(0)
	v_mov_b32_e32 v1, s11
	s_and_b32 s54, s72, 0xff
	v_add_co_u32_e32 v4, vcc, s10, v5
	s_cmp_lt_i32 s54, 11
	v_addc_co_u32_e32 v5, vcc, 0, v1, vcc
	s_cbranch_scc1 .LBB95_433
; %bb.427:
	s_and_b32 s55, 0xffff, s54
	s_cmp_gt_i32 s55, 25
	s_cbranch_scc0 .LBB95_442
; %bb.428:
	s_cmp_gt_i32 s55, 28
	s_cbranch_scc0 .LBB95_444
; %bb.429:
	;; [unrolled: 3-line block ×4, first 2 shown]
	s_cmp_eq_u32 s55, 46
	s_mov_b64 s[48:49], 0
	s_cbranch_scc0 .LBB95_452
; %bb.432:
	global_load_dword v1, v[4:5], off
	s_mov_b64 s[0:1], -1
	s_mov_b64 s[46:47], 0
	s_waitcnt vmcnt(0)
	v_lshlrev_b32_e32 v1, 16, v1
	v_cvt_f64_f32_e32 v[1:2], v1
	s_branch .LBB95_453
.LBB95_433:
	s_mov_b64 s[0:1], 0
                                        ; implicit-def: $vgpr1_vgpr2
	s_mov_b64 s[46:47], s[42:43]
	s_cbranch_execnz .LBB95_519
.LBB95_434:
	s_andn2_b64 vcc, exec, s[0:1]
	s_cbranch_vccnz .LBB95_567
.LBB95_435:
	v_mov_b32_e32 v4, s13
	s_and_b32 s56, s71, 0xff
	v_add_co_u32_e32 v3, vcc, s12, v3
	s_cmp_lt_i32 s56, 11
	v_addc_co_u32_e32 v4, vcc, 0, v4, vcc
	s_cbranch_scc1 .LBB95_443
; %bb.436:
	s_and_b32 s57, 0xffff, s56
	s_cmp_gt_i32 s57, 25
	s_cbranch_scc0 .LBB95_445
; %bb.437:
	s_cmp_gt_i32 s57, 28
	s_cbranch_scc0 .LBB95_447
; %bb.438:
	;; [unrolled: 3-line block ×4, first 2 shown]
	s_cmp_eq_u32 s57, 46
	s_mov_b64 s[50:51], 0
	s_cbranch_scc0 .LBB95_571
; %bb.441:
	global_load_dword v5, v[3:4], off
	s_mov_b64 s[0:1], -1
	s_mov_b64 s[48:49], 0
	s_waitcnt vmcnt(0)
	v_lshlrev_b32_e32 v5, 16, v5
	v_cvt_f64_f32_e32 v[5:6], v5
	s_branch .LBB95_572
.LBB95_442:
	s_mov_b64 s[48:49], -1
	s_mov_b64 s[0:1], 0
	s_mov_b64 s[46:47], s[42:43]
                                        ; implicit-def: $vgpr1_vgpr2
	s_branch .LBB95_485
.LBB95_443:
	s_mov_b64 s[50:51], -1
	s_mov_b64 s[0:1], 0
                                        ; implicit-def: $vgpr5_vgpr6
	s_mov_b64 s[48:49], s[40:41]
	s_branch .LBB95_637
.LBB95_444:
	s_mov_b64 s[48:49], -1
	s_mov_b64 s[0:1], 0
	s_mov_b64 s[46:47], s[42:43]
                                        ; implicit-def: $vgpr1_vgpr2
	s_branch .LBB95_464
.LBB95_445:
	s_mov_b64 s[50:51], -1
	s_mov_b64 s[0:1], 0
	s_mov_b64 s[48:49], s[40:41]
                                        ; implicit-def: $vgpr5_vgpr6
	s_branch .LBB95_603
.LBB95_446:
	s_mov_b64 s[48:49], -1
	s_mov_b64 s[0:1], 0
	s_mov_b64 s[46:47], s[42:43]
                                        ; implicit-def: $vgpr1_vgpr2
	s_branch .LBB95_459
.LBB95_447:
	s_mov_b64 s[50:51], -1
	s_mov_b64 s[0:1], 0
	s_mov_b64 s[48:49], s[40:41]
                                        ; implicit-def: $vgpr5_vgpr6
	s_branch .LBB95_582
.LBB95_448:
	s_mov_b64 s[48:49], -1
	s_mov_b64 s[0:1], 0
	s_mov_b64 s[46:47], s[42:43]
                                        ; implicit-def: $vgpr1_vgpr2
	s_branch .LBB95_453
.LBB95_449:
	s_mov_b64 s[50:51], -1
	s_mov_b64 s[0:1], 0
	s_mov_b64 s[48:49], s[40:41]
                                        ; implicit-def: $vgpr5_vgpr6
	s_branch .LBB95_577
.LBB95_450:
	s_andn2_saveexec_b64 s[52:53], s[52:53]
	s_cbranch_execz .LBB95_207
.LBB95_451:
	v_add_f32_e32 v2, 0x46000000, v3
	v_and_b32_e32 v2, 0xff, v2
	v_cmp_ne_u32_e32 vcc, 0, v2
	s_andn2_b64 s[50:51], s[50:51], exec
	s_and_b64 s[56:57], vcc, exec
	s_or_b64 s[50:51], s[50:51], s[56:57]
	s_or_b64 exec, exec, s[52:53]
	v_mov_b32_e32 v4, 0
	s_and_saveexec_b64 s[52:53], s[50:51]
	s_cbranch_execnz .LBB95_208
	s_branch .LBB95_209
.LBB95_452:
	s_mov_b64 s[46:47], -1
                                        ; implicit-def: $vgpr1_vgpr2
	s_mov_b64 s[0:1], 0
.LBB95_453:
	s_and_b64 vcc, exec, s[48:49]
	s_cbranch_vccz .LBB95_458
; %bb.454:
	s_cmp_eq_u32 s55, 44
	s_cbranch_scc0 .LBB95_457
; %bb.455:
	global_load_ubyte v6, v[4:5], off
	s_movk_i32 s46, 0xff
	v_bfrev_b32_e32 v7, 4
	v_mov_b32_e32 v9, 0x7ff80000
	v_bfrev_b32_e32 v10, 28
	s_mov_b64 s[0:1], -1
	s_waitcnt vmcnt(0)
	v_lshlrev_b32_e32 v1, 23, v6
	v_cvt_f64_f32_e32 v[1:2], v1
	v_cmp_ne_u32_e32 vcc, s46, v6
	s_mov_b64 s[46:47], 0
	v_cndmask_b32_e32 v1, v7, v1, vcc
	v_cndmask_b32_e32 v2, v9, v2, vcc
	v_cmp_ne_u32_e32 vcc, 0, v6
	v_cndmask_b32_e32 v2, v10, v2, vcc
	v_cndmask_b32_e32 v1, 0, v1, vcc
	s_branch .LBB95_458
.LBB95_456:
	s_mov_b64 s[50:51], -1
	s_mov_b64 s[0:1], 0
	s_mov_b64 s[48:49], s[40:41]
                                        ; implicit-def: $vgpr5_vgpr6
	s_branch .LBB95_572
.LBB95_457:
	s_mov_b64 s[46:47], -1
                                        ; implicit-def: $vgpr1_vgpr2
.LBB95_458:
	s_mov_b64 s[48:49], 0
.LBB95_459:
	s_and_b64 vcc, exec, s[48:49]
	s_cbranch_vccz .LBB95_463
; %bb.460:
	s_cmp_eq_u32 s55, 29
	s_cbranch_scc0 .LBB95_462
; %bb.461:
	global_load_dwordx2 v[1:2], v[4:5], off
	s_mov_b64 s[0:1], -1
	s_mov_b64 s[46:47], 0
	s_mov_b64 s[48:49], 0
	s_waitcnt vmcnt(0)
	v_cvt_f64_u32_e32 v[6:7], v2
	v_cvt_f64_u32_e32 v[1:2], v1
	v_ldexp_f64 v[6:7], v[6:7], 32
	v_add_f64 v[1:2], v[6:7], v[1:2]
	s_branch .LBB95_464
.LBB95_462:
	s_mov_b64 s[46:47], -1
                                        ; implicit-def: $vgpr1_vgpr2
.LBB95_463:
	s_mov_b64 s[48:49], 0
.LBB95_464:
	s_and_b64 vcc, exec, s[48:49]
	s_cbranch_vccz .LBB95_484
; %bb.465:
	s_cmp_lt_i32 s55, 27
	s_cbranch_scc1 .LBB95_468
; %bb.466:
	s_cmp_gt_i32 s55, 27
	s_cbranch_scc0 .LBB95_469
; %bb.467:
	global_load_dword v1, v[4:5], off
	s_mov_b64 s[0:1], 0
	s_waitcnt vmcnt(0)
	v_cvt_f64_u32_e32 v[1:2], v1
	s_branch .LBB95_470
.LBB95_468:
	s_mov_b64 s[0:1], -1
                                        ; implicit-def: $vgpr1_vgpr2
	s_branch .LBB95_473
.LBB95_469:
	s_mov_b64 s[0:1], -1
                                        ; implicit-def: $vgpr1_vgpr2
.LBB95_470:
	s_andn2_b64 vcc, exec, s[0:1]
	s_cbranch_vccnz .LBB95_472
; %bb.471:
	global_load_ushort v1, v[4:5], off
	s_waitcnt vmcnt(0)
	v_cvt_f64_u32_e32 v[1:2], v1
.LBB95_472:
	s_mov_b64 s[0:1], 0
.LBB95_473:
	s_andn2_b64 vcc, exec, s[0:1]
	s_cbranch_vccnz .LBB95_483
; %bb.474:
	global_load_ubyte v6, v[4:5], off
	s_movk_i32 s0, 0x7f
	s_waitcnt vmcnt(0)
	v_cmp_lt_i16_e32 vcc, s0, v6
	s_mov_b64 s[0:1], 0
	s_and_saveexec_b64 s[48:49], vcc
	s_xor_b64 s[48:49], exec, s[48:49]
	s_cbranch_execz .LBB95_478
; %bb.475:
	s_movk_i32 s0, 0x80
	v_cmp_eq_u16_e32 vcc, s0, v6
	s_mov_b64 s[0:1], -1
	s_and_saveexec_b64 s[50:51], vcc
; %bb.476:
	s_xor_b64 s[0:1], exec, -1
; %bb.477:
	s_or_b64 exec, exec, s[50:51]
	s_and_b64 s[0:1], s[0:1], exec
.LBB95_478:
	s_or_saveexec_b64 s[48:49], s[48:49]
	v_bfrev_b32_e32 v1, 4
	v_mov_b32_e32 v2, 0x7ff80000
	s_xor_b64 exec, exec, s[48:49]
; %bb.479:
	v_cmp_ne_u16_e32 vcc, 0, v6
	v_mov_b32_e32 v1, 0
	s_andn2_b64 s[0:1], s[0:1], exec
	s_and_b64 s[50:51], vcc, exec
	v_mov_b32_e32 v2, 0
	s_or_b64 s[0:1], s[0:1], s[50:51]
; %bb.480:
	s_or_b64 exec, exec, s[48:49]
	s_and_saveexec_b64 s[48:49], s[0:1]
	s_cbranch_execz .LBB95_482
; %bb.481:
	v_and_b32_e32 v2, 0xffff, v6
	v_lshlrev_b32_e32 v1, 24, v6
	v_and_b32_e32 v6, 7, v2
	v_ffbh_u32_e32 v9, v6
	v_min_u32_e32 v9, 32, v9
	v_subrev_u32_e32 v10, 28, v9
	v_bfe_u32 v7, v2, 3, 4
	v_lshlrev_b32_e32 v2, v10, v2
	v_sub_u32_e32 v9, 29, v9
	v_and_b32_e32 v2, 7, v2
	v_cmp_eq_u32_e32 vcc, 0, v7
	v_cndmask_b32_e32 v7, v7, v9, vcc
	v_cndmask_b32_e32 v2, v6, v2, vcc
	v_mov_b32_e32 v6, 0x3b800000
	v_lshlrev_b32_e32 v2, 20, v2
	v_and_b32_e32 v1, 0x80000000, v1
	v_lshl_add_u32 v6, v7, 23, v6
	v_or3_b32 v1, v1, v6, v2
	v_cvt_f64_f32_e32 v[1:2], v1
.LBB95_482:
	s_or_b64 exec, exec, s[48:49]
.LBB95_483:
	s_mov_b64 s[0:1], -1
.LBB95_484:
	s_mov_b64 s[48:49], 0
.LBB95_485:
	s_and_b64 vcc, exec, s[48:49]
	s_cbranch_vccz .LBB95_518
; %bb.486:
	s_cmp_gt_i32 s55, 22
	s_cbranch_scc0 .LBB95_498
; %bb.487:
	s_cmp_lt_i32 s55, 24
	s_cbranch_scc1 .LBB95_499
; %bb.488:
	s_cmp_gt_i32 s55, 24
	s_cbranch_scc0 .LBB95_500
; %bb.489:
	global_load_ubyte v6, v[4:5], off
	s_movk_i32 s0, 0x7f
	s_waitcnt vmcnt(0)
	v_cmp_lt_i16_e32 vcc, s0, v6
	s_mov_b64 s[0:1], 0
	s_and_saveexec_b64 s[48:49], vcc
	s_xor_b64 s[48:49], exec, s[48:49]
	s_cbranch_execz .LBB95_493
; %bb.490:
	s_movk_i32 s0, 0x80
	v_cmp_eq_u16_e32 vcc, s0, v6
	s_mov_b64 s[0:1], -1
	s_and_saveexec_b64 s[50:51], vcc
; %bb.491:
	s_xor_b64 s[0:1], exec, -1
; %bb.492:
	s_or_b64 exec, exec, s[50:51]
	s_and_b64 s[0:1], s[0:1], exec
.LBB95_493:
	s_or_saveexec_b64 s[48:49], s[48:49]
	v_bfrev_b32_e32 v1, 4
	v_mov_b32_e32 v2, 0x7ff80000
	s_xor_b64 exec, exec, s[48:49]
; %bb.494:
	v_cmp_ne_u16_e32 vcc, 0, v6
	v_mov_b32_e32 v1, 0
	s_andn2_b64 s[0:1], s[0:1], exec
	s_and_b64 s[50:51], vcc, exec
	v_mov_b32_e32 v2, 0
	s_or_b64 s[0:1], s[0:1], s[50:51]
; %bb.495:
	s_or_b64 exec, exec, s[48:49]
	s_and_saveexec_b64 s[48:49], s[0:1]
	s_cbranch_execz .LBB95_497
; %bb.496:
	v_and_b32_e32 v2, 0xffff, v6
	v_lshlrev_b32_e32 v1, 24, v6
	v_and_b32_e32 v6, 3, v2
	v_ffbh_u32_e32 v9, v6
	v_min_u32_e32 v9, 32, v9
	v_subrev_u32_e32 v10, 29, v9
	v_bfe_u32 v7, v2, 2, 5
	v_lshlrev_b32_e32 v2, v10, v2
	v_sub_u32_e32 v9, 30, v9
	v_and_b32_e32 v2, 3, v2
	v_cmp_eq_u32_e32 vcc, 0, v7
	v_cndmask_b32_e32 v7, v7, v9, vcc
	v_cndmask_b32_e32 v2, v6, v2, vcc
	v_mov_b32_e32 v6, 0x37800000
	v_lshlrev_b32_e32 v2, 21, v2
	v_and_b32_e32 v1, 0x80000000, v1
	v_lshl_add_u32 v6, v7, 23, v6
	v_or3_b32 v1, v1, v6, v2
	v_cvt_f64_f32_e32 v[1:2], v1
.LBB95_497:
	s_or_b64 exec, exec, s[48:49]
	s_mov_b64 s[0:1], 0
	s_branch .LBB95_501
.LBB95_498:
	s_mov_b64 s[48:49], -1
                                        ; implicit-def: $vgpr1_vgpr2
	s_branch .LBB95_507
.LBB95_499:
	s_mov_b64 s[0:1], -1
                                        ; implicit-def: $vgpr1_vgpr2
	s_branch .LBB95_504
.LBB95_500:
	s_mov_b64 s[0:1], -1
                                        ; implicit-def: $vgpr1_vgpr2
.LBB95_501:
	s_and_b64 vcc, exec, s[0:1]
	s_cbranch_vccz .LBB95_503
; %bb.502:
	global_load_ubyte v1, v[4:5], off
	s_mov_b32 s0, 0x7f800000
	s_waitcnt vmcnt(0)
	v_lshlrev_b32_e32 v1, 24, v1
	v_and_b32_e32 v2, 0x7f000000, v1
	v_ffbh_u32_e32 v6, v2
	v_min_u32_e32 v6, 32, v6
	v_sub_u32_e64 v6, v6, 4 clamp
	v_lshlrev_b32_e32 v9, v6, v2
	v_lshlrev_b32_e32 v6, 23, v6
	v_lshrrev_b32_e32 v9, 4, v9
	v_add_u32_e32 v7, 0x1000000, v2
	v_sub_u32_e32 v6, v9, v6
	v_ashrrev_i32_e32 v7, 8, v7
	v_add_u32_e32 v6, 0x3c000000, v6
	v_and_or_b32 v6, v7, s0, v6
	v_cmp_ne_u32_e32 vcc, 0, v2
	v_cndmask_b32_e32 v2, 0, v6, vcc
	s_brev_b32 s0, 1
	v_and_or_b32 v1, v1, s0, v2
	v_cvt_f64_f32_e32 v[1:2], v1
.LBB95_503:
	s_mov_b64 s[0:1], 0
.LBB95_504:
	s_andn2_b64 vcc, exec, s[0:1]
	s_cbranch_vccnz .LBB95_506
; %bb.505:
	global_load_ubyte v1, v[4:5], off
	s_movk_i32 s0, 0x7f00
	s_brev_b32 s1, 16
	s_waitcnt vmcnt(0)
	v_lshlrev_b16_e32 v2, 8, v1
	v_lshlrev_b32_e32 v1, 25, v1
	v_lshrrev_b32_e32 v6, 4, v1
	v_and_or_b32 v7, v2, s0, 0.5
	v_or_b32_e32 v6, 0x70000000, v6
	v_add_f32_e32 v7, -0.5, v7
	v_mul_f32_e32 v6, 0x7800000, v6
	v_cmp_gt_u32_e32 vcc, s1, v1
	v_bfe_i32 v2, v2, 0, 16
	v_cndmask_b32_e32 v1, v6, v7, vcc
	s_brev_b32 s0, 1
	v_and_or_b32 v1, v2, s0, v1
	v_cvt_f64_f32_e32 v[1:2], v1
.LBB95_506:
	s_mov_b64 s[48:49], 0
	s_mov_b64 s[0:1], -1
.LBB95_507:
	s_andn2_b64 vcc, exec, s[48:49]
	s_cbranch_vccnz .LBB95_518
; %bb.508:
	s_cmp_gt_i32 s55, 14
	s_cbranch_scc0 .LBB95_511
; %bb.509:
	s_cmp_eq_u32 s55, 15
	s_cbranch_scc0 .LBB95_512
; %bb.510:
	global_load_ushort v1, v[4:5], off
	s_mov_b64 s[0:1], -1
	s_mov_b64 s[46:47], 0
	s_waitcnt vmcnt(0)
	v_lshlrev_b32_e32 v1, 16, v1
	v_cvt_f64_f32_e32 v[1:2], v1
	s_branch .LBB95_513
.LBB95_511:
	s_mov_b64 s[48:49], -1
                                        ; implicit-def: $vgpr1_vgpr2
	s_branch .LBB95_514
.LBB95_512:
	s_mov_b64 s[46:47], -1
                                        ; implicit-def: $vgpr1_vgpr2
.LBB95_513:
	s_mov_b64 s[48:49], 0
.LBB95_514:
	s_and_b64 vcc, exec, s[48:49]
	s_cbranch_vccz .LBB95_518
; %bb.515:
	s_cmp_eq_u32 s55, 11
	s_cbranch_scc0 .LBB95_517
; %bb.516:
	global_load_ubyte v2, v[4:5], off
	v_mov_b32_e32 v6, 0x3ff00000
	v_mov_b32_e32 v1, 0
	s_mov_b64 s[0:1], -1
	s_mov_b64 s[46:47], 0
	s_waitcnt vmcnt(0)
	v_cmp_ne_u16_e32 vcc, 0, v2
	v_cndmask_b32_e32 v2, 0, v6, vcc
	s_branch .LBB95_518
.LBB95_517:
	s_mov_b64 s[46:47], -1
                                        ; implicit-def: $vgpr1_vgpr2
.LBB95_518:
	s_branch .LBB95_434
.LBB95_519:
	s_and_b32 s48, 0xffff, s54
	s_cmp_lt_i32 s48, 5
	s_cbranch_scc1 .LBB95_524
; %bb.520:
	s_cmp_lt_i32 s48, 8
	s_cbranch_scc1 .LBB95_525
; %bb.521:
	;; [unrolled: 3-line block ×3, first 2 shown]
	s_cmp_gt_i32 s48, 9
	s_cbranch_scc0 .LBB95_527
; %bb.523:
	global_load_dwordx2 v[1:2], v[4:5], off
	s_mov_b64 s[0:1], 0
	s_branch .LBB95_528
.LBB95_524:
	s_mov_b64 s[0:1], -1
                                        ; implicit-def: $vgpr1_vgpr2
	s_branch .LBB95_546
.LBB95_525:
	s_mov_b64 s[0:1], -1
                                        ; implicit-def: $vgpr1_vgpr2
	s_branch .LBB95_534
.LBB95_526:
	s_mov_b64 s[0:1], -1
                                        ; implicit-def: $vgpr1_vgpr2
	s_branch .LBB95_531
.LBB95_527:
	s_mov_b64 s[0:1], -1
                                        ; implicit-def: $vgpr1_vgpr2
.LBB95_528:
	s_andn2_b64 vcc, exec, s[0:1]
	s_cbranch_vccnz .LBB95_530
; %bb.529:
	global_load_dword v1, v[4:5], off
	s_waitcnt vmcnt(0)
	v_cvt_f64_f32_e32 v[1:2], v1
.LBB95_530:
	s_mov_b64 s[0:1], 0
.LBB95_531:
	s_andn2_b64 vcc, exec, s[0:1]
	s_cbranch_vccnz .LBB95_533
; %bb.532:
	global_load_dword v1, v[4:5], off
	s_waitcnt vmcnt(0)
	v_cvt_f32_f16_e32 v1, v1
	v_cvt_f64_f32_e32 v[1:2], v1
.LBB95_533:
	s_mov_b64 s[0:1], 0
.LBB95_534:
	s_andn2_b64 vcc, exec, s[0:1]
	s_cbranch_vccnz .LBB95_545
; %bb.535:
	s_cmp_lt_i32 s48, 6
	s_cbranch_scc1 .LBB95_538
; %bb.536:
	s_cmp_gt_i32 s48, 6
	s_cbranch_scc0 .LBB95_539
; %bb.537:
	global_load_dwordx2 v[1:2], v[4:5], off
	s_mov_b64 s[0:1], 0
	s_branch .LBB95_540
.LBB95_538:
	s_mov_b64 s[0:1], -1
                                        ; implicit-def: $vgpr1_vgpr2
	s_branch .LBB95_543
.LBB95_539:
	s_mov_b64 s[0:1], -1
                                        ; implicit-def: $vgpr1_vgpr2
.LBB95_540:
	s_andn2_b64 vcc, exec, s[0:1]
	s_cbranch_vccnz .LBB95_542
; %bb.541:
	global_load_dword v1, v[4:5], off
	s_waitcnt vmcnt(0)
	v_cvt_f64_f32_e32 v[1:2], v1
.LBB95_542:
	s_mov_b64 s[0:1], 0
.LBB95_543:
	s_andn2_b64 vcc, exec, s[0:1]
	s_cbranch_vccnz .LBB95_545
; %bb.544:
	global_load_ushort v1, v[4:5], off
	s_waitcnt vmcnt(0)
	v_cvt_f32_f16_e32 v1, v1
	v_cvt_f64_f32_e32 v[1:2], v1
.LBB95_545:
	s_mov_b64 s[0:1], 0
.LBB95_546:
	s_andn2_b64 vcc, exec, s[0:1]
	s_cbranch_vccnz .LBB95_566
; %bb.547:
	s_cmp_lt_i32 s48, 2
	s_cbranch_scc1 .LBB95_551
; %bb.548:
	s_cmp_lt_i32 s48, 3
	s_cbranch_scc1 .LBB95_552
; %bb.549:
	s_cmp_gt_i32 s48, 3
	s_cbranch_scc0 .LBB95_553
; %bb.550:
	global_load_dwordx2 v[1:2], v[4:5], off
	s_mov_b64 s[0:1], 0
	s_waitcnt vmcnt(0)
	v_cvt_f64_i32_e32 v[6:7], v2
	v_cvt_f64_u32_e32 v[1:2], v1
	v_ldexp_f64 v[6:7], v[6:7], 32
	v_add_f64 v[1:2], v[6:7], v[1:2]
	s_branch .LBB95_554
.LBB95_551:
	s_mov_b64 s[0:1], -1
                                        ; implicit-def: $vgpr1_vgpr2
	s_branch .LBB95_560
.LBB95_552:
	s_mov_b64 s[0:1], -1
                                        ; implicit-def: $vgpr1_vgpr2
	s_branch .LBB95_557
.LBB95_553:
	s_mov_b64 s[0:1], -1
                                        ; implicit-def: $vgpr1_vgpr2
.LBB95_554:
	s_andn2_b64 vcc, exec, s[0:1]
	s_cbranch_vccnz .LBB95_556
; %bb.555:
	global_load_dword v1, v[4:5], off
	s_waitcnt vmcnt(0)
	v_cvt_f64_i32_e32 v[1:2], v1
.LBB95_556:
	s_mov_b64 s[0:1], 0
.LBB95_557:
	s_andn2_b64 vcc, exec, s[0:1]
	s_cbranch_vccnz .LBB95_559
; %bb.558:
	global_load_sshort v1, v[4:5], off
	s_waitcnt vmcnt(0)
	v_cvt_f64_i32_e32 v[1:2], v1
.LBB95_559:
	s_mov_b64 s[0:1], 0
.LBB95_560:
	s_andn2_b64 vcc, exec, s[0:1]
	s_cbranch_vccnz .LBB95_566
; %bb.561:
	s_cmp_gt_i32 s48, 0
	s_cbranch_scc0 .LBB95_563
; %bb.562:
	global_load_sbyte v1, v[4:5], off
	s_mov_b64 s[0:1], 0
	s_waitcnt vmcnt(0)
	v_cvt_f64_i32_e32 v[1:2], v1
	s_branch .LBB95_564
.LBB95_563:
	s_mov_b64 s[0:1], -1
                                        ; implicit-def: $vgpr1_vgpr2
.LBB95_564:
	s_andn2_b64 vcc, exec, s[0:1]
	s_cbranch_vccnz .LBB95_566
; %bb.565:
	global_load_ubyte v1, v[4:5], off
	s_waitcnt vmcnt(0)
	v_cvt_f64_u32_e32 v[1:2], v1
.LBB95_566:
	s_branch .LBB95_435
.LBB95_567:
	s_mov_b64 s[54:55], 0
	s_mov_b64 s[0:1], s[38:39]
	;; [unrolled: 1-line block ×3, first 2 shown]
.LBB95_568:
                                        ; implicit-def: $vgpr8
	s_branch .LBB95_827
.LBB95_569:
	s_andn2_saveexec_b64 s[52:53], s[52:53]
	s_cbranch_execz .LBB95_220
.LBB95_570:
	v_add_f32_e32 v2, 0x42800000, v3
	v_and_b32_e32 v2, 0xff, v2
	v_cmp_ne_u32_e32 vcc, 0, v2
	s_andn2_b64 s[50:51], s[50:51], exec
	s_and_b64 s[56:57], vcc, exec
	s_or_b64 s[50:51], s[50:51], s[56:57]
	s_or_b64 exec, exec, s[52:53]
	v_mov_b32_e32 v4, 0
	s_and_saveexec_b64 s[52:53], s[50:51]
	s_cbranch_execnz .LBB95_221
	s_branch .LBB95_222
.LBB95_571:
	s_mov_b64 s[48:49], -1
                                        ; implicit-def: $vgpr5_vgpr6
	s_mov_b64 s[0:1], 0
.LBB95_572:
	s_and_b64 vcc, exec, s[50:51]
	s_cbranch_vccz .LBB95_576
; %bb.573:
	s_cmp_eq_u32 s57, 44
	s_cbranch_scc0 .LBB95_575
; %bb.574:
	global_load_ubyte v7, v[3:4], off
	s_movk_i32 s48, 0xff
	v_bfrev_b32_e32 v9, 4
	v_mov_b32_e32 v10, 0x7ff80000
	v_bfrev_b32_e32 v11, 28
	s_mov_b64 s[0:1], -1
	s_waitcnt vmcnt(0)
	v_lshlrev_b32_e32 v5, 23, v7
	v_cvt_f64_f32_e32 v[5:6], v5
	v_cmp_ne_u32_e32 vcc, s48, v7
	s_mov_b64 s[48:49], 0
	v_cndmask_b32_e32 v5, v9, v5, vcc
	v_cndmask_b32_e32 v6, v10, v6, vcc
	v_cmp_ne_u32_e32 vcc, 0, v7
	v_cndmask_b32_e32 v6, v11, v6, vcc
	v_cndmask_b32_e32 v5, 0, v5, vcc
	s_branch .LBB95_576
.LBB95_575:
	s_mov_b64 s[48:49], -1
                                        ; implicit-def: $vgpr5_vgpr6
.LBB95_576:
	s_mov_b64 s[50:51], 0
.LBB95_577:
	s_and_b64 vcc, exec, s[50:51]
	s_cbranch_vccz .LBB95_581
; %bb.578:
	s_cmp_eq_u32 s57, 29
	s_cbranch_scc0 .LBB95_580
; %bb.579:
	global_load_dwordx2 v[5:6], v[3:4], off
	s_mov_b64 s[0:1], -1
	s_mov_b64 s[48:49], 0
	s_mov_b64 s[50:51], 0
	s_waitcnt vmcnt(0)
	v_cvt_f64_u32_e32 v[6:7], v6
	v_cvt_f64_u32_e32 v[9:10], v5
	v_ldexp_f64 v[6:7], v[6:7], 32
	v_add_f64 v[5:6], v[6:7], v[9:10]
	s_branch .LBB95_582
.LBB95_580:
	s_mov_b64 s[48:49], -1
                                        ; implicit-def: $vgpr5_vgpr6
.LBB95_581:
	s_mov_b64 s[50:51], 0
.LBB95_582:
	s_and_b64 vcc, exec, s[50:51]
	s_cbranch_vccz .LBB95_602
; %bb.583:
	s_cmp_lt_i32 s57, 27
	s_cbranch_scc1 .LBB95_586
; %bb.584:
	s_cmp_gt_i32 s57, 27
	s_cbranch_scc0 .LBB95_587
; %bb.585:
	global_load_dword v5, v[3:4], off
	s_mov_b64 s[0:1], 0
	s_waitcnt vmcnt(0)
	v_cvt_f64_u32_e32 v[5:6], v5
	s_branch .LBB95_588
.LBB95_586:
	s_mov_b64 s[0:1], -1
                                        ; implicit-def: $vgpr5_vgpr6
	s_branch .LBB95_591
.LBB95_587:
	s_mov_b64 s[0:1], -1
                                        ; implicit-def: $vgpr5_vgpr6
.LBB95_588:
	s_andn2_b64 vcc, exec, s[0:1]
	s_cbranch_vccnz .LBB95_590
; %bb.589:
	global_load_ushort v5, v[3:4], off
	s_waitcnt vmcnt(0)
	v_cvt_f64_u32_e32 v[5:6], v5
.LBB95_590:
	s_mov_b64 s[0:1], 0
.LBB95_591:
	s_andn2_b64 vcc, exec, s[0:1]
	s_cbranch_vccnz .LBB95_601
; %bb.592:
	global_load_ubyte v7, v[3:4], off
	s_movk_i32 s0, 0x7f
	s_waitcnt vmcnt(0)
	v_cmp_lt_i16_e32 vcc, s0, v7
	s_mov_b64 s[0:1], 0
	s_and_saveexec_b64 s[50:51], vcc
	s_xor_b64 s[50:51], exec, s[50:51]
	s_cbranch_execz .LBB95_596
; %bb.593:
	s_movk_i32 s0, 0x80
	v_cmp_eq_u16_e32 vcc, s0, v7
	s_mov_b64 s[0:1], -1
	s_and_saveexec_b64 s[54:55], vcc
; %bb.594:
	s_xor_b64 s[0:1], exec, -1
; %bb.595:
	s_or_b64 exec, exec, s[54:55]
	s_and_b64 s[0:1], s[0:1], exec
.LBB95_596:
	s_or_saveexec_b64 s[50:51], s[50:51]
	v_bfrev_b32_e32 v5, 4
	v_mov_b32_e32 v6, 0x7ff80000
	s_xor_b64 exec, exec, s[50:51]
; %bb.597:
	v_cmp_ne_u16_e32 vcc, 0, v7
	v_mov_b32_e32 v5, 0
	s_andn2_b64 s[0:1], s[0:1], exec
	s_and_b64 s[54:55], vcc, exec
	v_mov_b32_e32 v6, 0
	s_or_b64 s[0:1], s[0:1], s[54:55]
; %bb.598:
	s_or_b64 exec, exec, s[50:51]
	s_and_saveexec_b64 s[50:51], s[0:1]
	s_cbranch_execz .LBB95_600
; %bb.599:
	v_and_b32_e32 v6, 0xffff, v7
	v_lshlrev_b32_e32 v5, 24, v7
	v_and_b32_e32 v7, 7, v6
	v_ffbh_u32_e32 v10, v7
	v_min_u32_e32 v10, 32, v10
	v_subrev_u32_e32 v11, 28, v10
	v_bfe_u32 v9, v6, 3, 4
	v_lshlrev_b32_e32 v6, v11, v6
	v_sub_u32_e32 v10, 29, v10
	v_and_b32_e32 v6, 7, v6
	v_cmp_eq_u32_e32 vcc, 0, v9
	v_cndmask_b32_e32 v9, v9, v10, vcc
	v_cndmask_b32_e32 v6, v7, v6, vcc
	v_mov_b32_e32 v7, 0x3b800000
	v_lshlrev_b32_e32 v6, 20, v6
	v_and_b32_e32 v5, 0x80000000, v5
	v_lshl_add_u32 v7, v9, 23, v7
	v_or3_b32 v5, v5, v7, v6
	v_cvt_f64_f32_e32 v[5:6], v5
.LBB95_600:
	s_or_b64 exec, exec, s[50:51]
.LBB95_601:
	s_mov_b64 s[0:1], -1
.LBB95_602:
	s_mov_b64 s[50:51], 0
.LBB95_603:
	s_and_b64 vcc, exec, s[50:51]
	s_cbranch_vccz .LBB95_636
; %bb.604:
	s_cmp_gt_i32 s57, 22
	s_cbranch_scc0 .LBB95_616
; %bb.605:
	s_cmp_lt_i32 s57, 24
	s_cbranch_scc1 .LBB95_617
; %bb.606:
	s_cmp_gt_i32 s57, 24
	s_cbranch_scc0 .LBB95_618
; %bb.607:
	global_load_ubyte v7, v[3:4], off
	s_movk_i32 s0, 0x7f
	s_waitcnt vmcnt(0)
	v_cmp_lt_i16_e32 vcc, s0, v7
	s_mov_b64 s[0:1], 0
	s_and_saveexec_b64 s[50:51], vcc
	s_xor_b64 s[50:51], exec, s[50:51]
	s_cbranch_execz .LBB95_611
; %bb.608:
	s_movk_i32 s0, 0x80
	v_cmp_eq_u16_e32 vcc, s0, v7
	s_mov_b64 s[0:1], -1
	s_and_saveexec_b64 s[54:55], vcc
; %bb.609:
	s_xor_b64 s[0:1], exec, -1
; %bb.610:
	s_or_b64 exec, exec, s[54:55]
	s_and_b64 s[0:1], s[0:1], exec
.LBB95_611:
	s_or_saveexec_b64 s[50:51], s[50:51]
	v_bfrev_b32_e32 v5, 4
	v_mov_b32_e32 v6, 0x7ff80000
	s_xor_b64 exec, exec, s[50:51]
; %bb.612:
	v_cmp_ne_u16_e32 vcc, 0, v7
	v_mov_b32_e32 v5, 0
	s_andn2_b64 s[0:1], s[0:1], exec
	s_and_b64 s[54:55], vcc, exec
	v_mov_b32_e32 v6, 0
	s_or_b64 s[0:1], s[0:1], s[54:55]
; %bb.613:
	s_or_b64 exec, exec, s[50:51]
	s_and_saveexec_b64 s[50:51], s[0:1]
	s_cbranch_execz .LBB95_615
; %bb.614:
	v_and_b32_e32 v6, 0xffff, v7
	v_lshlrev_b32_e32 v5, 24, v7
	v_and_b32_e32 v7, 3, v6
	v_ffbh_u32_e32 v10, v7
	v_min_u32_e32 v10, 32, v10
	v_subrev_u32_e32 v11, 29, v10
	v_bfe_u32 v9, v6, 2, 5
	v_lshlrev_b32_e32 v6, v11, v6
	v_sub_u32_e32 v10, 30, v10
	v_and_b32_e32 v6, 3, v6
	v_cmp_eq_u32_e32 vcc, 0, v9
	v_cndmask_b32_e32 v9, v9, v10, vcc
	v_cndmask_b32_e32 v6, v7, v6, vcc
	v_mov_b32_e32 v7, 0x37800000
	v_lshlrev_b32_e32 v6, 21, v6
	v_and_b32_e32 v5, 0x80000000, v5
	v_lshl_add_u32 v7, v9, 23, v7
	v_or3_b32 v5, v5, v7, v6
	v_cvt_f64_f32_e32 v[5:6], v5
.LBB95_615:
	s_or_b64 exec, exec, s[50:51]
	s_mov_b64 s[0:1], 0
	s_branch .LBB95_619
.LBB95_616:
	s_mov_b64 s[50:51], -1
                                        ; implicit-def: $vgpr5_vgpr6
	s_branch .LBB95_625
.LBB95_617:
	s_mov_b64 s[0:1], -1
                                        ; implicit-def: $vgpr5_vgpr6
	s_branch .LBB95_622
.LBB95_618:
	s_mov_b64 s[0:1], -1
                                        ; implicit-def: $vgpr5_vgpr6
.LBB95_619:
	s_and_b64 vcc, exec, s[0:1]
	s_cbranch_vccz .LBB95_621
; %bb.620:
	global_load_ubyte v5, v[3:4], off
	s_mov_b32 s0, 0x7f800000
	s_waitcnt vmcnt(0)
	v_lshlrev_b32_e32 v5, 24, v5
	v_and_b32_e32 v6, 0x7f000000, v5
	v_ffbh_u32_e32 v7, v6
	v_min_u32_e32 v7, 32, v7
	v_sub_u32_e64 v7, v7, 4 clamp
	v_lshlrev_b32_e32 v10, v7, v6
	v_lshlrev_b32_e32 v7, 23, v7
	v_lshrrev_b32_e32 v10, 4, v10
	v_add_u32_e32 v9, 0x1000000, v6
	v_sub_u32_e32 v7, v10, v7
	v_ashrrev_i32_e32 v9, 8, v9
	v_add_u32_e32 v7, 0x3c000000, v7
	v_and_or_b32 v7, v9, s0, v7
	v_cmp_ne_u32_e32 vcc, 0, v6
	v_cndmask_b32_e32 v6, 0, v7, vcc
	s_brev_b32 s0, 1
	v_and_or_b32 v5, v5, s0, v6
	v_cvt_f64_f32_e32 v[5:6], v5
.LBB95_621:
	s_mov_b64 s[0:1], 0
.LBB95_622:
	s_andn2_b64 vcc, exec, s[0:1]
	s_cbranch_vccnz .LBB95_624
; %bb.623:
	global_load_ubyte v5, v[3:4], off
	s_movk_i32 s0, 0x7f00
	s_brev_b32 s1, 16
	s_waitcnt vmcnt(0)
	v_lshlrev_b16_e32 v6, 8, v5
	v_lshlrev_b32_e32 v5, 25, v5
	v_lshrrev_b32_e32 v7, 4, v5
	v_and_or_b32 v9, v6, s0, 0.5
	v_or_b32_e32 v7, 0x70000000, v7
	v_add_f32_e32 v9, -0.5, v9
	v_mul_f32_e32 v7, 0x7800000, v7
	v_cmp_gt_u32_e32 vcc, s1, v5
	v_bfe_i32 v6, v6, 0, 16
	v_cndmask_b32_e32 v5, v7, v9, vcc
	s_brev_b32 s0, 1
	v_and_or_b32 v5, v6, s0, v5
	v_cvt_f64_f32_e32 v[5:6], v5
.LBB95_624:
	s_mov_b64 s[50:51], 0
	s_mov_b64 s[0:1], -1
.LBB95_625:
	s_andn2_b64 vcc, exec, s[50:51]
	s_cbranch_vccnz .LBB95_636
; %bb.626:
	s_cmp_gt_i32 s57, 14
	s_cbranch_scc0 .LBB95_629
; %bb.627:
	s_cmp_eq_u32 s57, 15
	s_cbranch_scc0 .LBB95_630
; %bb.628:
	global_load_ushort v5, v[3:4], off
	s_mov_b64 s[0:1], -1
	s_mov_b64 s[48:49], 0
	s_waitcnt vmcnt(0)
	v_lshlrev_b32_e32 v5, 16, v5
	v_cvt_f64_f32_e32 v[5:6], v5
	s_branch .LBB95_631
.LBB95_629:
	s_mov_b64 s[50:51], -1
                                        ; implicit-def: $vgpr5_vgpr6
	s_branch .LBB95_632
.LBB95_630:
	s_mov_b64 s[48:49], -1
                                        ; implicit-def: $vgpr5_vgpr6
.LBB95_631:
	s_mov_b64 s[50:51], 0
.LBB95_632:
	s_and_b64 vcc, exec, s[50:51]
	s_cbranch_vccz .LBB95_636
; %bb.633:
	s_cmp_eq_u32 s57, 11
	s_cbranch_scc0 .LBB95_635
; %bb.634:
	global_load_ubyte v6, v[3:4], off
	v_mov_b32_e32 v7, 0x3ff00000
	v_mov_b32_e32 v5, 0
	s_mov_b64 s[0:1], -1
	s_mov_b64 s[48:49], 0
	s_waitcnt vmcnt(0)
	v_cmp_ne_u16_e32 vcc, 0, v6
	v_cndmask_b32_e32 v6, 0, v7, vcc
	s_branch .LBB95_636
.LBB95_635:
	s_mov_b64 s[48:49], -1
                                        ; implicit-def: $vgpr5_vgpr6
.LBB95_636:
	s_mov_b64 s[50:51], 0
.LBB95_637:
	s_and_b64 vcc, exec, s[50:51]
	s_cbranch_vccz .LBB95_686
; %bb.638:
	s_and_b32 s50, 0xffff, s56
	s_cmp_lt_i32 s50, 5
	s_cbranch_scc1 .LBB95_643
; %bb.639:
	s_cmp_lt_i32 s50, 8
	s_cbranch_scc1 .LBB95_644
; %bb.640:
	;; [unrolled: 3-line block ×3, first 2 shown]
	s_cmp_gt_i32 s50, 9
	s_cbranch_scc0 .LBB95_646
; %bb.642:
	global_load_dwordx2 v[5:6], v[3:4], off
	s_mov_b64 s[0:1], 0
	s_branch .LBB95_647
.LBB95_643:
	s_mov_b64 s[0:1], -1
                                        ; implicit-def: $vgpr5_vgpr6
	s_branch .LBB95_665
.LBB95_644:
	s_mov_b64 s[0:1], -1
                                        ; implicit-def: $vgpr5_vgpr6
	s_branch .LBB95_653
.LBB95_645:
	s_mov_b64 s[0:1], -1
                                        ; implicit-def: $vgpr5_vgpr6
	s_branch .LBB95_650
.LBB95_646:
	s_mov_b64 s[0:1], -1
                                        ; implicit-def: $vgpr5_vgpr6
.LBB95_647:
	s_andn2_b64 vcc, exec, s[0:1]
	s_cbranch_vccnz .LBB95_649
; %bb.648:
	global_load_dword v5, v[3:4], off
	s_waitcnt vmcnt(0)
	v_cvt_f64_f32_e32 v[5:6], v5
.LBB95_649:
	s_mov_b64 s[0:1], 0
.LBB95_650:
	s_andn2_b64 vcc, exec, s[0:1]
	s_cbranch_vccnz .LBB95_652
; %bb.651:
	global_load_dword v5, v[3:4], off
	s_waitcnt vmcnt(0)
	v_cvt_f32_f16_e32 v5, v5
	v_cvt_f64_f32_e32 v[5:6], v5
.LBB95_652:
	s_mov_b64 s[0:1], 0
.LBB95_653:
	s_andn2_b64 vcc, exec, s[0:1]
	s_cbranch_vccnz .LBB95_664
; %bb.654:
	s_cmp_lt_i32 s50, 6
	s_cbranch_scc1 .LBB95_657
; %bb.655:
	s_cmp_gt_i32 s50, 6
	s_cbranch_scc0 .LBB95_658
; %bb.656:
	global_load_dwordx2 v[5:6], v[3:4], off
	s_mov_b64 s[0:1], 0
	s_branch .LBB95_659
.LBB95_657:
	s_mov_b64 s[0:1], -1
                                        ; implicit-def: $vgpr5_vgpr6
	s_branch .LBB95_662
.LBB95_658:
	s_mov_b64 s[0:1], -1
                                        ; implicit-def: $vgpr5_vgpr6
.LBB95_659:
	s_andn2_b64 vcc, exec, s[0:1]
	s_cbranch_vccnz .LBB95_661
; %bb.660:
	global_load_dword v5, v[3:4], off
	s_waitcnt vmcnt(0)
	v_cvt_f64_f32_e32 v[5:6], v5
.LBB95_661:
	s_mov_b64 s[0:1], 0
.LBB95_662:
	s_andn2_b64 vcc, exec, s[0:1]
	s_cbranch_vccnz .LBB95_664
; %bb.663:
	global_load_ushort v5, v[3:4], off
	s_waitcnt vmcnt(0)
	v_cvt_f32_f16_e32 v5, v5
	v_cvt_f64_f32_e32 v[5:6], v5
.LBB95_664:
	s_mov_b64 s[0:1], 0
.LBB95_665:
	s_andn2_b64 vcc, exec, s[0:1]
	s_cbranch_vccnz .LBB95_685
; %bb.666:
	s_cmp_lt_i32 s50, 2
	s_cbranch_scc1 .LBB95_670
; %bb.667:
	s_cmp_lt_i32 s50, 3
	s_cbranch_scc1 .LBB95_671
; %bb.668:
	s_cmp_gt_i32 s50, 3
	s_cbranch_scc0 .LBB95_672
; %bb.669:
	global_load_dwordx2 v[5:6], v[3:4], off
	s_mov_b64 s[0:1], 0
	s_waitcnt vmcnt(0)
	v_cvt_f64_i32_e32 v[6:7], v6
	v_cvt_f64_u32_e32 v[9:10], v5
	v_ldexp_f64 v[6:7], v[6:7], 32
	v_add_f64 v[5:6], v[6:7], v[9:10]
	s_branch .LBB95_673
.LBB95_670:
	s_mov_b64 s[0:1], -1
                                        ; implicit-def: $vgpr5_vgpr6
	s_branch .LBB95_679
.LBB95_671:
	s_mov_b64 s[0:1], -1
                                        ; implicit-def: $vgpr5_vgpr6
	s_branch .LBB95_676
.LBB95_672:
	s_mov_b64 s[0:1], -1
                                        ; implicit-def: $vgpr5_vgpr6
.LBB95_673:
	s_andn2_b64 vcc, exec, s[0:1]
	s_cbranch_vccnz .LBB95_675
; %bb.674:
	global_load_dword v5, v[3:4], off
	s_waitcnt vmcnt(0)
	v_cvt_f64_i32_e32 v[5:6], v5
.LBB95_675:
	s_mov_b64 s[0:1], 0
.LBB95_676:
	s_andn2_b64 vcc, exec, s[0:1]
	s_cbranch_vccnz .LBB95_678
; %bb.677:
	global_load_sshort v5, v[3:4], off
	s_waitcnt vmcnt(0)
	v_cvt_f64_i32_e32 v[5:6], v5
.LBB95_678:
	s_mov_b64 s[0:1], 0
.LBB95_679:
	s_andn2_b64 vcc, exec, s[0:1]
	s_cbranch_vccnz .LBB95_685
; %bb.680:
	s_cmp_gt_i32 s50, 0
	s_cbranch_scc0 .LBB95_682
; %bb.681:
	global_load_sbyte v5, v[3:4], off
	s_mov_b64 s[0:1], 0
	s_waitcnt vmcnt(0)
	v_cvt_f64_i32_e32 v[5:6], v5
	s_branch .LBB95_683
.LBB95_682:
	s_mov_b64 s[0:1], -1
                                        ; implicit-def: $vgpr5_vgpr6
.LBB95_683:
	s_andn2_b64 vcc, exec, s[0:1]
	s_cbranch_vccnz .LBB95_685
; %bb.684:
	global_load_ubyte v3, v[3:4], off
	s_waitcnt vmcnt(0)
	v_cvt_f64_u32_e32 v[5:6], v3
.LBB95_685:
	s_mov_b64 s[0:1], -1
.LBB95_686:
	s_andn2_b64 vcc, exec, s[0:1]
	s_cbranch_vccnz .LBB95_691
; %bb.687:
	s_cmp_lt_i32 s14, 1
	s_mov_b64 s[0:1], 0
	s_cbranch_scc1 .LBB95_692
; %bb.688:
	s_cmp_gt_i32 s14, 1
	s_cbranch_scc0 .LBB95_693
; %bb.689:
	s_cmp_eq_u32 s14, 2
	s_cbranch_scc0 .LBB95_694
; %bb.690:
	s_waitcnt vmcnt(0)
	v_cmp_le_f64_e64 s[50:51], v[1:2], v[5:6]
	s_mov_b64 s[54:55], 0
	s_branch .LBB95_695
.LBB95_691:
	s_mov_b64 s[54:55], 0
                                        ; implicit-def: $vgpr8
	s_mov_b64 s[0:1], s[38:39]
	s_branch .LBB95_827
.LBB95_692:
	s_mov_b64 s[56:57], -1
                                        ; implicit-def: $sgpr50_sgpr51
	s_mov_b64 s[54:55], 0
	s_branch .LBB95_699
.LBB95_693:
	s_mov_b64 s[56:57], -1
	s_mov_b64 s[54:55], 0
                                        ; implicit-def: $sgpr50_sgpr51
	s_branch .LBB95_696
.LBB95_694:
	s_mov_b64 s[54:55], -1
                                        ; implicit-def: $sgpr50_sgpr51
.LBB95_695:
	s_mov_b64 s[56:57], 0
.LBB95_696:
	s_and_b64 vcc, exec, s[56:57]
	s_cbranch_vccz .LBB95_698
; %bb.697:
	s_waitcnt vmcnt(0)
	v_cmp_gt_f64_e32 vcc, v[1:2], v[5:6]
	s_andn2_b64 s[50:51], s[50:51], exec
	s_and_b64 s[56:57], vcc, exec
	s_or_b64 s[50:51], s[50:51], s[56:57]
.LBB95_698:
	s_mov_b64 s[56:57], 0
.LBB95_699:
	s_and_b64 vcc, exec, s[56:57]
	s_cbranch_vccz .LBB95_710
; %bb.700:
	s_cmp_lg_u32 s14, 0
	s_mov_b64 s[0:1], -1
	s_cselect_b64 s[54:55], -1, 0
	s_andn2_b64 vcc, exec, s[54:55]
	s_cbranch_vccz .LBB95_711
.LBB95_701:
	s_andn2_b64 vcc, exec, s[0:1]
	s_cbranch_vccnz .LBB95_703
.LBB95_702:
	s_waitcnt vmcnt(0)
	v_cmp_ge_f64_e32 vcc, v[1:2], v[5:6]
	s_andn2_b64 s[0:1], s[50:51], exec
	s_and_b64 s[50:51], vcc, exec
	s_or_b64 s[50:51], s[0:1], s[50:51]
.LBB95_703:
	s_waitcnt vmcnt(0)
	v_mov_b32_e32 v1, s9
	s_and_b32 s60, s15, 0xff
	v_add_co_u32_e32 v0, vcc, s8, v0
	s_cmp_lt_i32 s60, 11
	v_addc_co_u32_e32 v1, vcc, 0, v1, vcc
	s_cbranch_scc1 .LBB95_712
; %bb.704:
	s_and_b32 s61, 0xffff, s60
	s_cmp_gt_i32 s61, 25
	s_cbranch_scc0 .LBB95_713
; %bb.705:
	s_cmp_gt_i32 s61, 28
	s_cbranch_scc0 .LBB95_714
; %bb.706:
	;; [unrolled: 3-line block ×4, first 2 shown]
	s_mov_b64 s[56:57], 0
	s_mov_b64 s[0:1], -1
	s_cmp_eq_u32 s61, 46
	s_mov_b64 s[54:55], 0
	s_cbranch_scc0 .LBB95_717
; %bb.709:
	v_cndmask_b32_e64 v2, 0, 1.0, s[50:51]
	v_bfe_u32 v3, v2, 16, 1
	s_movk_i32 s0, 0x7fff
	v_add3_u32 v2, v2, v3, s0
	v_lshrrev_b32_e32 v2, 16, v2
	global_store_dword v[0:1], v2, off
	s_mov_b64 s[54:55], -1
	s_mov_b64 s[0:1], 0
	s_branch .LBB95_717
.LBB95_710:
	s_andn2_b64 vcc, exec, s[54:55]
	s_cbranch_vccnz .LBB95_701
.LBB95_711:
	s_waitcnt vmcnt(0)
	v_cmp_lt_f64_e32 vcc, v[1:2], v[5:6]
	s_andn2_b64 s[50:51], s[50:51], exec
	s_and_b64 s[54:55], vcc, exec
	s_or_b64 s[50:51], s[50:51], s[54:55]
	s_cbranch_execz .LBB95_702
	s_branch .LBB95_703
.LBB95_712:
	s_mov_b64 s[56:57], -1
	s_mov_b64 s[54:55], 0
	s_mov_b64 s[0:1], s[38:39]
	s_branch .LBB95_786
.LBB95_713:
	s_mov_b64 s[56:57], -1
	s_mov_b64 s[54:55], 0
	s_mov_b64 s[0:1], s[38:39]
	s_branch .LBB95_744
.LBB95_714:
	s_mov_b64 s[56:57], -1
	s_mov_b64 s[54:55], 0
	s_mov_b64 s[0:1], s[38:39]
	s_branch .LBB95_727
.LBB95_715:
	s_mov_b64 s[56:57], -1
	s_mov_b64 s[54:55], 0
	s_mov_b64 s[0:1], s[38:39]
	s_branch .LBB95_723
.LBB95_716:
	s_mov_b64 s[56:57], -1
	s_mov_b64 s[54:55], 0
	s_mov_b64 s[0:1], s[38:39]
.LBB95_717:
	s_and_b64 vcc, exec, s[56:57]
	s_cbranch_vccz .LBB95_722
; %bb.718:
	s_cmp_eq_u32 s61, 44
	s_mov_b64 s[0:1], -1
	s_cbranch_scc0 .LBB95_722
; %bb.719:
	v_cndmask_b32_e64 v3, 0, 1.0, s[50:51]
	v_lshrrev_b32_e32 v2, 23, v3
	s_movk_i32 s0, 0xff
	v_cmp_ne_u32_e32 vcc, s0, v2
	v_mov_b32_e32 v4, 0xff
	s_and_saveexec_b64 s[54:55], vcc
; %bb.720:
	s_mov_b32 s0, 0x3fffff
	v_and_b32_e32 v4, 0x400000, v3
	v_and_or_b32 v3, v3, s0, v2
	v_cmp_ne_u32_e32 vcc, 0, v4
	v_cmp_ne_u32_e64 s[0:1], 0, v3
	s_and_b64 s[0:1], vcc, s[0:1]
	v_cndmask_b32_e64 v3, 0, 1, s[0:1]
	v_add_u32_e32 v4, v2, v3
; %bb.721:
	s_or_b64 exec, exec, s[54:55]
	s_mov_b64 s[54:55], -1
	s_mov_b64 s[0:1], 0
	global_store_byte v[0:1], v4, off
.LBB95_722:
	s_mov_b64 s[56:57], 0
.LBB95_723:
	s_and_b64 vcc, exec, s[56:57]
	s_cbranch_vccz .LBB95_726
; %bb.724:
	s_cmp_eq_u32 s61, 29
	s_mov_b64 s[0:1], -1
	s_cbranch_scc0 .LBB95_726
; %bb.725:
	s_mov_b32 s0, 0
	v_cndmask_b32_e64 v2, 0, 1, s[50:51]
	v_mov_b32_e32 v3, s0
	global_store_dwordx2 v[0:1], v[2:3], off
	s_mov_b64 s[54:55], -1
	s_mov_b64 s[0:1], 0
.LBB95_726:
	s_mov_b64 s[56:57], 0
.LBB95_727:
	s_and_b64 vcc, exec, s[56:57]
	s_cbranch_vccz .LBB95_743
; %bb.728:
	s_cmp_lt_i32 s61, 27
	s_mov_b64 s[54:55], -1
	s_cbranch_scc1 .LBB95_734
; %bb.729:
	s_cmp_gt_i32 s61, 27
	s_cbranch_scc0 .LBB95_731
; %bb.730:
	v_cndmask_b32_e64 v2, 0, 1, s[50:51]
	s_mov_b64 s[54:55], 0
	global_store_dword v[0:1], v2, off
.LBB95_731:
	s_andn2_b64 vcc, exec, s[54:55]
	s_cbranch_vccnz .LBB95_733
; %bb.732:
	v_cndmask_b32_e64 v2, 0, 1, s[50:51]
	global_store_short v[0:1], v2, off
.LBB95_733:
	s_mov_b64 s[54:55], 0
.LBB95_734:
	s_andn2_b64 vcc, exec, s[54:55]
	s_cbranch_vccnz .LBB95_742
; %bb.735:
	v_cndmask_b32_e64 v3, 0, 1.0, s[50:51]
	s_mov_b32 s54, 0x43800000
	v_cmp_gt_u32_e32 vcc, s54, v3
	v_mov_b32_e32 v4, 0x80
	s_and_saveexec_b64 s[54:55], vcc
	s_cbranch_execz .LBB95_741
; %bb.736:
	s_mov_b32 s56, 0x3bffffff
	v_cmp_lt_u32_e32 vcc, s56, v3
	s_mov_b64 s[56:57], 0
                                        ; implicit-def: $vgpr2
	s_and_saveexec_b64 s[58:59], vcc
	s_xor_b64 s[58:59], exec, s[58:59]
	s_cbranch_execz .LBB95_855
; %bb.737:
	v_bfe_u32 v2, v3, 20, 1
	s_mov_b32 s62, 0x487ffff
	v_add3_u32 v2, v3, v2, s62
	s_mov_b64 s[56:57], exec
	v_lshrrev_b32_e32 v2, 20, v2
                                        ; implicit-def: $vgpr3
	s_andn2_saveexec_b64 s[58:59], s[58:59]
	s_cbranch_execnz .LBB95_856
.LBB95_738:
	s_or_b64 exec, exec, s[58:59]
	v_mov_b32_e32 v4, 0
	s_and_saveexec_b64 s[58:59], s[56:57]
.LBB95_739:
	v_mov_b32_e32 v4, v2
.LBB95_740:
	s_or_b64 exec, exec, s[58:59]
.LBB95_741:
	s_or_b64 exec, exec, s[54:55]
	global_store_byte v[0:1], v4, off
.LBB95_742:
	s_mov_b64 s[54:55], -1
.LBB95_743:
	s_mov_b64 s[56:57], 0
.LBB95_744:
	s_and_b64 vcc, exec, s[56:57]
	s_cbranch_vccz .LBB95_785
; %bb.745:
	s_cmp_gt_i32 s61, 22
	s_mov_b64 s[56:57], -1
	s_cbranch_scc0 .LBB95_777
; %bb.746:
	s_cmp_lt_i32 s61, 24
	s_mov_b64 s[54:55], -1
	s_cbranch_scc1 .LBB95_766
; %bb.747:
	s_cmp_gt_i32 s61, 24
	s_cbranch_scc0 .LBB95_755
; %bb.748:
	v_cndmask_b32_e64 v3, 0, 1.0, s[50:51]
	s_mov_b32 s54, 0x47800000
	v_cmp_gt_u32_e32 vcc, s54, v3
	v_mov_b32_e32 v4, 0x80
	s_and_saveexec_b64 s[54:55], vcc
	s_cbranch_execz .LBB95_754
; %bb.749:
	s_mov_b32 s56, 0x37ffffff
	v_cmp_lt_u32_e32 vcc, s56, v3
	s_mov_b64 s[56:57], 0
                                        ; implicit-def: $vgpr2
	s_and_saveexec_b64 s[58:59], vcc
	s_xor_b64 s[58:59], exec, s[58:59]
	s_cbranch_execz .LBB95_987
; %bb.750:
	v_bfe_u32 v2, v3, 21, 1
	s_mov_b32 s62, 0x88fffff
	v_add3_u32 v2, v3, v2, s62
	s_mov_b64 s[56:57], exec
	v_lshrrev_b32_e32 v2, 21, v2
                                        ; implicit-def: $vgpr3
	s_andn2_saveexec_b64 s[58:59], s[58:59]
	s_cbranch_execnz .LBB95_988
.LBB95_751:
	s_or_b64 exec, exec, s[58:59]
	v_mov_b32_e32 v4, 0
	s_and_saveexec_b64 s[58:59], s[56:57]
.LBB95_752:
	v_mov_b32_e32 v4, v2
.LBB95_753:
	s_or_b64 exec, exec, s[58:59]
.LBB95_754:
	s_or_b64 exec, exec, s[54:55]
	s_mov_b64 s[54:55], 0
	global_store_byte v[0:1], v4, off
.LBB95_755:
	s_and_b64 vcc, exec, s[54:55]
	s_cbranch_vccz .LBB95_765
; %bb.756:
	v_cndmask_b32_e64 v2, 0, 1.0, s[50:51]
	s_mov_b32 s54, 0x43f00000
	v_cmp_gt_u32_e32 vcc, s54, v2
                                        ; implicit-def: $vgpr3
	s_and_saveexec_b64 s[54:55], vcc
	s_xor_b64 s[54:55], exec, s[54:55]
	s_cbranch_execz .LBB95_762
; %bb.757:
	s_mov_b32 s56, 0x3c7fffff
	v_cmp_lt_u32_e32 vcc, s56, v2
                                        ; implicit-def: $vgpr3
	s_and_saveexec_b64 s[56:57], vcc
	s_xor_b64 s[56:57], exec, s[56:57]
; %bb.758:
	v_bfe_u32 v3, v2, 20, 1
	s_mov_b32 s58, 0x407ffff
	v_add3_u32 v2, v2, v3, s58
	v_lshrrev_b32_e32 v3, 20, v2
	v_and_b32_e32 v2, 0xff00000, v2
	s_mov_b32 s58, 0x7f00000
	v_mov_b32_e32 v4, 0x7e
	v_cmp_ne_u32_e32 vcc, s58, v2
	v_cndmask_b32_e32 v3, v4, v3, vcc
                                        ; implicit-def: $vgpr2
; %bb.759:
	s_andn2_saveexec_b64 s[56:57], s[56:57]
; %bb.760:
	v_add_f32_e32 v3, 0x46800000, v2
; %bb.761:
	s_or_b64 exec, exec, s[56:57]
                                        ; implicit-def: $vgpr2
.LBB95_762:
	s_andn2_saveexec_b64 s[54:55], s[54:55]
; %bb.763:
	s_mov_b32 s56, 0x7f800000
	v_mov_b32_e32 v3, 0x7e
	v_mov_b32_e32 v4, 0x7f
	v_cmp_lt_u32_e32 vcc, s56, v2
	v_cndmask_b32_e32 v3, v3, v4, vcc
; %bb.764:
	s_or_b64 exec, exec, s[54:55]
	global_store_byte v[0:1], v3, off
.LBB95_765:
	s_mov_b64 s[54:55], 0
.LBB95_766:
	s_andn2_b64 vcc, exec, s[54:55]
	s_cbranch_vccnz .LBB95_776
; %bb.767:
	v_cndmask_b32_e64 v2, 0, 1.0, s[50:51]
	s_mov_b32 s54, 0x47800000
	v_cmp_gt_u32_e32 vcc, s54, v2
                                        ; implicit-def: $vgpr3
	s_and_saveexec_b64 s[54:55], vcc
	s_xor_b64 s[54:55], exec, s[54:55]
	s_cbranch_execz .LBB95_773
; %bb.768:
	s_mov_b32 s56, 0x387fffff
	v_cmp_lt_u32_e32 vcc, s56, v2
                                        ; implicit-def: $vgpr3
	s_and_saveexec_b64 s[56:57], vcc
	s_xor_b64 s[56:57], exec, s[56:57]
; %bb.769:
	v_bfe_u32 v3, v2, 21, 1
	s_mov_b32 s58, 0x80fffff
	v_add3_u32 v2, v2, v3, s58
	v_lshrrev_b32_e32 v3, 21, v2
                                        ; implicit-def: $vgpr2
; %bb.770:
	s_andn2_saveexec_b64 s[56:57], s[56:57]
; %bb.771:
	v_add_f32_e32 v3, 0x43000000, v2
; %bb.772:
	s_or_b64 exec, exec, s[56:57]
                                        ; implicit-def: $vgpr2
.LBB95_773:
	s_andn2_saveexec_b64 s[54:55], s[54:55]
; %bb.774:
	s_mov_b32 s56, 0x7f800000
	v_mov_b32_e32 v3, 0x7c
	v_mov_b32_e32 v4, 0x7f
	v_cmp_lt_u32_e32 vcc, s56, v2
	v_cndmask_b32_e32 v3, v3, v4, vcc
; %bb.775:
	s_or_b64 exec, exec, s[54:55]
	global_store_byte v[0:1], v3, off
.LBB95_776:
	s_mov_b64 s[56:57], 0
	s_mov_b64 s[54:55], -1
.LBB95_777:
	s_andn2_b64 vcc, exec, s[56:57]
	s_cbranch_vccnz .LBB95_785
; %bb.778:
	s_cmp_gt_i32 s61, 14
	s_mov_b64 s[56:57], -1
	s_cbranch_scc0 .LBB95_782
; %bb.779:
	s_cmp_eq_u32 s61, 15
	s_mov_b64 s[0:1], -1
	s_cbranch_scc0 .LBB95_781
; %bb.780:
	v_cndmask_b32_e64 v2, 0, 1.0, s[50:51]
	v_bfe_u32 v3, v2, 16, 1
	s_movk_i32 s0, 0x7fff
	v_add3_u32 v2, v2, v3, s0
	global_store_short_d16_hi v[0:1], v2, off
	s_mov_b64 s[54:55], -1
	s_mov_b64 s[0:1], 0
.LBB95_781:
	s_mov_b64 s[56:57], 0
.LBB95_782:
	s_and_b64 vcc, exec, s[56:57]
	s_cbranch_vccz .LBB95_785
; %bb.783:
	s_cmp_eq_u32 s61, 11
	s_mov_b64 s[0:1], -1
	s_cbranch_scc0 .LBB95_785
; %bb.784:
	v_cndmask_b32_e64 v2, 0, 1, s[50:51]
	s_mov_b64 s[54:55], -1
	s_mov_b64 s[0:1], 0
	global_store_byte v[0:1], v2, off
.LBB95_785:
	s_mov_b64 s[56:57], 0
.LBB95_786:
	s_and_b64 vcc, exec, s[56:57]
	s_cbranch_vccz .LBB95_825
; %bb.787:
	s_and_b32 s56, 0xffff, s60
	s_cmp_lt_i32 s56, 5
	s_mov_b64 s[54:55], -1
	s_cbranch_scc1 .LBB95_808
; %bb.788:
	s_cmp_lt_i32 s56, 8
	s_cbranch_scc1 .LBB95_798
; %bb.789:
	s_cmp_lt_i32 s56, 9
	s_cbranch_scc1 .LBB95_795
; %bb.790:
	s_cmp_gt_i32 s56, 9
	s_cbranch_scc0 .LBB95_792
; %bb.791:
	v_cndmask_b32_e64 v2, 0, 1, s[50:51]
	v_cvt_f64_u32_e32 v[2:3], v2
	v_mov_b32_e32 v4, 0
	v_mov_b32_e32 v5, v4
	s_mov_b64 s[54:55], 0
	global_store_dwordx4 v[0:1], v[2:5], off
.LBB95_792:
	s_andn2_b64 vcc, exec, s[54:55]
	s_cbranch_vccnz .LBB95_794
; %bb.793:
	v_cndmask_b32_e64 v2, 0, 1.0, s[50:51]
	v_mov_b32_e32 v3, 0
	global_store_dwordx2 v[0:1], v[2:3], off
.LBB95_794:
	s_mov_b64 s[54:55], 0
.LBB95_795:
	s_andn2_b64 vcc, exec, s[54:55]
	s_cbranch_vccnz .LBB95_797
; %bb.796:
	v_cndmask_b32_e64 v2, 0, 1.0, s[50:51]
	v_cvt_f16_f32_e32 v2, v2
	global_store_dword v[0:1], v2, off
.LBB95_797:
	s_mov_b64 s[54:55], 0
.LBB95_798:
	s_andn2_b64 vcc, exec, s[54:55]
	s_cbranch_vccnz .LBB95_807
; %bb.799:
	s_cmp_lt_i32 s56, 6
	s_mov_b64 s[54:55], -1
	s_cbranch_scc1 .LBB95_805
; %bb.800:
	s_cmp_gt_i32 s56, 6
	s_cbranch_scc0 .LBB95_802
; %bb.801:
	v_cndmask_b32_e64 v2, 0, 1, s[50:51]
	v_cvt_f64_u32_e32 v[2:3], v2
	s_mov_b64 s[54:55], 0
	global_store_dwordx2 v[0:1], v[2:3], off
.LBB95_802:
	s_andn2_b64 vcc, exec, s[54:55]
	s_cbranch_vccnz .LBB95_804
; %bb.803:
	v_cndmask_b32_e64 v2, 0, 1.0, s[50:51]
	global_store_dword v[0:1], v2, off
.LBB95_804:
	s_mov_b64 s[54:55], 0
.LBB95_805:
	s_andn2_b64 vcc, exec, s[54:55]
	s_cbranch_vccnz .LBB95_807
; %bb.806:
	v_cndmask_b32_e64 v2, 0, 1.0, s[50:51]
	v_cvt_f16_f32_e32 v2, v2
	global_store_short v[0:1], v2, off
.LBB95_807:
	s_mov_b64 s[54:55], 0
.LBB95_808:
	s_andn2_b64 vcc, exec, s[54:55]
	s_cbranch_vccnz .LBB95_824
; %bb.809:
	s_cmp_lt_i32 s56, 2
	s_mov_b64 s[54:55], -1
	s_cbranch_scc1 .LBB95_819
; %bb.810:
	s_cmp_lt_i32 s56, 3
	s_cbranch_scc1 .LBB95_816
; %bb.811:
	s_cmp_gt_i32 s56, 3
	s_cbranch_scc0 .LBB95_813
; %bb.812:
	s_mov_b32 s54, 0
	v_cndmask_b32_e64 v2, 0, 1, s[50:51]
	v_mov_b32_e32 v3, s54
	s_mov_b64 s[54:55], 0
	global_store_dwordx2 v[0:1], v[2:3], off
.LBB95_813:
	s_andn2_b64 vcc, exec, s[54:55]
	s_cbranch_vccnz .LBB95_815
; %bb.814:
	v_cndmask_b32_e64 v2, 0, 1, s[50:51]
	global_store_dword v[0:1], v2, off
.LBB95_815:
	s_mov_b64 s[54:55], 0
.LBB95_816:
	s_andn2_b64 vcc, exec, s[54:55]
	s_cbranch_vccnz .LBB95_818
; %bb.817:
	v_cndmask_b32_e64 v2, 0, 1, s[50:51]
	global_store_short v[0:1], v2, off
.LBB95_818:
	s_mov_b64 s[54:55], 0
.LBB95_819:
	s_andn2_b64 vcc, exec, s[54:55]
	s_cbranch_vccnz .LBB95_824
; %bb.820:
	s_mov_b64 s[54:55], -1
	s_cmp_gt_i32 s56, 0
	v_cndmask_b32_e64 v2, 0, 1, s[50:51]
	s_cbranch_scc0 .LBB95_822
; %bb.821:
	s_mov_b64 s[54:55], 0
	global_store_byte v[0:1], v2, off
.LBB95_822:
	s_andn2_b64 vcc, exec, s[54:55]
	s_cbranch_vccnz .LBB95_824
; %bb.823:
	global_store_byte v[0:1], v2, off
.LBB95_824:
	s_mov_b64 s[54:55], -1
.LBB95_825:
	s_andn2_b64 vcc, exec, s[54:55]
	s_cbranch_vccnz .LBB95_837
; %bb.826:
	v_add_u32_e32 v8, 0x80, v8
	s_mov_b64 s[54:55], -1
.LBB95_827:
	s_andn2_b64 s[50:51], s[38:39], exec
	s_and_b64 s[0:1], s[0:1], exec
	s_or_b64 s[50:51], s[50:51], s[0:1]
	s_andn2_b64 s[0:1], s[40:41], exec
	s_and_b64 s[48:49], s[48:49], exec
	s_or_b64 s[48:49], s[0:1], s[48:49]
	;; [unrolled: 3-line block ×3, first 2 shown]
	s_orn2_b64 s[0:1], s[54:55], exec
.LBB95_828:
	s_or_b64 exec, exec, s[52:53]
	s_mov_b64 s[54:55], 0
	s_mov_b64 s[56:57], 0
	;; [unrolled: 1-line block ×3, first 2 shown]
                                        ; implicit-def: $sgpr74
                                        ; implicit-def: $vgpr4_vgpr5
                                        ; implicit-def: $vgpr0
                                        ; implicit-def: $vgpr3
                                        ; implicit-def: $vgpr1_vgpr2
	s_and_saveexec_b64 s[52:53], s[0:1]
	s_cbranch_execz .LBB95_1342
; %bb.829:
	v_cmp_gt_i32_e32 vcc, s68, v8
	s_mov_b64 s[66:67], -1
	s_mov_b64 s[0:1], s[46:47]
	s_mov_b64 s[58:59], s[48:49]
	;; [unrolled: 1-line block ×3, first 2 shown]
	s_and_saveexec_b64 s[54:55], vcc
	s_cbranch_execz .LBB95_1246
; %bb.830:
	s_andn2_b64 vcc, exec, s[24:25]
	s_cbranch_vccnz .LBB95_836
; %bb.831:
	s_andn2_b64 vcc, exec, s[36:37]
	s_cbranch_vccnz .LBB95_838
; %bb.832:
	s_add_i32 s0, s73, 1
	s_and_b32 s56, s0, 30
	s_add_u32 s0, s2, 0xffffffe8
	s_addc_u32 s1, s3, -1
	v_mov_b32_e32 v3, 0
	s_waitcnt vmcnt(0)
	v_mov_b32_e32 v5, 0
	v_mov_b32_e32 v0, 0
	;; [unrolled: 1-line block ×3, first 2 shown]
.LBB95_833:                             ; =>This Inner Loop Header: Depth=1
	s_load_dwordx4 s[60:63], s[0:1], 0x1c
	s_load_dwordx2 s[58:59], s[0:1], 0x2c
	s_load_dwordx2 s[74:75], s[0:1], 0xec
	s_load_dwordx4 s[64:67], s[0:1], 0xdc
	s_add_u32 s0, s0, 24
	s_waitcnt lgkmcnt(0)
	v_mul_hi_u32 v2, s61, v1
	s_addc_u32 s1, s1, 0
	s_add_i32 s56, s56, -2
	s_cmp_eq_u32 s56, 0
	v_add_u32_e32 v2, v1, v2
	v_lshrrev_b32_e32 v2, s62, v2
	v_mul_lo_u32 v4, v2, s60
	v_mul_hi_u32 v6, s58, v2
	v_sub_u32_e32 v4, v1, v4
	v_add_u32_e32 v1, v2, v6
	v_lshrrev_b32_e32 v1, s59, v1
	v_mul_lo_u32 v9, v1, s63
	v_mul_lo_u32 v6, v4, s64
	v_mul_lo_u32 v7, v4, s65
	v_mul_lo_u32 v4, v4, s66
	v_sub_u32_e32 v2, v2, v9
	v_mul_lo_u32 v9, v2, s67
	v_mul_lo_u32 v10, v2, s74
	;; [unrolled: 1-line block ×3, first 2 shown]
	v_add3_u32 v0, v6, v0, v9
	v_add3_u32 v5, v7, v5, v10
	v_add3_u32 v3, v4, v3, v2
	s_cbranch_scc0 .LBB95_833
; %bb.834:
	s_bitcmp1_b32 s73, 0
	s_cselect_b64 s[56:57], -1, 0
	s_and_b64 vcc, exec, s[56:57]
	s_cbranch_vccnz .LBB95_839
; %bb.835:
	s_load_dwordx2 s[56:57], s[0:1], 0x1c
	s_load_dword s60, s[0:1], 0x24
	s_load_dwordx2 s[58:59], s[0:1], 0xdc
	s_waitcnt lgkmcnt(0)
	v_mul_hi_u32 v2, s57, v1
	v_add_u32_e32 v2, v1, v2
	v_lshrrev_b32_e32 v2, s60, v2
	v_mul_lo_u32 v2, v2, s56
	s_load_dword s56, s[0:1], 0xe4
	v_sub_u32_e32 v2, v1, v2
	v_mad_u64_u32 v[0:1], s[0:1], v2, s58, v[0:1]
	v_mad_u64_u32 v[5:6], s[0:1], v2, s59, v[5:6]
	s_waitcnt lgkmcnt(0)
	v_mad_u64_u32 v[3:4], s[0:1], v2, s56, v[3:4]
	s_branch .LBB95_839
.LBB95_836:
	s_mov_b64 s[0:1], -1
                                        ; implicit-def: $vgpr0
                                        ; implicit-def: $vgpr5
                                        ; implicit-def: $vgpr3
	s_branch .LBB95_840
.LBB95_837:
	s_mov_b64 s[54:55], 0
	s_branch .LBB95_568
.LBB95_838:
	v_mov_b32_e32 v0, 0
	s_waitcnt vmcnt(0)
	v_mov_b32_e32 v5, 0
	v_mov_b32_e32 v3, 0
.LBB95_839:
	s_mov_b64 s[0:1], 0
.LBB95_840:
	s_andn2_b64 vcc, exec, s[0:1]
	s_cbranch_vccnz .LBB95_843
; %bb.841:
	v_mul_hi_u32 v0, s17, v8
	s_andn2_b64 vcc, exec, s[34:35]
	v_add_u32_e32 v0, v8, v0
	s_waitcnt vmcnt(0)
	v_lshrrev_b32_e32 v1, s18, v0
	v_mul_lo_u32 v0, v1, s16
	v_sub_u32_e32 v2, v8, v0
	v_mul_lo_u32 v0, v2, s20
	v_mul_lo_u32 v5, v2, s21
	;; [unrolled: 1-line block ×3, first 2 shown]
	s_cbranch_vccnz .LBB95_843
; %bb.842:
	v_mul_hi_u32 v2, s30, v1
	v_add_u32_e32 v2, v1, v2
	v_lshrrev_b32_e32 v2, s31, v2
	v_mul_lo_u32 v2, v2, s19
	v_sub_u32_e32 v2, v1, v2
	v_mad_u64_u32 v[0:1], s[0:1], v2, s23, v[0:1]
	v_mad_u64_u32 v[5:6], s[0:1], v2, s28, v[5:6]
	;; [unrolled: 1-line block ×3, first 2 shown]
.LBB95_843:
	s_waitcnt vmcnt(0)
	v_mov_b32_e32 v1, s11
	s_and_b32 s62, s72, 0xff
	v_add_co_u32_e32 v4, vcc, s10, v5
	s_cmp_lt_i32 s62, 11
	v_addc_co_u32_e32 v5, vcc, 0, v1, vcc
	s_cbranch_scc1 .LBB95_850
; %bb.844:
	s_and_b32 s63, 0xffff, s62
	s_cmp_gt_i32 s63, 25
	s_cbranch_scc0 .LBB95_851
; %bb.845:
	s_cmp_gt_i32 s63, 28
	s_cbranch_scc0 .LBB95_852
; %bb.846:
	;; [unrolled: 3-line block ×4, first 2 shown]
	s_cmp_eq_u32 s63, 46
	s_mov_b64 s[58:59], 0
	s_cbranch_scc0 .LBB95_857
; %bb.849:
	global_load_dword v1, v[4:5], off
	s_mov_b64 s[0:1], -1
	s_mov_b64 s[56:57], 0
	s_waitcnt vmcnt(0)
	v_lshlrev_b32_e32 v1, 16, v1
	v_cvt_f64_f32_e32 v[1:2], v1
	s_branch .LBB95_858
.LBB95_850:
	s_mov_b64 s[58:59], -1
	s_mov_b64 s[0:1], 0
                                        ; implicit-def: $vgpr1_vgpr2
	s_mov_b64 s[56:57], s[46:47]
	s_branch .LBB95_923
.LBB95_851:
	s_mov_b64 s[58:59], -1
	s_mov_b64 s[0:1], 0
	s_mov_b64 s[56:57], s[46:47]
                                        ; implicit-def: $vgpr1_vgpr2
	s_branch .LBB95_889
.LBB95_852:
	s_mov_b64 s[58:59], -1
	s_mov_b64 s[0:1], 0
	s_mov_b64 s[56:57], s[46:47]
                                        ; implicit-def: $vgpr1_vgpr2
	s_branch .LBB95_868
.LBB95_853:
	s_mov_b64 s[58:59], -1
	s_mov_b64 s[0:1], 0
	s_mov_b64 s[56:57], s[46:47]
                                        ; implicit-def: $vgpr1_vgpr2
	s_branch .LBB95_863
.LBB95_854:
	s_mov_b64 s[58:59], -1
	s_mov_b64 s[0:1], 0
	s_mov_b64 s[56:57], s[46:47]
                                        ; implicit-def: $vgpr1_vgpr2
	s_branch .LBB95_858
.LBB95_855:
	s_andn2_saveexec_b64 s[58:59], s[58:59]
	s_cbranch_execz .LBB95_738
.LBB95_856:
	v_add_f32_e32 v2, 0x46000000, v3
	v_and_b32_e32 v2, 0xff, v2
	v_cmp_ne_u32_e32 vcc, 0, v2
	s_andn2_b64 s[56:57], s[56:57], exec
	s_and_b64 s[62:63], vcc, exec
	s_or_b64 s[56:57], s[56:57], s[62:63]
	s_or_b64 exec, exec, s[58:59]
	v_mov_b32_e32 v4, 0
	s_and_saveexec_b64 s[58:59], s[56:57]
	s_cbranch_execnz .LBB95_739
	s_branch .LBB95_740
.LBB95_857:
	s_mov_b64 s[56:57], -1
                                        ; implicit-def: $vgpr1_vgpr2
	s_mov_b64 s[0:1], 0
.LBB95_858:
	s_and_b64 vcc, exec, s[58:59]
	s_cbranch_vccz .LBB95_862
; %bb.859:
	s_cmp_eq_u32 s63, 44
	s_cbranch_scc0 .LBB95_861
; %bb.860:
	global_load_ubyte v6, v[4:5], off
	s_movk_i32 s56, 0xff
	v_bfrev_b32_e32 v7, 4
	v_mov_b32_e32 v9, 0x7ff80000
	v_bfrev_b32_e32 v10, 28
	s_mov_b64 s[0:1], -1
	s_waitcnt vmcnt(0)
	v_lshlrev_b32_e32 v1, 23, v6
	v_cvt_f64_f32_e32 v[1:2], v1
	v_cmp_ne_u32_e32 vcc, s56, v6
	s_mov_b64 s[56:57], 0
	v_cndmask_b32_e32 v1, v7, v1, vcc
	v_cndmask_b32_e32 v2, v9, v2, vcc
	v_cmp_ne_u32_e32 vcc, 0, v6
	v_cndmask_b32_e32 v2, v10, v2, vcc
	v_cndmask_b32_e32 v1, 0, v1, vcc
	s_branch .LBB95_862
.LBB95_861:
	s_mov_b64 s[56:57], -1
                                        ; implicit-def: $vgpr1_vgpr2
.LBB95_862:
	s_mov_b64 s[58:59], 0
.LBB95_863:
	s_and_b64 vcc, exec, s[58:59]
	s_cbranch_vccz .LBB95_867
; %bb.864:
	s_cmp_eq_u32 s63, 29
	s_cbranch_scc0 .LBB95_866
; %bb.865:
	global_load_dwordx2 v[1:2], v[4:5], off
	s_mov_b64 s[0:1], -1
	s_mov_b64 s[56:57], 0
	s_mov_b64 s[58:59], 0
	s_waitcnt vmcnt(0)
	v_cvt_f64_u32_e32 v[6:7], v2
	v_cvt_f64_u32_e32 v[1:2], v1
	v_ldexp_f64 v[6:7], v[6:7], 32
	v_add_f64 v[1:2], v[6:7], v[1:2]
	s_branch .LBB95_868
.LBB95_866:
	s_mov_b64 s[56:57], -1
                                        ; implicit-def: $vgpr1_vgpr2
.LBB95_867:
	s_mov_b64 s[58:59], 0
.LBB95_868:
	s_and_b64 vcc, exec, s[58:59]
	s_cbranch_vccz .LBB95_888
; %bb.869:
	s_cmp_lt_i32 s63, 27
	s_cbranch_scc1 .LBB95_872
; %bb.870:
	s_cmp_gt_i32 s63, 27
	s_cbranch_scc0 .LBB95_873
; %bb.871:
	global_load_dword v1, v[4:5], off
	s_mov_b64 s[0:1], 0
	s_waitcnt vmcnt(0)
	v_cvt_f64_u32_e32 v[1:2], v1
	s_branch .LBB95_874
.LBB95_872:
	s_mov_b64 s[0:1], -1
                                        ; implicit-def: $vgpr1_vgpr2
	s_branch .LBB95_877
.LBB95_873:
	s_mov_b64 s[0:1], -1
                                        ; implicit-def: $vgpr1_vgpr2
.LBB95_874:
	s_andn2_b64 vcc, exec, s[0:1]
	s_cbranch_vccnz .LBB95_876
; %bb.875:
	global_load_ushort v1, v[4:5], off
	s_waitcnt vmcnt(0)
	v_cvt_f64_u32_e32 v[1:2], v1
.LBB95_876:
	s_mov_b64 s[0:1], 0
.LBB95_877:
	s_andn2_b64 vcc, exec, s[0:1]
	s_cbranch_vccnz .LBB95_887
; %bb.878:
	global_load_ubyte v6, v[4:5], off
	s_movk_i32 s0, 0x7f
	s_waitcnt vmcnt(0)
	v_cmp_lt_i16_e32 vcc, s0, v6
	s_mov_b64 s[0:1], 0
	s_and_saveexec_b64 s[58:59], vcc
	s_xor_b64 s[58:59], exec, s[58:59]
	s_cbranch_execz .LBB95_882
; %bb.879:
	s_movk_i32 s0, 0x80
	v_cmp_eq_u16_e32 vcc, s0, v6
	s_mov_b64 s[0:1], -1
	s_and_saveexec_b64 s[60:61], vcc
; %bb.880:
	s_xor_b64 s[0:1], exec, -1
; %bb.881:
	s_or_b64 exec, exec, s[60:61]
	s_and_b64 s[0:1], s[0:1], exec
.LBB95_882:
	s_or_saveexec_b64 s[58:59], s[58:59]
	v_bfrev_b32_e32 v1, 4
	v_mov_b32_e32 v2, 0x7ff80000
	s_xor_b64 exec, exec, s[58:59]
; %bb.883:
	v_cmp_ne_u16_e32 vcc, 0, v6
	v_mov_b32_e32 v1, 0
	s_andn2_b64 s[0:1], s[0:1], exec
	s_and_b64 s[60:61], vcc, exec
	v_mov_b32_e32 v2, 0
	s_or_b64 s[0:1], s[0:1], s[60:61]
; %bb.884:
	s_or_b64 exec, exec, s[58:59]
	s_and_saveexec_b64 s[58:59], s[0:1]
	s_cbranch_execz .LBB95_886
; %bb.885:
	v_and_b32_e32 v2, 0xffff, v6
	v_lshlrev_b32_e32 v1, 24, v6
	v_and_b32_e32 v6, 7, v2
	v_ffbh_u32_e32 v9, v6
	v_min_u32_e32 v9, 32, v9
	v_subrev_u32_e32 v10, 28, v9
	v_bfe_u32 v7, v2, 3, 4
	v_lshlrev_b32_e32 v2, v10, v2
	v_sub_u32_e32 v9, 29, v9
	v_and_b32_e32 v2, 7, v2
	v_cmp_eq_u32_e32 vcc, 0, v7
	v_cndmask_b32_e32 v7, v7, v9, vcc
	v_cndmask_b32_e32 v2, v6, v2, vcc
	v_mov_b32_e32 v6, 0x3b800000
	v_lshlrev_b32_e32 v2, 20, v2
	v_and_b32_e32 v1, 0x80000000, v1
	v_lshl_add_u32 v6, v7, 23, v6
	v_or3_b32 v1, v1, v6, v2
	v_cvt_f64_f32_e32 v[1:2], v1
.LBB95_886:
	s_or_b64 exec, exec, s[58:59]
.LBB95_887:
	s_mov_b64 s[0:1], -1
.LBB95_888:
	s_mov_b64 s[58:59], 0
.LBB95_889:
	s_and_b64 vcc, exec, s[58:59]
	s_cbranch_vccz .LBB95_922
; %bb.890:
	s_cmp_gt_i32 s63, 22
	s_cbranch_scc0 .LBB95_902
; %bb.891:
	s_cmp_lt_i32 s63, 24
	s_cbranch_scc1 .LBB95_903
; %bb.892:
	s_cmp_gt_i32 s63, 24
	s_cbranch_scc0 .LBB95_904
; %bb.893:
	global_load_ubyte v6, v[4:5], off
	s_movk_i32 s0, 0x7f
	s_waitcnt vmcnt(0)
	v_cmp_lt_i16_e32 vcc, s0, v6
	s_mov_b64 s[0:1], 0
	s_and_saveexec_b64 s[58:59], vcc
	s_xor_b64 s[58:59], exec, s[58:59]
	s_cbranch_execz .LBB95_897
; %bb.894:
	s_movk_i32 s0, 0x80
	v_cmp_eq_u16_e32 vcc, s0, v6
	s_mov_b64 s[0:1], -1
	s_and_saveexec_b64 s[60:61], vcc
; %bb.895:
	s_xor_b64 s[0:1], exec, -1
; %bb.896:
	s_or_b64 exec, exec, s[60:61]
	s_and_b64 s[0:1], s[0:1], exec
.LBB95_897:
	s_or_saveexec_b64 s[58:59], s[58:59]
	v_bfrev_b32_e32 v1, 4
	v_mov_b32_e32 v2, 0x7ff80000
	s_xor_b64 exec, exec, s[58:59]
; %bb.898:
	v_cmp_ne_u16_e32 vcc, 0, v6
	v_mov_b32_e32 v1, 0
	s_andn2_b64 s[0:1], s[0:1], exec
	s_and_b64 s[60:61], vcc, exec
	v_mov_b32_e32 v2, 0
	s_or_b64 s[0:1], s[0:1], s[60:61]
; %bb.899:
	s_or_b64 exec, exec, s[58:59]
	s_and_saveexec_b64 s[58:59], s[0:1]
	s_cbranch_execz .LBB95_901
; %bb.900:
	v_and_b32_e32 v2, 0xffff, v6
	v_lshlrev_b32_e32 v1, 24, v6
	v_and_b32_e32 v6, 3, v2
	v_ffbh_u32_e32 v9, v6
	v_min_u32_e32 v9, 32, v9
	v_subrev_u32_e32 v10, 29, v9
	v_bfe_u32 v7, v2, 2, 5
	v_lshlrev_b32_e32 v2, v10, v2
	v_sub_u32_e32 v9, 30, v9
	v_and_b32_e32 v2, 3, v2
	v_cmp_eq_u32_e32 vcc, 0, v7
	v_cndmask_b32_e32 v7, v7, v9, vcc
	v_cndmask_b32_e32 v2, v6, v2, vcc
	v_mov_b32_e32 v6, 0x37800000
	v_lshlrev_b32_e32 v2, 21, v2
	v_and_b32_e32 v1, 0x80000000, v1
	v_lshl_add_u32 v6, v7, 23, v6
	v_or3_b32 v1, v1, v6, v2
	v_cvt_f64_f32_e32 v[1:2], v1
.LBB95_901:
	s_or_b64 exec, exec, s[58:59]
	s_mov_b64 s[0:1], 0
	s_branch .LBB95_905
.LBB95_902:
	s_mov_b64 s[58:59], -1
                                        ; implicit-def: $vgpr1_vgpr2
	s_branch .LBB95_911
.LBB95_903:
	s_mov_b64 s[0:1], -1
                                        ; implicit-def: $vgpr1_vgpr2
	s_branch .LBB95_908
.LBB95_904:
	s_mov_b64 s[0:1], -1
                                        ; implicit-def: $vgpr1_vgpr2
.LBB95_905:
	s_and_b64 vcc, exec, s[0:1]
	s_cbranch_vccz .LBB95_907
; %bb.906:
	global_load_ubyte v1, v[4:5], off
	s_mov_b32 s0, 0x7f800000
	s_waitcnt vmcnt(0)
	v_lshlrev_b32_e32 v1, 24, v1
	v_and_b32_e32 v2, 0x7f000000, v1
	v_ffbh_u32_e32 v6, v2
	v_min_u32_e32 v6, 32, v6
	v_sub_u32_e64 v6, v6, 4 clamp
	v_lshlrev_b32_e32 v9, v6, v2
	v_lshlrev_b32_e32 v6, 23, v6
	v_lshrrev_b32_e32 v9, 4, v9
	v_add_u32_e32 v7, 0x1000000, v2
	v_sub_u32_e32 v6, v9, v6
	v_ashrrev_i32_e32 v7, 8, v7
	v_add_u32_e32 v6, 0x3c000000, v6
	v_and_or_b32 v6, v7, s0, v6
	v_cmp_ne_u32_e32 vcc, 0, v2
	v_cndmask_b32_e32 v2, 0, v6, vcc
	s_brev_b32 s0, 1
	v_and_or_b32 v1, v1, s0, v2
	v_cvt_f64_f32_e32 v[1:2], v1
.LBB95_907:
	s_mov_b64 s[0:1], 0
.LBB95_908:
	s_andn2_b64 vcc, exec, s[0:1]
	s_cbranch_vccnz .LBB95_910
; %bb.909:
	global_load_ubyte v1, v[4:5], off
	s_movk_i32 s0, 0x7f00
	s_brev_b32 s1, 16
	s_waitcnt vmcnt(0)
	v_lshlrev_b16_e32 v2, 8, v1
	v_lshlrev_b32_e32 v1, 25, v1
	v_lshrrev_b32_e32 v6, 4, v1
	v_and_or_b32 v7, v2, s0, 0.5
	v_or_b32_e32 v6, 0x70000000, v6
	v_add_f32_e32 v7, -0.5, v7
	v_mul_f32_e32 v6, 0x7800000, v6
	v_cmp_gt_u32_e32 vcc, s1, v1
	v_bfe_i32 v2, v2, 0, 16
	v_cndmask_b32_e32 v1, v6, v7, vcc
	s_brev_b32 s0, 1
	v_and_or_b32 v1, v2, s0, v1
	v_cvt_f64_f32_e32 v[1:2], v1
.LBB95_910:
	s_mov_b64 s[58:59], 0
	s_mov_b64 s[0:1], -1
.LBB95_911:
	s_andn2_b64 vcc, exec, s[58:59]
	s_cbranch_vccnz .LBB95_922
; %bb.912:
	s_cmp_gt_i32 s63, 14
	s_cbranch_scc0 .LBB95_915
; %bb.913:
	s_cmp_eq_u32 s63, 15
	s_cbranch_scc0 .LBB95_916
; %bb.914:
	global_load_ushort v1, v[4:5], off
	s_mov_b64 s[0:1], -1
	s_mov_b64 s[56:57], 0
	s_waitcnt vmcnt(0)
	v_lshlrev_b32_e32 v1, 16, v1
	v_cvt_f64_f32_e32 v[1:2], v1
	s_branch .LBB95_917
.LBB95_915:
	s_mov_b64 s[58:59], -1
                                        ; implicit-def: $vgpr1_vgpr2
	s_branch .LBB95_918
.LBB95_916:
	s_mov_b64 s[56:57], -1
                                        ; implicit-def: $vgpr1_vgpr2
.LBB95_917:
	s_mov_b64 s[58:59], 0
.LBB95_918:
	s_and_b64 vcc, exec, s[58:59]
	s_cbranch_vccz .LBB95_922
; %bb.919:
	s_cmp_eq_u32 s63, 11
	s_cbranch_scc0 .LBB95_921
; %bb.920:
	global_load_ubyte v2, v[4:5], off
	v_mov_b32_e32 v6, 0x3ff00000
	v_mov_b32_e32 v1, 0
	s_mov_b64 s[0:1], -1
	s_mov_b64 s[56:57], 0
	s_waitcnt vmcnt(0)
	v_cmp_ne_u16_e32 vcc, 0, v2
	v_cndmask_b32_e32 v2, 0, v6, vcc
	s_branch .LBB95_922
.LBB95_921:
	s_mov_b64 s[56:57], -1
                                        ; implicit-def: $vgpr1_vgpr2
.LBB95_922:
	s_mov_b64 s[58:59], 0
.LBB95_923:
	s_and_b64 vcc, exec, s[58:59]
	s_cbranch_vccz .LBB95_972
; %bb.924:
	s_and_b32 s58, 0xffff, s62
	s_cmp_lt_i32 s58, 5
	s_cbranch_scc1 .LBB95_929
; %bb.925:
	s_cmp_lt_i32 s58, 8
	s_cbranch_scc1 .LBB95_930
; %bb.926:
	;; [unrolled: 3-line block ×3, first 2 shown]
	s_cmp_gt_i32 s58, 9
	s_cbranch_scc0 .LBB95_932
; %bb.928:
	global_load_dwordx2 v[1:2], v[4:5], off
	s_mov_b64 s[0:1], 0
	s_branch .LBB95_933
.LBB95_929:
	s_mov_b64 s[0:1], -1
                                        ; implicit-def: $vgpr1_vgpr2
	s_branch .LBB95_951
.LBB95_930:
	s_mov_b64 s[0:1], -1
                                        ; implicit-def: $vgpr1_vgpr2
	s_branch .LBB95_939
.LBB95_931:
	s_mov_b64 s[0:1], -1
                                        ; implicit-def: $vgpr1_vgpr2
	s_branch .LBB95_936
.LBB95_932:
	s_mov_b64 s[0:1], -1
                                        ; implicit-def: $vgpr1_vgpr2
.LBB95_933:
	s_andn2_b64 vcc, exec, s[0:1]
	s_cbranch_vccnz .LBB95_935
; %bb.934:
	global_load_dword v1, v[4:5], off
	s_waitcnt vmcnt(0)
	v_cvt_f64_f32_e32 v[1:2], v1
.LBB95_935:
	s_mov_b64 s[0:1], 0
.LBB95_936:
	s_andn2_b64 vcc, exec, s[0:1]
	s_cbranch_vccnz .LBB95_938
; %bb.937:
	global_load_dword v1, v[4:5], off
	s_waitcnt vmcnt(0)
	v_cvt_f32_f16_e32 v1, v1
	v_cvt_f64_f32_e32 v[1:2], v1
.LBB95_938:
	s_mov_b64 s[0:1], 0
.LBB95_939:
	s_andn2_b64 vcc, exec, s[0:1]
	s_cbranch_vccnz .LBB95_950
; %bb.940:
	s_cmp_lt_i32 s58, 6
	s_cbranch_scc1 .LBB95_943
; %bb.941:
	s_cmp_gt_i32 s58, 6
	s_cbranch_scc0 .LBB95_944
; %bb.942:
	global_load_dwordx2 v[1:2], v[4:5], off
	s_mov_b64 s[0:1], 0
	s_branch .LBB95_945
.LBB95_943:
	s_mov_b64 s[0:1], -1
                                        ; implicit-def: $vgpr1_vgpr2
	s_branch .LBB95_948
.LBB95_944:
	s_mov_b64 s[0:1], -1
                                        ; implicit-def: $vgpr1_vgpr2
.LBB95_945:
	s_andn2_b64 vcc, exec, s[0:1]
	s_cbranch_vccnz .LBB95_947
; %bb.946:
	global_load_dword v1, v[4:5], off
	s_waitcnt vmcnt(0)
	v_cvt_f64_f32_e32 v[1:2], v1
.LBB95_947:
	s_mov_b64 s[0:1], 0
.LBB95_948:
	s_andn2_b64 vcc, exec, s[0:1]
	s_cbranch_vccnz .LBB95_950
; %bb.949:
	global_load_ushort v1, v[4:5], off
	s_waitcnt vmcnt(0)
	v_cvt_f32_f16_e32 v1, v1
	v_cvt_f64_f32_e32 v[1:2], v1
.LBB95_950:
	s_mov_b64 s[0:1], 0
.LBB95_951:
	s_andn2_b64 vcc, exec, s[0:1]
	s_cbranch_vccnz .LBB95_971
; %bb.952:
	s_cmp_lt_i32 s58, 2
	s_cbranch_scc1 .LBB95_956
; %bb.953:
	s_cmp_lt_i32 s58, 3
	s_cbranch_scc1 .LBB95_957
; %bb.954:
	s_cmp_gt_i32 s58, 3
	s_cbranch_scc0 .LBB95_958
; %bb.955:
	global_load_dwordx2 v[1:2], v[4:5], off
	s_mov_b64 s[0:1], 0
	s_waitcnt vmcnt(0)
	v_cvt_f64_i32_e32 v[6:7], v2
	v_cvt_f64_u32_e32 v[1:2], v1
	v_ldexp_f64 v[6:7], v[6:7], 32
	v_add_f64 v[1:2], v[6:7], v[1:2]
	s_branch .LBB95_959
.LBB95_956:
	s_mov_b64 s[0:1], -1
                                        ; implicit-def: $vgpr1_vgpr2
	s_branch .LBB95_965
.LBB95_957:
	s_mov_b64 s[0:1], -1
                                        ; implicit-def: $vgpr1_vgpr2
	s_branch .LBB95_962
.LBB95_958:
	s_mov_b64 s[0:1], -1
                                        ; implicit-def: $vgpr1_vgpr2
.LBB95_959:
	s_andn2_b64 vcc, exec, s[0:1]
	s_cbranch_vccnz .LBB95_961
; %bb.960:
	global_load_dword v1, v[4:5], off
	s_waitcnt vmcnt(0)
	v_cvt_f64_i32_e32 v[1:2], v1
.LBB95_961:
	s_mov_b64 s[0:1], 0
.LBB95_962:
	s_andn2_b64 vcc, exec, s[0:1]
	s_cbranch_vccnz .LBB95_964
; %bb.963:
	global_load_sshort v1, v[4:5], off
	s_waitcnt vmcnt(0)
	v_cvt_f64_i32_e32 v[1:2], v1
.LBB95_964:
	s_mov_b64 s[0:1], 0
.LBB95_965:
	s_andn2_b64 vcc, exec, s[0:1]
	s_cbranch_vccnz .LBB95_971
; %bb.966:
	s_cmp_gt_i32 s58, 0
	s_cbranch_scc0 .LBB95_968
; %bb.967:
	global_load_sbyte v1, v[4:5], off
	s_mov_b64 s[0:1], 0
	s_waitcnt vmcnt(0)
	v_cvt_f64_i32_e32 v[1:2], v1
	s_branch .LBB95_969
.LBB95_968:
	s_mov_b64 s[0:1], -1
                                        ; implicit-def: $vgpr1_vgpr2
.LBB95_969:
	s_andn2_b64 vcc, exec, s[0:1]
	s_cbranch_vccnz .LBB95_971
; %bb.970:
	global_load_ubyte v1, v[4:5], off
	s_waitcnt vmcnt(0)
	v_cvt_f64_u32_e32 v[1:2], v1
.LBB95_971:
	s_mov_b64 s[0:1], -1
.LBB95_972:
	s_andn2_b64 vcc, exec, s[0:1]
	s_cbranch_vccnz .LBB95_980
; %bb.973:
	v_mov_b32_e32 v4, s13
	s_and_b32 s64, s71, 0xff
	v_add_co_u32_e32 v3, vcc, s12, v3
	s_cmp_lt_i32 s64, 11
	v_addc_co_u32_e32 v4, vcc, 0, v4, vcc
	s_cbranch_scc1 .LBB95_982
; %bb.974:
	s_and_b32 s65, 0xffff, s64
	s_cmp_gt_i32 s65, 25
	s_cbranch_scc0 .LBB95_983
; %bb.975:
	s_cmp_gt_i32 s65, 28
	s_cbranch_scc0 .LBB95_984
; %bb.976:
	;; [unrolled: 3-line block ×4, first 2 shown]
	s_cmp_eq_u32 s65, 46
	s_mov_b64 s[60:61], 0
	s_cbranch_scc0 .LBB95_989
; %bb.979:
	global_load_dword v5, v[3:4], off
	s_mov_b64 s[0:1], -1
	s_mov_b64 s[58:59], 0
	s_waitcnt vmcnt(0)
	v_lshlrev_b32_e32 v5, 16, v5
	v_cvt_f64_f32_e32 v[5:6], v5
	s_branch .LBB95_990
.LBB95_980:
	s_mov_b64 s[62:63], 0
	s_mov_b64 s[0:1], s[50:51]
	;; [unrolled: 1-line block ×3, first 2 shown]
.LBB95_981:
                                        ; implicit-def: $vgpr8
	s_branch .LBB95_1245
.LBB95_982:
	s_mov_b64 s[60:61], -1
	s_mov_b64 s[0:1], 0
                                        ; implicit-def: $vgpr5_vgpr6
	s_mov_b64 s[58:59], s[48:49]
	s_branch .LBB95_1055
.LBB95_983:
	s_mov_b64 s[60:61], -1
	s_mov_b64 s[0:1], 0
	s_mov_b64 s[58:59], s[48:49]
                                        ; implicit-def: $vgpr5_vgpr6
	s_branch .LBB95_1021
.LBB95_984:
	s_mov_b64 s[60:61], -1
	s_mov_b64 s[0:1], 0
	s_mov_b64 s[58:59], s[48:49]
                                        ; implicit-def: $vgpr5_vgpr6
	s_branch .LBB95_1000
.LBB95_985:
	s_mov_b64 s[60:61], -1
	s_mov_b64 s[0:1], 0
	s_mov_b64 s[58:59], s[48:49]
                                        ; implicit-def: $vgpr5_vgpr6
	s_branch .LBB95_995
.LBB95_986:
	s_mov_b64 s[60:61], -1
	s_mov_b64 s[0:1], 0
	s_mov_b64 s[58:59], s[48:49]
                                        ; implicit-def: $vgpr5_vgpr6
	s_branch .LBB95_990
.LBB95_987:
	s_andn2_saveexec_b64 s[58:59], s[58:59]
	s_cbranch_execz .LBB95_751
.LBB95_988:
	v_add_f32_e32 v2, 0x42800000, v3
	v_and_b32_e32 v2, 0xff, v2
	v_cmp_ne_u32_e32 vcc, 0, v2
	s_andn2_b64 s[56:57], s[56:57], exec
	s_and_b64 s[62:63], vcc, exec
	s_or_b64 s[56:57], s[56:57], s[62:63]
	s_or_b64 exec, exec, s[58:59]
	v_mov_b32_e32 v4, 0
	s_and_saveexec_b64 s[58:59], s[56:57]
	s_cbranch_execnz .LBB95_752
	s_branch .LBB95_753
.LBB95_989:
	s_mov_b64 s[58:59], -1
                                        ; implicit-def: $vgpr5_vgpr6
	s_mov_b64 s[0:1], 0
.LBB95_990:
	s_and_b64 vcc, exec, s[60:61]
	s_cbranch_vccz .LBB95_994
; %bb.991:
	s_cmp_eq_u32 s65, 44
	s_cbranch_scc0 .LBB95_993
; %bb.992:
	global_load_ubyte v7, v[3:4], off
	s_movk_i32 s58, 0xff
	v_bfrev_b32_e32 v9, 4
	v_mov_b32_e32 v10, 0x7ff80000
	v_bfrev_b32_e32 v11, 28
	s_mov_b64 s[0:1], -1
	s_waitcnt vmcnt(0)
	v_lshlrev_b32_e32 v5, 23, v7
	v_cvt_f64_f32_e32 v[5:6], v5
	v_cmp_ne_u32_e32 vcc, s58, v7
	s_mov_b64 s[58:59], 0
	v_cndmask_b32_e32 v5, v9, v5, vcc
	v_cndmask_b32_e32 v6, v10, v6, vcc
	v_cmp_ne_u32_e32 vcc, 0, v7
	v_cndmask_b32_e32 v6, v11, v6, vcc
	v_cndmask_b32_e32 v5, 0, v5, vcc
	s_branch .LBB95_994
.LBB95_993:
	s_mov_b64 s[58:59], -1
                                        ; implicit-def: $vgpr5_vgpr6
.LBB95_994:
	s_mov_b64 s[60:61], 0
.LBB95_995:
	s_and_b64 vcc, exec, s[60:61]
	s_cbranch_vccz .LBB95_999
; %bb.996:
	s_cmp_eq_u32 s65, 29
	s_cbranch_scc0 .LBB95_998
; %bb.997:
	global_load_dwordx2 v[5:6], v[3:4], off
	s_mov_b64 s[0:1], -1
	s_mov_b64 s[58:59], 0
	s_mov_b64 s[60:61], 0
	s_waitcnt vmcnt(0)
	v_cvt_f64_u32_e32 v[6:7], v6
	v_cvt_f64_u32_e32 v[9:10], v5
	v_ldexp_f64 v[6:7], v[6:7], 32
	v_add_f64 v[5:6], v[6:7], v[9:10]
	s_branch .LBB95_1000
.LBB95_998:
	s_mov_b64 s[58:59], -1
                                        ; implicit-def: $vgpr5_vgpr6
.LBB95_999:
	s_mov_b64 s[60:61], 0
.LBB95_1000:
	s_and_b64 vcc, exec, s[60:61]
	s_cbranch_vccz .LBB95_1020
; %bb.1001:
	s_cmp_lt_i32 s65, 27
	s_cbranch_scc1 .LBB95_1004
; %bb.1002:
	s_cmp_gt_i32 s65, 27
	s_cbranch_scc0 .LBB95_1005
; %bb.1003:
	global_load_dword v5, v[3:4], off
	s_mov_b64 s[0:1], 0
	s_waitcnt vmcnt(0)
	v_cvt_f64_u32_e32 v[5:6], v5
	s_branch .LBB95_1006
.LBB95_1004:
	s_mov_b64 s[0:1], -1
                                        ; implicit-def: $vgpr5_vgpr6
	s_branch .LBB95_1009
.LBB95_1005:
	s_mov_b64 s[0:1], -1
                                        ; implicit-def: $vgpr5_vgpr6
.LBB95_1006:
	s_andn2_b64 vcc, exec, s[0:1]
	s_cbranch_vccnz .LBB95_1008
; %bb.1007:
	global_load_ushort v5, v[3:4], off
	s_waitcnt vmcnt(0)
	v_cvt_f64_u32_e32 v[5:6], v5
.LBB95_1008:
	s_mov_b64 s[0:1], 0
.LBB95_1009:
	s_andn2_b64 vcc, exec, s[0:1]
	s_cbranch_vccnz .LBB95_1019
; %bb.1010:
	global_load_ubyte v7, v[3:4], off
	s_movk_i32 s0, 0x7f
	s_waitcnt vmcnt(0)
	v_cmp_lt_i16_e32 vcc, s0, v7
	s_mov_b64 s[0:1], 0
	s_and_saveexec_b64 s[60:61], vcc
	s_xor_b64 s[60:61], exec, s[60:61]
	s_cbranch_execz .LBB95_1014
; %bb.1011:
	s_movk_i32 s0, 0x80
	v_cmp_eq_u16_e32 vcc, s0, v7
	s_mov_b64 s[0:1], -1
	s_and_saveexec_b64 s[62:63], vcc
; %bb.1012:
	s_xor_b64 s[0:1], exec, -1
; %bb.1013:
	s_or_b64 exec, exec, s[62:63]
	s_and_b64 s[0:1], s[0:1], exec
.LBB95_1014:
	s_or_saveexec_b64 s[60:61], s[60:61]
	v_bfrev_b32_e32 v5, 4
	v_mov_b32_e32 v6, 0x7ff80000
	s_xor_b64 exec, exec, s[60:61]
; %bb.1015:
	v_cmp_ne_u16_e32 vcc, 0, v7
	v_mov_b32_e32 v5, 0
	s_andn2_b64 s[0:1], s[0:1], exec
	s_and_b64 s[62:63], vcc, exec
	v_mov_b32_e32 v6, 0
	s_or_b64 s[0:1], s[0:1], s[62:63]
; %bb.1016:
	s_or_b64 exec, exec, s[60:61]
	s_and_saveexec_b64 s[60:61], s[0:1]
	s_cbranch_execz .LBB95_1018
; %bb.1017:
	v_and_b32_e32 v6, 0xffff, v7
	v_lshlrev_b32_e32 v5, 24, v7
	v_and_b32_e32 v7, 7, v6
	v_ffbh_u32_e32 v10, v7
	v_min_u32_e32 v10, 32, v10
	v_subrev_u32_e32 v11, 28, v10
	v_bfe_u32 v9, v6, 3, 4
	v_lshlrev_b32_e32 v6, v11, v6
	v_sub_u32_e32 v10, 29, v10
	v_and_b32_e32 v6, 7, v6
	v_cmp_eq_u32_e32 vcc, 0, v9
	v_cndmask_b32_e32 v9, v9, v10, vcc
	v_cndmask_b32_e32 v6, v7, v6, vcc
	v_mov_b32_e32 v7, 0x3b800000
	v_lshlrev_b32_e32 v6, 20, v6
	v_and_b32_e32 v5, 0x80000000, v5
	v_lshl_add_u32 v7, v9, 23, v7
	v_or3_b32 v5, v5, v7, v6
	v_cvt_f64_f32_e32 v[5:6], v5
.LBB95_1018:
	s_or_b64 exec, exec, s[60:61]
.LBB95_1019:
	s_mov_b64 s[0:1], -1
.LBB95_1020:
	s_mov_b64 s[60:61], 0
.LBB95_1021:
	s_and_b64 vcc, exec, s[60:61]
	s_cbranch_vccz .LBB95_1054
; %bb.1022:
	s_cmp_gt_i32 s65, 22
	s_cbranch_scc0 .LBB95_1034
; %bb.1023:
	s_cmp_lt_i32 s65, 24
	s_cbranch_scc1 .LBB95_1035
; %bb.1024:
	s_cmp_gt_i32 s65, 24
	s_cbranch_scc0 .LBB95_1036
; %bb.1025:
	global_load_ubyte v7, v[3:4], off
	s_movk_i32 s0, 0x7f
	s_waitcnt vmcnt(0)
	v_cmp_lt_i16_e32 vcc, s0, v7
	s_mov_b64 s[0:1], 0
	s_and_saveexec_b64 s[60:61], vcc
	s_xor_b64 s[60:61], exec, s[60:61]
	s_cbranch_execz .LBB95_1029
; %bb.1026:
	s_movk_i32 s0, 0x80
	v_cmp_eq_u16_e32 vcc, s0, v7
	s_mov_b64 s[0:1], -1
	s_and_saveexec_b64 s[62:63], vcc
; %bb.1027:
	s_xor_b64 s[0:1], exec, -1
; %bb.1028:
	s_or_b64 exec, exec, s[62:63]
	s_and_b64 s[0:1], s[0:1], exec
.LBB95_1029:
	s_or_saveexec_b64 s[60:61], s[60:61]
	v_bfrev_b32_e32 v5, 4
	v_mov_b32_e32 v6, 0x7ff80000
	s_xor_b64 exec, exec, s[60:61]
; %bb.1030:
	v_cmp_ne_u16_e32 vcc, 0, v7
	v_mov_b32_e32 v5, 0
	s_andn2_b64 s[0:1], s[0:1], exec
	s_and_b64 s[62:63], vcc, exec
	v_mov_b32_e32 v6, 0
	s_or_b64 s[0:1], s[0:1], s[62:63]
; %bb.1031:
	s_or_b64 exec, exec, s[60:61]
	s_and_saveexec_b64 s[60:61], s[0:1]
	s_cbranch_execz .LBB95_1033
; %bb.1032:
	v_and_b32_e32 v6, 0xffff, v7
	v_lshlrev_b32_e32 v5, 24, v7
	v_and_b32_e32 v7, 3, v6
	v_ffbh_u32_e32 v10, v7
	v_min_u32_e32 v10, 32, v10
	v_subrev_u32_e32 v11, 29, v10
	v_bfe_u32 v9, v6, 2, 5
	v_lshlrev_b32_e32 v6, v11, v6
	v_sub_u32_e32 v10, 30, v10
	v_and_b32_e32 v6, 3, v6
	v_cmp_eq_u32_e32 vcc, 0, v9
	v_cndmask_b32_e32 v9, v9, v10, vcc
	v_cndmask_b32_e32 v6, v7, v6, vcc
	v_mov_b32_e32 v7, 0x37800000
	v_lshlrev_b32_e32 v6, 21, v6
	v_and_b32_e32 v5, 0x80000000, v5
	v_lshl_add_u32 v7, v9, 23, v7
	v_or3_b32 v5, v5, v7, v6
	v_cvt_f64_f32_e32 v[5:6], v5
.LBB95_1033:
	s_or_b64 exec, exec, s[60:61]
	s_mov_b64 s[0:1], 0
	s_branch .LBB95_1037
.LBB95_1034:
	s_mov_b64 s[60:61], -1
                                        ; implicit-def: $vgpr5_vgpr6
	s_branch .LBB95_1043
.LBB95_1035:
	s_mov_b64 s[0:1], -1
                                        ; implicit-def: $vgpr5_vgpr6
	s_branch .LBB95_1040
.LBB95_1036:
	s_mov_b64 s[0:1], -1
                                        ; implicit-def: $vgpr5_vgpr6
.LBB95_1037:
	s_and_b64 vcc, exec, s[0:1]
	s_cbranch_vccz .LBB95_1039
; %bb.1038:
	global_load_ubyte v5, v[3:4], off
	s_mov_b32 s0, 0x7f800000
	s_waitcnt vmcnt(0)
	v_lshlrev_b32_e32 v5, 24, v5
	v_and_b32_e32 v6, 0x7f000000, v5
	v_ffbh_u32_e32 v7, v6
	v_min_u32_e32 v7, 32, v7
	v_sub_u32_e64 v7, v7, 4 clamp
	v_lshlrev_b32_e32 v10, v7, v6
	v_lshlrev_b32_e32 v7, 23, v7
	v_lshrrev_b32_e32 v10, 4, v10
	v_add_u32_e32 v9, 0x1000000, v6
	v_sub_u32_e32 v7, v10, v7
	v_ashrrev_i32_e32 v9, 8, v9
	v_add_u32_e32 v7, 0x3c000000, v7
	v_and_or_b32 v7, v9, s0, v7
	v_cmp_ne_u32_e32 vcc, 0, v6
	v_cndmask_b32_e32 v6, 0, v7, vcc
	s_brev_b32 s0, 1
	v_and_or_b32 v5, v5, s0, v6
	v_cvt_f64_f32_e32 v[5:6], v5
.LBB95_1039:
	s_mov_b64 s[0:1], 0
.LBB95_1040:
	s_andn2_b64 vcc, exec, s[0:1]
	s_cbranch_vccnz .LBB95_1042
; %bb.1041:
	global_load_ubyte v5, v[3:4], off
	s_movk_i32 s0, 0x7f00
	s_brev_b32 s1, 16
	s_waitcnt vmcnt(0)
	v_lshlrev_b16_e32 v6, 8, v5
	v_lshlrev_b32_e32 v5, 25, v5
	v_lshrrev_b32_e32 v7, 4, v5
	v_and_or_b32 v9, v6, s0, 0.5
	v_or_b32_e32 v7, 0x70000000, v7
	v_add_f32_e32 v9, -0.5, v9
	v_mul_f32_e32 v7, 0x7800000, v7
	v_cmp_gt_u32_e32 vcc, s1, v5
	v_bfe_i32 v6, v6, 0, 16
	v_cndmask_b32_e32 v5, v7, v9, vcc
	s_brev_b32 s0, 1
	v_and_or_b32 v5, v6, s0, v5
	v_cvt_f64_f32_e32 v[5:6], v5
.LBB95_1042:
	s_mov_b64 s[60:61], 0
	s_mov_b64 s[0:1], -1
.LBB95_1043:
	s_andn2_b64 vcc, exec, s[60:61]
	s_cbranch_vccnz .LBB95_1054
; %bb.1044:
	s_cmp_gt_i32 s65, 14
	s_cbranch_scc0 .LBB95_1047
; %bb.1045:
	s_cmp_eq_u32 s65, 15
	s_cbranch_scc0 .LBB95_1048
; %bb.1046:
	global_load_ushort v5, v[3:4], off
	s_mov_b64 s[0:1], -1
	s_mov_b64 s[58:59], 0
	s_waitcnt vmcnt(0)
	v_lshlrev_b32_e32 v5, 16, v5
	v_cvt_f64_f32_e32 v[5:6], v5
	s_branch .LBB95_1049
.LBB95_1047:
	s_mov_b64 s[60:61], -1
                                        ; implicit-def: $vgpr5_vgpr6
	s_branch .LBB95_1050
.LBB95_1048:
	s_mov_b64 s[58:59], -1
                                        ; implicit-def: $vgpr5_vgpr6
.LBB95_1049:
	s_mov_b64 s[60:61], 0
.LBB95_1050:
	s_and_b64 vcc, exec, s[60:61]
	s_cbranch_vccz .LBB95_1054
; %bb.1051:
	s_cmp_eq_u32 s65, 11
	s_cbranch_scc0 .LBB95_1053
; %bb.1052:
	global_load_ubyte v6, v[3:4], off
	v_mov_b32_e32 v7, 0x3ff00000
	v_mov_b32_e32 v5, 0
	s_mov_b64 s[0:1], -1
	s_mov_b64 s[58:59], 0
	s_waitcnt vmcnt(0)
	v_cmp_ne_u16_e32 vcc, 0, v6
	v_cndmask_b32_e32 v6, 0, v7, vcc
	s_branch .LBB95_1054
.LBB95_1053:
	s_mov_b64 s[58:59], -1
                                        ; implicit-def: $vgpr5_vgpr6
.LBB95_1054:
	s_mov_b64 s[60:61], 0
.LBB95_1055:
	s_and_b64 vcc, exec, s[60:61]
	s_cbranch_vccz .LBB95_1104
; %bb.1056:
	s_and_b32 s60, 0xffff, s64
	s_cmp_lt_i32 s60, 5
	s_cbranch_scc1 .LBB95_1061
; %bb.1057:
	s_cmp_lt_i32 s60, 8
	s_cbranch_scc1 .LBB95_1062
; %bb.1058:
	;; [unrolled: 3-line block ×3, first 2 shown]
	s_cmp_gt_i32 s60, 9
	s_cbranch_scc0 .LBB95_1064
; %bb.1060:
	global_load_dwordx2 v[5:6], v[3:4], off
	s_mov_b64 s[0:1], 0
	s_branch .LBB95_1065
.LBB95_1061:
	s_mov_b64 s[0:1], -1
                                        ; implicit-def: $vgpr5_vgpr6
	s_branch .LBB95_1083
.LBB95_1062:
	s_mov_b64 s[0:1], -1
                                        ; implicit-def: $vgpr5_vgpr6
	s_branch .LBB95_1071
.LBB95_1063:
	s_mov_b64 s[0:1], -1
                                        ; implicit-def: $vgpr5_vgpr6
	s_branch .LBB95_1068
.LBB95_1064:
	s_mov_b64 s[0:1], -1
                                        ; implicit-def: $vgpr5_vgpr6
.LBB95_1065:
	s_andn2_b64 vcc, exec, s[0:1]
	s_cbranch_vccnz .LBB95_1067
; %bb.1066:
	global_load_dword v5, v[3:4], off
	s_waitcnt vmcnt(0)
	v_cvt_f64_f32_e32 v[5:6], v5
.LBB95_1067:
	s_mov_b64 s[0:1], 0
.LBB95_1068:
	s_andn2_b64 vcc, exec, s[0:1]
	s_cbranch_vccnz .LBB95_1070
; %bb.1069:
	global_load_dword v5, v[3:4], off
	s_waitcnt vmcnt(0)
	v_cvt_f32_f16_e32 v5, v5
	v_cvt_f64_f32_e32 v[5:6], v5
.LBB95_1070:
	s_mov_b64 s[0:1], 0
.LBB95_1071:
	s_andn2_b64 vcc, exec, s[0:1]
	s_cbranch_vccnz .LBB95_1082
; %bb.1072:
	s_cmp_lt_i32 s60, 6
	s_cbranch_scc1 .LBB95_1075
; %bb.1073:
	s_cmp_gt_i32 s60, 6
	s_cbranch_scc0 .LBB95_1076
; %bb.1074:
	global_load_dwordx2 v[5:6], v[3:4], off
	s_mov_b64 s[0:1], 0
	s_branch .LBB95_1077
.LBB95_1075:
	s_mov_b64 s[0:1], -1
                                        ; implicit-def: $vgpr5_vgpr6
	s_branch .LBB95_1080
.LBB95_1076:
	s_mov_b64 s[0:1], -1
                                        ; implicit-def: $vgpr5_vgpr6
.LBB95_1077:
	s_andn2_b64 vcc, exec, s[0:1]
	s_cbranch_vccnz .LBB95_1079
; %bb.1078:
	global_load_dword v5, v[3:4], off
	s_waitcnt vmcnt(0)
	v_cvt_f64_f32_e32 v[5:6], v5
.LBB95_1079:
	s_mov_b64 s[0:1], 0
.LBB95_1080:
	s_andn2_b64 vcc, exec, s[0:1]
	s_cbranch_vccnz .LBB95_1082
; %bb.1081:
	global_load_ushort v5, v[3:4], off
	s_waitcnt vmcnt(0)
	v_cvt_f32_f16_e32 v5, v5
	v_cvt_f64_f32_e32 v[5:6], v5
.LBB95_1082:
	s_mov_b64 s[0:1], 0
.LBB95_1083:
	s_andn2_b64 vcc, exec, s[0:1]
	s_cbranch_vccnz .LBB95_1103
; %bb.1084:
	s_cmp_lt_i32 s60, 2
	s_cbranch_scc1 .LBB95_1088
; %bb.1085:
	s_cmp_lt_i32 s60, 3
	s_cbranch_scc1 .LBB95_1089
; %bb.1086:
	s_cmp_gt_i32 s60, 3
	s_cbranch_scc0 .LBB95_1090
; %bb.1087:
	global_load_dwordx2 v[5:6], v[3:4], off
	s_mov_b64 s[0:1], 0
	s_waitcnt vmcnt(0)
	v_cvt_f64_i32_e32 v[6:7], v6
	v_cvt_f64_u32_e32 v[9:10], v5
	v_ldexp_f64 v[6:7], v[6:7], 32
	v_add_f64 v[5:6], v[6:7], v[9:10]
	s_branch .LBB95_1091
.LBB95_1088:
	s_mov_b64 s[0:1], -1
                                        ; implicit-def: $vgpr5_vgpr6
	s_branch .LBB95_1097
.LBB95_1089:
	s_mov_b64 s[0:1], -1
                                        ; implicit-def: $vgpr5_vgpr6
	s_branch .LBB95_1094
.LBB95_1090:
	s_mov_b64 s[0:1], -1
                                        ; implicit-def: $vgpr5_vgpr6
.LBB95_1091:
	s_andn2_b64 vcc, exec, s[0:1]
	s_cbranch_vccnz .LBB95_1093
; %bb.1092:
	global_load_dword v5, v[3:4], off
	s_waitcnt vmcnt(0)
	v_cvt_f64_i32_e32 v[5:6], v5
.LBB95_1093:
	s_mov_b64 s[0:1], 0
.LBB95_1094:
	s_andn2_b64 vcc, exec, s[0:1]
	s_cbranch_vccnz .LBB95_1096
; %bb.1095:
	global_load_sshort v5, v[3:4], off
	s_waitcnt vmcnt(0)
	v_cvt_f64_i32_e32 v[5:6], v5
.LBB95_1096:
	s_mov_b64 s[0:1], 0
.LBB95_1097:
	s_andn2_b64 vcc, exec, s[0:1]
	s_cbranch_vccnz .LBB95_1103
; %bb.1098:
	s_cmp_gt_i32 s60, 0
	s_cbranch_scc0 .LBB95_1100
; %bb.1099:
	global_load_sbyte v5, v[3:4], off
	s_mov_b64 s[0:1], 0
	s_waitcnt vmcnt(0)
	v_cvt_f64_i32_e32 v[5:6], v5
	s_branch .LBB95_1101
.LBB95_1100:
	s_mov_b64 s[0:1], -1
                                        ; implicit-def: $vgpr5_vgpr6
.LBB95_1101:
	s_andn2_b64 vcc, exec, s[0:1]
	s_cbranch_vccnz .LBB95_1103
; %bb.1102:
	global_load_ubyte v3, v[3:4], off
	s_waitcnt vmcnt(0)
	v_cvt_f64_u32_e32 v[5:6], v3
.LBB95_1103:
	s_mov_b64 s[0:1], -1
.LBB95_1104:
	s_andn2_b64 vcc, exec, s[0:1]
	s_cbranch_vccnz .LBB95_1109
; %bb.1105:
	s_cmp_lt_i32 s14, 1
	s_mov_b64 s[0:1], 0
	s_cbranch_scc1 .LBB95_1110
; %bb.1106:
	s_cmp_gt_i32 s14, 1
	s_cbranch_scc0 .LBB95_1111
; %bb.1107:
	s_cmp_eq_u32 s14, 2
	s_cbranch_scc0 .LBB95_1112
; %bb.1108:
	s_waitcnt vmcnt(0)
	v_cmp_le_f64_e64 s[60:61], v[1:2], v[5:6]
	s_mov_b64 s[62:63], 0
	s_branch .LBB95_1113
.LBB95_1109:
	s_mov_b64 s[62:63], 0
                                        ; implicit-def: $vgpr8
	s_mov_b64 s[0:1], s[50:51]
	s_branch .LBB95_1245
.LBB95_1110:
	s_mov_b64 s[64:65], -1
                                        ; implicit-def: $sgpr60_sgpr61
	s_mov_b64 s[62:63], 0
	s_branch .LBB95_1117
.LBB95_1111:
	s_mov_b64 s[64:65], -1
	s_mov_b64 s[62:63], 0
                                        ; implicit-def: $sgpr60_sgpr61
	s_branch .LBB95_1114
.LBB95_1112:
	s_mov_b64 s[62:63], -1
                                        ; implicit-def: $sgpr60_sgpr61
.LBB95_1113:
	s_mov_b64 s[64:65], 0
.LBB95_1114:
	s_and_b64 vcc, exec, s[64:65]
	s_cbranch_vccz .LBB95_1116
; %bb.1115:
	s_waitcnt vmcnt(0)
	v_cmp_gt_f64_e32 vcc, v[1:2], v[5:6]
	s_andn2_b64 s[60:61], s[60:61], exec
	s_and_b64 s[64:65], vcc, exec
	s_or_b64 s[60:61], s[60:61], s[64:65]
.LBB95_1116:
	s_mov_b64 s[64:65], 0
.LBB95_1117:
	s_and_b64 vcc, exec, s[64:65]
	s_cbranch_vccz .LBB95_1128
; %bb.1118:
	s_cmp_lg_u32 s14, 0
	s_mov_b64 s[0:1], -1
	s_cselect_b64 s[62:63], -1, 0
	s_andn2_b64 vcc, exec, s[62:63]
	s_cbranch_vccz .LBB95_1129
.LBB95_1119:
	s_andn2_b64 vcc, exec, s[0:1]
	s_cbranch_vccnz .LBB95_1121
.LBB95_1120:
	s_waitcnt vmcnt(0)
	v_cmp_ge_f64_e32 vcc, v[1:2], v[5:6]
	s_andn2_b64 s[0:1], s[60:61], exec
	s_and_b64 s[60:61], vcc, exec
	s_or_b64 s[60:61], s[0:1], s[60:61]
.LBB95_1121:
	s_waitcnt vmcnt(0)
	v_mov_b32_e32 v1, s9
	s_and_b32 s69, s15, 0xff
	v_add_co_u32_e32 v0, vcc, s8, v0
	s_cmp_lt_i32 s69, 11
	v_addc_co_u32_e32 v1, vcc, 0, v1, vcc
	s_cbranch_scc1 .LBB95_1130
; %bb.1122:
	s_and_b32 s74, 0xffff, s69
	s_cmp_gt_i32 s74, 25
	s_cbranch_scc0 .LBB95_1131
; %bb.1123:
	s_cmp_gt_i32 s74, 28
	s_cbranch_scc0 .LBB95_1132
; %bb.1124:
	;; [unrolled: 3-line block ×4, first 2 shown]
	s_mov_b64 s[64:65], 0
	s_mov_b64 s[0:1], -1
	s_cmp_eq_u32 s74, 46
	s_mov_b64 s[62:63], 0
	s_cbranch_scc0 .LBB95_1135
; %bb.1127:
	v_cndmask_b32_e64 v2, 0, 1.0, s[60:61]
	v_bfe_u32 v3, v2, 16, 1
	s_movk_i32 s0, 0x7fff
	v_add3_u32 v2, v2, v3, s0
	v_lshrrev_b32_e32 v2, 16, v2
	global_store_dword v[0:1], v2, off
	s_mov_b64 s[62:63], -1
	s_mov_b64 s[0:1], 0
	s_branch .LBB95_1135
.LBB95_1128:
	s_andn2_b64 vcc, exec, s[62:63]
	s_cbranch_vccnz .LBB95_1119
.LBB95_1129:
	s_waitcnt vmcnt(0)
	v_cmp_lt_f64_e32 vcc, v[1:2], v[5:6]
	s_andn2_b64 s[60:61], s[60:61], exec
	s_and_b64 s[62:63], vcc, exec
	s_or_b64 s[60:61], s[60:61], s[62:63]
	s_cbranch_execz .LBB95_1120
	s_branch .LBB95_1121
.LBB95_1130:
	s_mov_b64 s[64:65], -1
	s_mov_b64 s[62:63], 0
	s_mov_b64 s[0:1], s[50:51]
	s_branch .LBB95_1204
.LBB95_1131:
	s_mov_b64 s[64:65], -1
	s_mov_b64 s[62:63], 0
	s_mov_b64 s[0:1], s[50:51]
	s_branch .LBB95_1162
.LBB95_1132:
	s_mov_b64 s[64:65], -1
	s_mov_b64 s[62:63], 0
	s_mov_b64 s[0:1], s[50:51]
	s_branch .LBB95_1145
.LBB95_1133:
	s_mov_b64 s[64:65], -1
	s_mov_b64 s[62:63], 0
	s_mov_b64 s[0:1], s[50:51]
	s_branch .LBB95_1141
.LBB95_1134:
	s_mov_b64 s[64:65], -1
	s_mov_b64 s[62:63], 0
	s_mov_b64 s[0:1], s[50:51]
.LBB95_1135:
	s_and_b64 vcc, exec, s[64:65]
	s_cbranch_vccz .LBB95_1140
; %bb.1136:
	s_cmp_eq_u32 s74, 44
	s_mov_b64 s[0:1], -1
	s_cbranch_scc0 .LBB95_1140
; %bb.1137:
	v_cndmask_b32_e64 v3, 0, 1.0, s[60:61]
	v_lshrrev_b32_e32 v2, 23, v3
	s_movk_i32 s0, 0xff
	v_cmp_ne_u32_e32 vcc, s0, v2
	v_mov_b32_e32 v4, 0xff
	s_and_saveexec_b64 s[62:63], vcc
; %bb.1138:
	s_mov_b32 s0, 0x3fffff
	v_and_b32_e32 v4, 0x400000, v3
	v_and_or_b32 v3, v3, s0, v2
	v_cmp_ne_u32_e32 vcc, 0, v4
	v_cmp_ne_u32_e64 s[0:1], 0, v3
	s_and_b64 s[0:1], vcc, s[0:1]
	v_cndmask_b32_e64 v3, 0, 1, s[0:1]
	v_add_u32_e32 v4, v2, v3
; %bb.1139:
	s_or_b64 exec, exec, s[62:63]
	s_mov_b64 s[62:63], -1
	s_mov_b64 s[0:1], 0
	global_store_byte v[0:1], v4, off
.LBB95_1140:
	s_mov_b64 s[64:65], 0
.LBB95_1141:
	s_and_b64 vcc, exec, s[64:65]
	s_cbranch_vccz .LBB95_1144
; %bb.1142:
	s_cmp_eq_u32 s74, 29
	s_mov_b64 s[0:1], -1
	s_cbranch_scc0 .LBB95_1144
; %bb.1143:
	s_mov_b32 s0, 0
	v_cndmask_b32_e64 v2, 0, 1, s[60:61]
	v_mov_b32_e32 v3, s0
	global_store_dwordx2 v[0:1], v[2:3], off
	s_mov_b64 s[62:63], -1
	s_mov_b64 s[0:1], 0
.LBB95_1144:
	s_mov_b64 s[64:65], 0
.LBB95_1145:
	s_and_b64 vcc, exec, s[64:65]
	s_cbranch_vccz .LBB95_1161
; %bb.1146:
	s_cmp_lt_i32 s74, 27
	s_mov_b64 s[62:63], -1
	s_cbranch_scc1 .LBB95_1152
; %bb.1147:
	s_cmp_gt_i32 s74, 27
	s_cbranch_scc0 .LBB95_1149
; %bb.1148:
	v_cndmask_b32_e64 v2, 0, 1, s[60:61]
	s_mov_b64 s[62:63], 0
	global_store_dword v[0:1], v2, off
.LBB95_1149:
	s_andn2_b64 vcc, exec, s[62:63]
	s_cbranch_vccnz .LBB95_1151
; %bb.1150:
	v_cndmask_b32_e64 v2, 0, 1, s[60:61]
	global_store_short v[0:1], v2, off
.LBB95_1151:
	s_mov_b64 s[62:63], 0
.LBB95_1152:
	s_andn2_b64 vcc, exec, s[62:63]
	s_cbranch_vccnz .LBB95_1160
; %bb.1153:
	v_cndmask_b32_e64 v3, 0, 1.0, s[60:61]
	s_mov_b32 s62, 0x43800000
	v_cmp_gt_u32_e32 vcc, s62, v3
	v_mov_b32_e32 v4, 0x80
	s_and_saveexec_b64 s[62:63], vcc
	s_cbranch_execz .LBB95_1159
; %bb.1154:
	s_mov_b32 s64, 0x3bffffff
	v_cmp_lt_u32_e32 vcc, s64, v3
	s_mov_b64 s[64:65], 0
                                        ; implicit-def: $vgpr2
	s_and_saveexec_b64 s[66:67], vcc
	s_xor_b64 s[66:67], exec, s[66:67]
	s_cbranch_execz .LBB95_1273
; %bb.1155:
	v_bfe_u32 v2, v3, 20, 1
	s_mov_b32 s75, 0x487ffff
	v_add3_u32 v2, v3, v2, s75
	s_mov_b64 s[64:65], exec
	v_lshrrev_b32_e32 v2, 20, v2
                                        ; implicit-def: $vgpr3
	s_andn2_saveexec_b64 s[66:67], s[66:67]
	s_cbranch_execnz .LBB95_1274
.LBB95_1156:
	s_or_b64 exec, exec, s[66:67]
	v_mov_b32_e32 v4, 0
	s_and_saveexec_b64 s[66:67], s[64:65]
.LBB95_1157:
	v_mov_b32_e32 v4, v2
.LBB95_1158:
	s_or_b64 exec, exec, s[66:67]
.LBB95_1159:
	s_or_b64 exec, exec, s[62:63]
	global_store_byte v[0:1], v4, off
.LBB95_1160:
	s_mov_b64 s[62:63], -1
.LBB95_1161:
	s_mov_b64 s[64:65], 0
.LBB95_1162:
	s_and_b64 vcc, exec, s[64:65]
	s_cbranch_vccz .LBB95_1203
; %bb.1163:
	s_cmp_gt_i32 s74, 22
	s_mov_b64 s[64:65], -1
	s_cbranch_scc0 .LBB95_1195
; %bb.1164:
	s_cmp_lt_i32 s74, 24
	s_mov_b64 s[62:63], -1
	s_cbranch_scc1 .LBB95_1184
; %bb.1165:
	s_cmp_gt_i32 s74, 24
	s_cbranch_scc0 .LBB95_1173
; %bb.1166:
	v_cndmask_b32_e64 v3, 0, 1.0, s[60:61]
	s_mov_b32 s62, 0x47800000
	v_cmp_gt_u32_e32 vcc, s62, v3
	v_mov_b32_e32 v4, 0x80
	s_and_saveexec_b64 s[62:63], vcc
	s_cbranch_execz .LBB95_1172
; %bb.1167:
	s_mov_b32 s64, 0x37ffffff
	v_cmp_lt_u32_e32 vcc, s64, v3
	s_mov_b64 s[64:65], 0
                                        ; implicit-def: $vgpr2
	s_and_saveexec_b64 s[66:67], vcc
	s_xor_b64 s[66:67], exec, s[66:67]
	s_cbranch_execz .LBB95_2388
; %bb.1168:
	v_bfe_u32 v2, v3, 21, 1
	s_mov_b32 s75, 0x88fffff
	v_add3_u32 v2, v3, v2, s75
	s_mov_b64 s[64:65], exec
	v_lshrrev_b32_e32 v2, 21, v2
                                        ; implicit-def: $vgpr3
	s_andn2_saveexec_b64 s[66:67], s[66:67]
	s_cbranch_execnz .LBB95_2389
.LBB95_1169:
	s_or_b64 exec, exec, s[66:67]
	v_mov_b32_e32 v4, 0
	s_and_saveexec_b64 s[66:67], s[64:65]
.LBB95_1170:
	v_mov_b32_e32 v4, v2
.LBB95_1171:
	s_or_b64 exec, exec, s[66:67]
.LBB95_1172:
	s_or_b64 exec, exec, s[62:63]
	s_mov_b64 s[62:63], 0
	global_store_byte v[0:1], v4, off
.LBB95_1173:
	s_and_b64 vcc, exec, s[62:63]
	s_cbranch_vccz .LBB95_1183
; %bb.1174:
	v_cndmask_b32_e64 v2, 0, 1.0, s[60:61]
	s_mov_b32 s62, 0x43f00000
	v_cmp_gt_u32_e32 vcc, s62, v2
                                        ; implicit-def: $vgpr3
	s_and_saveexec_b64 s[62:63], vcc
	s_xor_b64 s[62:63], exec, s[62:63]
	s_cbranch_execz .LBB95_1180
; %bb.1175:
	s_mov_b32 s64, 0x3c7fffff
	v_cmp_lt_u32_e32 vcc, s64, v2
                                        ; implicit-def: $vgpr3
	s_and_saveexec_b64 s[64:65], vcc
	s_xor_b64 s[64:65], exec, s[64:65]
; %bb.1176:
	v_bfe_u32 v3, v2, 20, 1
	s_mov_b32 s66, 0x407ffff
	v_add3_u32 v2, v2, v3, s66
	v_lshrrev_b32_e32 v3, 20, v2
	v_and_b32_e32 v2, 0xff00000, v2
	s_mov_b32 s66, 0x7f00000
	v_mov_b32_e32 v4, 0x7e
	v_cmp_ne_u32_e32 vcc, s66, v2
	v_cndmask_b32_e32 v3, v4, v3, vcc
                                        ; implicit-def: $vgpr2
; %bb.1177:
	s_andn2_saveexec_b64 s[64:65], s[64:65]
; %bb.1178:
	v_add_f32_e32 v3, 0x46800000, v2
; %bb.1179:
	s_or_b64 exec, exec, s[64:65]
                                        ; implicit-def: $vgpr2
.LBB95_1180:
	s_andn2_saveexec_b64 s[62:63], s[62:63]
; %bb.1181:
	s_mov_b32 s64, 0x7f800000
	v_mov_b32_e32 v3, 0x7e
	v_mov_b32_e32 v4, 0x7f
	v_cmp_lt_u32_e32 vcc, s64, v2
	v_cndmask_b32_e32 v3, v3, v4, vcc
; %bb.1182:
	s_or_b64 exec, exec, s[62:63]
	global_store_byte v[0:1], v3, off
.LBB95_1183:
	s_mov_b64 s[62:63], 0
.LBB95_1184:
	s_andn2_b64 vcc, exec, s[62:63]
	s_cbranch_vccnz .LBB95_1194
; %bb.1185:
	v_cndmask_b32_e64 v2, 0, 1.0, s[60:61]
	s_mov_b32 s62, 0x47800000
	v_cmp_gt_u32_e32 vcc, s62, v2
                                        ; implicit-def: $vgpr3
	s_and_saveexec_b64 s[62:63], vcc
	s_xor_b64 s[62:63], exec, s[62:63]
	s_cbranch_execz .LBB95_1191
; %bb.1186:
	s_mov_b32 s64, 0x387fffff
	v_cmp_lt_u32_e32 vcc, s64, v2
                                        ; implicit-def: $vgpr3
	s_and_saveexec_b64 s[64:65], vcc
	s_xor_b64 s[64:65], exec, s[64:65]
; %bb.1187:
	v_bfe_u32 v3, v2, 21, 1
	s_mov_b32 s66, 0x80fffff
	v_add3_u32 v2, v2, v3, s66
	v_lshrrev_b32_e32 v3, 21, v2
                                        ; implicit-def: $vgpr2
; %bb.1188:
	s_andn2_saveexec_b64 s[64:65], s[64:65]
; %bb.1189:
	v_add_f32_e32 v3, 0x43000000, v2
; %bb.1190:
	s_or_b64 exec, exec, s[64:65]
                                        ; implicit-def: $vgpr2
.LBB95_1191:
	s_andn2_saveexec_b64 s[62:63], s[62:63]
; %bb.1192:
	s_mov_b32 s64, 0x7f800000
	v_mov_b32_e32 v3, 0x7c
	v_mov_b32_e32 v4, 0x7f
	v_cmp_lt_u32_e32 vcc, s64, v2
	v_cndmask_b32_e32 v3, v3, v4, vcc
; %bb.1193:
	s_or_b64 exec, exec, s[62:63]
	global_store_byte v[0:1], v3, off
.LBB95_1194:
	s_mov_b64 s[64:65], 0
	s_mov_b64 s[62:63], -1
.LBB95_1195:
	s_andn2_b64 vcc, exec, s[64:65]
	s_cbranch_vccnz .LBB95_1203
; %bb.1196:
	s_cmp_gt_i32 s74, 14
	s_mov_b64 s[64:65], -1
	s_cbranch_scc0 .LBB95_1200
; %bb.1197:
	s_cmp_eq_u32 s74, 15
	s_mov_b64 s[0:1], -1
	s_cbranch_scc0 .LBB95_1199
; %bb.1198:
	v_cndmask_b32_e64 v2, 0, 1.0, s[60:61]
	v_bfe_u32 v3, v2, 16, 1
	s_movk_i32 s0, 0x7fff
	v_add3_u32 v2, v2, v3, s0
	global_store_short_d16_hi v[0:1], v2, off
	s_mov_b64 s[62:63], -1
	s_mov_b64 s[0:1], 0
.LBB95_1199:
	s_mov_b64 s[64:65], 0
.LBB95_1200:
	s_and_b64 vcc, exec, s[64:65]
	s_cbranch_vccz .LBB95_1203
; %bb.1201:
	s_cmp_eq_u32 s74, 11
	s_mov_b64 s[0:1], -1
	s_cbranch_scc0 .LBB95_1203
; %bb.1202:
	v_cndmask_b32_e64 v2, 0, 1, s[60:61]
	s_mov_b64 s[62:63], -1
	s_mov_b64 s[0:1], 0
	global_store_byte v[0:1], v2, off
.LBB95_1203:
	s_mov_b64 s[64:65], 0
.LBB95_1204:
	s_and_b64 vcc, exec, s[64:65]
	s_cbranch_vccz .LBB95_1243
; %bb.1205:
	s_and_b32 s64, 0xffff, s69
	s_cmp_lt_i32 s64, 5
	s_mov_b64 s[62:63], -1
	s_cbranch_scc1 .LBB95_1226
; %bb.1206:
	s_cmp_lt_i32 s64, 8
	s_cbranch_scc1 .LBB95_1216
; %bb.1207:
	s_cmp_lt_i32 s64, 9
	s_cbranch_scc1 .LBB95_1213
; %bb.1208:
	s_cmp_gt_i32 s64, 9
	s_cbranch_scc0 .LBB95_1210
; %bb.1209:
	v_cndmask_b32_e64 v2, 0, 1, s[60:61]
	v_cvt_f64_u32_e32 v[2:3], v2
	v_mov_b32_e32 v4, 0
	v_mov_b32_e32 v5, v4
	s_mov_b64 s[62:63], 0
	global_store_dwordx4 v[0:1], v[2:5], off
.LBB95_1210:
	s_andn2_b64 vcc, exec, s[62:63]
	s_cbranch_vccnz .LBB95_1212
; %bb.1211:
	v_cndmask_b32_e64 v2, 0, 1.0, s[60:61]
	v_mov_b32_e32 v3, 0
	global_store_dwordx2 v[0:1], v[2:3], off
.LBB95_1212:
	s_mov_b64 s[62:63], 0
.LBB95_1213:
	s_andn2_b64 vcc, exec, s[62:63]
	s_cbranch_vccnz .LBB95_1215
; %bb.1214:
	v_cndmask_b32_e64 v2, 0, 1.0, s[60:61]
	v_cvt_f16_f32_e32 v2, v2
	global_store_dword v[0:1], v2, off
.LBB95_1215:
	s_mov_b64 s[62:63], 0
.LBB95_1216:
	s_andn2_b64 vcc, exec, s[62:63]
	s_cbranch_vccnz .LBB95_1225
; %bb.1217:
	s_cmp_lt_i32 s64, 6
	s_mov_b64 s[62:63], -1
	s_cbranch_scc1 .LBB95_1223
; %bb.1218:
	s_cmp_gt_i32 s64, 6
	s_cbranch_scc0 .LBB95_1220
; %bb.1219:
	v_cndmask_b32_e64 v2, 0, 1, s[60:61]
	v_cvt_f64_u32_e32 v[2:3], v2
	s_mov_b64 s[62:63], 0
	global_store_dwordx2 v[0:1], v[2:3], off
.LBB95_1220:
	s_andn2_b64 vcc, exec, s[62:63]
	s_cbranch_vccnz .LBB95_1222
; %bb.1221:
	v_cndmask_b32_e64 v2, 0, 1.0, s[60:61]
	global_store_dword v[0:1], v2, off
.LBB95_1222:
	s_mov_b64 s[62:63], 0
.LBB95_1223:
	s_andn2_b64 vcc, exec, s[62:63]
	s_cbranch_vccnz .LBB95_1225
; %bb.1224:
	v_cndmask_b32_e64 v2, 0, 1.0, s[60:61]
	v_cvt_f16_f32_e32 v2, v2
	global_store_short v[0:1], v2, off
.LBB95_1225:
	s_mov_b64 s[62:63], 0
.LBB95_1226:
	s_andn2_b64 vcc, exec, s[62:63]
	s_cbranch_vccnz .LBB95_1242
; %bb.1227:
	s_cmp_lt_i32 s64, 2
	s_mov_b64 s[62:63], -1
	s_cbranch_scc1 .LBB95_1237
; %bb.1228:
	s_cmp_lt_i32 s64, 3
	s_cbranch_scc1 .LBB95_1234
; %bb.1229:
	s_cmp_gt_i32 s64, 3
	s_cbranch_scc0 .LBB95_1231
; %bb.1230:
	s_mov_b32 s62, 0
	v_cndmask_b32_e64 v2, 0, 1, s[60:61]
	v_mov_b32_e32 v3, s62
	s_mov_b64 s[62:63], 0
	global_store_dwordx2 v[0:1], v[2:3], off
.LBB95_1231:
	s_andn2_b64 vcc, exec, s[62:63]
	s_cbranch_vccnz .LBB95_1233
; %bb.1232:
	v_cndmask_b32_e64 v2, 0, 1, s[60:61]
	global_store_dword v[0:1], v2, off
.LBB95_1233:
	s_mov_b64 s[62:63], 0
.LBB95_1234:
	s_andn2_b64 vcc, exec, s[62:63]
	s_cbranch_vccnz .LBB95_1236
; %bb.1235:
	v_cndmask_b32_e64 v2, 0, 1, s[60:61]
	global_store_short v[0:1], v2, off
.LBB95_1236:
	s_mov_b64 s[62:63], 0
.LBB95_1237:
	s_andn2_b64 vcc, exec, s[62:63]
	s_cbranch_vccnz .LBB95_1242
; %bb.1238:
	s_mov_b64 s[62:63], -1
	s_cmp_gt_i32 s64, 0
	v_cndmask_b32_e64 v2, 0, 1, s[60:61]
	s_cbranch_scc0 .LBB95_1240
; %bb.1239:
	s_mov_b64 s[62:63], 0
	global_store_byte v[0:1], v2, off
.LBB95_1240:
	s_andn2_b64 vcc, exec, s[62:63]
	s_cbranch_vccnz .LBB95_1242
; %bb.1241:
	global_store_byte v[0:1], v2, off
.LBB95_1242:
	s_mov_b64 s[62:63], -1
.LBB95_1243:
	s_andn2_b64 vcc, exec, s[62:63]
	s_cbranch_vccnz .LBB95_1255
; %bb.1244:
	v_add_u32_e32 v8, 0x80, v8
	s_mov_b64 s[62:63], -1
.LBB95_1245:
	s_andn2_b64 s[60:61], s[50:51], exec
	s_and_b64 s[0:1], s[0:1], exec
	s_or_b64 s[60:61], s[60:61], s[0:1]
	s_andn2_b64 s[0:1], s[48:49], exec
	s_and_b64 s[58:59], s[58:59], exec
	s_or_b64 s[58:59], s[0:1], s[58:59]
	;; [unrolled: 3-line block ×3, first 2 shown]
	s_orn2_b64 s[66:67], s[62:63], exec
.LBB95_1246:
	s_or_b64 exec, exec, s[54:55]
	s_mov_b64 s[62:63], 0
	s_mov_b64 s[56:57], 0
	;; [unrolled: 1-line block ×3, first 2 shown]
                                        ; implicit-def: $sgpr74
                                        ; implicit-def: $vgpr4_vgpr5
                                        ; implicit-def: $vgpr0
                                        ; implicit-def: $vgpr3
                                        ; implicit-def: $vgpr1_vgpr2
	s_and_saveexec_b64 s[54:55], s[66:67]
	s_cbranch_execz .LBB95_1341
; %bb.1247:
	v_cmp_gt_i32_e32 vcc, s68, v8
	s_mov_b64 s[66:67], s[0:1]
	s_mov_b64 s[68:69], 0
                                        ; implicit-def: $sgpr74
                                        ; implicit-def: $vgpr4_vgpr5
                                        ; implicit-def: $vgpr0
                                        ; implicit-def: $vgpr3
                                        ; implicit-def: $vgpr1_vgpr2
	s_and_saveexec_b64 s[56:57], vcc
	s_cbranch_execz .LBB95_1340
; %bb.1248:
	s_andn2_b64 vcc, exec, s[24:25]
	s_cbranch_vccnz .LBB95_1254
; %bb.1249:
	s_andn2_b64 vcc, exec, s[36:37]
	s_cbranch_vccnz .LBB95_1256
; %bb.1250:
	s_add_i32 s36, s73, 1
	s_and_b32 s62, s36, 30
	s_add_u32 s36, s2, 0xffffffe8
	s_addc_u32 s37, s3, -1
	v_mov_b32_e32 v3, 0
	s_waitcnt vmcnt(0)
	v_mov_b32_e32 v5, 0
	v_mov_b32_e32 v0, 0
	;; [unrolled: 1-line block ×3, first 2 shown]
.LBB95_1251:                            ; =>This Inner Loop Header: Depth=1
	s_load_dwordx4 s[64:67], s[36:37], 0x1c
	s_load_dwordx2 s[68:69], s[36:37], 0x2c
	s_load_dwordx2 s[74:75], s[36:37], 0xec
	s_load_dwordx4 s[76:79], s[36:37], 0xdc
	s_add_u32 s36, s36, 24
	s_waitcnt lgkmcnt(0)
	v_mul_hi_u32 v2, s65, v1
	s_addc_u32 s37, s37, 0
	s_add_i32 s62, s62, -2
	s_cmp_eq_u32 s62, 0
	v_add_u32_e32 v2, v1, v2
	v_lshrrev_b32_e32 v2, s66, v2
	v_mul_lo_u32 v4, v2, s64
	v_mul_hi_u32 v6, s68, v2
	v_sub_u32_e32 v4, v1, v4
	v_add_u32_e32 v1, v2, v6
	v_lshrrev_b32_e32 v1, s69, v1
	v_mul_lo_u32 v9, v1, s67
	v_mul_lo_u32 v6, v4, s76
	;; [unrolled: 1-line block ×4, first 2 shown]
	v_sub_u32_e32 v2, v2, v9
	v_mul_lo_u32 v9, v2, s79
	v_mul_lo_u32 v10, v2, s74
	;; [unrolled: 1-line block ×3, first 2 shown]
	v_add3_u32 v0, v6, v0, v9
	v_add3_u32 v5, v7, v5, v10
	;; [unrolled: 1-line block ×3, first 2 shown]
	s_cbranch_scc0 .LBB95_1251
; %bb.1252:
	s_bitcmp1_b32 s73, 0
	s_cselect_b64 s[62:63], -1, 0
	s_and_b64 vcc, exec, s[62:63]
	s_cbranch_vccnz .LBB95_1257
; %bb.1253:
	s_load_dwordx2 s[62:63], s[36:37], 0x1c
	s_load_dword s66, s[36:37], 0x24
	s_load_dwordx2 s[64:65], s[36:37], 0xdc
	s_waitcnt lgkmcnt(0)
	v_mul_hi_u32 v2, s63, v1
	v_add_u32_e32 v2, v1, v2
	v_lshrrev_b32_e32 v2, s66, v2
	v_mul_lo_u32 v2, v2, s62
	s_load_dword s62, s[36:37], 0xe4
	v_sub_u32_e32 v2, v1, v2
	v_mad_u64_u32 v[0:1], s[36:37], v2, s64, v[0:1]
	v_mad_u64_u32 v[5:6], s[36:37], v2, s65, v[5:6]
	s_waitcnt lgkmcnt(0)
	v_mad_u64_u32 v[3:4], s[36:37], v2, s62, v[3:4]
	s_branch .LBB95_1257
.LBB95_1254:
	s_mov_b64 s[36:37], -1
                                        ; implicit-def: $vgpr0
                                        ; implicit-def: $vgpr5
                                        ; implicit-def: $vgpr3
	s_branch .LBB95_1258
.LBB95_1255:
	s_mov_b64 s[62:63], 0
	s_branch .LBB95_981
.LBB95_1256:
	v_mov_b32_e32 v0, 0
	s_waitcnt vmcnt(0)
	v_mov_b32_e32 v5, 0
	v_mov_b32_e32 v3, 0
.LBB95_1257:
	s_mov_b64 s[36:37], 0
.LBB95_1258:
	s_andn2_b64 vcc, exec, s[36:37]
	s_cbranch_vccnz .LBB95_1261
; %bb.1259:
	v_mul_hi_u32 v0, s17, v8
	s_andn2_b64 vcc, exec, s[34:35]
	v_add_u32_e32 v0, v8, v0
	s_waitcnt vmcnt(0)
	v_lshrrev_b32_e32 v1, s18, v0
	v_mul_lo_u32 v0, v1, s16
	v_sub_u32_e32 v2, v8, v0
	v_mul_lo_u32 v0, v2, s20
	v_mul_lo_u32 v5, v2, s21
	;; [unrolled: 1-line block ×3, first 2 shown]
	s_cbranch_vccnz .LBB95_1261
; %bb.1260:
	v_mul_hi_u32 v2, s30, v1
	v_add_u32_e32 v2, v1, v2
	v_lshrrev_b32_e32 v2, s31, v2
	v_mul_lo_u32 v2, v2, s19
	v_sub_u32_e32 v2, v1, v2
	v_mad_u64_u32 v[0:1], s[16:17], v2, s23, v[0:1]
	v_mad_u64_u32 v[5:6], s[16:17], v2, s28, v[5:6]
	;; [unrolled: 1-line block ×3, first 2 shown]
.LBB95_1261:
	s_waitcnt vmcnt(0)
	v_mov_b32_e32 v1, s11
	s_and_b32 s74, s72, 0xff
	v_add_co_u32_e32 v4, vcc, s10, v5
	s_cmp_lt_i32 s74, 11
	v_addc_co_u32_e32 v5, vcc, 0, v1, vcc
	s_cbranch_scc1 .LBB95_1268
; %bb.1262:
	s_and_b32 s28, 0xffff, s74
	s_cmp_gt_i32 s28, 25
	s_mov_b64 s[16:17], 0
	s_cbranch_scc0 .LBB95_1269
; %bb.1263:
	s_cmp_gt_i32 s28, 28
	s_cbranch_scc0 .LBB95_1270
; %bb.1264:
	s_cmp_gt_i32 s28, 43
	;; [unrolled: 3-line block ×3, first 2 shown]
	s_cbranch_scc0 .LBB95_1272
; %bb.1266:
	s_cmp_eq_u32 s28, 46
	s_mov_b64 s[20:21], 0
	s_cbranch_scc0 .LBB95_1275
; %bb.1267:
	global_load_dword v1, v[4:5], off
	s_mov_b64 s[10:11], 0
	s_mov_b64 s[18:19], -1
	s_waitcnt vmcnt(0)
	v_lshlrev_b32_e32 v1, 16, v1
	v_cvt_f64_f32_e32 v[1:2], v1
	s_branch .LBB95_1276
.LBB95_1268:
	s_mov_b64 s[20:21], -1
	s_mov_b64 s[18:19], 0
	s_mov_b64 s[16:17], 0
	;; [unrolled: 1-line block ×3, first 2 shown]
                                        ; implicit-def: $vgpr1_vgpr2
	s_branch .LBB95_1339
.LBB95_1269:
	s_mov_b64 s[20:21], -1
	s_mov_b64 s[18:19], 0
	s_mov_b64 s[10:11], s[0:1]
                                        ; implicit-def: $vgpr1_vgpr2
	s_branch .LBB95_1307
.LBB95_1270:
	s_mov_b64 s[20:21], -1
	s_mov_b64 s[18:19], 0
	s_mov_b64 s[10:11], s[0:1]
                                        ; implicit-def: $vgpr1_vgpr2
	s_branch .LBB95_1286
.LBB95_1271:
	s_mov_b64 s[20:21], -1
	s_mov_b64 s[18:19], 0
	s_mov_b64 s[10:11], s[0:1]
                                        ; implicit-def: $vgpr1_vgpr2
	s_branch .LBB95_1281
.LBB95_1272:
	s_mov_b64 s[20:21], -1
	s_mov_b64 s[18:19], 0
	s_mov_b64 s[10:11], s[0:1]
                                        ; implicit-def: $vgpr1_vgpr2
	s_branch .LBB95_1276
.LBB95_1273:
	s_andn2_saveexec_b64 s[66:67], s[66:67]
	s_cbranch_execz .LBB95_1156
.LBB95_1274:
	v_add_f32_e32 v2, 0x46000000, v3
	v_and_b32_e32 v2, 0xff, v2
	v_cmp_ne_u32_e32 vcc, 0, v2
	s_andn2_b64 s[64:65], s[64:65], exec
	s_and_b64 s[76:77], vcc, exec
	s_or_b64 s[64:65], s[64:65], s[76:77]
	s_or_b64 exec, exec, s[66:67]
	v_mov_b32_e32 v4, 0
	s_and_saveexec_b64 s[66:67], s[64:65]
	s_cbranch_execnz .LBB95_1157
	s_branch .LBB95_1158
.LBB95_1275:
	s_mov_b64 s[10:11], -1
                                        ; implicit-def: $vgpr1_vgpr2
	s_mov_b64 s[18:19], 0
.LBB95_1276:
	s_and_b64 vcc, exec, s[20:21]
	s_cbranch_vccz .LBB95_1280
; %bb.1277:
	s_cmp_eq_u32 s28, 44
	s_cbranch_scc0 .LBB95_1279
; %bb.1278:
	global_load_ubyte v6, v[4:5], off
	s_movk_i32 s18, 0xff
	v_bfrev_b32_e32 v7, 4
	v_mov_b32_e32 v8, 0x7ff80000
	v_bfrev_b32_e32 v9, 28
	s_mov_b64 s[10:11], 0
	s_waitcnt vmcnt(0)
	v_lshlrev_b32_e32 v1, 23, v6
	v_cvt_f64_f32_e32 v[1:2], v1
	v_cmp_ne_u32_e32 vcc, s18, v6
	s_mov_b64 s[18:19], -1
	v_cndmask_b32_e32 v1, v7, v1, vcc
	v_cndmask_b32_e32 v2, v8, v2, vcc
	v_cmp_ne_u32_e32 vcc, 0, v6
	v_cndmask_b32_e32 v2, v9, v2, vcc
	v_cndmask_b32_e32 v1, 0, v1, vcc
	s_branch .LBB95_1280
.LBB95_1279:
	s_mov_b64 s[10:11], -1
                                        ; implicit-def: $vgpr1_vgpr2
.LBB95_1280:
	s_mov_b64 s[20:21], 0
.LBB95_1281:
	s_and_b64 vcc, exec, s[20:21]
	s_cbranch_vccz .LBB95_1285
; %bb.1282:
	s_cmp_eq_u32 s28, 29
	s_cbranch_scc0 .LBB95_1284
; %bb.1283:
	global_load_dwordx2 v[1:2], v[4:5], off
	s_mov_b64 s[10:11], 0
	s_mov_b64 s[18:19], -1
	s_mov_b64 s[20:21], 0
	s_waitcnt vmcnt(0)
	v_cvt_f64_u32_e32 v[6:7], v2
	v_cvt_f64_u32_e32 v[1:2], v1
	v_ldexp_f64 v[6:7], v[6:7], 32
	v_add_f64 v[1:2], v[6:7], v[1:2]
	s_branch .LBB95_1286
.LBB95_1284:
	s_mov_b64 s[10:11], -1
                                        ; implicit-def: $vgpr1_vgpr2
.LBB95_1285:
	s_mov_b64 s[20:21], 0
.LBB95_1286:
	s_and_b64 vcc, exec, s[20:21]
	s_cbranch_vccz .LBB95_1306
; %bb.1287:
	s_cmp_lt_i32 s28, 27
	s_cbranch_scc1 .LBB95_1290
; %bb.1288:
	s_cmp_gt_i32 s28, 27
	s_cbranch_scc0 .LBB95_1291
; %bb.1289:
	global_load_dword v1, v[4:5], off
	s_mov_b64 s[18:19], 0
	s_waitcnt vmcnt(0)
	v_cvt_f64_u32_e32 v[1:2], v1
	s_branch .LBB95_1292
.LBB95_1290:
	s_mov_b64 s[18:19], -1
                                        ; implicit-def: $vgpr1_vgpr2
	s_branch .LBB95_1295
.LBB95_1291:
	s_mov_b64 s[18:19], -1
                                        ; implicit-def: $vgpr1_vgpr2
.LBB95_1292:
	s_andn2_b64 vcc, exec, s[18:19]
	s_cbranch_vccnz .LBB95_1294
; %bb.1293:
	global_load_ushort v1, v[4:5], off
	s_waitcnt vmcnt(0)
	v_cvt_f64_u32_e32 v[1:2], v1
.LBB95_1294:
	s_mov_b64 s[18:19], 0
.LBB95_1295:
	s_andn2_b64 vcc, exec, s[18:19]
	s_cbranch_vccnz .LBB95_1305
; %bb.1296:
	global_load_ubyte v6, v[4:5], off
	s_movk_i32 s18, 0x7f
	s_waitcnt vmcnt(0)
	v_cmp_lt_i16_e32 vcc, s18, v6
	s_mov_b64 s[18:19], 0
	s_and_saveexec_b64 s[20:21], vcc
	s_xor_b64 s[20:21], exec, s[20:21]
	s_cbranch_execz .LBB95_1300
; %bb.1297:
	s_movk_i32 s18, 0x80
	v_cmp_eq_u16_e32 vcc, s18, v6
	s_mov_b64 s[18:19], -1
	s_and_saveexec_b64 s[22:23], vcc
; %bb.1298:
	s_xor_b64 s[18:19], exec, -1
; %bb.1299:
	s_or_b64 exec, exec, s[22:23]
	s_and_b64 s[18:19], s[18:19], exec
.LBB95_1300:
	s_or_saveexec_b64 s[20:21], s[20:21]
	v_bfrev_b32_e32 v1, 4
	v_mov_b32_e32 v2, 0x7ff80000
	s_xor_b64 exec, exec, s[20:21]
; %bb.1301:
	v_cmp_ne_u16_e32 vcc, 0, v6
	v_mov_b32_e32 v1, 0
	s_andn2_b64 s[18:19], s[18:19], exec
	s_and_b64 s[22:23], vcc, exec
	v_mov_b32_e32 v2, 0
	s_or_b64 s[18:19], s[18:19], s[22:23]
; %bb.1302:
	s_or_b64 exec, exec, s[20:21]
	s_and_saveexec_b64 s[20:21], s[18:19]
	s_cbranch_execz .LBB95_1304
; %bb.1303:
	v_and_b32_e32 v2, 0xffff, v6
	v_lshlrev_b32_e32 v1, 24, v6
	v_and_b32_e32 v6, 7, v2
	v_ffbh_u32_e32 v8, v6
	v_min_u32_e32 v8, 32, v8
	v_subrev_u32_e32 v9, 28, v8
	v_bfe_u32 v7, v2, 3, 4
	v_lshlrev_b32_e32 v2, v9, v2
	v_sub_u32_e32 v8, 29, v8
	v_and_b32_e32 v2, 7, v2
	v_cmp_eq_u32_e32 vcc, 0, v7
	v_cndmask_b32_e32 v7, v7, v8, vcc
	v_cndmask_b32_e32 v2, v6, v2, vcc
	v_mov_b32_e32 v6, 0x3b800000
	v_lshlrev_b32_e32 v2, 20, v2
	v_and_b32_e32 v1, 0x80000000, v1
	v_lshl_add_u32 v6, v7, 23, v6
	v_or3_b32 v1, v1, v6, v2
	v_cvt_f64_f32_e32 v[1:2], v1
.LBB95_1304:
	s_or_b64 exec, exec, s[20:21]
.LBB95_1305:
	s_mov_b64 s[18:19], -1
.LBB95_1306:
	s_mov_b64 s[20:21], 0
.LBB95_1307:
	s_and_b64 vcc, exec, s[20:21]
	s_cbranch_vccz .LBB95_1338
; %bb.1308:
	s_cmp_gt_i32 s28, 22
	s_cbranch_scc0 .LBB95_1320
; %bb.1309:
	s_cmp_lt_i32 s28, 24
	s_cbranch_scc1 .LBB95_1321
; %bb.1310:
	s_cmp_gt_i32 s28, 24
	s_cbranch_scc0 .LBB95_1322
; %bb.1311:
	global_load_ubyte v6, v[4:5], off
	s_movk_i32 s16, 0x7f
	s_waitcnt vmcnt(0)
	v_cmp_lt_i16_e32 vcc, s16, v6
	s_mov_b64 s[16:17], 0
	s_and_saveexec_b64 s[18:19], vcc
	s_xor_b64 s[18:19], exec, s[18:19]
	s_cbranch_execz .LBB95_1315
; %bb.1312:
	s_movk_i32 s16, 0x80
	v_cmp_eq_u16_e32 vcc, s16, v6
	s_mov_b64 s[16:17], -1
	s_and_saveexec_b64 s[20:21], vcc
; %bb.1313:
	s_xor_b64 s[16:17], exec, -1
; %bb.1314:
	s_or_b64 exec, exec, s[20:21]
	s_and_b64 s[16:17], s[16:17], exec
.LBB95_1315:
	s_or_saveexec_b64 s[18:19], s[18:19]
	v_bfrev_b32_e32 v1, 4
	v_mov_b32_e32 v2, 0x7ff80000
	s_xor_b64 exec, exec, s[18:19]
; %bb.1316:
	v_cmp_ne_u16_e32 vcc, 0, v6
	v_mov_b32_e32 v1, 0
	s_andn2_b64 s[16:17], s[16:17], exec
	s_and_b64 s[20:21], vcc, exec
	v_mov_b32_e32 v2, 0
	s_or_b64 s[16:17], s[16:17], s[20:21]
; %bb.1317:
	s_or_b64 exec, exec, s[18:19]
	s_and_saveexec_b64 s[18:19], s[16:17]
	s_cbranch_execz .LBB95_1319
; %bb.1318:
	v_and_b32_e32 v2, 0xffff, v6
	v_lshlrev_b32_e32 v1, 24, v6
	v_and_b32_e32 v6, 3, v2
	v_ffbh_u32_e32 v8, v6
	v_min_u32_e32 v8, 32, v8
	v_subrev_u32_e32 v9, 29, v8
	v_bfe_u32 v7, v2, 2, 5
	v_lshlrev_b32_e32 v2, v9, v2
	v_sub_u32_e32 v8, 30, v8
	v_and_b32_e32 v2, 3, v2
	v_cmp_eq_u32_e32 vcc, 0, v7
	v_cndmask_b32_e32 v7, v7, v8, vcc
	v_cndmask_b32_e32 v2, v6, v2, vcc
	v_mov_b32_e32 v6, 0x37800000
	v_lshlrev_b32_e32 v2, 21, v2
	v_and_b32_e32 v1, 0x80000000, v1
	v_lshl_add_u32 v6, v7, 23, v6
	v_or3_b32 v1, v1, v6, v2
	v_cvt_f64_f32_e32 v[1:2], v1
.LBB95_1319:
	s_or_b64 exec, exec, s[18:19]
	s_mov_b64 s[16:17], 0
	s_branch .LBB95_1323
.LBB95_1320:
	s_mov_b64 s[16:17], -1
                                        ; implicit-def: $vgpr1_vgpr2
	s_branch .LBB95_1329
.LBB95_1321:
	s_mov_b64 s[16:17], -1
                                        ; implicit-def: $vgpr1_vgpr2
	s_branch .LBB95_1326
.LBB95_1322:
	s_mov_b64 s[16:17], -1
                                        ; implicit-def: $vgpr1_vgpr2
.LBB95_1323:
	s_and_b64 vcc, exec, s[16:17]
	s_cbranch_vccz .LBB95_1325
; %bb.1324:
	global_load_ubyte v1, v[4:5], off
	s_mov_b32 s16, 0x7f800000
	s_waitcnt vmcnt(0)
	v_lshlrev_b32_e32 v1, 24, v1
	v_and_b32_e32 v2, 0x7f000000, v1
	v_ffbh_u32_e32 v6, v2
	v_min_u32_e32 v6, 32, v6
	v_sub_u32_e64 v6, v6, 4 clamp
	v_lshlrev_b32_e32 v8, v6, v2
	v_lshlrev_b32_e32 v6, 23, v6
	v_lshrrev_b32_e32 v8, 4, v8
	v_add_u32_e32 v7, 0x1000000, v2
	v_sub_u32_e32 v6, v8, v6
	v_ashrrev_i32_e32 v7, 8, v7
	v_add_u32_e32 v6, 0x3c000000, v6
	v_and_or_b32 v6, v7, s16, v6
	v_cmp_ne_u32_e32 vcc, 0, v2
	v_cndmask_b32_e32 v2, 0, v6, vcc
	s_brev_b32 s16, 1
	v_and_or_b32 v1, v1, s16, v2
	v_cvt_f64_f32_e32 v[1:2], v1
.LBB95_1325:
	s_mov_b64 s[16:17], 0
.LBB95_1326:
	s_andn2_b64 vcc, exec, s[16:17]
	s_cbranch_vccnz .LBB95_1328
; %bb.1327:
	global_load_ubyte v1, v[4:5], off
	s_movk_i32 s16, 0x7f00
	s_brev_b32 s17, 16
	s_waitcnt vmcnt(0)
	v_lshlrev_b16_e32 v2, 8, v1
	v_lshlrev_b32_e32 v1, 25, v1
	v_lshrrev_b32_e32 v6, 4, v1
	v_and_or_b32 v7, v2, s16, 0.5
	v_or_b32_e32 v6, 0x70000000, v6
	v_add_f32_e32 v7, -0.5, v7
	v_mul_f32_e32 v6, 0x7800000, v6
	v_cmp_gt_u32_e32 vcc, s17, v1
	v_bfe_i32 v2, v2, 0, 16
	v_cndmask_b32_e32 v1, v6, v7, vcc
	s_brev_b32 s16, 1
	v_and_or_b32 v1, v2, s16, v1
	v_cvt_f64_f32_e32 v[1:2], v1
.LBB95_1328:
	s_mov_b64 s[16:17], 0
	s_mov_b64 s[18:19], -1
.LBB95_1329:
	s_andn2_b64 vcc, exec, s[16:17]
	s_mov_b64 s[16:17], 0
	s_cbranch_vccnz .LBB95_1338
; %bb.1330:
	s_cmp_gt_i32 s28, 14
	s_cbranch_scc0 .LBB95_1333
; %bb.1331:
	s_cmp_eq_u32 s28, 15
	s_cbranch_scc0 .LBB95_1334
; %bb.1332:
	global_load_ushort v1, v[4:5], off
	s_mov_b64 s[10:11], 0
	s_mov_b64 s[18:19], -1
	s_waitcnt vmcnt(0)
	v_lshlrev_b32_e32 v1, 16, v1
	v_cvt_f64_f32_e32 v[1:2], v1
	s_branch .LBB95_1335
.LBB95_1333:
	s_mov_b64 s[20:21], -1
                                        ; implicit-def: $vgpr1_vgpr2
	s_branch .LBB95_1336
.LBB95_1334:
	s_mov_b64 s[10:11], -1
                                        ; implicit-def: $vgpr1_vgpr2
.LBB95_1335:
	s_mov_b64 s[20:21], 0
.LBB95_1336:
	s_and_b64 vcc, exec, s[20:21]
	s_cbranch_vccz .LBB95_1338
; %bb.1337:
	s_cmp_lg_u32 s28, 11
	s_cselect_b64 s[20:21], -1, 0
	s_andn2_b64 s[10:11], s[10:11], exec
	s_and_b64 s[20:21], s[20:21], exec
	s_mov_b64 s[16:17], -1
	s_or_b64 s[10:11], s[10:11], s[20:21]
.LBB95_1338:
	s_mov_b64 s[20:21], 0
.LBB95_1339:
	s_and_b64 s[62:63], s[16:17], exec
	s_andn2_b64 s[16:17], s[0:1], exec
	s_and_b64 s[10:11], s[10:11], exec
	s_and_b64 s[64:65], s[18:19], exec
	;; [unrolled: 1-line block ×3, first 2 shown]
	s_or_b64 s[66:67], s[16:17], s[10:11]
.LBB95_1340:
	s_or_b64 exec, exec, s[56:57]
	s_andn2_b64 s[0:1], s[0:1], exec
	s_and_b64 s[10:11], s[66:67], exec
	s_and_b64 s[64:65], s[64:65], exec
	;; [unrolled: 1-line block ×4, first 2 shown]
	s_or_b64 s[0:1], s[0:1], s[10:11]
.LBB95_1341:
	s_or_b64 exec, exec, s[54:55]
	s_andn2_b64 s[10:11], s[50:51], exec
	s_and_b64 s[16:17], s[60:61], exec
	s_or_b64 s[50:51], s[10:11], s[16:17]
	s_andn2_b64 s[10:11], s[48:49], exec
	s_and_b64 s[16:17], s[58:59], exec
	s_or_b64 s[48:49], s[10:11], s[16:17]
	s_andn2_b64 s[10:11], s[46:47], exec
	s_and_b64 s[0:1], s[0:1], exec
	s_and_b64 s[58:59], s[64:65], exec
	;; [unrolled: 1-line block ×4, first 2 shown]
	s_or_b64 s[46:47], s[10:11], s[0:1]
.LBB95_1342:
	s_or_b64 exec, exec, s[52:53]
	s_andn2_b64 s[0:1], s[38:39], exec
	s_and_b64 s[10:11], s[50:51], exec
	s_or_b64 s[38:39], s[0:1], s[10:11]
	s_andn2_b64 s[0:1], s[40:41], exec
	s_and_b64 s[10:11], s[48:49], exec
	s_or_b64 s[40:41], s[0:1], s[10:11]
	s_andn2_b64 s[0:1], s[42:43], exec
	s_and_b64 s[10:11], s[46:47], exec
	s_and_b64 s[50:51], s[58:59], exec
	;; [unrolled: 1-line block ×4, first 2 shown]
	s_or_b64 s[42:43], s[0:1], s[10:11]
	s_or_b64 exec, exec, s[44:45]
	s_mov_b64 s[10:11], 0
	s_and_saveexec_b64 s[0:1], s[42:43]
	s_cbranch_execz .LBB95_419
.LBB95_1343:
	s_mov_b64 s[10:11], exec
	s_andn2_b64 s[48:49], s[48:49], exec
	s_trap 2
	s_or_b64 exec, exec, s[0:1]
	s_and_saveexec_b64 s[0:1], s[48:49]
	s_xor_b64 s[0:1], exec, s[0:1]
	s_cbranch_execnz .LBB95_420
.LBB95_1344:
	s_or_b64 exec, exec, s[0:1]
	s_and_saveexec_b64 s[0:1], s[52:53]
	s_cbranch_execz .LBB95_1390
.LBB95_1345:
	s_sext_i32_i16 s16, s74
	s_cmp_lt_i32 s16, 5
	s_cbranch_scc1 .LBB95_1350
; %bb.1346:
	s_cmp_lt_i32 s16, 8
	s_cbranch_scc1 .LBB95_1351
; %bb.1347:
	;; [unrolled: 3-line block ×3, first 2 shown]
	s_cmp_gt_i32 s16, 9
	s_cbranch_scc0 .LBB95_1353
; %bb.1349:
	s_waitcnt vmcnt(0)
	global_load_dwordx2 v[1:2], v[4:5], off
	s_mov_b64 s[16:17], 0
	s_branch .LBB95_1354
.LBB95_1350:
                                        ; implicit-def: $vgpr1_vgpr2
	s_branch .LBB95_1371
.LBB95_1351:
                                        ; implicit-def: $vgpr1_vgpr2
	s_branch .LBB95_1360
.LBB95_1352:
	s_mov_b64 s[16:17], -1
                                        ; implicit-def: $vgpr1_vgpr2
	s_branch .LBB95_1357
.LBB95_1353:
	s_mov_b64 s[16:17], -1
                                        ; implicit-def: $vgpr1_vgpr2
.LBB95_1354:
	s_andn2_b64 vcc, exec, s[16:17]
	s_cbranch_vccnz .LBB95_1356
; %bb.1355:
	s_waitcnt vmcnt(0)
	global_load_dword v1, v[4:5], off
	s_waitcnt vmcnt(0)
	v_cvt_f64_f32_e32 v[1:2], v1
.LBB95_1356:
	s_mov_b64 s[16:17], 0
.LBB95_1357:
	s_andn2_b64 vcc, exec, s[16:17]
	s_cbranch_vccnz .LBB95_1359
; %bb.1358:
	s_waitcnt vmcnt(0)
	global_load_dword v1, v[4:5], off
	s_waitcnt vmcnt(0)
	v_cvt_f32_f16_e32 v1, v1
	v_cvt_f64_f32_e32 v[1:2], v1
.LBB95_1359:
	s_cbranch_execnz .LBB95_1370
.LBB95_1360:
	s_sext_i32_i16 s16, s74
	s_cmp_lt_i32 s16, 6
	s_cbranch_scc1 .LBB95_1363
; %bb.1361:
	s_cmp_gt_i32 s16, 6
	s_cbranch_scc0 .LBB95_1364
; %bb.1362:
	s_waitcnt vmcnt(0)
	global_load_dwordx2 v[1:2], v[4:5], off
	s_mov_b64 s[16:17], 0
	s_branch .LBB95_1365
.LBB95_1363:
	s_mov_b64 s[16:17], -1
                                        ; implicit-def: $vgpr1_vgpr2
	s_branch .LBB95_1368
.LBB95_1364:
	s_mov_b64 s[16:17], -1
                                        ; implicit-def: $vgpr1_vgpr2
.LBB95_1365:
	s_andn2_b64 vcc, exec, s[16:17]
	s_cbranch_vccnz .LBB95_1367
; %bb.1366:
	s_waitcnt vmcnt(0)
	global_load_dword v1, v[4:5], off
	s_waitcnt vmcnt(0)
	v_cvt_f64_f32_e32 v[1:2], v1
.LBB95_1367:
	s_mov_b64 s[16:17], 0
.LBB95_1368:
	s_andn2_b64 vcc, exec, s[16:17]
	s_cbranch_vccnz .LBB95_1370
; %bb.1369:
	s_waitcnt vmcnt(0)
	global_load_ushort v1, v[4:5], off
	s_waitcnt vmcnt(0)
	v_cvt_f32_f16_e32 v1, v1
	v_cvt_f64_f32_e32 v[1:2], v1
.LBB95_1370:
	s_cbranch_execnz .LBB95_1389
.LBB95_1371:
	s_sext_i32_i16 s16, s74
	s_cmp_lt_i32 s16, 2
	s_cbranch_scc1 .LBB95_1375
; %bb.1372:
	s_cmp_lt_i32 s16, 3
	s_cbranch_scc1 .LBB95_1376
; %bb.1373:
	s_cmp_gt_i32 s16, 3
	s_cbranch_scc0 .LBB95_1377
; %bb.1374:
	s_waitcnt vmcnt(0)
	global_load_dwordx2 v[1:2], v[4:5], off
	s_mov_b64 s[16:17], 0
	s_waitcnt vmcnt(0)
	v_cvt_f64_i32_e32 v[6:7], v2
	v_cvt_f64_u32_e32 v[1:2], v1
	v_ldexp_f64 v[6:7], v[6:7], 32
	v_add_f64 v[1:2], v[6:7], v[1:2]
	s_branch .LBB95_1378
.LBB95_1375:
                                        ; implicit-def: $vgpr1_vgpr2
	s_branch .LBB95_1384
.LBB95_1376:
	s_mov_b64 s[16:17], -1
                                        ; implicit-def: $vgpr1_vgpr2
	s_branch .LBB95_1381
.LBB95_1377:
	s_mov_b64 s[16:17], -1
                                        ; implicit-def: $vgpr1_vgpr2
.LBB95_1378:
	s_andn2_b64 vcc, exec, s[16:17]
	s_cbranch_vccnz .LBB95_1380
; %bb.1379:
	s_waitcnt vmcnt(0)
	global_load_dword v1, v[4:5], off
	s_waitcnt vmcnt(0)
	v_cvt_f64_i32_e32 v[1:2], v1
.LBB95_1380:
	s_mov_b64 s[16:17], 0
.LBB95_1381:
	s_andn2_b64 vcc, exec, s[16:17]
	s_cbranch_vccnz .LBB95_1383
; %bb.1382:
	s_waitcnt vmcnt(0)
	global_load_sshort v1, v[4:5], off
	s_waitcnt vmcnt(0)
	v_cvt_f64_i32_e32 v[1:2], v1
.LBB95_1383:
	s_cbranch_execnz .LBB95_1389
.LBB95_1384:
	s_sext_i32_i16 s16, s74
	s_cmp_gt_i32 s16, 0
	s_cbranch_scc0 .LBB95_1386
; %bb.1385:
	s_waitcnt vmcnt(0)
	global_load_sbyte v1, v[4:5], off
	s_mov_b64 s[16:17], 0
	s_waitcnt vmcnt(0)
	v_cvt_f64_i32_e32 v[1:2], v1
	s_branch .LBB95_1387
.LBB95_1386:
	s_mov_b64 s[16:17], -1
                                        ; implicit-def: $vgpr1_vgpr2
.LBB95_1387:
	s_andn2_b64 vcc, exec, s[16:17]
	s_cbranch_vccnz .LBB95_1389
; %bb.1388:
	s_waitcnt vmcnt(0)
	global_load_ubyte v1, v[4:5], off
	s_waitcnt vmcnt(0)
	v_cvt_f64_u32_e32 v[1:2], v1
.LBB95_1389:
	s_or_b64 s[50:51], s[50:51], exec
.LBB95_1390:
	s_or_b64 exec, exec, s[0:1]
	s_mov_b64 s[16:17], 0
	s_mov_b64 s[20:21], 0
	;; [unrolled: 1-line block ×3, first 2 shown]
                                        ; implicit-def: $sgpr28
                                        ; implicit-def: $vgpr4_vgpr5
                                        ; implicit-def: $vgpr6_vgpr7
	s_and_saveexec_b64 s[0:1], s[50:51]
	s_cbranch_execz .LBB95_1398
; %bb.1391:
	s_waitcnt vmcnt(0)
	v_mov_b32_e32 v5, s13
	s_and_b32 s28, s71, 0xff
	v_add_co_u32_e32 v4, vcc, s12, v3
	s_cmp_lt_i32 s28, 11
	v_addc_co_u32_e32 v5, vcc, 0, v5, vcc
	s_cbranch_scc1 .LBB95_1401
; %bb.1392:
	s_and_b32 s29, 0xffff, s28
	s_cmp_gt_i32 s29, 25
	s_cbranch_scc0 .LBB95_1402
; %bb.1393:
	s_cmp_gt_i32 s29, 28
	s_cbranch_scc0 .LBB95_1403
; %bb.1394:
	;; [unrolled: 3-line block ×4, first 2 shown]
	s_cmp_eq_u32 s29, 46
	s_cbranch_scc0 .LBB95_1406
; %bb.1397:
	global_load_dword v3, v[4:5], off
	s_mov_b64 s[12:13], 0
	s_mov_b64 s[18:19], -1
	s_waitcnt vmcnt(0)
	v_lshlrev_b32_e32 v3, 16, v3
	v_cvt_f64_f32_e32 v[6:7], v3
	s_branch .LBB95_1408
.LBB95_1398:
	s_or_b64 exec, exec, s[0:1]
	s_and_saveexec_b64 s[0:1], s[40:41]
	s_cbranch_execnz .LBB95_1471
.LBB95_1399:
	s_or_b64 exec, exec, s[0:1]
	s_and_saveexec_b64 s[0:1], s[16:17]
	s_xor_b64 s[0:1], exec, s[0:1]
	s_cbranch_execz .LBB95_1472
.LBB95_1400:
	s_waitcnt vmcnt(0)
	global_load_ubyte v3, v[4:5], off
	v_mov_b32_e32 v7, 0x3ff00000
	v_mov_b32_e32 v6, 0
	s_or_b64 s[18:19], s[18:19], exec
	s_waitcnt vmcnt(0)
	v_cmp_ne_u16_e32 vcc, 0, v3
	v_cndmask_b32_e32 v7, 0, v7, vcc
	s_or_b64 exec, exec, s[0:1]
	s_and_saveexec_b64 s[0:1], s[20:21]
	s_cbranch_execz .LBB95_1518
	s_branch .LBB95_1473
.LBB95_1401:
	s_mov_b64 s[20:21], -1
                                        ; implicit-def: $vgpr6_vgpr7
	s_mov_b64 s[12:13], s[40:41]
	s_branch .LBB95_1470
.LBB95_1402:
	s_mov_b64 s[12:13], s[40:41]
                                        ; implicit-def: $vgpr6_vgpr7
	s_cbranch_execnz .LBB95_1439
	s_branch .LBB95_1469
.LBB95_1403:
	s_mov_b64 s[20:21], -1
	s_mov_b64 s[12:13], s[40:41]
                                        ; implicit-def: $vgpr6_vgpr7
	s_branch .LBB95_1418
.LBB95_1404:
	s_mov_b64 s[20:21], -1
	s_mov_b64 s[12:13], s[40:41]
                                        ; implicit-def: $vgpr6_vgpr7
	s_branch .LBB95_1413
.LBB95_1405:
	s_mov_b64 s[20:21], -1
	s_mov_b64 s[12:13], s[40:41]
	s_branch .LBB95_1407
.LBB95_1406:
	s_mov_b64 s[12:13], -1
.LBB95_1407:
                                        ; implicit-def: $vgpr6_vgpr7
.LBB95_1408:
	s_and_b64 vcc, exec, s[20:21]
	s_cbranch_vccz .LBB95_1412
; %bb.1409:
	s_cmp_eq_u32 s29, 44
	s_cbranch_scc0 .LBB95_1411
; %bb.1410:
	global_load_ubyte v3, v[4:5], off
	s_movk_i32 s18, 0xff
	v_bfrev_b32_e32 v8, 4
	v_mov_b32_e32 v9, 0x7ff80000
	v_bfrev_b32_e32 v10, 28
	s_mov_b64 s[12:13], 0
	s_waitcnt vmcnt(0)
	v_lshlrev_b32_e32 v6, 23, v3
	v_cvt_f64_f32_e32 v[6:7], v6
	v_cmp_ne_u32_e32 vcc, s18, v3
	s_mov_b64 s[18:19], -1
	v_cndmask_b32_e32 v6, v8, v6, vcc
	v_cndmask_b32_e32 v7, v9, v7, vcc
	v_cmp_ne_u32_e32 vcc, 0, v3
	v_cndmask_b32_e32 v7, v10, v7, vcc
	v_cndmask_b32_e32 v6, 0, v6, vcc
	s_branch .LBB95_1412
.LBB95_1411:
	s_mov_b64 s[12:13], -1
                                        ; implicit-def: $vgpr6_vgpr7
.LBB95_1412:
	s_mov_b64 s[20:21], 0
.LBB95_1413:
	s_and_b64 vcc, exec, s[20:21]
	s_cbranch_vccz .LBB95_1417
; %bb.1414:
	s_cmp_eq_u32 s29, 29
	s_cbranch_scc0 .LBB95_1416
; %bb.1415:
	global_load_dwordx2 v[6:7], v[4:5], off
	s_mov_b64 s[12:13], 0
	s_mov_b64 s[18:19], -1
	s_mov_b64 s[20:21], 0
	s_waitcnt vmcnt(0)
	v_cvt_f64_u32_e32 v[7:8], v7
	v_cvt_f64_u32_e32 v[9:10], v6
	v_ldexp_f64 v[7:8], v[7:8], 32
	v_add_f64 v[6:7], v[7:8], v[9:10]
	s_branch .LBB95_1418
.LBB95_1416:
	s_mov_b64 s[12:13], -1
                                        ; implicit-def: $vgpr6_vgpr7
.LBB95_1417:
	s_mov_b64 s[20:21], 0
.LBB95_1418:
	s_and_b64 vcc, exec, s[20:21]
	s_cbranch_vccz .LBB95_1438
; %bb.1419:
	s_cmp_lt_i32 s29, 27
	s_cbranch_scc1 .LBB95_1422
; %bb.1420:
	s_cmp_gt_i32 s29, 27
	s_cbranch_scc0 .LBB95_1423
; %bb.1421:
	global_load_dword v3, v[4:5], off
	s_mov_b64 s[18:19], 0
	s_waitcnt vmcnt(0)
	v_cvt_f64_u32_e32 v[6:7], v3
	s_branch .LBB95_1424
.LBB95_1422:
	s_mov_b64 s[18:19], -1
                                        ; implicit-def: $vgpr6_vgpr7
	s_branch .LBB95_1427
.LBB95_1423:
	s_mov_b64 s[18:19], -1
                                        ; implicit-def: $vgpr6_vgpr7
.LBB95_1424:
	s_andn2_b64 vcc, exec, s[18:19]
	s_cbranch_vccnz .LBB95_1426
; %bb.1425:
	global_load_ushort v3, v[4:5], off
	s_waitcnt vmcnt(0)
	v_cvt_f64_u32_e32 v[6:7], v3
.LBB95_1426:
	s_mov_b64 s[18:19], 0
.LBB95_1427:
	s_andn2_b64 vcc, exec, s[18:19]
	s_cbranch_vccnz .LBB95_1437
; %bb.1428:
	global_load_ubyte v3, v[4:5], off
	s_movk_i32 s18, 0x7f
	s_waitcnt vmcnt(0)
	v_cmp_lt_i16_e32 vcc, s18, v3
	s_mov_b64 s[18:19], 0
	s_and_saveexec_b64 s[20:21], vcc
	s_xor_b64 s[20:21], exec, s[20:21]
	s_cbranch_execz .LBB95_1432
; %bb.1429:
	s_movk_i32 s18, 0x80
	v_cmp_eq_u16_e32 vcc, s18, v3
	s_mov_b64 s[18:19], -1
	s_and_saveexec_b64 s[22:23], vcc
; %bb.1430:
	s_xor_b64 s[18:19], exec, -1
; %bb.1431:
	s_or_b64 exec, exec, s[22:23]
	s_and_b64 s[18:19], s[18:19], exec
.LBB95_1432:
	s_or_saveexec_b64 s[20:21], s[20:21]
	v_bfrev_b32_e32 v6, 4
	v_mov_b32_e32 v7, 0x7ff80000
	s_xor_b64 exec, exec, s[20:21]
; %bb.1433:
	v_cmp_ne_u16_e32 vcc, 0, v3
	v_mov_b32_e32 v6, 0
	s_andn2_b64 s[18:19], s[18:19], exec
	s_and_b64 s[22:23], vcc, exec
	v_mov_b32_e32 v7, 0
	s_or_b64 s[18:19], s[18:19], s[22:23]
; %bb.1434:
	s_or_b64 exec, exec, s[20:21]
	s_and_saveexec_b64 s[20:21], s[18:19]
	s_cbranch_execz .LBB95_1436
; %bb.1435:
	v_lshlrev_b32_e32 v6, 24, v3
	v_and_b32_e32 v3, 0xffff, v3
	v_and_b32_e32 v7, 7, v3
	v_ffbh_u32_e32 v9, v7
	v_min_u32_e32 v9, 32, v9
	v_subrev_u32_e32 v10, 28, v9
	v_bfe_u32 v8, v3, 3, 4
	v_lshlrev_b32_e32 v3, v10, v3
	v_sub_u32_e32 v9, 29, v9
	v_and_b32_e32 v3, 7, v3
	v_cmp_eq_u32_e32 vcc, 0, v8
	v_cndmask_b32_e32 v8, v8, v9, vcc
	v_cndmask_b32_e32 v3, v7, v3, vcc
	v_mov_b32_e32 v7, 0x3b800000
	v_lshlrev_b32_e32 v3, 20, v3
	v_and_b32_e32 v6, 0x80000000, v6
	v_lshl_add_u32 v7, v8, 23, v7
	v_or3_b32 v3, v6, v7, v3
	v_cvt_f64_f32_e32 v[6:7], v3
.LBB95_1436:
	s_or_b64 exec, exec, s[20:21]
.LBB95_1437:
	s_mov_b64 s[18:19], -1
.LBB95_1438:
	s_branch .LBB95_1469
.LBB95_1439:
	s_cmp_gt_i32 s29, 22
	s_cbranch_scc0 .LBB95_1451
; %bb.1440:
	s_cmp_lt_i32 s29, 24
	s_cbranch_scc1 .LBB95_1452
; %bb.1441:
	s_cmp_gt_i32 s29, 24
	s_cbranch_scc0 .LBB95_1453
; %bb.1442:
	global_load_ubyte v3, v[4:5], off
	s_movk_i32 s16, 0x7f
	s_waitcnt vmcnt(0)
	v_cmp_lt_i16_e32 vcc, s16, v3
	s_mov_b64 s[16:17], 0
	s_and_saveexec_b64 s[18:19], vcc
	s_xor_b64 s[18:19], exec, s[18:19]
	s_cbranch_execz .LBB95_1446
; %bb.1443:
	s_movk_i32 s16, 0x80
	v_cmp_eq_u16_e32 vcc, s16, v3
	s_mov_b64 s[16:17], -1
	s_and_saveexec_b64 s[20:21], vcc
; %bb.1444:
	s_xor_b64 s[16:17], exec, -1
; %bb.1445:
	s_or_b64 exec, exec, s[20:21]
	s_and_b64 s[16:17], s[16:17], exec
.LBB95_1446:
	s_or_saveexec_b64 s[18:19], s[18:19]
	v_bfrev_b32_e32 v6, 4
	v_mov_b32_e32 v7, 0x7ff80000
	s_xor_b64 exec, exec, s[18:19]
; %bb.1447:
	v_cmp_ne_u16_e32 vcc, 0, v3
	v_mov_b32_e32 v6, 0
	s_andn2_b64 s[16:17], s[16:17], exec
	s_and_b64 s[20:21], vcc, exec
	v_mov_b32_e32 v7, 0
	s_or_b64 s[16:17], s[16:17], s[20:21]
; %bb.1448:
	s_or_b64 exec, exec, s[18:19]
	s_and_saveexec_b64 s[18:19], s[16:17]
	s_cbranch_execz .LBB95_1450
; %bb.1449:
	v_lshlrev_b32_e32 v6, 24, v3
	v_and_b32_e32 v3, 0xffff, v3
	v_and_b32_e32 v7, 3, v3
	v_ffbh_u32_e32 v9, v7
	v_min_u32_e32 v9, 32, v9
	v_subrev_u32_e32 v10, 29, v9
	v_bfe_u32 v8, v3, 2, 5
	v_lshlrev_b32_e32 v3, v10, v3
	v_sub_u32_e32 v9, 30, v9
	v_and_b32_e32 v3, 3, v3
	v_cmp_eq_u32_e32 vcc, 0, v8
	v_cndmask_b32_e32 v8, v8, v9, vcc
	v_cndmask_b32_e32 v3, v7, v3, vcc
	v_mov_b32_e32 v7, 0x37800000
	v_lshlrev_b32_e32 v3, 21, v3
	v_and_b32_e32 v6, 0x80000000, v6
	v_lshl_add_u32 v7, v8, 23, v7
	v_or3_b32 v3, v6, v7, v3
	v_cvt_f64_f32_e32 v[6:7], v3
.LBB95_1450:
	s_or_b64 exec, exec, s[18:19]
	s_mov_b64 s[16:17], 0
	s_branch .LBB95_1454
.LBB95_1451:
	s_mov_b64 s[16:17], -1
                                        ; implicit-def: $vgpr6_vgpr7
	s_branch .LBB95_1460
.LBB95_1452:
	s_mov_b64 s[16:17], -1
                                        ; implicit-def: $vgpr6_vgpr7
	s_branch .LBB95_1457
.LBB95_1453:
	s_mov_b64 s[16:17], -1
                                        ; implicit-def: $vgpr6_vgpr7
.LBB95_1454:
	s_and_b64 vcc, exec, s[16:17]
	s_cbranch_vccz .LBB95_1456
; %bb.1455:
	global_load_ubyte v3, v[4:5], off
	s_mov_b32 s16, 0x7f800000
	s_waitcnt vmcnt(0)
	v_lshlrev_b32_e32 v3, 24, v3
	v_and_b32_e32 v6, 0x7f000000, v3
	v_ffbh_u32_e32 v7, v6
	v_min_u32_e32 v7, 32, v7
	v_sub_u32_e64 v7, v7, 4 clamp
	v_lshlrev_b32_e32 v9, v7, v6
	v_lshlrev_b32_e32 v7, 23, v7
	v_lshrrev_b32_e32 v9, 4, v9
	v_add_u32_e32 v8, 0x1000000, v6
	v_sub_u32_e32 v7, v9, v7
	v_ashrrev_i32_e32 v8, 8, v8
	v_add_u32_e32 v7, 0x3c000000, v7
	v_and_or_b32 v7, v8, s16, v7
	v_cmp_ne_u32_e32 vcc, 0, v6
	v_cndmask_b32_e32 v6, 0, v7, vcc
	s_brev_b32 s16, 1
	v_and_or_b32 v3, v3, s16, v6
	v_cvt_f64_f32_e32 v[6:7], v3
.LBB95_1456:
	s_mov_b64 s[16:17], 0
.LBB95_1457:
	s_andn2_b64 vcc, exec, s[16:17]
	s_cbranch_vccnz .LBB95_1459
; %bb.1458:
	global_load_ubyte v3, v[4:5], off
	s_movk_i32 s16, 0x7f00
	s_brev_b32 s17, 16
	s_waitcnt vmcnt(0)
	v_lshlrev_b16_e32 v6, 8, v3
	v_lshlrev_b32_e32 v3, 25, v3
	v_lshrrev_b32_e32 v7, 4, v3
	v_and_or_b32 v8, v6, s16, 0.5
	v_or_b32_e32 v7, 0x70000000, v7
	v_add_f32_e32 v8, -0.5, v8
	v_mul_f32_e32 v7, 0x7800000, v7
	v_cmp_gt_u32_e32 vcc, s17, v3
	v_bfe_i32 v6, v6, 0, 16
	v_cndmask_b32_e32 v3, v7, v8, vcc
	s_brev_b32 s16, 1
	v_and_or_b32 v3, v6, s16, v3
	v_cvt_f64_f32_e32 v[6:7], v3
.LBB95_1459:
	s_mov_b64 s[16:17], 0
	s_mov_b64 s[18:19], -1
.LBB95_1460:
	s_andn2_b64 vcc, exec, s[16:17]
	s_mov_b64 s[16:17], 0
	s_cbranch_vccnz .LBB95_1469
; %bb.1461:
	s_cmp_gt_i32 s29, 14
	s_cbranch_scc0 .LBB95_1464
; %bb.1462:
	s_cmp_eq_u32 s29, 15
	s_cbranch_scc0 .LBB95_1465
; %bb.1463:
	global_load_ushort v3, v[4:5], off
	s_mov_b64 s[12:13], 0
	s_mov_b64 s[18:19], -1
	s_waitcnt vmcnt(0)
	v_lshlrev_b32_e32 v3, 16, v3
	v_cvt_f64_f32_e32 v[6:7], v3
	s_branch .LBB95_1466
.LBB95_1464:
	s_mov_b64 s[20:21], -1
                                        ; implicit-def: $vgpr6_vgpr7
	s_branch .LBB95_1467
.LBB95_1465:
	s_mov_b64 s[12:13], -1
                                        ; implicit-def: $vgpr6_vgpr7
.LBB95_1466:
	s_mov_b64 s[20:21], 0
.LBB95_1467:
	s_and_b64 vcc, exec, s[20:21]
	s_cbranch_vccz .LBB95_1469
; %bb.1468:
	s_cmp_lg_u32 s29, 11
	s_cselect_b64 s[20:21], -1, 0
	s_andn2_b64 s[12:13], s[12:13], exec
	s_and_b64 s[20:21], s[20:21], exec
	s_mov_b64 s[16:17], -1
	s_or_b64 s[12:13], s[12:13], s[20:21]
.LBB95_1469:
	s_mov_b64 s[20:21], 0
.LBB95_1470:
	s_andn2_b64 s[22:23], s[40:41], exec
	s_and_b64 s[12:13], s[12:13], exec
	s_and_b64 s[18:19], s[18:19], exec
	;; [unrolled: 1-line block ×4, first 2 shown]
	s_or_b64 s[40:41], s[22:23], s[12:13]
	s_or_b64 exec, exec, s[0:1]
	s_and_saveexec_b64 s[0:1], s[40:41]
	s_cbranch_execz .LBB95_1399
.LBB95_1471:
	s_or_b64 s[10:11], s[10:11], exec
	s_andn2_b64 s[16:17], s[16:17], exec
	s_trap 2
	s_or_b64 exec, exec, s[0:1]
	s_and_saveexec_b64 s[0:1], s[16:17]
	s_xor_b64 s[0:1], exec, s[0:1]
	s_cbranch_execnz .LBB95_1400
.LBB95_1472:
	s_or_b64 exec, exec, s[0:1]
	s_and_saveexec_b64 s[0:1], s[20:21]
	s_cbranch_execz .LBB95_1518
.LBB95_1473:
	s_sext_i32_i16 s12, s28
	s_cmp_lt_i32 s12, 5
	s_cbranch_scc1 .LBB95_1478
; %bb.1474:
	s_cmp_lt_i32 s12, 8
	s_cbranch_scc1 .LBB95_1479
; %bb.1475:
	;; [unrolled: 3-line block ×3, first 2 shown]
	s_cmp_gt_i32 s12, 9
	s_cbranch_scc0 .LBB95_1481
; %bb.1477:
	s_waitcnt vmcnt(0)
	global_load_dwordx2 v[6:7], v[4:5], off
	s_mov_b64 s[12:13], 0
	s_branch .LBB95_1482
.LBB95_1478:
                                        ; implicit-def: $vgpr6_vgpr7
	s_branch .LBB95_1499
.LBB95_1479:
                                        ; implicit-def: $vgpr6_vgpr7
	s_branch .LBB95_1488
.LBB95_1480:
	s_mov_b64 s[12:13], -1
                                        ; implicit-def: $vgpr6_vgpr7
	s_branch .LBB95_1485
.LBB95_1481:
	s_mov_b64 s[12:13], -1
                                        ; implicit-def: $vgpr6_vgpr7
.LBB95_1482:
	s_andn2_b64 vcc, exec, s[12:13]
	s_cbranch_vccnz .LBB95_1484
; %bb.1483:
	s_waitcnt vmcnt(0)
	global_load_dword v3, v[4:5], off
	s_waitcnt vmcnt(0)
	v_cvt_f64_f32_e32 v[6:7], v3
.LBB95_1484:
	s_mov_b64 s[12:13], 0
.LBB95_1485:
	s_andn2_b64 vcc, exec, s[12:13]
	s_cbranch_vccnz .LBB95_1487
; %bb.1486:
	s_waitcnt vmcnt(0)
	global_load_dword v3, v[4:5], off
	s_waitcnt vmcnt(0)
	v_cvt_f32_f16_e32 v3, v3
	v_cvt_f64_f32_e32 v[6:7], v3
.LBB95_1487:
	s_cbranch_execnz .LBB95_1498
.LBB95_1488:
	s_sext_i32_i16 s12, s28
	s_cmp_lt_i32 s12, 6
	s_cbranch_scc1 .LBB95_1491
; %bb.1489:
	s_cmp_gt_i32 s12, 6
	s_cbranch_scc0 .LBB95_1492
; %bb.1490:
	s_waitcnt vmcnt(0)
	global_load_dwordx2 v[6:7], v[4:5], off
	s_mov_b64 s[12:13], 0
	s_branch .LBB95_1493
.LBB95_1491:
	s_mov_b64 s[12:13], -1
                                        ; implicit-def: $vgpr6_vgpr7
	s_branch .LBB95_1496
.LBB95_1492:
	s_mov_b64 s[12:13], -1
                                        ; implicit-def: $vgpr6_vgpr7
.LBB95_1493:
	s_andn2_b64 vcc, exec, s[12:13]
	s_cbranch_vccnz .LBB95_1495
; %bb.1494:
	s_waitcnt vmcnt(0)
	global_load_dword v3, v[4:5], off
	s_waitcnt vmcnt(0)
	v_cvt_f64_f32_e32 v[6:7], v3
.LBB95_1495:
	s_mov_b64 s[12:13], 0
.LBB95_1496:
	s_andn2_b64 vcc, exec, s[12:13]
	s_cbranch_vccnz .LBB95_1498
; %bb.1497:
	s_waitcnt vmcnt(0)
	global_load_ushort v3, v[4:5], off
	s_waitcnt vmcnt(0)
	v_cvt_f32_f16_e32 v3, v3
	v_cvt_f64_f32_e32 v[6:7], v3
.LBB95_1498:
	s_cbranch_execnz .LBB95_1517
.LBB95_1499:
	s_sext_i32_i16 s12, s28
	s_cmp_lt_i32 s12, 2
	s_cbranch_scc1 .LBB95_1503
; %bb.1500:
	s_cmp_lt_i32 s12, 3
	s_cbranch_scc1 .LBB95_1504
; %bb.1501:
	s_cmp_gt_i32 s12, 3
	s_cbranch_scc0 .LBB95_1505
; %bb.1502:
	s_waitcnt vmcnt(0)
	global_load_dwordx2 v[6:7], v[4:5], off
	s_mov_b64 s[12:13], 0
	s_waitcnt vmcnt(0)
	v_cvt_f64_i32_e32 v[7:8], v7
	v_cvt_f64_u32_e32 v[9:10], v6
	v_ldexp_f64 v[7:8], v[7:8], 32
	v_add_f64 v[6:7], v[7:8], v[9:10]
	s_branch .LBB95_1506
.LBB95_1503:
                                        ; implicit-def: $vgpr6_vgpr7
	s_branch .LBB95_1512
.LBB95_1504:
	s_mov_b64 s[12:13], -1
                                        ; implicit-def: $vgpr6_vgpr7
	s_branch .LBB95_1509
.LBB95_1505:
	s_mov_b64 s[12:13], -1
                                        ; implicit-def: $vgpr6_vgpr7
.LBB95_1506:
	s_andn2_b64 vcc, exec, s[12:13]
	s_cbranch_vccnz .LBB95_1508
; %bb.1507:
	s_waitcnt vmcnt(0)
	global_load_dword v3, v[4:5], off
	s_waitcnt vmcnt(0)
	v_cvt_f64_i32_e32 v[6:7], v3
.LBB95_1508:
	s_mov_b64 s[12:13], 0
.LBB95_1509:
	s_andn2_b64 vcc, exec, s[12:13]
	s_cbranch_vccnz .LBB95_1511
; %bb.1510:
	s_waitcnt vmcnt(0)
	global_load_sshort v3, v[4:5], off
	s_waitcnt vmcnt(0)
	v_cvt_f64_i32_e32 v[6:7], v3
.LBB95_1511:
	s_cbranch_execnz .LBB95_1517
.LBB95_1512:
	s_sext_i32_i16 s12, s28
	s_cmp_gt_i32 s12, 0
	s_cbranch_scc0 .LBB95_1514
; %bb.1513:
	s_waitcnt vmcnt(0)
	global_load_sbyte v3, v[4:5], off
	s_mov_b64 s[12:13], 0
	s_waitcnt vmcnt(0)
	v_cvt_f64_i32_e32 v[6:7], v3
	s_branch .LBB95_1515
.LBB95_1514:
	s_mov_b64 s[12:13], -1
                                        ; implicit-def: $vgpr6_vgpr7
.LBB95_1515:
	s_andn2_b64 vcc, exec, s[12:13]
	s_cbranch_vccnz .LBB95_1517
; %bb.1516:
	s_waitcnt vmcnt(0)
	global_load_ubyte v3, v[4:5], off
	s_waitcnt vmcnt(0)
	v_cvt_f64_u32_e32 v[6:7], v3
.LBB95_1517:
	s_or_b64 s[18:19], s[18:19], exec
.LBB95_1518:
	s_or_b64 exec, exec, s[0:1]
	s_mov_b64 s[22:23], 0
	s_mov_b64 s[20:21], 0
                                        ; implicit-def: $sgpr12_sgpr13
                                        ; implicit-def: $sgpr28
                                        ; implicit-def: $vgpr3_vgpr4
	s_and_saveexec_b64 s[16:17], s[18:19]
	s_cbranch_execz .LBB95_1523
; %bb.1519:
	s_cmp_lt_i32 s14, 1
	s_mov_b64 s[0:1], 0
	s_cbranch_scc1 .LBB95_1526
; %bb.1520:
	s_cmp_gt_i32 s14, 1
	s_cbranch_scc0 .LBB95_1527
; %bb.1521:
	s_cmp_eq_u32 s14, 2
	s_cbranch_scc0 .LBB95_1528
; %bb.1522:
	s_waitcnt vmcnt(0)
	v_cmp_le_f64_e64 s[12:13], v[1:2], v[6:7]
	s_mov_b64 s[18:19], 0
	s_branch .LBB95_1530
.LBB95_1523:
	s_or_b64 exec, exec, s[16:17]
	s_and_saveexec_b64 s[0:1], s[38:39]
	s_cbranch_execnz .LBB95_1615
.LBB95_1524:
	s_or_b64 exec, exec, s[0:1]
	s_and_saveexec_b64 s[0:1], s[22:23]
	s_xor_b64 s[0:1], exec, s[0:1]
	s_cbranch_execz .LBB95_1616
.LBB95_1525:
	v_cndmask_b32_e64 v0, 0, 1, s[12:13]
	global_store_byte v[3:4], v0, off
	s_or_b64 exec, exec, s[0:1]
	s_and_saveexec_b64 s[0:1], s[20:21]
	s_xor_b64 s[0:1], exec, s[0:1]
	s_cbranch_execz .LBB95_1654
	s_branch .LBB95_1617
.LBB95_1526:
                                        ; implicit-def: $sgpr12_sgpr13
	s_mov_b64 s[18:19], 0
	s_cbranch_execnz .LBB95_1533
	s_branch .LBB95_1534
.LBB95_1527:
	s_mov_b64 s[20:21], -1
	s_mov_b64 s[18:19], 0
	s_branch .LBB95_1529
.LBB95_1528:
	s_mov_b64 s[18:19], -1
.LBB95_1529:
                                        ; implicit-def: $sgpr12_sgpr13
.LBB95_1530:
	s_and_b64 vcc, exec, s[20:21]
	s_cbranch_vccz .LBB95_1532
; %bb.1531:
	s_waitcnt vmcnt(0)
	v_cmp_gt_f64_e32 vcc, v[1:2], v[6:7]
	s_andn2_b64 s[12:13], s[12:13], exec
	s_and_b64 s[20:21], vcc, exec
	s_or_b64 s[12:13], s[12:13], s[20:21]
.LBB95_1532:
	s_branch .LBB95_1534
.LBB95_1533:
	s_cmp_lg_u32 s14, 0
	s_mov_b64 s[0:1], -1
	s_cselect_b64 s[18:19], -1, 0
.LBB95_1534:
	s_andn2_b64 vcc, exec, s[18:19]
	s_cbranch_vccnz .LBB95_1536
; %bb.1535:
	s_waitcnt vmcnt(0)
	v_cmp_lt_f64_e32 vcc, v[1:2], v[6:7]
	s_andn2_b64 s[12:13], s[12:13], exec
	s_and_b64 s[18:19], vcc, exec
	s_or_b64 s[12:13], s[12:13], s[18:19]
	s_cbranch_execz .LBB95_1537
	s_branch .LBB95_1538
.LBB95_1536:
	s_andn2_b64 vcc, exec, s[0:1]
	s_cbranch_vccnz .LBB95_1538
.LBB95_1537:
	s_waitcnt vmcnt(0)
	v_cmp_ge_f64_e32 vcc, v[1:2], v[6:7]
	s_andn2_b64 s[0:1], s[12:13], exec
	s_and_b64 s[12:13], vcc, exec
	s_or_b64 s[12:13], s[0:1], s[12:13]
.LBB95_1538:
	s_waitcnt vmcnt(0)
	v_mov_b32_e32 v1, s9
	s_and_b32 s28, s15, 0xff
	v_add_co_u32_e32 v3, vcc, s8, v0
	s_cmp_lt_i32 s28, 11
	v_addc_co_u32_e32 v4, vcc, 0, v1, vcc
	s_cbranch_scc1 .LBB95_1612
; %bb.1539:
	s_and_b32 s22, 0xffff, s28
	s_mov_b64 s[14:15], -1
	s_cmp_gt_i32 s22, 25
	s_mov_b64 s[0:1], s[38:39]
	s_cbranch_scc0 .LBB95_1572
; %bb.1540:
	s_mov_b64 s[8:9], -1
	s_cmp_gt_i32 s22, 28
	s_mov_b64 s[0:1], s[38:39]
	s_cbranch_scc0 .LBB95_1556
; %bb.1541:
	s_cmp_gt_i32 s22, 43
	s_mov_b64 s[0:1], s[38:39]
	s_cbranch_scc0 .LBB95_1552
; %bb.1542:
	;; [unrolled: 4-line block ×3, first 2 shown]
	s_cmp_eq_u32 s22, 46
	s_mov_b64 s[0:1], -1
	s_cbranch_scc0 .LBB95_1545
; %bb.1544:
	v_cndmask_b32_e64 v0, 0, 1.0, s[12:13]
	v_bfe_u32 v1, v0, 16, 1
	s_movk_i32 s0, 0x7fff
	v_add3_u32 v0, v0, v1, s0
	v_lshrrev_b32_e32 v0, 16, v0
	global_store_dword v[3:4], v0, off
	s_mov_b64 s[0:1], 0
.LBB95_1545:
	s_mov_b64 s[8:9], 0
.LBB95_1546:
	s_and_b64 vcc, exec, s[8:9]
	s_cbranch_vccz .LBB95_1551
; %bb.1547:
	s_cmp_eq_u32 s22, 44
	s_mov_b64 s[0:1], -1
	s_cbranch_scc0 .LBB95_1551
; %bb.1548:
	v_cndmask_b32_e64 v1, 0, 1.0, s[12:13]
	v_lshrrev_b32_e32 v0, 23, v1
	s_movk_i32 s0, 0xff
	v_cmp_ne_u32_e32 vcc, s0, v0
	v_mov_b32_e32 v2, 0xff
	s_and_saveexec_b64 s[8:9], vcc
; %bb.1549:
	s_mov_b32 s0, 0x3fffff
	v_and_b32_e32 v2, 0x400000, v1
	v_and_or_b32 v1, v1, s0, v0
	v_cmp_ne_u32_e32 vcc, 0, v2
	v_cmp_ne_u32_e64 s[0:1], 0, v1
	s_and_b64 s[0:1], vcc, s[0:1]
	v_cndmask_b32_e64 v1, 0, 1, s[0:1]
	v_add_u32_e32 v2, v0, v1
; %bb.1550:
	s_or_b64 exec, exec, s[8:9]
	s_mov_b64 s[0:1], 0
	global_store_byte v[3:4], v2, off
.LBB95_1551:
	s_mov_b64 s[8:9], 0
.LBB95_1552:
	s_and_b64 vcc, exec, s[8:9]
	s_cbranch_vccz .LBB95_1555
; %bb.1553:
	s_cmp_eq_u32 s22, 29
	s_mov_b64 s[0:1], -1
	s_cbranch_scc0 .LBB95_1555
; %bb.1554:
	s_mov_b32 s0, 0
	v_cndmask_b32_e64 v0, 0, 1, s[12:13]
	v_mov_b32_e32 v1, s0
	global_store_dwordx2 v[3:4], v[0:1], off
	s_mov_b64 s[0:1], 0
.LBB95_1555:
	s_mov_b64 s[8:9], 0
.LBB95_1556:
	s_and_b64 vcc, exec, s[8:9]
	s_cbranch_vccz .LBB95_1571
; %bb.1557:
	s_cmp_lt_i32 s22, 27
	s_mov_b64 s[8:9], -1
	s_cbranch_scc1 .LBB95_1563
; %bb.1558:
	s_cmp_gt_i32 s22, 27
	s_cbranch_scc0 .LBB95_1560
; %bb.1559:
	v_cndmask_b32_e64 v0, 0, 1, s[12:13]
	s_mov_b64 s[8:9], 0
	global_store_dword v[3:4], v0, off
.LBB95_1560:
	s_andn2_b64 vcc, exec, s[8:9]
	s_cbranch_vccnz .LBB95_1562
; %bb.1561:
	v_cndmask_b32_e64 v0, 0, 1, s[12:13]
	global_store_short v[3:4], v0, off
.LBB95_1562:
	s_mov_b64 s[8:9], 0
.LBB95_1563:
	s_andn2_b64 vcc, exec, s[8:9]
	s_cbranch_vccnz .LBB95_1571
; %bb.1564:
	v_cndmask_b32_e64 v1, 0, 1.0, s[12:13]
	s_mov_b32 s8, 0x43800000
	v_cmp_gt_u32_e32 vcc, s8, v1
	v_mov_b32_e32 v2, 0x80
	s_and_saveexec_b64 s[8:9], vcc
	s_cbranch_execz .LBB95_1570
; %bb.1565:
	s_mov_b32 s14, 0x3bffffff
	v_cmp_lt_u32_e32 vcc, s14, v1
	s_mov_b64 s[14:15], 0
                                        ; implicit-def: $vgpr0
	s_and_saveexec_b64 s[18:19], vcc
	s_xor_b64 s[18:19], exec, s[18:19]
	s_cbranch_execz .LBB95_1713
; %bb.1566:
	v_bfe_u32 v0, v1, 20, 1
	s_mov_b32 s20, 0x487ffff
	v_add3_u32 v0, v1, v0, s20
	s_mov_b64 s[14:15], exec
	v_lshrrev_b32_e32 v0, 20, v0
                                        ; implicit-def: $vgpr1
	s_andn2_saveexec_b64 s[18:19], s[18:19]
	s_cbranch_execnz .LBB95_1714
.LBB95_1567:
	s_or_b64 exec, exec, s[18:19]
	v_mov_b32_e32 v2, 0
	s_and_saveexec_b64 s[18:19], s[14:15]
.LBB95_1568:
	v_mov_b32_e32 v2, v0
.LBB95_1569:
	s_or_b64 exec, exec, s[18:19]
.LBB95_1570:
	s_or_b64 exec, exec, s[8:9]
	global_store_byte v[3:4], v2, off
.LBB95_1571:
	s_mov_b64 s[14:15], 0
.LBB95_1572:
	s_mov_b64 s[8:9], 0
	s_and_b64 vcc, exec, s[14:15]
	s_cbranch_vccz .LBB95_1613
; %bb.1573:
	s_cmp_gt_i32 s22, 22
	s_mov_b64 s[14:15], -1
	s_cbranch_scc0 .LBB95_1605
; %bb.1574:
	s_cmp_lt_i32 s22, 24
	s_cbranch_scc1 .LBB95_1594
; %bb.1575:
	s_cmp_gt_i32 s22, 24
	s_cbranch_scc0 .LBB95_1583
; %bb.1576:
	v_cndmask_b32_e64 v1, 0, 1.0, s[12:13]
	s_mov_b32 s14, 0x47800000
	v_cmp_gt_u32_e32 vcc, s14, v1
	v_mov_b32_e32 v2, 0x80
	s_and_saveexec_b64 s[14:15], vcc
	s_cbranch_execz .LBB95_1582
; %bb.1577:
	s_mov_b32 s18, 0x37ffffff
	v_cmp_lt_u32_e32 vcc, s18, v1
	s_mov_b64 s[18:19], 0
                                        ; implicit-def: $vgpr0
	s_and_saveexec_b64 s[20:21], vcc
	s_xor_b64 s[20:21], exec, s[20:21]
	s_cbranch_execz .LBB95_1838
; %bb.1578:
	v_bfe_u32 v0, v1, 21, 1
	s_mov_b32 s23, 0x88fffff
	v_add3_u32 v0, v1, v0, s23
	s_mov_b64 s[18:19], exec
	v_lshrrev_b32_e32 v0, 21, v0
                                        ; implicit-def: $vgpr1
	s_andn2_saveexec_b64 s[20:21], s[20:21]
	s_cbranch_execnz .LBB95_1839
.LBB95_1579:
	s_or_b64 exec, exec, s[20:21]
	v_mov_b32_e32 v2, 0
	s_and_saveexec_b64 s[20:21], s[18:19]
.LBB95_1580:
	v_mov_b32_e32 v2, v0
.LBB95_1581:
	s_or_b64 exec, exec, s[20:21]
.LBB95_1582:
	s_or_b64 exec, exec, s[14:15]
	s_mov_b64 s[14:15], 0
	global_store_byte v[3:4], v2, off
.LBB95_1583:
	s_and_b64 vcc, exec, s[14:15]
	s_cbranch_vccz .LBB95_1593
; %bb.1584:
	v_cndmask_b32_e64 v0, 0, 1.0, s[12:13]
	s_mov_b32 s14, 0x43f00000
	v_cmp_gt_u32_e32 vcc, s14, v0
                                        ; implicit-def: $vgpr1
	s_and_saveexec_b64 s[14:15], vcc
	s_xor_b64 s[14:15], exec, s[14:15]
	s_cbranch_execz .LBB95_1590
; %bb.1585:
	s_mov_b32 s18, 0x3c7fffff
	v_cmp_lt_u32_e32 vcc, s18, v0
                                        ; implicit-def: $vgpr1
	s_and_saveexec_b64 s[18:19], vcc
	s_xor_b64 s[18:19], exec, s[18:19]
; %bb.1586:
	v_bfe_u32 v1, v0, 20, 1
	s_mov_b32 s20, 0x407ffff
	v_add3_u32 v0, v0, v1, s20
	v_lshrrev_b32_e32 v1, 20, v0
	v_and_b32_e32 v0, 0xff00000, v0
	s_mov_b32 s20, 0x7f00000
	v_mov_b32_e32 v2, 0x7e
	v_cmp_ne_u32_e32 vcc, s20, v0
	v_cndmask_b32_e32 v1, v2, v1, vcc
                                        ; implicit-def: $vgpr0
; %bb.1587:
	s_andn2_saveexec_b64 s[18:19], s[18:19]
; %bb.1588:
	v_add_f32_e32 v1, 0x46800000, v0
; %bb.1589:
	s_or_b64 exec, exec, s[18:19]
                                        ; implicit-def: $vgpr0
.LBB95_1590:
	s_andn2_saveexec_b64 s[14:15], s[14:15]
; %bb.1591:
	s_mov_b32 s18, 0x7f800000
	v_mov_b32_e32 v1, 0x7e
	v_mov_b32_e32 v2, 0x7f
	v_cmp_lt_u32_e32 vcc, s18, v0
	v_cndmask_b32_e32 v1, v1, v2, vcc
; %bb.1592:
	s_or_b64 exec, exec, s[14:15]
	global_store_byte v[3:4], v1, off
.LBB95_1593:
	s_mov_b64 s[14:15], 0
.LBB95_1594:
	s_andn2_b64 vcc, exec, s[14:15]
	s_cbranch_vccnz .LBB95_1604
; %bb.1595:
	v_cndmask_b32_e64 v0, 0, 1.0, s[12:13]
	s_mov_b32 s14, 0x47800000
	v_cmp_gt_u32_e32 vcc, s14, v0
                                        ; implicit-def: $vgpr1
	s_and_saveexec_b64 s[14:15], vcc
	s_xor_b64 s[14:15], exec, s[14:15]
	s_cbranch_execz .LBB95_1601
; %bb.1596:
	s_mov_b32 s18, 0x387fffff
	v_cmp_lt_u32_e32 vcc, s18, v0
                                        ; implicit-def: $vgpr1
	s_and_saveexec_b64 s[18:19], vcc
	s_xor_b64 s[18:19], exec, s[18:19]
; %bb.1597:
	v_bfe_u32 v1, v0, 21, 1
	s_mov_b32 s20, 0x80fffff
	v_add3_u32 v0, v0, v1, s20
	v_lshrrev_b32_e32 v1, 21, v0
                                        ; implicit-def: $vgpr0
; %bb.1598:
	s_andn2_saveexec_b64 s[18:19], s[18:19]
; %bb.1599:
	v_add_f32_e32 v1, 0x43000000, v0
; %bb.1600:
	s_or_b64 exec, exec, s[18:19]
                                        ; implicit-def: $vgpr0
.LBB95_1601:
	s_andn2_saveexec_b64 s[14:15], s[14:15]
; %bb.1602:
	s_mov_b32 s18, 0x7f800000
	v_mov_b32_e32 v1, 0x7c
	v_mov_b32_e32 v2, 0x7f
	v_cmp_lt_u32_e32 vcc, s18, v0
	v_cndmask_b32_e32 v1, v1, v2, vcc
; %bb.1603:
	s_or_b64 exec, exec, s[14:15]
	global_store_byte v[3:4], v1, off
.LBB95_1604:
	s_mov_b64 s[14:15], 0
.LBB95_1605:
	s_andn2_b64 vcc, exec, s[14:15]
	s_mov_b64 s[14:15], 0
	s_cbranch_vccnz .LBB95_1614
; %bb.1606:
	s_cmp_gt_i32 s22, 14
	s_mov_b64 s[18:19], -1
	s_cbranch_scc0 .LBB95_1610
; %bb.1607:
	s_cmp_eq_u32 s22, 15
	s_mov_b64 s[0:1], -1
	s_cbranch_scc0 .LBB95_1609
; %bb.1608:
	v_cndmask_b32_e64 v0, 0, 1.0, s[12:13]
	v_bfe_u32 v1, v0, 16, 1
	s_movk_i32 s0, 0x7fff
	v_add3_u32 v0, v0, v1, s0
	global_store_short_d16_hi v[3:4], v0, off
	s_mov_b64 s[0:1], 0
.LBB95_1609:
	s_mov_b64 s[18:19], 0
.LBB95_1610:
	s_and_b64 vcc, exec, s[18:19]
	s_cbranch_vccz .LBB95_1614
; %bb.1611:
	s_cmp_lg_u32 s22, 11
	s_cselect_b64 s[18:19], -1, 0
	s_andn2_b64 s[0:1], s[0:1], exec
	s_and_b64 s[18:19], s[18:19], exec
	s_mov_b64 s[14:15], -1
	s_or_b64 s[0:1], s[0:1], s[18:19]
	s_branch .LBB95_1614
.LBB95_1612:
	s_mov_b64 s[14:15], 0
	s_mov_b64 s[8:9], -1
	s_mov_b64 s[0:1], s[38:39]
	s_branch .LBB95_1614
.LBB95_1613:
	s_mov_b64 s[14:15], 0
.LBB95_1614:
	s_and_b64 s[20:21], s[8:9], exec
	s_andn2_b64 s[8:9], s[38:39], exec
	s_and_b64 s[0:1], s[0:1], exec
	s_and_b64 s[22:23], s[14:15], exec
	s_or_b64 s[38:39], s[8:9], s[0:1]
	s_or_b64 exec, exec, s[16:17]
	s_and_saveexec_b64 s[0:1], s[38:39]
	s_cbranch_execz .LBB95_1524
.LBB95_1615:
	s_or_b64 s[10:11], s[10:11], exec
	s_andn2_b64 s[22:23], s[22:23], exec
	s_trap 2
	s_or_b64 exec, exec, s[0:1]
	s_and_saveexec_b64 s[0:1], s[22:23]
	s_xor_b64 s[0:1], exec, s[0:1]
	s_cbranch_execnz .LBB95_1525
.LBB95_1616:
	s_or_b64 exec, exec, s[0:1]
	s_and_saveexec_b64 s[0:1], s[20:21]
	s_xor_b64 s[0:1], exec, s[0:1]
	s_cbranch_execz .LBB95_1654
.LBB95_1617:
	s_sext_i32_i16 s14, s28
	s_cmp_lt_i32 s14, 5
	s_mov_b64 s[8:9], -1
	s_cbranch_scc1 .LBB95_1638
; %bb.1618:
	s_cmp_lt_i32 s14, 8
	s_cbranch_scc1 .LBB95_1628
; %bb.1619:
	s_cmp_lt_i32 s14, 9
	s_cbranch_scc1 .LBB95_1625
; %bb.1620:
	s_cmp_gt_i32 s14, 9
	s_cbranch_scc0 .LBB95_1622
; %bb.1621:
	v_cndmask_b32_e64 v0, 0, 1, s[12:13]
	s_waitcnt vmcnt(0)
	v_cvt_f64_u32_e32 v[5:6], v0
	v_mov_b32_e32 v7, 0
	v_mov_b32_e32 v8, v7
	s_mov_b64 s[8:9], 0
	global_store_dwordx4 v[3:4], v[5:8], off
.LBB95_1622:
	s_andn2_b64 vcc, exec, s[8:9]
	s_cbranch_vccnz .LBB95_1624
; %bb.1623:
	v_cndmask_b32_e64 v0, 0, 1.0, s[12:13]
	s_waitcnt vmcnt(0)
	v_mov_b32_e32 v1, 0
	global_store_dwordx2 v[3:4], v[0:1], off
.LBB95_1624:
	s_mov_b64 s[8:9], 0
.LBB95_1625:
	s_andn2_b64 vcc, exec, s[8:9]
	s_cbranch_vccnz .LBB95_1627
; %bb.1626:
	v_cndmask_b32_e64 v0, 0, 1.0, s[12:13]
	v_cvt_f16_f32_e32 v0, v0
	global_store_dword v[3:4], v0, off
.LBB95_1627:
	s_mov_b64 s[8:9], 0
.LBB95_1628:
	s_andn2_b64 vcc, exec, s[8:9]
	s_cbranch_vccnz .LBB95_1637
; %bb.1629:
	s_sext_i32_i16 s14, s28
	s_cmp_lt_i32 s14, 6
	s_mov_b64 s[8:9], -1
	s_cbranch_scc1 .LBB95_1635
; %bb.1630:
	s_cmp_gt_i32 s14, 6
	s_cbranch_scc0 .LBB95_1632
; %bb.1631:
	v_cndmask_b32_e64 v0, 0, 1, s[12:13]
	s_waitcnt vmcnt(0)
	v_cvt_f64_u32_e32 v[0:1], v0
	s_mov_b64 s[8:9], 0
	global_store_dwordx2 v[3:4], v[0:1], off
.LBB95_1632:
	s_andn2_b64 vcc, exec, s[8:9]
	s_cbranch_vccnz .LBB95_1634
; %bb.1633:
	v_cndmask_b32_e64 v0, 0, 1.0, s[12:13]
	global_store_dword v[3:4], v0, off
.LBB95_1634:
	s_mov_b64 s[8:9], 0
.LBB95_1635:
	s_andn2_b64 vcc, exec, s[8:9]
	s_cbranch_vccnz .LBB95_1637
; %bb.1636:
	v_cndmask_b32_e64 v0, 0, 1.0, s[12:13]
	v_cvt_f16_f32_e32 v0, v0
	global_store_short v[3:4], v0, off
.LBB95_1637:
	s_mov_b64 s[8:9], 0
.LBB95_1638:
	s_andn2_b64 vcc, exec, s[8:9]
	s_cbranch_vccnz .LBB95_1654
; %bb.1639:
	s_sext_i32_i16 s14, s28
	s_cmp_lt_i32 s14, 2
	s_mov_b64 s[8:9], -1
	s_cbranch_scc1 .LBB95_1649
; %bb.1640:
	s_cmp_lt_i32 s14, 3
	s_cbranch_scc1 .LBB95_1646
; %bb.1641:
	s_cmp_gt_i32 s14, 3
	s_cbranch_scc0 .LBB95_1643
; %bb.1642:
	s_mov_b32 s8, 0
	v_cndmask_b32_e64 v0, 0, 1, s[12:13]
	s_waitcnt vmcnt(0)
	v_mov_b32_e32 v1, s8
	s_mov_b64 s[8:9], 0
	global_store_dwordx2 v[3:4], v[0:1], off
.LBB95_1643:
	s_andn2_b64 vcc, exec, s[8:9]
	s_cbranch_vccnz .LBB95_1645
; %bb.1644:
	v_cndmask_b32_e64 v0, 0, 1, s[12:13]
	global_store_dword v[3:4], v0, off
.LBB95_1645:
	s_mov_b64 s[8:9], 0
.LBB95_1646:
	s_andn2_b64 vcc, exec, s[8:9]
	s_cbranch_vccnz .LBB95_1648
; %bb.1647:
	v_cndmask_b32_e64 v0, 0, 1, s[12:13]
	global_store_short v[3:4], v0, off
.LBB95_1648:
	s_mov_b64 s[8:9], 0
.LBB95_1649:
	s_andn2_b64 vcc, exec, s[8:9]
	s_cbranch_vccnz .LBB95_1654
; %bb.1650:
	s_sext_i32_i16 s14, s28
	s_mov_b64 s[8:9], -1
	s_cmp_gt_i32 s14, 0
	v_cndmask_b32_e64 v0, 0, 1, s[12:13]
	s_cbranch_scc0 .LBB95_1652
; %bb.1651:
	s_mov_b64 s[8:9], 0
	global_store_byte v[3:4], v0, off
.LBB95_1652:
	s_andn2_b64 vcc, exec, s[8:9]
	s_cbranch_vccnz .LBB95_1654
; %bb.1653:
	global_store_byte v[3:4], v0, off
.LBB95_1654:
	s_or_b64 exec, exec, s[0:1]
	s_and_b64 s[12:13], s[10:11], exec
                                        ; implicit-def: $vgpr23
                                        ; implicit-def: $vgpr8
.LBB95_1655:
	s_or_saveexec_b64 s[14:15], s[26:27]
	s_mov_b64 s[0:1], 0
                                        ; implicit-def: $sgpr10_sgpr11
                                        ; implicit-def: $vgpr0_vgpr1
                                        ; implicit-def: $sgpr26
	s_xor_b64 exec, exec, s[14:15]
	s_cbranch_execz .LBB95_2791
; %bb.1656:
	v_cndmask_b32_e64 v0, 0, 1, s[24:25]
	v_cmp_ne_u32_e64 s[0:1], 1, v0
	s_andn2_b64 vcc, exec, s[24:25]
	s_cbranch_vccnz .LBB95_1662
; %bb.1657:
	s_cmp_lg_u32 s33, 0
	s_cbranch_scc0 .LBB95_1663
; %bb.1658:
	s_min_u32 s8, s70, 15
	s_add_i32 s6, s8, 1
	s_and_b32 s9, s6, 30
	s_add_u32 s6, s2, 0xffffffe8
	s_addc_u32 s7, s3, -1
	v_mov_b32_e32 v19, 0
	v_mov_b32_e32 v21, 0
	s_waitcnt vmcnt(0)
	v_mov_b32_e32 v6, 0
	v_mov_b32_e32 v0, v8
.LBB95_1659:                            ; =>This Inner Loop Header: Depth=1
	s_load_dwordx4 s[16:19], s[6:7], 0x1c
	s_load_dwordx2 s[10:11], s[6:7], 0x2c
	s_load_dwordx2 s[24:25], s[6:7], 0xec
	s_load_dwordx4 s[20:23], s[6:7], 0xdc
	s_add_u32 s6, s6, 24
	s_waitcnt lgkmcnt(0)
	v_mul_hi_u32 v1, s17, v0
	s_addc_u32 s7, s7, 0
	s_add_i32 s9, s9, -2
	s_cmp_lg_u32 s9, 0
	v_add_u32_e32 v1, v0, v1
	v_lshrrev_b32_e32 v1, s18, v1
	v_mul_lo_u32 v2, v1, s16
	v_mul_hi_u32 v3, s10, v1
	v_sub_u32_e32 v2, v0, v2
	v_add_u32_e32 v0, v1, v3
	v_lshrrev_b32_e32 v0, s11, v0
	v_mul_lo_u32 v5, v0, s19
	v_mul_lo_u32 v3, v2, s20
	;; [unrolled: 1-line block ×4, first 2 shown]
	v_sub_u32_e32 v1, v1, v5
	v_mul_lo_u32 v5, v1, s23
	v_mul_lo_u32 v7, v1, s24
	;; [unrolled: 1-line block ×3, first 2 shown]
	v_add3_u32 v6, v3, v6, v5
	v_add3_u32 v21, v4, v21, v7
	;; [unrolled: 1-line block ×3, first 2 shown]
	s_cbranch_scc1 .LBB95_1659
; %bb.1660:
	s_bitcmp1_b32 s8, 0
	s_cselect_b64 s[8:9], -1, 0
	s_and_b64 vcc, exec, s[8:9]
	s_cbranch_vccnz .LBB95_1664
; %bb.1661:
	s_load_dwordx2 s[8:9], s[6:7], 0x1c
	s_load_dword s16, s[6:7], 0x24
	s_load_dwordx2 s[10:11], s[6:7], 0xdc
	s_waitcnt lgkmcnt(0)
	v_mul_hi_u32 v1, s9, v0
	v_add_u32_e32 v1, v0, v1
	v_lshrrev_b32_e32 v1, s16, v1
	v_mul_lo_u32 v1, v1, s8
	s_load_dword s8, s[6:7], 0xe4
	v_sub_u32_e32 v0, v0, v1
	v_mad_u64_u32 v[6:7], s[6:7], v0, s10, v[6:7]
	v_mad_u64_u32 v[21:22], s[6:7], v0, s11, v[21:22]
	s_waitcnt lgkmcnt(0)
	v_mad_u64_u32 v[19:20], s[6:7], v0, s8, v[19:20]
	s_cbranch_execz .LBB95_1665
	s_branch .LBB95_1667
.LBB95_1662:
                                        ; implicit-def: $vgpr6
                                        ; implicit-def: $vgpr21
                                        ; implicit-def: $vgpr19
	s_branch .LBB95_1665
.LBB95_1663:
	s_waitcnt vmcnt(0)
	v_mov_b32_e32 v6, 0
	v_mov_b32_e32 v21, 0
	;; [unrolled: 1-line block ×3, first 2 shown]
.LBB95_1664:
	s_cbranch_execnz .LBB95_1667
.LBB95_1665:
	s_load_dwordx4 s[8:11], s[2:3], 0x4
	s_load_dwordx4 s[16:19], s[2:3], 0xc4
	s_cmp_lt_u32 s33, 2
	s_waitcnt lgkmcnt(0)
	v_mul_hi_u32 v0, s9, v8
	v_add_u32_e32 v0, v8, v0
	v_lshrrev_b32_e32 v0, s10, v0
	s_waitcnt vmcnt(0)
	v_mul_lo_u32 v1, v0, s8
	v_sub_u32_e32 v1, v8, v1
	v_mul_lo_u32 v6, v1, s16
	v_mul_lo_u32 v21, v1, s17
	;; [unrolled: 1-line block ×3, first 2 shown]
	s_cbranch_scc1 .LBB95_1667
; %bb.1666:
	s_load_dwordx4 s[8:11], s[2:3], 0x10
	s_load_dwordx4 s[16:19], s[2:3], 0xd0
	s_waitcnt lgkmcnt(0)
	v_mul_hi_u32 v1, s9, v0
	v_add_u32_e32 v1, v0, v1
	v_lshrrev_b32_e32 v1, s10, v1
	v_mul_lo_u32 v1, v1, s8
	v_sub_u32_e32 v0, v0, v1
	v_mad_u64_u32 v[6:7], s[6:7], v0, s16, v[6:7]
	v_mad_u64_u32 v[21:22], s[6:7], v0, s17, v[21:22]
	;; [unrolled: 1-line block ×3, first 2 shown]
.LBB95_1667:
	s_and_b64 vcc, exec, s[0:1]
	v_add_u32_e32 v0, 0x80, v8
	s_cbranch_vccnz .LBB95_1673
; %bb.1668:
	s_cmp_lg_u32 s33, 0
	s_cbranch_scc0 .LBB95_1674
; %bb.1669:
	s_min_u32 s8, s70, 15
	s_add_i32 s6, s8, 1
	s_and_b32 s9, s6, 30
	s_add_u32 s6, s2, 0xffffffe8
	s_addc_u32 s7, s3, -1
	v_mov_b32_e32 v15, 0
	v_mov_b32_e32 v17, 0
	;; [unrolled: 1-line block ×3, first 2 shown]
	s_waitcnt vmcnt(0)
	v_mov_b32_e32 v1, v0
.LBB95_1670:                            ; =>This Inner Loop Header: Depth=1
	s_load_dwordx4 s[16:19], s[6:7], 0x1c
	s_load_dwordx2 s[10:11], s[6:7], 0x2c
	s_load_dwordx2 s[24:25], s[6:7], 0xec
	s_load_dwordx4 s[20:23], s[6:7], 0xdc
	s_add_u32 s6, s6, 24
	s_waitcnt lgkmcnt(0)
	v_mul_hi_u32 v2, s17, v1
	s_addc_u32 s7, s7, 0
	s_add_i32 s9, s9, -2
	s_cmp_lg_u32 s9, 0
	v_add_u32_e32 v2, v1, v2
	v_lshrrev_b32_e32 v2, s18, v2
	v_mul_lo_u32 v3, v2, s16
	v_mul_hi_u32 v5, s10, v2
	v_sub_u32_e32 v3, v1, v3
	v_add_u32_e32 v1, v2, v5
	v_lshrrev_b32_e32 v1, s11, v1
	v_mul_lo_u32 v9, v1, s19
	v_mul_lo_u32 v5, v3, s20
	;; [unrolled: 1-line block ×4, first 2 shown]
	v_sub_u32_e32 v2, v2, v9
	v_mul_lo_u32 v9, v2, s23
	v_mul_lo_u32 v10, v2, s24
	;; [unrolled: 1-line block ×3, first 2 shown]
	v_add3_u32 v4, v5, v4, v9
	v_add3_u32 v17, v7, v17, v10
	;; [unrolled: 1-line block ×3, first 2 shown]
	s_cbranch_scc1 .LBB95_1670
; %bb.1671:
	s_bitcmp1_b32 s8, 0
	s_cselect_b64 s[8:9], -1, 0
	s_and_b64 vcc, exec, s[8:9]
	s_cbranch_vccnz .LBB95_1675
; %bb.1672:
	s_load_dwordx2 s[8:9], s[6:7], 0x1c
	s_load_dword s16, s[6:7], 0x24
	s_load_dwordx2 s[10:11], s[6:7], 0xdc
	s_waitcnt lgkmcnt(0)
	v_mul_hi_u32 v2, s9, v1
	v_add_u32_e32 v2, v1, v2
	v_lshrrev_b32_e32 v2, s16, v2
	v_mul_lo_u32 v2, v2, s8
	s_load_dword s8, s[6:7], 0xe4
	v_sub_u32_e32 v1, v1, v2
	v_mad_u64_u32 v[4:5], s[6:7], v1, s10, v[4:5]
	v_mad_u64_u32 v[17:18], s[6:7], v1, s11, v[17:18]
	s_waitcnt lgkmcnt(0)
	v_mad_u64_u32 v[15:16], s[6:7], v1, s8, v[15:16]
	s_cbranch_execz .LBB95_1676
	s_branch .LBB95_1678
.LBB95_1673:
                                        ; implicit-def: $vgpr4
                                        ; implicit-def: $vgpr17
                                        ; implicit-def: $vgpr15
	s_branch .LBB95_1676
.LBB95_1674:
	v_mov_b32_e32 v4, 0
	v_mov_b32_e32 v17, 0
	;; [unrolled: 1-line block ×3, first 2 shown]
.LBB95_1675:
	s_cbranch_execnz .LBB95_1678
.LBB95_1676:
	s_load_dwordx4 s[8:11], s[2:3], 0x4
	s_load_dwordx4 s[16:19], s[2:3], 0xc4
	s_cmp_lt_u32 s33, 2
	s_waitcnt vmcnt(0) lgkmcnt(0)
	v_mul_hi_u32 v1, s9, v0
	v_add_u32_e32 v1, v0, v1
	v_lshrrev_b32_e32 v1, s10, v1
	v_mul_lo_u32 v2, v1, s8
	v_sub_u32_e32 v0, v0, v2
	v_mul_lo_u32 v4, v0, s16
	v_mul_lo_u32 v17, v0, s17
	;; [unrolled: 1-line block ×3, first 2 shown]
	s_cbranch_scc1 .LBB95_1678
; %bb.1677:
	s_load_dwordx4 s[8:11], s[2:3], 0x10
	s_load_dwordx4 s[16:19], s[2:3], 0xd0
	s_waitcnt lgkmcnt(0)
	v_mul_hi_u32 v0, s9, v1
	v_add_u32_e32 v0, v1, v0
	v_lshrrev_b32_e32 v0, s10, v0
	v_mul_lo_u32 v0, v0, s8
	v_sub_u32_e32 v0, v1, v0
	v_mad_u64_u32 v[4:5], s[6:7], v0, s16, v[4:5]
	v_mad_u64_u32 v[17:18], s[6:7], v0, s17, v[17:18]
	;; [unrolled: 1-line block ×3, first 2 shown]
.LBB95_1678:
	s_and_b64 vcc, exec, s[0:1]
	v_add_u32_e32 v0, 0x100, v8
	s_cbranch_vccnz .LBB95_1684
; %bb.1679:
	s_cmp_lg_u32 s33, 0
	s_cbranch_scc0 .LBB95_1685
; %bb.1680:
	s_min_u32 s8, s70, 15
	s_add_i32 s6, s8, 1
	s_and_b32 s9, s6, 30
	s_add_u32 s6, s2, 0xffffffe8
	s_addc_u32 s7, s3, -1
	v_mov_b32_e32 v11, 0
	v_mov_b32_e32 v13, 0
	s_waitcnt vmcnt(0)
	v_mov_b32_e32 v2, 0
	v_mov_b32_e32 v1, v0
.LBB95_1681:                            ; =>This Inner Loop Header: Depth=1
	s_load_dwordx4 s[16:19], s[6:7], 0x1c
	s_load_dwordx2 s[10:11], s[6:7], 0x2c
	s_load_dwordx2 s[24:25], s[6:7], 0xec
	s_load_dwordx4 s[20:23], s[6:7], 0xdc
	s_add_u32 s6, s6, 24
	s_waitcnt lgkmcnt(0)
	v_mul_hi_u32 v3, s17, v1
	s_addc_u32 s7, s7, 0
	s_add_i32 s9, s9, -2
	s_cmp_lg_u32 s9, 0
	v_add_u32_e32 v3, v1, v3
	v_lshrrev_b32_e32 v3, s18, v3
	v_mul_lo_u32 v5, v3, s16
	v_mul_hi_u32 v7, s10, v3
	v_sub_u32_e32 v5, v1, v5
	v_add_u32_e32 v1, v3, v7
	v_lshrrev_b32_e32 v1, s11, v1
	v_mul_lo_u32 v9, v1, s19
	v_mul_lo_u32 v7, v5, s20
	;; [unrolled: 1-line block ×4, first 2 shown]
	v_sub_u32_e32 v3, v3, v9
	v_mul_lo_u32 v9, v3, s23
	v_mul_lo_u32 v10, v3, s24
	;; [unrolled: 1-line block ×3, first 2 shown]
	v_add3_u32 v2, v7, v2, v9
	v_add3_u32 v13, v8, v13, v10
	;; [unrolled: 1-line block ×3, first 2 shown]
	s_cbranch_scc1 .LBB95_1681
; %bb.1682:
	s_bitcmp1_b32 s8, 0
	s_cselect_b64 s[8:9], -1, 0
	s_and_b64 vcc, exec, s[8:9]
	s_cbranch_vccnz .LBB95_1686
; %bb.1683:
	s_load_dwordx2 s[8:9], s[6:7], 0x1c
	s_load_dword s16, s[6:7], 0x24
	s_load_dwordx2 s[10:11], s[6:7], 0xdc
	s_waitcnt lgkmcnt(0)
	v_mul_hi_u32 v3, s9, v1
	v_add_u32_e32 v3, v1, v3
	v_lshrrev_b32_e32 v3, s16, v3
	v_mul_lo_u32 v3, v3, s8
	s_load_dword s8, s[6:7], 0xe4
	v_sub_u32_e32 v1, v1, v3
	v_mad_u64_u32 v[2:3], s[6:7], v1, s10, v[2:3]
	v_mad_u64_u32 v[13:14], s[6:7], v1, s11, v[13:14]
	s_waitcnt lgkmcnt(0)
	v_mad_u64_u32 v[11:12], s[6:7], v1, s8, v[11:12]
	s_cbranch_execz .LBB95_1687
	s_branch .LBB95_1689
.LBB95_1684:
                                        ; implicit-def: $vgpr2
                                        ; implicit-def: $vgpr13
                                        ; implicit-def: $vgpr11
	s_branch .LBB95_1687
.LBB95_1685:
	s_waitcnt vmcnt(0)
	v_mov_b32_e32 v2, 0
	v_mov_b32_e32 v13, 0
	;; [unrolled: 1-line block ×3, first 2 shown]
.LBB95_1686:
	s_cbranch_execnz .LBB95_1689
.LBB95_1687:
	s_load_dwordx4 s[8:11], s[2:3], 0x4
	s_load_dwordx4 s[16:19], s[2:3], 0xc4
	s_cmp_lt_u32 s33, 2
	s_waitcnt vmcnt(0) lgkmcnt(0)
	v_mul_hi_u32 v1, s9, v0
	v_add_u32_e32 v1, v0, v1
	v_lshrrev_b32_e32 v1, s10, v1
	v_mul_lo_u32 v2, v1, s8
	v_sub_u32_e32 v0, v0, v2
	v_mul_lo_u32 v2, v0, s16
	v_mul_lo_u32 v13, v0, s17
	;; [unrolled: 1-line block ×3, first 2 shown]
	s_cbranch_scc1 .LBB95_1689
; %bb.1688:
	s_load_dwordx4 s[8:11], s[2:3], 0x10
	s_load_dwordx4 s[16:19], s[2:3], 0xd0
	s_waitcnt lgkmcnt(0)
	v_mul_hi_u32 v0, s9, v1
	v_add_u32_e32 v0, v1, v0
	v_lshrrev_b32_e32 v0, s10, v0
	v_mul_lo_u32 v0, v0, s8
	v_sub_u32_e32 v0, v1, v0
	v_mad_u64_u32 v[2:3], s[6:7], v0, s16, v[2:3]
	v_mad_u64_u32 v[13:14], s[6:7], v0, s17, v[13:14]
	v_mad_u64_u32 v[11:12], s[6:7], v0, s18, v[11:12]
.LBB95_1689:
	s_and_b64 vcc, exec, s[0:1]
	s_cbranch_vccnz .LBB95_1695
; %bb.1690:
	s_cmp_lg_u32 s33, 0
	s_cbranch_scc0 .LBB95_1696
; %bb.1691:
	s_min_u32 s6, s70, 15
	s_add_i32 s0, s6, 1
	s_and_b32 s7, s0, 30
	s_add_u32 s0, s2, 0xffffffe8
	s_addc_u32 s1, s3, -1
	s_waitcnt vmcnt(0)
	v_mov_b32_e32 v7, 0
	v_mov_b32_e32 v9, 0
	;; [unrolled: 1-line block ×4, first 2 shown]
.LBB95_1692:                            ; =>This Inner Loop Header: Depth=1
	s_load_dwordx4 s[8:11], s[0:1], 0x1c
	s_load_dwordx2 s[20:21], s[0:1], 0x2c
	s_load_dwordx2 s[22:23], s[0:1], 0xec
	s_load_dwordx4 s[16:19], s[0:1], 0xdc
	s_add_u32 s0, s0, 24
	s_waitcnt lgkmcnt(0)
	v_mul_hi_u32 v3, s9, v1
	s_addc_u32 s1, s1, 0
	s_add_i32 s7, s7, -2
	s_cmp_lg_u32 s7, 0
	v_add_u32_e32 v3, v1, v3
	v_lshrrev_b32_e32 v3, s10, v3
	v_mul_lo_u32 v5, v3, s8
	v_mul_hi_u32 v8, s20, v3
	v_sub_u32_e32 v5, v1, v5
	v_add_u32_e32 v1, v3, v8
	v_lshrrev_b32_e32 v1, s21, v1
	v_mul_lo_u32 v12, v1, s11
	v_mul_lo_u32 v8, v5, s16
	;; [unrolled: 1-line block ×4, first 2 shown]
	v_sub_u32_e32 v3, v3, v12
	v_mul_lo_u32 v12, v3, s19
	v_mul_lo_u32 v14, v3, s22
	;; [unrolled: 1-line block ×3, first 2 shown]
	v_add3_u32 v0, v8, v0, v12
	v_add3_u32 v9, v10, v9, v14
	;; [unrolled: 1-line block ×3, first 2 shown]
	s_cbranch_scc1 .LBB95_1692
; %bb.1693:
	s_bitcmp1_b32 s6, 0
	s_cselect_b64 s[6:7], -1, 0
	s_and_b64 vcc, exec, s[6:7]
	s_cbranch_vccnz .LBB95_1697
; %bb.1694:
	s_load_dwordx2 s[6:7], s[0:1], 0x1c
	s_load_dword s10, s[0:1], 0x24
	s_load_dwordx2 s[8:9], s[0:1], 0xdc
	s_waitcnt lgkmcnt(0)
	v_mul_hi_u32 v3, s7, v1
	v_add_u32_e32 v3, v1, v3
	v_lshrrev_b32_e32 v3, s10, v3
	v_mul_lo_u32 v3, v3, s6
	s_load_dword s6, s[0:1], 0xe4
	v_sub_u32_e32 v3, v1, v3
	v_mad_u64_u32 v[0:1], s[0:1], v3, s8, v[0:1]
	v_mad_u64_u32 v[9:10], s[0:1], v3, s9, v[9:10]
	s_waitcnt lgkmcnt(0)
	v_mad_u64_u32 v[7:8], s[0:1], v3, s6, v[7:8]
	s_cbranch_execz .LBB95_1698
	s_branch .LBB95_1700
.LBB95_1695:
                                        ; implicit-def: $vgpr0
                                        ; implicit-def: $vgpr9
                                        ; implicit-def: $vgpr7
	s_branch .LBB95_1698
.LBB95_1696:
	v_mov_b32_e32 v0, 0
	v_mov_b32_e32 v9, 0
	s_waitcnt vmcnt(0)
	v_mov_b32_e32 v7, 0
.LBB95_1697:
	s_cbranch_execnz .LBB95_1700
.LBB95_1698:
	s_load_dwordx4 s[8:11], s[2:3], 0x4
	s_load_dwordx4 s[16:19], s[2:3], 0xc4
	s_cmp_lt_u32 s33, 2
	s_waitcnt lgkmcnt(0)
	v_mul_hi_u32 v0, s9, v23
	v_add_u32_e32 v0, v23, v0
	s_waitcnt vmcnt(0)
	v_lshrrev_b32_e32 v1, s10, v0
	v_mul_lo_u32 v0, v1, s8
	v_sub_u32_e32 v3, v23, v0
	v_mul_lo_u32 v0, v3, s16
	v_mul_lo_u32 v9, v3, s17
	;; [unrolled: 1-line block ×3, first 2 shown]
	s_cbranch_scc1 .LBB95_1700
; %bb.1699:
	s_load_dwordx4 s[8:11], s[2:3], 0x10
	s_load_dwordx4 s[16:19], s[2:3], 0xd0
	s_waitcnt lgkmcnt(0)
	v_mul_hi_u32 v3, s9, v1
	v_add_u32_e32 v3, v1, v3
	v_lshrrev_b32_e32 v3, s10, v3
	v_mul_lo_u32 v3, v3, s8
	v_sub_u32_e32 v3, v1, v3
	v_mad_u64_u32 v[0:1], s[0:1], v3, s16, v[0:1]
	v_mad_u64_u32 v[9:10], s[0:1], v3, s17, v[9:10]
	;; [unrolled: 1-line block ×3, first 2 shown]
.LBB95_1700:
	s_load_dwordx4 s[8:11], s[2:3], 0x188
	s_load_dword s24, s[4:5], 0x1ac
	s_waitcnt vmcnt(0) lgkmcnt(0)
	v_mov_b32_e32 v1, s11
	s_bfe_u32 s20, s24, 0x80008
	v_add_co_u32_e32 v22, vcc, s10, v21
	s_cmp_lt_i32 s20, 11
	v_addc_co_u32_e32 v23, vcc, 0, v1, vcc
	s_cbranch_scc1 .LBB95_1707
; %bb.1701:
	s_and_b32 s21, 0xffff, s20
	s_cmp_gt_i32 s21, 25
	s_mov_b64 s[6:7], 0
	s_cbranch_scc0 .LBB95_1709
; %bb.1702:
	s_cmp_gt_i32 s21, 28
	s_cbranch_scc0 .LBB95_1710
; %bb.1703:
	s_cmp_gt_i32 s21, 43
	;; [unrolled: 3-line block ×3, first 2 shown]
	s_cbranch_scc0 .LBB95_1712
; %bb.1705:
	s_cmp_eq_u32 s21, 46
	s_mov_b64 s[4:5], 0
	s_cbranch_scc0 .LBB95_1715
; %bb.1706:
	global_load_dword v1, v[22:23], off
	s_mov_b64 s[0:1], 0
	s_mov_b64 s[16:17], -1
	s_waitcnt vmcnt(0)
	v_lshlrev_b32_e32 v1, 16, v1
	v_cvt_f64_f32_e32 v[20:21], v1
	s_branch .LBB95_1716
.LBB95_1707:
	s_mov_b64 s[16:17], 0
                                        ; implicit-def: $vgpr20_vgpr21
	s_mov_b64 s[4:5], s[12:13]
	s_cbranch_execnz .LBB95_1779
.LBB95_1708:
	s_andn2_b64 vcc, exec, s[16:17]
	s_cbranch_vccz .LBB95_1824
	s_branch .LBB95_2788
.LBB95_1709:
	s_mov_b64 s[16:17], 0
	s_mov_b64 s[0:1], 0
                                        ; implicit-def: $vgpr20_vgpr21
	s_cbranch_execnz .LBB95_1746
	s_branch .LBB95_1775
.LBB95_1710:
	s_mov_b64 s[4:5], -1
	s_mov_b64 s[16:17], 0
	s_mov_b64 s[0:1], 0
                                        ; implicit-def: $vgpr20_vgpr21
	s_branch .LBB95_1725
.LBB95_1711:
	s_mov_b64 s[16:17], 0
	s_mov_b64 s[0:1], 0
                                        ; implicit-def: $vgpr20_vgpr21
	s_cbranch_execnz .LBB95_1721
	s_branch .LBB95_1724
.LBB95_1712:
	s_mov_b64 s[4:5], -1
	s_mov_b64 s[16:17], 0
	s_mov_b64 s[0:1], 0
                                        ; implicit-def: $vgpr20_vgpr21
	s_branch .LBB95_1716
.LBB95_1713:
	s_andn2_saveexec_b64 s[18:19], s[18:19]
	s_cbranch_execz .LBB95_1567
.LBB95_1714:
	v_add_f32_e32 v0, 0x46000000, v1
	v_and_b32_e32 v0, 0xff, v0
	v_cmp_ne_u32_e32 vcc, 0, v0
	s_andn2_b64 s[14:15], s[14:15], exec
	s_and_b64 s[20:21], vcc, exec
	s_or_b64 s[14:15], s[14:15], s[20:21]
	s_or_b64 exec, exec, s[18:19]
	v_mov_b32_e32 v2, 0
	s_and_saveexec_b64 s[18:19], s[14:15]
	s_cbranch_execnz .LBB95_1568
	s_branch .LBB95_1569
.LBB95_1715:
	s_mov_b64 s[0:1], -1
                                        ; implicit-def: $vgpr20_vgpr21
	s_mov_b64 s[16:17], 0
.LBB95_1716:
	s_and_b64 vcc, exec, s[4:5]
	s_cbranch_vccz .LBB95_1719
; %bb.1717:
	s_cmp_eq_u32 s21, 44
	s_cbranch_scc0 .LBB95_1720
; %bb.1718:
	global_load_ubyte v1, v[22:23], off
	s_movk_i32 s4, 0xff
	v_bfrev_b32_e32 v3, 4
	v_mov_b32_e32 v5, 0x7ff80000
	s_mov_b64 s[0:1], 0
	s_mov_b64 s[16:17], -1
	s_waitcnt vmcnt(0)
	v_lshlrev_b32_e32 v8, 23, v1
	v_cvt_f64_f32_e32 v[20:21], v8
	v_cmp_ne_u32_e32 vcc, s4, v1
	v_bfrev_b32_e32 v8, 28
	v_cndmask_b32_e32 v3, v3, v20, vcc
	v_cndmask_b32_e32 v5, v5, v21, vcc
	v_cmp_ne_u32_e32 vcc, 0, v1
	v_cndmask_b32_e32 v21, v8, v5, vcc
	v_cndmask_b32_e32 v20, 0, v3, vcc
.LBB95_1719:
	s_branch .LBB95_1724
.LBB95_1720:
	s_mov_b64 s[0:1], -1
                                        ; implicit-def: $vgpr20_vgpr21
	s_branch .LBB95_1724
.LBB95_1721:
	s_cmp_eq_u32 s21, 29
	s_cbranch_scc0 .LBB95_1723
; %bb.1722:
	global_load_dwordx2 v[20:21], v[22:23], off
	s_mov_b64 s[0:1], 0
	s_mov_b64 s[16:17], -1
	s_mov_b64 s[4:5], 0
	s_waitcnt vmcnt(0)
	v_cvt_f64_u32_e32 v[24:25], v21
	v_cvt_f64_u32_e32 v[20:21], v20
	v_ldexp_f64 v[24:25], v[24:25], 32
	v_add_f64 v[20:21], v[24:25], v[20:21]
	s_branch .LBB95_1725
.LBB95_1723:
	s_mov_b64 s[0:1], -1
                                        ; implicit-def: $vgpr20_vgpr21
.LBB95_1724:
	s_mov_b64 s[4:5], 0
.LBB95_1725:
	s_and_b64 vcc, exec, s[4:5]
	s_cbranch_vccz .LBB95_1745
; %bb.1726:
	s_cmp_lt_i32 s21, 27
	s_cbranch_scc1 .LBB95_1729
; %bb.1727:
	s_cmp_gt_i32 s21, 27
	s_cbranch_scc0 .LBB95_1730
; %bb.1728:
	global_load_dword v1, v[22:23], off
	s_mov_b64 s[4:5], 0
	s_waitcnt vmcnt(0)
	v_cvt_f64_u32_e32 v[20:21], v1
	s_branch .LBB95_1731
.LBB95_1729:
	s_mov_b64 s[4:5], -1
                                        ; implicit-def: $vgpr20_vgpr21
	s_branch .LBB95_1734
.LBB95_1730:
	s_mov_b64 s[4:5], -1
                                        ; implicit-def: $vgpr20_vgpr21
.LBB95_1731:
	s_andn2_b64 vcc, exec, s[4:5]
	s_cbranch_vccnz .LBB95_1733
; %bb.1732:
	global_load_ushort v1, v[22:23], off
	s_waitcnt vmcnt(0)
	v_cvt_f64_u32_e32 v[20:21], v1
.LBB95_1733:
	s_mov_b64 s[4:5], 0
.LBB95_1734:
	s_andn2_b64 vcc, exec, s[4:5]
	s_cbranch_vccnz .LBB95_1744
; %bb.1735:
	global_load_ubyte v1, v[22:23], off
	s_movk_i32 s4, 0x7f
	s_waitcnt vmcnt(0)
	v_cmp_lt_i16_e32 vcc, s4, v1
	s_mov_b64 s[4:5], 0
	s_and_saveexec_b64 s[16:17], vcc
	s_xor_b64 s[16:17], exec, s[16:17]
	s_cbranch_execz .LBB95_1739
; %bb.1736:
	s_movk_i32 s4, 0x80
	v_cmp_eq_u16_e32 vcc, s4, v1
	s_mov_b64 s[4:5], -1
	s_and_saveexec_b64 s[18:19], vcc
; %bb.1737:
	s_xor_b64 s[4:5], exec, -1
; %bb.1738:
	s_or_b64 exec, exec, s[18:19]
	s_and_b64 s[4:5], s[4:5], exec
.LBB95_1739:
	s_or_saveexec_b64 s[16:17], s[16:17]
	v_bfrev_b32_e32 v20, 4
	v_mov_b32_e32 v21, 0x7ff80000
	s_xor_b64 exec, exec, s[16:17]
; %bb.1740:
	v_cmp_ne_u16_e32 vcc, 0, v1
	v_mov_b32_e32 v20, 0
	s_andn2_b64 s[4:5], s[4:5], exec
	s_and_b64 s[18:19], vcc, exec
	v_mov_b32_e32 v21, 0
	s_or_b64 s[4:5], s[4:5], s[18:19]
; %bb.1741:
	s_or_b64 exec, exec, s[16:17]
	s_and_saveexec_b64 s[16:17], s[4:5]
	s_cbranch_execz .LBB95_1743
; %bb.1742:
	v_lshlrev_b32_e32 v3, 24, v1
	v_and_b32_e32 v1, 0xffff, v1
	v_and_b32_e32 v5, 7, v1
	v_ffbh_u32_e32 v10, v5
	v_min_u32_e32 v10, 32, v10
	v_subrev_u32_e32 v12, 28, v10
	v_bfe_u32 v8, v1, 3, 4
	v_lshlrev_b32_e32 v1, v12, v1
	v_sub_u32_e32 v10, 29, v10
	v_and_b32_e32 v1, 7, v1
	v_cmp_eq_u32_e32 vcc, 0, v8
	v_cndmask_b32_e32 v8, v8, v10, vcc
	v_cndmask_b32_e32 v1, v5, v1, vcc
	v_mov_b32_e32 v5, 0x3b800000
	v_lshlrev_b32_e32 v1, 20, v1
	v_and_b32_e32 v3, 0x80000000, v3
	v_lshl_add_u32 v5, v8, 23, v5
	v_or3_b32 v1, v3, v5, v1
	v_cvt_f64_f32_e32 v[20:21], v1
.LBB95_1743:
	s_or_b64 exec, exec, s[16:17]
.LBB95_1744:
	s_mov_b64 s[16:17], -1
.LBB95_1745:
	s_branch .LBB95_1775
.LBB95_1746:
	s_cmp_gt_i32 s21, 22
	s_cbranch_scc0 .LBB95_1758
; %bb.1747:
	s_cmp_lt_i32 s21, 24
	s_cbranch_scc1 .LBB95_1759
; %bb.1748:
	s_cmp_gt_i32 s21, 24
	s_cbranch_scc0 .LBB95_1760
; %bb.1749:
	global_load_ubyte v1, v[22:23], off
	s_movk_i32 s4, 0x7f
	s_waitcnt vmcnt(0)
	v_cmp_lt_i16_e32 vcc, s4, v1
	s_mov_b64 s[4:5], 0
	s_and_saveexec_b64 s[6:7], vcc
	s_xor_b64 s[6:7], exec, s[6:7]
	s_cbranch_execz .LBB95_1753
; %bb.1750:
	s_movk_i32 s4, 0x80
	v_cmp_eq_u16_e32 vcc, s4, v1
	s_mov_b64 s[4:5], -1
	s_and_saveexec_b64 s[16:17], vcc
; %bb.1751:
	s_xor_b64 s[4:5], exec, -1
; %bb.1752:
	s_or_b64 exec, exec, s[16:17]
	s_and_b64 s[4:5], s[4:5], exec
.LBB95_1753:
	s_or_saveexec_b64 s[6:7], s[6:7]
	v_bfrev_b32_e32 v20, 4
	v_mov_b32_e32 v21, 0x7ff80000
	s_xor_b64 exec, exec, s[6:7]
; %bb.1754:
	v_cmp_ne_u16_e32 vcc, 0, v1
	v_mov_b32_e32 v20, 0
	s_andn2_b64 s[4:5], s[4:5], exec
	s_and_b64 s[16:17], vcc, exec
	v_mov_b32_e32 v21, 0
	s_or_b64 s[4:5], s[4:5], s[16:17]
; %bb.1755:
	s_or_b64 exec, exec, s[6:7]
	s_and_saveexec_b64 s[6:7], s[4:5]
	s_cbranch_execz .LBB95_1757
; %bb.1756:
	v_lshlrev_b32_e32 v3, 24, v1
	v_and_b32_e32 v1, 0xffff, v1
	v_and_b32_e32 v5, 3, v1
	v_ffbh_u32_e32 v10, v5
	v_min_u32_e32 v10, 32, v10
	v_subrev_u32_e32 v12, 29, v10
	v_bfe_u32 v8, v1, 2, 5
	v_lshlrev_b32_e32 v1, v12, v1
	v_sub_u32_e32 v10, 30, v10
	v_and_b32_e32 v1, 3, v1
	v_cmp_eq_u32_e32 vcc, 0, v8
	v_cndmask_b32_e32 v8, v8, v10, vcc
	v_cndmask_b32_e32 v1, v5, v1, vcc
	v_mov_b32_e32 v5, 0x37800000
	v_lshlrev_b32_e32 v1, 21, v1
	v_and_b32_e32 v3, 0x80000000, v3
	v_lshl_add_u32 v5, v8, 23, v5
	v_or3_b32 v1, v3, v5, v1
	v_cvt_f64_f32_e32 v[20:21], v1
.LBB95_1757:
	s_or_b64 exec, exec, s[6:7]
	s_mov_b64 s[4:5], 0
	s_branch .LBB95_1761
.LBB95_1758:
                                        ; implicit-def: $vgpr20_vgpr21
	s_mov_b64 s[6:7], 0
	s_branch .LBB95_1767
.LBB95_1759:
	s_mov_b64 s[4:5], -1
                                        ; implicit-def: $vgpr20_vgpr21
	s_branch .LBB95_1764
.LBB95_1760:
	s_mov_b64 s[4:5], -1
                                        ; implicit-def: $vgpr20_vgpr21
.LBB95_1761:
	s_and_b64 vcc, exec, s[4:5]
	s_cbranch_vccz .LBB95_1763
; %bb.1762:
	global_load_ubyte v1, v[22:23], off
	s_mov_b32 s4, 0x7f800000
	s_waitcnt vmcnt(0)
	v_lshlrev_b32_e32 v1, 24, v1
	v_and_b32_e32 v3, 0x7f000000, v1
	v_ffbh_u32_e32 v5, v3
	v_min_u32_e32 v5, 32, v5
	v_sub_u32_e64 v5, v5, 4 clamp
	v_lshlrev_b32_e32 v10, v5, v3
	v_lshlrev_b32_e32 v5, 23, v5
	v_lshrrev_b32_e32 v10, 4, v10
	v_add_u32_e32 v8, 0x1000000, v3
	v_sub_u32_e32 v5, v10, v5
	v_ashrrev_i32_e32 v8, 8, v8
	v_add_u32_e32 v5, 0x3c000000, v5
	v_and_or_b32 v5, v8, s4, v5
	v_cmp_ne_u32_e32 vcc, 0, v3
	v_cndmask_b32_e32 v3, 0, v5, vcc
	s_brev_b32 s4, 1
	v_and_or_b32 v1, v1, s4, v3
	v_cvt_f64_f32_e32 v[20:21], v1
.LBB95_1763:
	s_mov_b64 s[4:5], 0
.LBB95_1764:
	s_andn2_b64 vcc, exec, s[4:5]
	s_cbranch_vccnz .LBB95_1766
; %bb.1765:
	global_load_ubyte v1, v[22:23], off
	s_movk_i32 s4, 0x7f00
	s_brev_b32 s5, 16
	s_waitcnt vmcnt(0)
	v_lshlrev_b16_e32 v3, 8, v1
	v_lshlrev_b32_e32 v1, 25, v1
	v_lshrrev_b32_e32 v5, 4, v1
	v_and_or_b32 v8, v3, s4, 0.5
	v_or_b32_e32 v5, 0x70000000, v5
	v_add_f32_e32 v8, -0.5, v8
	v_mul_f32_e32 v5, 0x7800000, v5
	v_cmp_gt_u32_e32 vcc, s5, v1
	v_bfe_i32 v3, v3, 0, 16
	v_cndmask_b32_e32 v1, v5, v8, vcc
	s_brev_b32 s4, 1
	v_and_or_b32 v1, v3, s4, v1
	v_cvt_f64_f32_e32 v[20:21], v1
.LBB95_1766:
	s_mov_b64 s[16:17], -1
	s_mov_b64 s[6:7], 0
	s_cbranch_execnz .LBB95_1775
.LBB95_1767:
	s_cmp_gt_i32 s21, 14
	s_cbranch_scc0 .LBB95_1770
; %bb.1768:
	s_cmp_eq_u32 s21, 15
	s_cbranch_scc0 .LBB95_1771
; %bb.1769:
	global_load_ushort v1, v[22:23], off
	s_mov_b64 s[0:1], 0
	s_mov_b64 s[16:17], -1
	s_waitcnt vmcnt(0)
	v_lshlrev_b32_e32 v1, 16, v1
	v_cvt_f64_f32_e32 v[20:21], v1
	s_branch .LBB95_1772
.LBB95_1770:
	s_mov_b64 s[4:5], -1
                                        ; implicit-def: $vgpr20_vgpr21
	s_branch .LBB95_1773
.LBB95_1771:
	s_mov_b64 s[0:1], -1
                                        ; implicit-def: $vgpr20_vgpr21
.LBB95_1772:
	s_mov_b64 s[4:5], 0
.LBB95_1773:
	s_and_b64 vcc, exec, s[4:5]
	s_cbranch_vccz .LBB95_1775
; %bb.1774:
	s_cmp_lg_u32 s21, 11
	s_mov_b64 s[6:7], -1
	s_cselect_b64 s[0:1], -1, 0
.LBB95_1775:
	s_and_b64 vcc, exec, s[0:1]
	s_mov_b64 s[4:5], s[12:13]
	s_cbranch_vccnz .LBB95_1836
; %bb.1776:
	s_andn2_b64 vcc, exec, s[6:7]
	s_cbranch_vccnz .LBB95_1778
.LBB95_1777:
	global_load_ubyte v1, v[22:23], off
	v_mov_b32_e32 v3, 0x3ff00000
	v_mov_b32_e32 v20, 0
	s_mov_b64 s[16:17], -1
	s_waitcnt vmcnt(0)
	v_cmp_ne_u16_e32 vcc, 0, v1
	v_cndmask_b32_e32 v21, 0, v3, vcc
.LBB95_1778:
	s_branch .LBB95_1708
.LBB95_1779:
	s_and_b32 s6, 0xffff, s20
	s_cmp_lt_i32 s6, 5
	s_cbranch_scc1 .LBB95_1784
; %bb.1780:
	s_cmp_lt_i32 s6, 8
	s_cbranch_scc1 .LBB95_1785
; %bb.1781:
	;; [unrolled: 3-line block ×3, first 2 shown]
	s_cmp_gt_i32 s6, 9
	s_cbranch_scc0 .LBB95_1787
; %bb.1783:
	global_load_dwordx2 v[20:21], v[22:23], off
	s_mov_b64 s[0:1], 0
	s_branch .LBB95_1788
.LBB95_1784:
                                        ; implicit-def: $vgpr20_vgpr21
	s_branch .LBB95_1805
.LBB95_1785:
                                        ; implicit-def: $vgpr20_vgpr21
	s_branch .LBB95_1794
.LBB95_1786:
	s_mov_b64 s[0:1], -1
                                        ; implicit-def: $vgpr20_vgpr21
	s_branch .LBB95_1791
.LBB95_1787:
	s_mov_b64 s[0:1], -1
                                        ; implicit-def: $vgpr20_vgpr21
.LBB95_1788:
	s_andn2_b64 vcc, exec, s[0:1]
	s_cbranch_vccnz .LBB95_1790
; %bb.1789:
	global_load_dword v1, v[22:23], off
	s_waitcnt vmcnt(0)
	v_cvt_f64_f32_e32 v[20:21], v1
.LBB95_1790:
	s_mov_b64 s[0:1], 0
.LBB95_1791:
	s_andn2_b64 vcc, exec, s[0:1]
	s_cbranch_vccnz .LBB95_1793
; %bb.1792:
	global_load_dword v1, v[22:23], off
	s_waitcnt vmcnt(0)
	v_cvt_f32_f16_e32 v1, v1
	v_cvt_f64_f32_e32 v[20:21], v1
.LBB95_1793:
	s_cbranch_execnz .LBB95_1804
.LBB95_1794:
	s_cmp_lt_i32 s6, 6
	s_cbranch_scc1 .LBB95_1797
; %bb.1795:
	s_cmp_gt_i32 s6, 6
	s_cbranch_scc0 .LBB95_1798
; %bb.1796:
	global_load_dwordx2 v[20:21], v[22:23], off
	s_mov_b64 s[0:1], 0
	s_branch .LBB95_1799
.LBB95_1797:
	s_mov_b64 s[0:1], -1
                                        ; implicit-def: $vgpr20_vgpr21
	s_branch .LBB95_1802
.LBB95_1798:
	s_mov_b64 s[0:1], -1
                                        ; implicit-def: $vgpr20_vgpr21
.LBB95_1799:
	s_andn2_b64 vcc, exec, s[0:1]
	s_cbranch_vccnz .LBB95_1801
; %bb.1800:
	global_load_dword v1, v[22:23], off
	s_waitcnt vmcnt(0)
	v_cvt_f64_f32_e32 v[20:21], v1
.LBB95_1801:
	s_mov_b64 s[0:1], 0
.LBB95_1802:
	s_andn2_b64 vcc, exec, s[0:1]
	s_cbranch_vccnz .LBB95_1804
; %bb.1803:
	global_load_ushort v1, v[22:23], off
	s_waitcnt vmcnt(0)
	v_cvt_f32_f16_e32 v1, v1
	v_cvt_f64_f32_e32 v[20:21], v1
.LBB95_1804:
	s_cbranch_execnz .LBB95_1823
.LBB95_1805:
	s_cmp_lt_i32 s6, 2
	s_cbranch_scc1 .LBB95_1809
; %bb.1806:
	s_cmp_lt_i32 s6, 3
	s_cbranch_scc1 .LBB95_1810
; %bb.1807:
	s_cmp_gt_i32 s6, 3
	s_cbranch_scc0 .LBB95_1811
; %bb.1808:
	global_load_dwordx2 v[20:21], v[22:23], off
	s_mov_b64 s[0:1], 0
	s_waitcnt vmcnt(0)
	v_cvt_f64_i32_e32 v[24:25], v21
	v_cvt_f64_u32_e32 v[20:21], v20
	v_ldexp_f64 v[24:25], v[24:25], 32
	v_add_f64 v[20:21], v[24:25], v[20:21]
	s_branch .LBB95_1812
.LBB95_1809:
                                        ; implicit-def: $vgpr20_vgpr21
	s_branch .LBB95_1818
.LBB95_1810:
	s_mov_b64 s[0:1], -1
                                        ; implicit-def: $vgpr20_vgpr21
	s_branch .LBB95_1815
.LBB95_1811:
	s_mov_b64 s[0:1], -1
                                        ; implicit-def: $vgpr20_vgpr21
.LBB95_1812:
	s_andn2_b64 vcc, exec, s[0:1]
	s_cbranch_vccnz .LBB95_1814
; %bb.1813:
	global_load_dword v1, v[22:23], off
	s_waitcnt vmcnt(0)
	v_cvt_f64_i32_e32 v[20:21], v1
.LBB95_1814:
	s_mov_b64 s[0:1], 0
.LBB95_1815:
	s_andn2_b64 vcc, exec, s[0:1]
	s_cbranch_vccnz .LBB95_1817
; %bb.1816:
	global_load_sshort v1, v[22:23], off
	s_waitcnt vmcnt(0)
	v_cvt_f64_i32_e32 v[20:21], v1
.LBB95_1817:
	s_cbranch_execnz .LBB95_1823
.LBB95_1818:
	s_cmp_gt_i32 s6, 0
	s_cbranch_scc0 .LBB95_1820
; %bb.1819:
	global_load_sbyte v1, v[22:23], off
	s_mov_b64 s[0:1], 0
	s_waitcnt vmcnt(0)
	v_cvt_f64_i32_e32 v[20:21], v1
	s_branch .LBB95_1821
.LBB95_1820:
	s_mov_b64 s[0:1], -1
                                        ; implicit-def: $vgpr20_vgpr21
.LBB95_1821:
	s_andn2_b64 vcc, exec, s[0:1]
	s_cbranch_vccnz .LBB95_1823
; %bb.1822:
	global_load_ubyte v1, v[22:23], off
	s_waitcnt vmcnt(0)
	v_cvt_f64_u32_e32 v[20:21], v1
.LBB95_1823:
.LBB95_1824:
	s_load_dwordx2 s[0:1], s[2:3], 0x198
	s_bfe_u32 s25, s24, 0x80010
	s_cmp_lt_i32 s25, 11
	s_waitcnt lgkmcnt(0)
	v_mov_b32_e32 v1, s1
	v_add_co_u32_e32 v18, vcc, s0, v19
	v_addc_co_u32_e32 v19, vcc, 0, v1, vcc
	s_cbranch_scc1 .LBB95_1831
; %bb.1825:
	s_and_b32 s26, 0xffff, s25
	s_cmp_gt_i32 s26, 25
	s_mov_b64 s[16:17], 0
	s_cbranch_scc0 .LBB95_1833
; %bb.1826:
	s_cmp_gt_i32 s26, 28
	s_cbranch_scc0 .LBB95_1834
; %bb.1827:
	s_cmp_gt_i32 s26, 43
	;; [unrolled: 3-line block ×3, first 2 shown]
	s_cbranch_scc0 .LBB95_1837
; %bb.1829:
	s_cmp_eq_u32 s26, 46
	s_mov_b64 s[20:21], 0
	s_cbranch_scc0 .LBB95_1840
; %bb.1830:
	global_load_dword v1, v[18:19], off
	s_mov_b64 s[6:7], 0
	s_mov_b64 s[18:19], -1
	s_waitcnt vmcnt(0)
	v_lshlrev_b32_e32 v1, 16, v1
	v_cvt_f64_f32_e32 v[22:23], v1
	s_branch .LBB95_1841
.LBB95_1831:
	s_mov_b64 s[18:19], 0
                                        ; implicit-def: $vgpr22_vgpr23
	s_cbranch_execnz .LBB95_1906
.LBB95_1832:
	s_andn2_b64 vcc, exec, s[18:19]
	s_cbranch_vccnz .LBB95_2788
	s_branch .LBB95_1953
.LBB95_1833:
	s_mov_b64 s[18:19], 0
	s_mov_b64 s[6:7], 0
                                        ; implicit-def: $vgpr22_vgpr23
	s_cbranch_execnz .LBB95_1872
	s_branch .LBB95_1902
.LBB95_1834:
	s_mov_b64 s[20:21], -1
	s_mov_b64 s[18:19], 0
	s_mov_b64 s[6:7], 0
                                        ; implicit-def: $vgpr22_vgpr23
	s_branch .LBB95_1851
.LBB95_1835:
	s_mov_b64 s[20:21], -1
	s_mov_b64 s[18:19], 0
	s_mov_b64 s[6:7], 0
                                        ; implicit-def: $vgpr22_vgpr23
	s_branch .LBB95_1846
.LBB95_1836:
	s_or_b64 s[4:5], s[12:13], exec
	s_trap 2
	s_cbranch_execz .LBB95_1777
	s_branch .LBB95_1778
.LBB95_1837:
	s_mov_b64 s[20:21], -1
	s_mov_b64 s[18:19], 0
	s_mov_b64 s[6:7], 0
                                        ; implicit-def: $vgpr22_vgpr23
	s_branch .LBB95_1841
.LBB95_1838:
	s_andn2_saveexec_b64 s[20:21], s[20:21]
	s_cbranch_execz .LBB95_1579
.LBB95_1839:
	v_add_f32_e32 v0, 0x42800000, v1
	v_and_b32_e32 v0, 0xff, v0
	v_cmp_ne_u32_e32 vcc, 0, v0
	s_andn2_b64 s[18:19], s[18:19], exec
	s_and_b64 s[30:31], vcc, exec
	s_or_b64 s[18:19], s[18:19], s[30:31]
	s_or_b64 exec, exec, s[20:21]
	v_mov_b32_e32 v2, 0
	s_and_saveexec_b64 s[20:21], s[18:19]
	s_cbranch_execnz .LBB95_1580
	s_branch .LBB95_1581
.LBB95_1840:
	s_mov_b64 s[6:7], -1
                                        ; implicit-def: $vgpr22_vgpr23
	s_mov_b64 s[18:19], 0
.LBB95_1841:
	s_and_b64 vcc, exec, s[20:21]
	s_cbranch_vccz .LBB95_1845
; %bb.1842:
	s_cmp_eq_u32 s26, 44
	s_cbranch_scc0 .LBB95_1844
; %bb.1843:
	global_load_ubyte v1, v[18:19], off
	s_movk_i32 s18, 0xff
	v_bfrev_b32_e32 v3, 4
	v_mov_b32_e32 v5, 0x7ff80000
	s_mov_b64 s[6:7], 0
	s_waitcnt vmcnt(0)
	v_lshlrev_b32_e32 v8, 23, v1
	v_cvt_f64_f32_e32 v[22:23], v8
	v_cmp_ne_u32_e32 vcc, s18, v1
	v_bfrev_b32_e32 v8, 28
	s_mov_b64 s[18:19], -1
	v_cndmask_b32_e32 v3, v3, v22, vcc
	v_cndmask_b32_e32 v5, v5, v23, vcc
	v_cmp_ne_u32_e32 vcc, 0, v1
	v_cndmask_b32_e32 v23, v8, v5, vcc
	v_cndmask_b32_e32 v22, 0, v3, vcc
	s_branch .LBB95_1845
.LBB95_1844:
	s_mov_b64 s[6:7], -1
                                        ; implicit-def: $vgpr22_vgpr23
.LBB95_1845:
	s_mov_b64 s[20:21], 0
.LBB95_1846:
	s_and_b64 vcc, exec, s[20:21]
	s_cbranch_vccz .LBB95_1850
; %bb.1847:
	s_cmp_eq_u32 s26, 29
	s_cbranch_scc0 .LBB95_1849
; %bb.1848:
	global_load_dwordx2 v[22:23], v[18:19], off
	s_mov_b64 s[6:7], 0
	s_mov_b64 s[18:19], -1
	s_mov_b64 s[20:21], 0
	s_waitcnt vmcnt(0)
	v_cvt_f64_u32_e32 v[23:24], v23
	v_cvt_f64_u32_e32 v[25:26], v22
	v_ldexp_f64 v[23:24], v[23:24], 32
	v_add_f64 v[22:23], v[23:24], v[25:26]
	s_branch .LBB95_1851
.LBB95_1849:
	s_mov_b64 s[6:7], -1
                                        ; implicit-def: $vgpr22_vgpr23
.LBB95_1850:
	s_mov_b64 s[20:21], 0
.LBB95_1851:
	s_and_b64 vcc, exec, s[20:21]
	s_cbranch_vccz .LBB95_1871
; %bb.1852:
	s_cmp_lt_i32 s26, 27
	s_cbranch_scc1 .LBB95_1855
; %bb.1853:
	s_cmp_gt_i32 s26, 27
	s_cbranch_scc0 .LBB95_1856
; %bb.1854:
	global_load_dword v1, v[18:19], off
	s_mov_b64 s[18:19], 0
	s_waitcnt vmcnt(0)
	v_cvt_f64_u32_e32 v[22:23], v1
	s_branch .LBB95_1857
.LBB95_1855:
	s_mov_b64 s[18:19], -1
                                        ; implicit-def: $vgpr22_vgpr23
	s_branch .LBB95_1860
.LBB95_1856:
	s_mov_b64 s[18:19], -1
                                        ; implicit-def: $vgpr22_vgpr23
.LBB95_1857:
	s_andn2_b64 vcc, exec, s[18:19]
	s_cbranch_vccnz .LBB95_1859
; %bb.1858:
	global_load_ushort v1, v[18:19], off
	s_waitcnt vmcnt(0)
	v_cvt_f64_u32_e32 v[22:23], v1
.LBB95_1859:
	s_mov_b64 s[18:19], 0
.LBB95_1860:
	s_andn2_b64 vcc, exec, s[18:19]
	s_cbranch_vccnz .LBB95_1870
; %bb.1861:
	global_load_ubyte v1, v[18:19], off
	s_movk_i32 s18, 0x7f
	s_waitcnt vmcnt(0)
	v_cmp_lt_i16_e32 vcc, s18, v1
	s_mov_b64 s[18:19], 0
	s_and_saveexec_b64 s[20:21], vcc
	s_xor_b64 s[20:21], exec, s[20:21]
	s_cbranch_execz .LBB95_1865
; %bb.1862:
	s_movk_i32 s18, 0x80
	v_cmp_eq_u16_e32 vcc, s18, v1
	s_mov_b64 s[18:19], -1
	s_and_saveexec_b64 s[22:23], vcc
; %bb.1863:
	s_xor_b64 s[18:19], exec, -1
; %bb.1864:
	s_or_b64 exec, exec, s[22:23]
	s_and_b64 s[18:19], s[18:19], exec
.LBB95_1865:
	s_or_saveexec_b64 s[20:21], s[20:21]
	v_bfrev_b32_e32 v22, 4
	v_mov_b32_e32 v23, 0x7ff80000
	s_xor_b64 exec, exec, s[20:21]
; %bb.1866:
	v_cmp_ne_u16_e32 vcc, 0, v1
	v_mov_b32_e32 v22, 0
	s_andn2_b64 s[18:19], s[18:19], exec
	s_and_b64 s[22:23], vcc, exec
	v_mov_b32_e32 v23, 0
	s_or_b64 s[18:19], s[18:19], s[22:23]
; %bb.1867:
	s_or_b64 exec, exec, s[20:21]
	s_and_saveexec_b64 s[20:21], s[18:19]
	s_cbranch_execz .LBB95_1869
; %bb.1868:
	v_lshlrev_b32_e32 v3, 24, v1
	v_and_b32_e32 v1, 0xffff, v1
	v_and_b32_e32 v5, 7, v1
	v_ffbh_u32_e32 v10, v5
	v_min_u32_e32 v10, 32, v10
	v_subrev_u32_e32 v12, 28, v10
	v_bfe_u32 v8, v1, 3, 4
	v_lshlrev_b32_e32 v1, v12, v1
	v_sub_u32_e32 v10, 29, v10
	v_and_b32_e32 v1, 7, v1
	v_cmp_eq_u32_e32 vcc, 0, v8
	v_cndmask_b32_e32 v8, v8, v10, vcc
	v_cndmask_b32_e32 v1, v5, v1, vcc
	v_mov_b32_e32 v5, 0x3b800000
	v_lshlrev_b32_e32 v1, 20, v1
	v_and_b32_e32 v3, 0x80000000, v3
	v_lshl_add_u32 v5, v8, 23, v5
	v_or3_b32 v1, v3, v5, v1
	v_cvt_f64_f32_e32 v[22:23], v1
.LBB95_1869:
	s_or_b64 exec, exec, s[20:21]
.LBB95_1870:
	s_mov_b64 s[18:19], -1
.LBB95_1871:
	s_branch .LBB95_1902
.LBB95_1872:
	s_cmp_gt_i32 s26, 22
	s_cbranch_scc0 .LBB95_1884
; %bb.1873:
	s_cmp_lt_i32 s26, 24
	s_cbranch_scc1 .LBB95_1885
; %bb.1874:
	s_cmp_gt_i32 s26, 24
	s_cbranch_scc0 .LBB95_1886
; %bb.1875:
	global_load_ubyte v1, v[18:19], off
	s_movk_i32 s16, 0x7f
	s_waitcnt vmcnt(0)
	v_cmp_lt_i16_e32 vcc, s16, v1
	s_mov_b64 s[16:17], 0
	s_and_saveexec_b64 s[18:19], vcc
	s_xor_b64 s[18:19], exec, s[18:19]
	s_cbranch_execz .LBB95_1879
; %bb.1876:
	s_movk_i32 s16, 0x80
	v_cmp_eq_u16_e32 vcc, s16, v1
	s_mov_b64 s[16:17], -1
	s_and_saveexec_b64 s[20:21], vcc
; %bb.1877:
	s_xor_b64 s[16:17], exec, -1
; %bb.1878:
	s_or_b64 exec, exec, s[20:21]
	s_and_b64 s[16:17], s[16:17], exec
.LBB95_1879:
	s_or_saveexec_b64 s[18:19], s[18:19]
	v_bfrev_b32_e32 v22, 4
	v_mov_b32_e32 v23, 0x7ff80000
	s_xor_b64 exec, exec, s[18:19]
; %bb.1880:
	v_cmp_ne_u16_e32 vcc, 0, v1
	v_mov_b32_e32 v22, 0
	s_andn2_b64 s[16:17], s[16:17], exec
	s_and_b64 s[20:21], vcc, exec
	v_mov_b32_e32 v23, 0
	s_or_b64 s[16:17], s[16:17], s[20:21]
; %bb.1881:
	s_or_b64 exec, exec, s[18:19]
	s_and_saveexec_b64 s[18:19], s[16:17]
	s_cbranch_execz .LBB95_1883
; %bb.1882:
	v_lshlrev_b32_e32 v3, 24, v1
	v_and_b32_e32 v1, 0xffff, v1
	v_and_b32_e32 v5, 3, v1
	v_ffbh_u32_e32 v10, v5
	v_min_u32_e32 v10, 32, v10
	v_subrev_u32_e32 v12, 29, v10
	v_bfe_u32 v8, v1, 2, 5
	v_lshlrev_b32_e32 v1, v12, v1
	v_sub_u32_e32 v10, 30, v10
	v_and_b32_e32 v1, 3, v1
	v_cmp_eq_u32_e32 vcc, 0, v8
	v_cndmask_b32_e32 v8, v8, v10, vcc
	v_cndmask_b32_e32 v1, v5, v1, vcc
	v_mov_b32_e32 v5, 0x37800000
	v_lshlrev_b32_e32 v1, 21, v1
	v_and_b32_e32 v3, 0x80000000, v3
	v_lshl_add_u32 v5, v8, 23, v5
	v_or3_b32 v1, v3, v5, v1
	v_cvt_f64_f32_e32 v[22:23], v1
.LBB95_1883:
	s_or_b64 exec, exec, s[18:19]
	s_mov_b64 s[16:17], 0
	s_branch .LBB95_1887
.LBB95_1884:
	s_mov_b64 s[16:17], -1
                                        ; implicit-def: $vgpr22_vgpr23
	s_branch .LBB95_1893
.LBB95_1885:
	s_mov_b64 s[16:17], -1
                                        ; implicit-def: $vgpr22_vgpr23
	s_branch .LBB95_1890
.LBB95_1886:
	s_mov_b64 s[16:17], -1
                                        ; implicit-def: $vgpr22_vgpr23
.LBB95_1887:
	s_and_b64 vcc, exec, s[16:17]
	s_cbranch_vccz .LBB95_1889
; %bb.1888:
	global_load_ubyte v1, v[18:19], off
	s_mov_b32 s16, 0x7f800000
	s_waitcnt vmcnt(0)
	v_lshlrev_b32_e32 v1, 24, v1
	v_and_b32_e32 v3, 0x7f000000, v1
	v_ffbh_u32_e32 v5, v3
	v_min_u32_e32 v5, 32, v5
	v_sub_u32_e64 v5, v5, 4 clamp
	v_lshlrev_b32_e32 v10, v5, v3
	v_lshlrev_b32_e32 v5, 23, v5
	v_lshrrev_b32_e32 v10, 4, v10
	v_add_u32_e32 v8, 0x1000000, v3
	v_sub_u32_e32 v5, v10, v5
	v_ashrrev_i32_e32 v8, 8, v8
	v_add_u32_e32 v5, 0x3c000000, v5
	v_and_or_b32 v5, v8, s16, v5
	v_cmp_ne_u32_e32 vcc, 0, v3
	v_cndmask_b32_e32 v3, 0, v5, vcc
	s_brev_b32 s16, 1
	v_and_or_b32 v1, v1, s16, v3
	v_cvt_f64_f32_e32 v[22:23], v1
.LBB95_1889:
	s_mov_b64 s[16:17], 0
.LBB95_1890:
	s_andn2_b64 vcc, exec, s[16:17]
	s_cbranch_vccnz .LBB95_1892
; %bb.1891:
	global_load_ubyte v1, v[18:19], off
	s_movk_i32 s16, 0x7f00
	s_brev_b32 s17, 16
	s_waitcnt vmcnt(0)
	v_lshlrev_b16_e32 v3, 8, v1
	v_lshlrev_b32_e32 v1, 25, v1
	v_lshrrev_b32_e32 v5, 4, v1
	v_and_or_b32 v8, v3, s16, 0.5
	v_or_b32_e32 v5, 0x70000000, v5
	v_add_f32_e32 v8, -0.5, v8
	v_mul_f32_e32 v5, 0x7800000, v5
	v_cmp_gt_u32_e32 vcc, s17, v1
	v_bfe_i32 v3, v3, 0, 16
	v_cndmask_b32_e32 v1, v5, v8, vcc
	s_brev_b32 s16, 1
	v_and_or_b32 v1, v3, s16, v1
	v_cvt_f64_f32_e32 v[22:23], v1
.LBB95_1892:
	s_mov_b64 s[16:17], 0
	s_mov_b64 s[18:19], -1
.LBB95_1893:
	s_andn2_b64 vcc, exec, s[16:17]
	s_mov_b64 s[16:17], 0
	s_cbranch_vccnz .LBB95_1902
; %bb.1894:
	s_cmp_gt_i32 s26, 14
	s_cbranch_scc0 .LBB95_1897
; %bb.1895:
	s_cmp_eq_u32 s26, 15
	s_cbranch_scc0 .LBB95_1898
; %bb.1896:
	global_load_ushort v1, v[18:19], off
	s_mov_b64 s[6:7], 0
	s_mov_b64 s[18:19], -1
	s_waitcnt vmcnt(0)
	v_lshlrev_b32_e32 v1, 16, v1
	v_cvt_f64_f32_e32 v[22:23], v1
	s_branch .LBB95_1899
.LBB95_1897:
	s_mov_b64 s[20:21], -1
                                        ; implicit-def: $vgpr22_vgpr23
	s_branch .LBB95_1900
.LBB95_1898:
	s_mov_b64 s[6:7], -1
                                        ; implicit-def: $vgpr22_vgpr23
.LBB95_1899:
	s_mov_b64 s[20:21], 0
.LBB95_1900:
	s_and_b64 vcc, exec, s[20:21]
	s_cbranch_vccz .LBB95_1902
; %bb.1901:
	s_cmp_lg_u32 s26, 11
	s_mov_b64 s[16:17], -1
	s_cselect_b64 s[6:7], -1, 0
.LBB95_1902:
	s_and_b64 vcc, exec, s[6:7]
	s_cbranch_vccnz .LBB95_1981
; %bb.1903:
	s_andn2_b64 vcc, exec, s[16:17]
	s_cbranch_vccnz .LBB95_1905
.LBB95_1904:
	global_load_ubyte v1, v[18:19], off
	v_mov_b32_e32 v3, 0x3ff00000
	v_mov_b32_e32 v22, 0
	s_mov_b64 s[18:19], -1
	s_waitcnt vmcnt(0)
	v_cmp_ne_u16_e32 vcc, 0, v1
	v_cndmask_b32_e32 v23, 0, v3, vcc
.LBB95_1905:
	s_branch .LBB95_1832
.LBB95_1906:
	s_and_b32 s16, 0xffff, s25
	s_cmp_lt_i32 s16, 5
	s_cbranch_scc1 .LBB95_1911
; %bb.1907:
	s_cmp_lt_i32 s16, 8
	s_cbranch_scc1 .LBB95_1912
; %bb.1908:
	;; [unrolled: 3-line block ×3, first 2 shown]
	s_cmp_gt_i32 s16, 9
	s_cbranch_scc0 .LBB95_1914
; %bb.1910:
	global_load_dwordx2 v[22:23], v[18:19], off
	s_mov_b64 s[6:7], 0
	s_branch .LBB95_1915
.LBB95_1911:
                                        ; implicit-def: $vgpr22_vgpr23
	s_branch .LBB95_1933
.LBB95_1912:
	s_mov_b64 s[6:7], -1
                                        ; implicit-def: $vgpr22_vgpr23
	s_branch .LBB95_1921
.LBB95_1913:
	s_mov_b64 s[6:7], -1
                                        ; implicit-def: $vgpr22_vgpr23
	s_branch .LBB95_1918
.LBB95_1914:
	s_mov_b64 s[6:7], -1
                                        ; implicit-def: $vgpr22_vgpr23
.LBB95_1915:
	s_andn2_b64 vcc, exec, s[6:7]
	s_cbranch_vccnz .LBB95_1917
; %bb.1916:
	global_load_dword v1, v[18:19], off
	s_waitcnt vmcnt(0)
	v_cvt_f64_f32_e32 v[22:23], v1
.LBB95_1917:
	s_mov_b64 s[6:7], 0
.LBB95_1918:
	s_andn2_b64 vcc, exec, s[6:7]
	s_cbranch_vccnz .LBB95_1920
; %bb.1919:
	global_load_dword v1, v[18:19], off
	s_waitcnt vmcnt(0)
	v_cvt_f32_f16_e32 v1, v1
	v_cvt_f64_f32_e32 v[22:23], v1
.LBB95_1920:
	s_mov_b64 s[6:7], 0
.LBB95_1921:
	s_andn2_b64 vcc, exec, s[6:7]
	s_cbranch_vccnz .LBB95_1932
; %bb.1922:
	s_cmp_lt_i32 s16, 6
	s_cbranch_scc1 .LBB95_1925
; %bb.1923:
	s_cmp_gt_i32 s16, 6
	s_cbranch_scc0 .LBB95_1926
; %bb.1924:
	global_load_dwordx2 v[22:23], v[18:19], off
	s_mov_b64 s[6:7], 0
	s_branch .LBB95_1927
.LBB95_1925:
	s_mov_b64 s[6:7], -1
                                        ; implicit-def: $vgpr22_vgpr23
	s_branch .LBB95_1930
.LBB95_1926:
	s_mov_b64 s[6:7], -1
                                        ; implicit-def: $vgpr22_vgpr23
.LBB95_1927:
	s_andn2_b64 vcc, exec, s[6:7]
	s_cbranch_vccnz .LBB95_1929
; %bb.1928:
	global_load_dword v1, v[18:19], off
	s_waitcnt vmcnt(0)
	v_cvt_f64_f32_e32 v[22:23], v1
.LBB95_1929:
	s_mov_b64 s[6:7], 0
.LBB95_1930:
	s_andn2_b64 vcc, exec, s[6:7]
	s_cbranch_vccnz .LBB95_1932
; %bb.1931:
	global_load_ushort v1, v[18:19], off
	s_waitcnt vmcnt(0)
	v_cvt_f32_f16_e32 v1, v1
	v_cvt_f64_f32_e32 v[22:23], v1
.LBB95_1932:
	s_cbranch_execnz .LBB95_1952
.LBB95_1933:
	s_cmp_lt_i32 s16, 2
	s_cbranch_scc1 .LBB95_1937
; %bb.1934:
	s_cmp_lt_i32 s16, 3
	s_cbranch_scc1 .LBB95_1938
; %bb.1935:
	s_cmp_gt_i32 s16, 3
	s_cbranch_scc0 .LBB95_1939
; %bb.1936:
	global_load_dwordx2 v[22:23], v[18:19], off
	s_mov_b64 s[6:7], 0
	s_waitcnt vmcnt(0)
	v_cvt_f64_i32_e32 v[23:24], v23
	v_cvt_f64_u32_e32 v[25:26], v22
	v_ldexp_f64 v[23:24], v[23:24], 32
	v_add_f64 v[22:23], v[23:24], v[25:26]
	s_branch .LBB95_1940
.LBB95_1937:
	s_mov_b64 s[6:7], -1
                                        ; implicit-def: $vgpr22_vgpr23
	s_branch .LBB95_1946
.LBB95_1938:
	s_mov_b64 s[6:7], -1
                                        ; implicit-def: $vgpr22_vgpr23
	s_branch .LBB95_1943
.LBB95_1939:
	s_mov_b64 s[6:7], -1
                                        ; implicit-def: $vgpr22_vgpr23
.LBB95_1940:
	s_andn2_b64 vcc, exec, s[6:7]
	s_cbranch_vccnz .LBB95_1942
; %bb.1941:
	global_load_dword v1, v[18:19], off
	s_waitcnt vmcnt(0)
	v_cvt_f64_i32_e32 v[22:23], v1
.LBB95_1942:
	s_mov_b64 s[6:7], 0
.LBB95_1943:
	s_andn2_b64 vcc, exec, s[6:7]
	s_cbranch_vccnz .LBB95_1945
; %bb.1944:
	global_load_sshort v1, v[18:19], off
	s_waitcnt vmcnt(0)
	v_cvt_f64_i32_e32 v[22:23], v1
.LBB95_1945:
	s_mov_b64 s[6:7], 0
.LBB95_1946:
	s_andn2_b64 vcc, exec, s[6:7]
	s_cbranch_vccnz .LBB95_1952
; %bb.1947:
	s_cmp_gt_i32 s16, 0
	s_cbranch_scc0 .LBB95_1949
; %bb.1948:
	global_load_sbyte v1, v[18:19], off
	s_mov_b64 s[6:7], 0
	s_waitcnt vmcnt(0)
	v_cvt_f64_i32_e32 v[22:23], v1
	s_branch .LBB95_1950
.LBB95_1949:
	s_mov_b64 s[6:7], -1
                                        ; implicit-def: $vgpr22_vgpr23
.LBB95_1950:
	s_andn2_b64 vcc, exec, s[6:7]
	s_cbranch_vccnz .LBB95_1952
; %bb.1951:
	global_load_ubyte v1, v[18:19], off
	s_waitcnt vmcnt(0)
	v_cvt_f64_u32_e32 v[22:23], v1
.LBB95_1952:
.LBB95_1953:
	s_load_dword s28, s[2:3], 0x1a0
	s_mov_b64 s[16:17], 0
	s_waitcnt lgkmcnt(0)
	s_cmp_lt_i32 s28, 1
	s_cbranch_scc1 .LBB95_1957
; %bb.1954:
	s_cmp_gt_i32 s28, 1
	s_cbranch_scc0 .LBB95_1958
; %bb.1955:
	s_cmp_eq_u32 s28, 2
	s_cbranch_scc0 .LBB95_1959
; %bb.1956:
	s_waitcnt vmcnt(0)
	v_cmp_le_f64_e64 s[6:7], v[20:21], v[22:23]
	s_mov_b64 s[18:19], 0
	s_branch .LBB95_1960
.LBB95_1957:
                                        ; implicit-def: $sgpr6_sgpr7
	s_mov_b64 s[18:19], 0
	s_cbranch_execnz .LBB95_1964
	s_branch .LBB95_1965
.LBB95_1958:
	s_mov_b64 s[20:21], -1
	s_mov_b64 s[18:19], 0
                                        ; implicit-def: $sgpr6_sgpr7
	s_branch .LBB95_1961
.LBB95_1959:
	s_mov_b64 s[18:19], -1
                                        ; implicit-def: $sgpr6_sgpr7
.LBB95_1960:
	s_mov_b64 s[20:21], 0
.LBB95_1961:
	s_and_b64 vcc, exec, s[20:21]
	s_cbranch_vccz .LBB95_1963
; %bb.1962:
	s_waitcnt vmcnt(0)
	v_cmp_gt_f64_e32 vcc, v[20:21], v[22:23]
	s_andn2_b64 s[6:7], s[6:7], exec
	s_and_b64 s[20:21], vcc, exec
	s_or_b64 s[6:7], s[6:7], s[20:21]
.LBB95_1963:
	s_branch .LBB95_1965
.LBB95_1964:
	s_cmp_lg_u32 s28, 0
	s_mov_b64 s[16:17], -1
	s_cselect_b64 s[18:19], -1, 0
.LBB95_1965:
	s_andn2_b64 vcc, exec, s[18:19]
	s_cbranch_vccnz .LBB95_1967
; %bb.1966:
	s_waitcnt vmcnt(0)
	v_cmp_lt_f64_e32 vcc, v[20:21], v[22:23]
	s_andn2_b64 s[6:7], s[6:7], exec
	s_and_b64 s[18:19], vcc, exec
	s_or_b64 s[6:7], s[6:7], s[18:19]
	s_cbranch_execz .LBB95_1968
	s_branch .LBB95_1969
.LBB95_1967:
	s_andn2_b64 vcc, exec, s[16:17]
	s_cbranch_vccnz .LBB95_1969
.LBB95_1968:
	s_waitcnt vmcnt(0)
	v_cmp_ge_f64_e32 vcc, v[20:21], v[22:23]
	s_andn2_b64 s[6:7], s[6:7], exec
	s_and_b64 s[16:17], vcc, exec
	s_or_b64 s[6:7], s[6:7], s[16:17]
.LBB95_1969:
	s_lshr_b32 s16, s24, 8
	s_lshr_b32 s26, s24, 16
	v_mov_b32_e32 v1, s11
	s_and_b32 s29, s16, 0xff
	v_add_co_u32_e32 v18, vcc, s10, v17
	s_cmp_lt_i32 s29, 11
	v_addc_co_u32_e32 v19, vcc, 0, v1, vcc
	s_cbranch_scc1 .LBB95_1976
; %bb.1970:
	s_and_b32 s27, 0xffff, s29
	s_cmp_gt_i32 s27, 25
	s_mov_b64 s[18:19], 0
	s_cbranch_scc0 .LBB95_1978
; %bb.1971:
	s_cmp_gt_i32 s27, 28
	s_cbranch_scc0 .LBB95_1979
; %bb.1972:
	s_cmp_gt_i32 s27, 43
	;; [unrolled: 3-line block ×3, first 2 shown]
	s_cbranch_scc0 .LBB95_1982
; %bb.1974:
	s_cmp_eq_u32 s27, 46
	s_mov_b64 s[22:23], 0
	s_cbranch_scc0 .LBB95_1983
; %bb.1975:
	global_load_dword v1, v[18:19], off
	s_mov_b64 s[16:17], 0
	s_mov_b64 s[20:21], -1
	s_waitcnt vmcnt(0)
	v_lshlrev_b32_e32 v1, 16, v1
	v_cvt_f64_f32_e32 v[16:17], v1
	s_branch .LBB95_1984
.LBB95_1976:
	s_mov_b64 s[20:21], 0
                                        ; implicit-def: $vgpr16_vgpr17
	s_cbranch_execnz .LBB95_2050
.LBB95_1977:
	s_andn2_b64 vcc, exec, s[20:21]
	s_cbranch_vccnz .LBB95_2788
	s_branch .LBB95_2098
.LBB95_1978:
	s_mov_b64 s[22:23], -1
	s_mov_b64 s[20:21], 0
	s_mov_b64 s[16:17], 0
                                        ; implicit-def: $vgpr16_vgpr17
	s_branch .LBB95_2015
.LBB95_1979:
	s_mov_b64 s[22:23], -1
	s_mov_b64 s[20:21], 0
	s_mov_b64 s[16:17], 0
                                        ; implicit-def: $vgpr16_vgpr17
	s_branch .LBB95_1994
.LBB95_1980:
	s_mov_b64 s[22:23], -1
	s_mov_b64 s[20:21], 0
	s_mov_b64 s[16:17], 0
                                        ; implicit-def: $vgpr16_vgpr17
	s_branch .LBB95_1989
.LBB95_1981:
	s_trap 2
	s_or_b64 s[4:5], s[4:5], exec
	s_cbranch_execz .LBB95_1904
	s_branch .LBB95_1905
.LBB95_1982:
	s_mov_b64 s[22:23], -1
	s_mov_b64 s[20:21], 0
	s_mov_b64 s[16:17], 0
                                        ; implicit-def: $vgpr16_vgpr17
	s_branch .LBB95_1984
.LBB95_1983:
	s_mov_b64 s[16:17], -1
                                        ; implicit-def: $vgpr16_vgpr17
	s_mov_b64 s[20:21], 0
.LBB95_1984:
	s_and_b64 vcc, exec, s[22:23]
	s_cbranch_vccz .LBB95_1988
; %bb.1985:
	s_cmp_eq_u32 s27, 44
	s_cbranch_scc0 .LBB95_1987
; %bb.1986:
	global_load_ubyte v1, v[18:19], off
	s_movk_i32 s20, 0xff
	v_bfrev_b32_e32 v3, 4
	v_mov_b32_e32 v5, 0x7ff80000
	s_mov_b64 s[16:17], 0
	s_waitcnt vmcnt(0)
	v_lshlrev_b32_e32 v8, 23, v1
	v_cvt_f64_f32_e32 v[16:17], v8
	v_cmp_ne_u32_e32 vcc, s20, v1
	v_bfrev_b32_e32 v8, 28
	s_mov_b64 s[20:21], -1
	v_cndmask_b32_e32 v3, v3, v16, vcc
	v_cndmask_b32_e32 v5, v5, v17, vcc
	v_cmp_ne_u32_e32 vcc, 0, v1
	v_cndmask_b32_e32 v17, v8, v5, vcc
	v_cndmask_b32_e32 v16, 0, v3, vcc
	s_branch .LBB95_1988
.LBB95_1987:
	s_mov_b64 s[16:17], -1
                                        ; implicit-def: $vgpr16_vgpr17
.LBB95_1988:
	s_mov_b64 s[22:23], 0
.LBB95_1989:
	s_and_b64 vcc, exec, s[22:23]
	s_cbranch_vccz .LBB95_1993
; %bb.1990:
	s_cmp_eq_u32 s27, 29
	s_cbranch_scc0 .LBB95_1992
; %bb.1991:
	global_load_dwordx2 v[16:17], v[18:19], off
	s_mov_b64 s[16:17], 0
	s_mov_b64 s[20:21], -1
	s_mov_b64 s[22:23], 0
	s_waitcnt vmcnt(0)
	v_cvt_f64_u32_e32 v[20:21], v17
	v_cvt_f64_u32_e32 v[16:17], v16
	v_ldexp_f64 v[20:21], v[20:21], 32
	v_add_f64 v[16:17], v[20:21], v[16:17]
	s_branch .LBB95_1994
.LBB95_1992:
	s_mov_b64 s[16:17], -1
                                        ; implicit-def: $vgpr16_vgpr17
.LBB95_1993:
	s_mov_b64 s[22:23], 0
.LBB95_1994:
	s_and_b64 vcc, exec, s[22:23]
	s_cbranch_vccz .LBB95_2014
; %bb.1995:
	s_cmp_lt_i32 s27, 27
	s_cbranch_scc1 .LBB95_1998
; %bb.1996:
	s_cmp_gt_i32 s27, 27
	s_cbranch_scc0 .LBB95_1999
; %bb.1997:
	global_load_dword v1, v[18:19], off
	s_mov_b64 s[20:21], 0
	s_waitcnt vmcnt(0)
	v_cvt_f64_u32_e32 v[16:17], v1
	s_branch .LBB95_2000
.LBB95_1998:
	s_mov_b64 s[20:21], -1
                                        ; implicit-def: $vgpr16_vgpr17
	s_branch .LBB95_2003
.LBB95_1999:
	s_mov_b64 s[20:21], -1
                                        ; implicit-def: $vgpr16_vgpr17
.LBB95_2000:
	s_andn2_b64 vcc, exec, s[20:21]
	s_cbranch_vccnz .LBB95_2002
; %bb.2001:
	global_load_ushort v1, v[18:19], off
	s_waitcnt vmcnt(0)
	v_cvt_f64_u32_e32 v[16:17], v1
.LBB95_2002:
	s_mov_b64 s[20:21], 0
.LBB95_2003:
	s_andn2_b64 vcc, exec, s[20:21]
	s_cbranch_vccnz .LBB95_2013
; %bb.2004:
	global_load_ubyte v1, v[18:19], off
	s_movk_i32 s20, 0x7f
	s_waitcnt vmcnt(0)
	v_cmp_lt_i16_e32 vcc, s20, v1
	s_mov_b64 s[20:21], 0
	s_and_saveexec_b64 s[22:23], vcc
	s_xor_b64 s[22:23], exec, s[22:23]
	s_cbranch_execz .LBB95_2008
; %bb.2005:
	s_movk_i32 s20, 0x80
	v_cmp_eq_u16_e32 vcc, s20, v1
	s_mov_b64 s[20:21], -1
	s_and_saveexec_b64 s[24:25], vcc
; %bb.2006:
	s_xor_b64 s[20:21], exec, -1
; %bb.2007:
	s_or_b64 exec, exec, s[24:25]
	s_and_b64 s[20:21], s[20:21], exec
.LBB95_2008:
	s_or_saveexec_b64 s[22:23], s[22:23]
	v_bfrev_b32_e32 v16, 4
	v_mov_b32_e32 v17, 0x7ff80000
	s_xor_b64 exec, exec, s[22:23]
; %bb.2009:
	v_cmp_ne_u16_e32 vcc, 0, v1
	v_mov_b32_e32 v16, 0
	s_andn2_b64 s[20:21], s[20:21], exec
	s_and_b64 s[24:25], vcc, exec
	v_mov_b32_e32 v17, 0
	s_or_b64 s[20:21], s[20:21], s[24:25]
; %bb.2010:
	s_or_b64 exec, exec, s[22:23]
	s_and_saveexec_b64 s[22:23], s[20:21]
	s_cbranch_execz .LBB95_2012
; %bb.2011:
	v_lshlrev_b32_e32 v3, 24, v1
	v_and_b32_e32 v1, 0xffff, v1
	v_and_b32_e32 v5, 7, v1
	v_ffbh_u32_e32 v10, v5
	v_min_u32_e32 v10, 32, v10
	v_subrev_u32_e32 v12, 28, v10
	v_bfe_u32 v8, v1, 3, 4
	v_lshlrev_b32_e32 v1, v12, v1
	v_sub_u32_e32 v10, 29, v10
	v_and_b32_e32 v1, 7, v1
	v_cmp_eq_u32_e32 vcc, 0, v8
	v_cndmask_b32_e32 v8, v8, v10, vcc
	v_cndmask_b32_e32 v1, v5, v1, vcc
	v_mov_b32_e32 v5, 0x3b800000
	v_lshlrev_b32_e32 v1, 20, v1
	v_and_b32_e32 v3, 0x80000000, v3
	v_lshl_add_u32 v5, v8, 23, v5
	v_or3_b32 v1, v3, v5, v1
	v_cvt_f64_f32_e32 v[16:17], v1
.LBB95_2012:
	s_or_b64 exec, exec, s[22:23]
.LBB95_2013:
	s_mov_b64 s[20:21], -1
.LBB95_2014:
	s_mov_b64 s[22:23], 0
.LBB95_2015:
	s_and_b64 vcc, exec, s[22:23]
	s_cbranch_vccz .LBB95_2046
; %bb.2016:
	s_cmp_gt_i32 s27, 22
	s_cbranch_scc0 .LBB95_2028
; %bb.2017:
	s_cmp_lt_i32 s27, 24
	s_cbranch_scc1 .LBB95_2029
; %bb.2018:
	s_cmp_gt_i32 s27, 24
	s_cbranch_scc0 .LBB95_2030
; %bb.2019:
	global_load_ubyte v1, v[18:19], off
	s_movk_i32 s18, 0x7f
	s_waitcnt vmcnt(0)
	v_cmp_lt_i16_e32 vcc, s18, v1
	s_mov_b64 s[18:19], 0
	s_and_saveexec_b64 s[20:21], vcc
	s_xor_b64 s[20:21], exec, s[20:21]
	s_cbranch_execz .LBB95_2023
; %bb.2020:
	s_movk_i32 s18, 0x80
	v_cmp_eq_u16_e32 vcc, s18, v1
	s_mov_b64 s[18:19], -1
	s_and_saveexec_b64 s[22:23], vcc
; %bb.2021:
	s_xor_b64 s[18:19], exec, -1
; %bb.2022:
	s_or_b64 exec, exec, s[22:23]
	s_and_b64 s[18:19], s[18:19], exec
.LBB95_2023:
	s_or_saveexec_b64 s[20:21], s[20:21]
	v_bfrev_b32_e32 v16, 4
	v_mov_b32_e32 v17, 0x7ff80000
	s_xor_b64 exec, exec, s[20:21]
; %bb.2024:
	v_cmp_ne_u16_e32 vcc, 0, v1
	v_mov_b32_e32 v16, 0
	s_andn2_b64 s[18:19], s[18:19], exec
	s_and_b64 s[22:23], vcc, exec
	v_mov_b32_e32 v17, 0
	s_or_b64 s[18:19], s[18:19], s[22:23]
; %bb.2025:
	s_or_b64 exec, exec, s[20:21]
	s_and_saveexec_b64 s[20:21], s[18:19]
	s_cbranch_execz .LBB95_2027
; %bb.2026:
	v_lshlrev_b32_e32 v3, 24, v1
	v_and_b32_e32 v1, 0xffff, v1
	v_and_b32_e32 v5, 3, v1
	v_ffbh_u32_e32 v10, v5
	v_min_u32_e32 v10, 32, v10
	v_subrev_u32_e32 v12, 29, v10
	v_bfe_u32 v8, v1, 2, 5
	v_lshlrev_b32_e32 v1, v12, v1
	v_sub_u32_e32 v10, 30, v10
	v_and_b32_e32 v1, 3, v1
	v_cmp_eq_u32_e32 vcc, 0, v8
	v_cndmask_b32_e32 v8, v8, v10, vcc
	v_cndmask_b32_e32 v1, v5, v1, vcc
	v_mov_b32_e32 v5, 0x37800000
	v_lshlrev_b32_e32 v1, 21, v1
	v_and_b32_e32 v3, 0x80000000, v3
	v_lshl_add_u32 v5, v8, 23, v5
	v_or3_b32 v1, v3, v5, v1
	v_cvt_f64_f32_e32 v[16:17], v1
.LBB95_2027:
	s_or_b64 exec, exec, s[20:21]
	s_mov_b64 s[18:19], 0
	s_branch .LBB95_2031
.LBB95_2028:
	s_mov_b64 s[18:19], -1
                                        ; implicit-def: $vgpr16_vgpr17
	s_branch .LBB95_2037
.LBB95_2029:
	s_mov_b64 s[18:19], -1
                                        ; implicit-def: $vgpr16_vgpr17
	s_branch .LBB95_2034
.LBB95_2030:
	s_mov_b64 s[18:19], -1
                                        ; implicit-def: $vgpr16_vgpr17
.LBB95_2031:
	s_and_b64 vcc, exec, s[18:19]
	s_cbranch_vccz .LBB95_2033
; %bb.2032:
	global_load_ubyte v1, v[18:19], off
	s_mov_b32 s18, 0x7f800000
	s_waitcnt vmcnt(0)
	v_lshlrev_b32_e32 v1, 24, v1
	v_and_b32_e32 v3, 0x7f000000, v1
	v_ffbh_u32_e32 v5, v3
	v_min_u32_e32 v5, 32, v5
	v_sub_u32_e64 v5, v5, 4 clamp
	v_lshlrev_b32_e32 v10, v5, v3
	v_lshlrev_b32_e32 v5, 23, v5
	v_lshrrev_b32_e32 v10, 4, v10
	v_add_u32_e32 v8, 0x1000000, v3
	v_sub_u32_e32 v5, v10, v5
	v_ashrrev_i32_e32 v8, 8, v8
	v_add_u32_e32 v5, 0x3c000000, v5
	v_and_or_b32 v5, v8, s18, v5
	v_cmp_ne_u32_e32 vcc, 0, v3
	v_cndmask_b32_e32 v3, 0, v5, vcc
	s_brev_b32 s18, 1
	v_and_or_b32 v1, v1, s18, v3
	v_cvt_f64_f32_e32 v[16:17], v1
.LBB95_2033:
	s_mov_b64 s[18:19], 0
.LBB95_2034:
	s_andn2_b64 vcc, exec, s[18:19]
	s_cbranch_vccnz .LBB95_2036
; %bb.2035:
	global_load_ubyte v1, v[18:19], off
	s_movk_i32 s18, 0x7f00
	s_brev_b32 s19, 16
	s_waitcnt vmcnt(0)
	v_lshlrev_b16_e32 v3, 8, v1
	v_lshlrev_b32_e32 v1, 25, v1
	v_lshrrev_b32_e32 v5, 4, v1
	v_and_or_b32 v8, v3, s18, 0.5
	v_or_b32_e32 v5, 0x70000000, v5
	v_add_f32_e32 v8, -0.5, v8
	v_mul_f32_e32 v5, 0x7800000, v5
	v_cmp_gt_u32_e32 vcc, s19, v1
	v_bfe_i32 v3, v3, 0, 16
	v_cndmask_b32_e32 v1, v5, v8, vcc
	s_brev_b32 s18, 1
	v_and_or_b32 v1, v3, s18, v1
	v_cvt_f64_f32_e32 v[16:17], v1
.LBB95_2036:
	s_mov_b64 s[18:19], 0
	s_mov_b64 s[20:21], -1
.LBB95_2037:
	s_andn2_b64 vcc, exec, s[18:19]
	s_mov_b64 s[18:19], 0
	s_cbranch_vccnz .LBB95_2046
; %bb.2038:
	s_cmp_gt_i32 s27, 14
	s_cbranch_scc0 .LBB95_2041
; %bb.2039:
	s_cmp_eq_u32 s27, 15
	s_cbranch_scc0 .LBB95_2042
; %bb.2040:
	global_load_ushort v1, v[18:19], off
	s_mov_b64 s[16:17], 0
	s_mov_b64 s[20:21], -1
	s_waitcnt vmcnt(0)
	v_lshlrev_b32_e32 v1, 16, v1
	v_cvt_f64_f32_e32 v[16:17], v1
	s_branch .LBB95_2043
.LBB95_2041:
	s_mov_b64 s[22:23], -1
                                        ; implicit-def: $vgpr16_vgpr17
	s_branch .LBB95_2044
.LBB95_2042:
	s_mov_b64 s[16:17], -1
                                        ; implicit-def: $vgpr16_vgpr17
.LBB95_2043:
	s_mov_b64 s[22:23], 0
.LBB95_2044:
	s_and_b64 vcc, exec, s[22:23]
	s_cbranch_vccz .LBB95_2046
; %bb.2045:
	s_cmp_lg_u32 s27, 11
	s_mov_b64 s[18:19], -1
	s_cselect_b64 s[16:17], -1, 0
.LBB95_2046:
	s_and_b64 vcc, exec, s[16:17]
	s_cbranch_vccnz .LBB95_2109
; %bb.2047:
	s_andn2_b64 vcc, exec, s[18:19]
	s_cbranch_vccnz .LBB95_2049
.LBB95_2048:
	global_load_ubyte v1, v[18:19], off
	v_mov_b32_e32 v3, 0x3ff00000
	v_mov_b32_e32 v16, 0
	s_mov_b64 s[20:21], -1
	s_waitcnt vmcnt(0)
	v_cmp_ne_u16_e32 vcc, 0, v1
	v_cndmask_b32_e32 v17, 0, v3, vcc
.LBB95_2049:
	s_branch .LBB95_1977
.LBB95_2050:
	s_and_b32 s18, 0xffff, s29
	s_cmp_lt_i32 s18, 5
	s_cbranch_scc1 .LBB95_2055
; %bb.2051:
	s_cmp_lt_i32 s18, 8
	s_cbranch_scc1 .LBB95_2056
; %bb.2052:
	;; [unrolled: 3-line block ×3, first 2 shown]
	s_cmp_gt_i32 s18, 9
	s_cbranch_scc0 .LBB95_2058
; %bb.2054:
	global_load_dwordx2 v[16:17], v[18:19], off
	s_mov_b64 s[16:17], 0
	s_branch .LBB95_2059
.LBB95_2055:
	s_mov_b64 s[16:17], -1
                                        ; implicit-def: $vgpr16_vgpr17
	s_branch .LBB95_2077
.LBB95_2056:
	s_mov_b64 s[16:17], -1
                                        ; implicit-def: $vgpr16_vgpr17
	s_branch .LBB95_2065
.LBB95_2057:
	s_mov_b64 s[16:17], -1
                                        ; implicit-def: $vgpr16_vgpr17
	s_branch .LBB95_2062
.LBB95_2058:
	s_mov_b64 s[16:17], -1
                                        ; implicit-def: $vgpr16_vgpr17
.LBB95_2059:
	s_andn2_b64 vcc, exec, s[16:17]
	s_cbranch_vccnz .LBB95_2061
; %bb.2060:
	global_load_dword v1, v[18:19], off
	s_waitcnt vmcnt(0)
	v_cvt_f64_f32_e32 v[16:17], v1
.LBB95_2061:
	s_mov_b64 s[16:17], 0
.LBB95_2062:
	s_andn2_b64 vcc, exec, s[16:17]
	s_cbranch_vccnz .LBB95_2064
; %bb.2063:
	global_load_dword v1, v[18:19], off
	s_waitcnt vmcnt(0)
	v_cvt_f32_f16_e32 v1, v1
	v_cvt_f64_f32_e32 v[16:17], v1
.LBB95_2064:
	s_mov_b64 s[16:17], 0
.LBB95_2065:
	s_andn2_b64 vcc, exec, s[16:17]
	s_cbranch_vccnz .LBB95_2076
; %bb.2066:
	s_cmp_lt_i32 s18, 6
	s_cbranch_scc1 .LBB95_2069
; %bb.2067:
	s_cmp_gt_i32 s18, 6
	s_cbranch_scc0 .LBB95_2070
; %bb.2068:
	global_load_dwordx2 v[16:17], v[18:19], off
	s_mov_b64 s[16:17], 0
	s_branch .LBB95_2071
.LBB95_2069:
	s_mov_b64 s[16:17], -1
                                        ; implicit-def: $vgpr16_vgpr17
	s_branch .LBB95_2074
.LBB95_2070:
	s_mov_b64 s[16:17], -1
                                        ; implicit-def: $vgpr16_vgpr17
.LBB95_2071:
	s_andn2_b64 vcc, exec, s[16:17]
	s_cbranch_vccnz .LBB95_2073
; %bb.2072:
	global_load_dword v1, v[18:19], off
	s_waitcnt vmcnt(0)
	v_cvt_f64_f32_e32 v[16:17], v1
.LBB95_2073:
	s_mov_b64 s[16:17], 0
.LBB95_2074:
	s_andn2_b64 vcc, exec, s[16:17]
	s_cbranch_vccnz .LBB95_2076
; %bb.2075:
	global_load_ushort v1, v[18:19], off
	s_waitcnt vmcnt(0)
	v_cvt_f32_f16_e32 v1, v1
	v_cvt_f64_f32_e32 v[16:17], v1
.LBB95_2076:
	s_mov_b64 s[16:17], 0
.LBB95_2077:
	s_andn2_b64 vcc, exec, s[16:17]
	s_cbranch_vccnz .LBB95_2097
; %bb.2078:
	s_cmp_lt_i32 s18, 2
	s_cbranch_scc1 .LBB95_2082
; %bb.2079:
	s_cmp_lt_i32 s18, 3
	s_cbranch_scc1 .LBB95_2083
; %bb.2080:
	s_cmp_gt_i32 s18, 3
	s_cbranch_scc0 .LBB95_2084
; %bb.2081:
	global_load_dwordx2 v[16:17], v[18:19], off
	s_mov_b64 s[16:17], 0
	s_waitcnt vmcnt(0)
	v_cvt_f64_i32_e32 v[20:21], v17
	v_cvt_f64_u32_e32 v[16:17], v16
	v_ldexp_f64 v[20:21], v[20:21], 32
	v_add_f64 v[16:17], v[20:21], v[16:17]
	s_branch .LBB95_2085
.LBB95_2082:
	s_mov_b64 s[16:17], -1
                                        ; implicit-def: $vgpr16_vgpr17
	s_branch .LBB95_2091
.LBB95_2083:
	s_mov_b64 s[16:17], -1
                                        ; implicit-def: $vgpr16_vgpr17
	s_branch .LBB95_2088
.LBB95_2084:
	s_mov_b64 s[16:17], -1
                                        ; implicit-def: $vgpr16_vgpr17
.LBB95_2085:
	s_andn2_b64 vcc, exec, s[16:17]
	s_cbranch_vccnz .LBB95_2087
; %bb.2086:
	global_load_dword v1, v[18:19], off
	s_waitcnt vmcnt(0)
	v_cvt_f64_i32_e32 v[16:17], v1
.LBB95_2087:
	s_mov_b64 s[16:17], 0
.LBB95_2088:
	s_andn2_b64 vcc, exec, s[16:17]
	s_cbranch_vccnz .LBB95_2090
; %bb.2089:
	global_load_sshort v1, v[18:19], off
	s_waitcnt vmcnt(0)
	v_cvt_f64_i32_e32 v[16:17], v1
.LBB95_2090:
	s_mov_b64 s[16:17], 0
.LBB95_2091:
	s_andn2_b64 vcc, exec, s[16:17]
	s_cbranch_vccnz .LBB95_2097
; %bb.2092:
	s_cmp_gt_i32 s18, 0
	s_cbranch_scc0 .LBB95_2094
; %bb.2093:
	global_load_sbyte v1, v[18:19], off
	s_mov_b64 s[16:17], 0
	s_waitcnt vmcnt(0)
	v_cvt_f64_i32_e32 v[16:17], v1
	s_branch .LBB95_2095
.LBB95_2094:
	s_mov_b64 s[16:17], -1
                                        ; implicit-def: $vgpr16_vgpr17
.LBB95_2095:
	s_andn2_b64 vcc, exec, s[16:17]
	s_cbranch_vccnz .LBB95_2097
; %bb.2096:
	global_load_ubyte v1, v[18:19], off
	s_waitcnt vmcnt(0)
	v_cvt_f64_u32_e32 v[16:17], v1
.LBB95_2097:
.LBB95_2098:
	v_mov_b32_e32 v1, s1
	s_and_b32 s30, s26, 0xff
	v_add_co_u32_e32 v14, vcc, s0, v15
	s_cmp_lt_i32 s30, 11
	v_addc_co_u32_e32 v15, vcc, 0, v1, vcc
	s_cbranch_scc1 .LBB95_2105
; %bb.2099:
	s_and_b32 s26, 0xffff, s30
	s_cmp_gt_i32 s26, 25
	s_mov_b64 s[18:19], 0
	s_cbranch_scc0 .LBB95_2106
; %bb.2100:
	s_cmp_gt_i32 s26, 28
	s_cbranch_scc0 .LBB95_2107
; %bb.2101:
	s_cmp_gt_i32 s26, 43
	;; [unrolled: 3-line block ×3, first 2 shown]
	s_cbranch_scc0 .LBB95_2110
; %bb.2103:
	s_cmp_eq_u32 s26, 46
	s_mov_b64 s[22:23], 0
	s_cbranch_scc0 .LBB95_2111
; %bb.2104:
	global_load_dword v1, v[14:15], off
	s_mov_b64 s[16:17], 0
	s_mov_b64 s[20:21], -1
	s_waitcnt vmcnt(0)
	v_lshlrev_b32_e32 v1, 16, v1
	v_cvt_f64_f32_e32 v[18:19], v1
	s_branch .LBB95_2112
.LBB95_2105:
	s_mov_b64 s[16:17], -1
	s_mov_b64 s[20:21], 0
                                        ; implicit-def: $vgpr18_vgpr19
	s_branch .LBB95_2178
.LBB95_2106:
	s_mov_b64 s[22:23], -1
	s_mov_b64 s[20:21], 0
	s_mov_b64 s[16:17], 0
                                        ; implicit-def: $vgpr18_vgpr19
	s_branch .LBB95_2143
.LBB95_2107:
	s_mov_b64 s[22:23], -1
	s_mov_b64 s[20:21], 0
	s_mov_b64 s[16:17], 0
                                        ; implicit-def: $vgpr18_vgpr19
	s_branch .LBB95_2122
.LBB95_2108:
	s_mov_b64 s[22:23], -1
	s_mov_b64 s[20:21], 0
	s_mov_b64 s[16:17], 0
                                        ; implicit-def: $vgpr18_vgpr19
	s_branch .LBB95_2117
.LBB95_2109:
	s_trap 2
	s_or_b64 s[4:5], s[4:5], exec
	s_cbranch_execz .LBB95_2048
	s_branch .LBB95_2049
.LBB95_2110:
	s_mov_b64 s[22:23], -1
	s_mov_b64 s[20:21], 0
	s_mov_b64 s[16:17], 0
                                        ; implicit-def: $vgpr18_vgpr19
	s_branch .LBB95_2112
.LBB95_2111:
	s_mov_b64 s[16:17], -1
                                        ; implicit-def: $vgpr18_vgpr19
	s_mov_b64 s[20:21], 0
.LBB95_2112:
	s_and_b64 vcc, exec, s[22:23]
	s_cbranch_vccz .LBB95_2116
; %bb.2113:
	s_cmp_eq_u32 s26, 44
	s_cbranch_scc0 .LBB95_2115
; %bb.2114:
	global_load_ubyte v1, v[14:15], off
	s_movk_i32 s20, 0xff
	v_bfrev_b32_e32 v3, 4
	v_mov_b32_e32 v5, 0x7ff80000
	s_mov_b64 s[16:17], 0
	s_waitcnt vmcnt(0)
	v_lshlrev_b32_e32 v8, 23, v1
	v_cvt_f64_f32_e32 v[18:19], v8
	v_cmp_ne_u32_e32 vcc, s20, v1
	v_bfrev_b32_e32 v8, 28
	s_mov_b64 s[20:21], -1
	v_cndmask_b32_e32 v3, v3, v18, vcc
	v_cndmask_b32_e32 v5, v5, v19, vcc
	v_cmp_ne_u32_e32 vcc, 0, v1
	v_cndmask_b32_e32 v19, v8, v5, vcc
	v_cndmask_b32_e32 v18, 0, v3, vcc
	s_branch .LBB95_2116
.LBB95_2115:
	s_mov_b64 s[16:17], -1
                                        ; implicit-def: $vgpr18_vgpr19
.LBB95_2116:
	s_mov_b64 s[22:23], 0
.LBB95_2117:
	s_and_b64 vcc, exec, s[22:23]
	s_cbranch_vccz .LBB95_2121
; %bb.2118:
	s_cmp_eq_u32 s26, 29
	s_cbranch_scc0 .LBB95_2120
; %bb.2119:
	global_load_dwordx2 v[18:19], v[14:15], off
	s_mov_b64 s[16:17], 0
	s_mov_b64 s[20:21], -1
	s_mov_b64 s[22:23], 0
	s_waitcnt vmcnt(0)
	v_cvt_f64_u32_e32 v[19:20], v19
	v_cvt_f64_u32_e32 v[21:22], v18
	v_ldexp_f64 v[19:20], v[19:20], 32
	v_add_f64 v[18:19], v[19:20], v[21:22]
	s_branch .LBB95_2122
.LBB95_2120:
	s_mov_b64 s[16:17], -1
                                        ; implicit-def: $vgpr18_vgpr19
.LBB95_2121:
	s_mov_b64 s[22:23], 0
.LBB95_2122:
	s_and_b64 vcc, exec, s[22:23]
	s_cbranch_vccz .LBB95_2142
; %bb.2123:
	s_cmp_lt_i32 s26, 27
	s_cbranch_scc1 .LBB95_2126
; %bb.2124:
	s_cmp_gt_i32 s26, 27
	s_cbranch_scc0 .LBB95_2127
; %bb.2125:
	global_load_dword v1, v[14:15], off
	s_mov_b64 s[20:21], 0
	s_waitcnt vmcnt(0)
	v_cvt_f64_u32_e32 v[18:19], v1
	s_branch .LBB95_2128
.LBB95_2126:
	s_mov_b64 s[20:21], -1
                                        ; implicit-def: $vgpr18_vgpr19
	s_branch .LBB95_2131
.LBB95_2127:
	s_mov_b64 s[20:21], -1
                                        ; implicit-def: $vgpr18_vgpr19
.LBB95_2128:
	s_andn2_b64 vcc, exec, s[20:21]
	s_cbranch_vccnz .LBB95_2130
; %bb.2129:
	global_load_ushort v1, v[14:15], off
	s_waitcnt vmcnt(0)
	v_cvt_f64_u32_e32 v[18:19], v1
.LBB95_2130:
	s_mov_b64 s[20:21], 0
.LBB95_2131:
	s_andn2_b64 vcc, exec, s[20:21]
	s_cbranch_vccnz .LBB95_2141
; %bb.2132:
	global_load_ubyte v1, v[14:15], off
	s_movk_i32 s20, 0x7f
	s_waitcnt vmcnt(0)
	v_cmp_lt_i16_e32 vcc, s20, v1
	s_mov_b64 s[20:21], 0
	s_and_saveexec_b64 s[22:23], vcc
	s_xor_b64 s[22:23], exec, s[22:23]
	s_cbranch_execz .LBB95_2136
; %bb.2133:
	s_movk_i32 s20, 0x80
	v_cmp_eq_u16_e32 vcc, s20, v1
	s_mov_b64 s[20:21], -1
	s_and_saveexec_b64 s[24:25], vcc
; %bb.2134:
	s_xor_b64 s[20:21], exec, -1
; %bb.2135:
	s_or_b64 exec, exec, s[24:25]
	s_and_b64 s[20:21], s[20:21], exec
.LBB95_2136:
	s_or_saveexec_b64 s[22:23], s[22:23]
	v_bfrev_b32_e32 v18, 4
	v_mov_b32_e32 v19, 0x7ff80000
	s_xor_b64 exec, exec, s[22:23]
; %bb.2137:
	v_cmp_ne_u16_e32 vcc, 0, v1
	v_mov_b32_e32 v18, 0
	s_andn2_b64 s[20:21], s[20:21], exec
	s_and_b64 s[24:25], vcc, exec
	v_mov_b32_e32 v19, 0
	s_or_b64 s[20:21], s[20:21], s[24:25]
; %bb.2138:
	s_or_b64 exec, exec, s[22:23]
	s_and_saveexec_b64 s[22:23], s[20:21]
	s_cbranch_execz .LBB95_2140
; %bb.2139:
	v_lshlrev_b32_e32 v3, 24, v1
	v_and_b32_e32 v1, 0xffff, v1
	v_and_b32_e32 v5, 7, v1
	v_ffbh_u32_e32 v10, v5
	v_min_u32_e32 v10, 32, v10
	v_subrev_u32_e32 v12, 28, v10
	v_bfe_u32 v8, v1, 3, 4
	v_lshlrev_b32_e32 v1, v12, v1
	v_sub_u32_e32 v10, 29, v10
	v_and_b32_e32 v1, 7, v1
	v_cmp_eq_u32_e32 vcc, 0, v8
	v_cndmask_b32_e32 v8, v8, v10, vcc
	v_cndmask_b32_e32 v1, v5, v1, vcc
	v_mov_b32_e32 v5, 0x3b800000
	v_lshlrev_b32_e32 v1, 20, v1
	v_and_b32_e32 v3, 0x80000000, v3
	v_lshl_add_u32 v5, v8, 23, v5
	v_or3_b32 v1, v3, v5, v1
	v_cvt_f64_f32_e32 v[18:19], v1
.LBB95_2140:
	s_or_b64 exec, exec, s[22:23]
.LBB95_2141:
	s_mov_b64 s[20:21], -1
.LBB95_2142:
	s_mov_b64 s[22:23], 0
.LBB95_2143:
	s_and_b64 vcc, exec, s[22:23]
	s_cbranch_vccz .LBB95_2174
; %bb.2144:
	s_cmp_gt_i32 s26, 22
	s_cbranch_scc0 .LBB95_2156
; %bb.2145:
	s_cmp_lt_i32 s26, 24
	s_cbranch_scc1 .LBB95_2157
; %bb.2146:
	s_cmp_gt_i32 s26, 24
	s_cbranch_scc0 .LBB95_2158
; %bb.2147:
	global_load_ubyte v1, v[14:15], off
	s_movk_i32 s18, 0x7f
	s_waitcnt vmcnt(0)
	v_cmp_lt_i16_e32 vcc, s18, v1
	s_mov_b64 s[18:19], 0
	s_and_saveexec_b64 s[20:21], vcc
	s_xor_b64 s[20:21], exec, s[20:21]
	s_cbranch_execz .LBB95_2151
; %bb.2148:
	s_movk_i32 s18, 0x80
	v_cmp_eq_u16_e32 vcc, s18, v1
	s_mov_b64 s[18:19], -1
	s_and_saveexec_b64 s[22:23], vcc
; %bb.2149:
	s_xor_b64 s[18:19], exec, -1
; %bb.2150:
	s_or_b64 exec, exec, s[22:23]
	s_and_b64 s[18:19], s[18:19], exec
.LBB95_2151:
	s_or_saveexec_b64 s[20:21], s[20:21]
	v_bfrev_b32_e32 v18, 4
	v_mov_b32_e32 v19, 0x7ff80000
	s_xor_b64 exec, exec, s[20:21]
; %bb.2152:
	v_cmp_ne_u16_e32 vcc, 0, v1
	v_mov_b32_e32 v18, 0
	s_andn2_b64 s[18:19], s[18:19], exec
	s_and_b64 s[22:23], vcc, exec
	v_mov_b32_e32 v19, 0
	s_or_b64 s[18:19], s[18:19], s[22:23]
; %bb.2153:
	s_or_b64 exec, exec, s[20:21]
	s_and_saveexec_b64 s[20:21], s[18:19]
	s_cbranch_execz .LBB95_2155
; %bb.2154:
	v_lshlrev_b32_e32 v3, 24, v1
	v_and_b32_e32 v1, 0xffff, v1
	v_and_b32_e32 v5, 3, v1
	v_ffbh_u32_e32 v10, v5
	v_min_u32_e32 v10, 32, v10
	v_subrev_u32_e32 v12, 29, v10
	v_bfe_u32 v8, v1, 2, 5
	v_lshlrev_b32_e32 v1, v12, v1
	v_sub_u32_e32 v10, 30, v10
	v_and_b32_e32 v1, 3, v1
	v_cmp_eq_u32_e32 vcc, 0, v8
	v_cndmask_b32_e32 v8, v8, v10, vcc
	v_cndmask_b32_e32 v1, v5, v1, vcc
	v_mov_b32_e32 v5, 0x37800000
	v_lshlrev_b32_e32 v1, 21, v1
	v_and_b32_e32 v3, 0x80000000, v3
	v_lshl_add_u32 v5, v8, 23, v5
	v_or3_b32 v1, v3, v5, v1
	v_cvt_f64_f32_e32 v[18:19], v1
.LBB95_2155:
	s_or_b64 exec, exec, s[20:21]
	s_mov_b64 s[18:19], 0
	s_branch .LBB95_2159
.LBB95_2156:
	s_mov_b64 s[18:19], -1
                                        ; implicit-def: $vgpr18_vgpr19
	s_branch .LBB95_2165
.LBB95_2157:
	s_mov_b64 s[18:19], -1
                                        ; implicit-def: $vgpr18_vgpr19
	s_branch .LBB95_2162
.LBB95_2158:
	s_mov_b64 s[18:19], -1
                                        ; implicit-def: $vgpr18_vgpr19
.LBB95_2159:
	s_and_b64 vcc, exec, s[18:19]
	s_cbranch_vccz .LBB95_2161
; %bb.2160:
	global_load_ubyte v1, v[14:15], off
	s_mov_b32 s18, 0x7f800000
	s_waitcnt vmcnt(0)
	v_lshlrev_b32_e32 v1, 24, v1
	v_and_b32_e32 v3, 0x7f000000, v1
	v_ffbh_u32_e32 v5, v3
	v_min_u32_e32 v5, 32, v5
	v_sub_u32_e64 v5, v5, 4 clamp
	v_lshlrev_b32_e32 v10, v5, v3
	v_lshlrev_b32_e32 v5, 23, v5
	v_lshrrev_b32_e32 v10, 4, v10
	v_add_u32_e32 v8, 0x1000000, v3
	v_sub_u32_e32 v5, v10, v5
	v_ashrrev_i32_e32 v8, 8, v8
	v_add_u32_e32 v5, 0x3c000000, v5
	v_and_or_b32 v5, v8, s18, v5
	v_cmp_ne_u32_e32 vcc, 0, v3
	v_cndmask_b32_e32 v3, 0, v5, vcc
	s_brev_b32 s18, 1
	v_and_or_b32 v1, v1, s18, v3
	v_cvt_f64_f32_e32 v[18:19], v1
.LBB95_2161:
	s_mov_b64 s[18:19], 0
.LBB95_2162:
	s_andn2_b64 vcc, exec, s[18:19]
	s_cbranch_vccnz .LBB95_2164
; %bb.2163:
	global_load_ubyte v1, v[14:15], off
	s_movk_i32 s18, 0x7f00
	s_brev_b32 s19, 16
	s_waitcnt vmcnt(0)
	v_lshlrev_b16_e32 v3, 8, v1
	v_lshlrev_b32_e32 v1, 25, v1
	v_lshrrev_b32_e32 v5, 4, v1
	v_and_or_b32 v8, v3, s18, 0.5
	v_or_b32_e32 v5, 0x70000000, v5
	v_add_f32_e32 v8, -0.5, v8
	v_mul_f32_e32 v5, 0x7800000, v5
	v_cmp_gt_u32_e32 vcc, s19, v1
	v_bfe_i32 v3, v3, 0, 16
	v_cndmask_b32_e32 v1, v5, v8, vcc
	s_brev_b32 s18, 1
	v_and_or_b32 v1, v3, s18, v1
	v_cvt_f64_f32_e32 v[18:19], v1
.LBB95_2164:
	s_mov_b64 s[18:19], 0
	s_mov_b64 s[20:21], -1
.LBB95_2165:
	s_andn2_b64 vcc, exec, s[18:19]
	s_mov_b64 s[18:19], 0
	s_cbranch_vccnz .LBB95_2174
; %bb.2166:
	s_cmp_gt_i32 s26, 14
	s_cbranch_scc0 .LBB95_2169
; %bb.2167:
	s_cmp_eq_u32 s26, 15
	s_cbranch_scc0 .LBB95_2170
; %bb.2168:
	global_load_ushort v1, v[14:15], off
	s_mov_b64 s[16:17], 0
	s_mov_b64 s[20:21], -1
	s_waitcnt vmcnt(0)
	v_lshlrev_b32_e32 v1, 16, v1
	v_cvt_f64_f32_e32 v[18:19], v1
	s_branch .LBB95_2171
.LBB95_2169:
	s_mov_b64 s[22:23], -1
                                        ; implicit-def: $vgpr18_vgpr19
	s_branch .LBB95_2172
.LBB95_2170:
	s_mov_b64 s[16:17], -1
                                        ; implicit-def: $vgpr18_vgpr19
.LBB95_2171:
	s_mov_b64 s[22:23], 0
.LBB95_2172:
	s_and_b64 vcc, exec, s[22:23]
	s_cbranch_vccz .LBB95_2174
; %bb.2173:
	s_cmp_lg_u32 s26, 11
	s_mov_b64 s[18:19], -1
	s_cselect_b64 s[16:17], -1, 0
.LBB95_2174:
	s_and_b64 vcc, exec, s[16:17]
	s_cbranch_vccnz .LBB95_2256
; %bb.2175:
	s_andn2_b64 vcc, exec, s[18:19]
	s_cbranch_vccnz .LBB95_2177
.LBB95_2176:
	global_load_ubyte v1, v[14:15], off
	v_mov_b32_e32 v3, 0x3ff00000
	v_mov_b32_e32 v18, 0
	s_mov_b64 s[20:21], -1
	s_waitcnt vmcnt(0)
	v_cmp_ne_u16_e32 vcc, 0, v1
	v_cndmask_b32_e32 v19, 0, v3, vcc
.LBB95_2177:
	s_mov_b64 s[16:17], 0
.LBB95_2178:
	s_and_b64 vcc, exec, s[16:17]
	s_cbranch_vccz .LBB95_2227
; %bb.2179:
	s_and_b32 s18, 0xffff, s30
	s_cmp_lt_i32 s18, 5
	s_cbranch_scc1 .LBB95_2184
; %bb.2180:
	s_cmp_lt_i32 s18, 8
	s_cbranch_scc1 .LBB95_2185
; %bb.2181:
	;; [unrolled: 3-line block ×3, first 2 shown]
	s_cmp_gt_i32 s18, 9
	s_cbranch_scc0 .LBB95_2187
; %bb.2183:
	global_load_dwordx2 v[18:19], v[14:15], off
	s_mov_b64 s[16:17], 0
	s_branch .LBB95_2188
.LBB95_2184:
	s_mov_b64 s[16:17], -1
                                        ; implicit-def: $vgpr18_vgpr19
	s_branch .LBB95_2206
.LBB95_2185:
	s_mov_b64 s[16:17], -1
                                        ; implicit-def: $vgpr18_vgpr19
	s_branch .LBB95_2194
.LBB95_2186:
	s_mov_b64 s[16:17], -1
                                        ; implicit-def: $vgpr18_vgpr19
	s_branch .LBB95_2191
.LBB95_2187:
	s_mov_b64 s[16:17], -1
                                        ; implicit-def: $vgpr18_vgpr19
.LBB95_2188:
	s_andn2_b64 vcc, exec, s[16:17]
	s_cbranch_vccnz .LBB95_2190
; %bb.2189:
	global_load_dword v1, v[14:15], off
	s_waitcnt vmcnt(0)
	v_cvt_f64_f32_e32 v[18:19], v1
.LBB95_2190:
	s_mov_b64 s[16:17], 0
.LBB95_2191:
	s_andn2_b64 vcc, exec, s[16:17]
	s_cbranch_vccnz .LBB95_2193
; %bb.2192:
	global_load_dword v1, v[14:15], off
	s_waitcnt vmcnt(0)
	v_cvt_f32_f16_e32 v1, v1
	v_cvt_f64_f32_e32 v[18:19], v1
.LBB95_2193:
	s_mov_b64 s[16:17], 0
.LBB95_2194:
	s_andn2_b64 vcc, exec, s[16:17]
	s_cbranch_vccnz .LBB95_2205
; %bb.2195:
	s_cmp_lt_i32 s18, 6
	s_cbranch_scc1 .LBB95_2198
; %bb.2196:
	s_cmp_gt_i32 s18, 6
	s_cbranch_scc0 .LBB95_2199
; %bb.2197:
	global_load_dwordx2 v[18:19], v[14:15], off
	s_mov_b64 s[16:17], 0
	s_branch .LBB95_2200
.LBB95_2198:
	s_mov_b64 s[16:17], -1
                                        ; implicit-def: $vgpr18_vgpr19
	s_branch .LBB95_2203
.LBB95_2199:
	s_mov_b64 s[16:17], -1
                                        ; implicit-def: $vgpr18_vgpr19
.LBB95_2200:
	s_andn2_b64 vcc, exec, s[16:17]
	s_cbranch_vccnz .LBB95_2202
; %bb.2201:
	global_load_dword v1, v[14:15], off
	s_waitcnt vmcnt(0)
	v_cvt_f64_f32_e32 v[18:19], v1
.LBB95_2202:
	s_mov_b64 s[16:17], 0
.LBB95_2203:
	s_andn2_b64 vcc, exec, s[16:17]
	s_cbranch_vccnz .LBB95_2205
; %bb.2204:
	global_load_ushort v1, v[14:15], off
	s_waitcnt vmcnt(0)
	v_cvt_f32_f16_e32 v1, v1
	v_cvt_f64_f32_e32 v[18:19], v1
.LBB95_2205:
	s_mov_b64 s[16:17], 0
.LBB95_2206:
	s_andn2_b64 vcc, exec, s[16:17]
	s_cbranch_vccnz .LBB95_2226
; %bb.2207:
	s_cmp_lt_i32 s18, 2
	s_cbranch_scc1 .LBB95_2211
; %bb.2208:
	s_cmp_lt_i32 s18, 3
	s_cbranch_scc1 .LBB95_2212
; %bb.2209:
	s_cmp_gt_i32 s18, 3
	s_cbranch_scc0 .LBB95_2213
; %bb.2210:
	global_load_dwordx2 v[18:19], v[14:15], off
	s_mov_b64 s[16:17], 0
	s_waitcnt vmcnt(0)
	v_cvt_f64_i32_e32 v[19:20], v19
	v_cvt_f64_u32_e32 v[21:22], v18
	v_ldexp_f64 v[19:20], v[19:20], 32
	v_add_f64 v[18:19], v[19:20], v[21:22]
	s_branch .LBB95_2214
.LBB95_2211:
	s_mov_b64 s[16:17], -1
                                        ; implicit-def: $vgpr18_vgpr19
	s_branch .LBB95_2220
.LBB95_2212:
	s_mov_b64 s[16:17], -1
                                        ; implicit-def: $vgpr18_vgpr19
	s_branch .LBB95_2217
.LBB95_2213:
	s_mov_b64 s[16:17], -1
                                        ; implicit-def: $vgpr18_vgpr19
.LBB95_2214:
	s_andn2_b64 vcc, exec, s[16:17]
	s_cbranch_vccnz .LBB95_2216
; %bb.2215:
	global_load_dword v1, v[14:15], off
	s_waitcnt vmcnt(0)
	v_cvt_f64_i32_e32 v[18:19], v1
.LBB95_2216:
	s_mov_b64 s[16:17], 0
.LBB95_2217:
	s_andn2_b64 vcc, exec, s[16:17]
	s_cbranch_vccnz .LBB95_2219
; %bb.2218:
	global_load_sshort v1, v[14:15], off
	s_waitcnt vmcnt(0)
	v_cvt_f64_i32_e32 v[18:19], v1
.LBB95_2219:
	s_mov_b64 s[16:17], 0
.LBB95_2220:
	s_andn2_b64 vcc, exec, s[16:17]
	s_cbranch_vccnz .LBB95_2226
; %bb.2221:
	s_cmp_gt_i32 s18, 0
	s_cbranch_scc0 .LBB95_2223
; %bb.2222:
	global_load_sbyte v1, v[14:15], off
	s_mov_b64 s[16:17], 0
	s_waitcnt vmcnt(0)
	v_cvt_f64_i32_e32 v[18:19], v1
	s_branch .LBB95_2224
.LBB95_2223:
	s_mov_b64 s[16:17], -1
                                        ; implicit-def: $vgpr18_vgpr19
.LBB95_2224:
	s_andn2_b64 vcc, exec, s[16:17]
	s_cbranch_vccnz .LBB95_2226
; %bb.2225:
	global_load_ubyte v1, v[14:15], off
	s_waitcnt vmcnt(0)
	v_cvt_f64_u32_e32 v[18:19], v1
.LBB95_2226:
	s_mov_b64 s[20:21], -1
.LBB95_2227:
	s_andn2_b64 vcc, exec, s[20:21]
	s_cbranch_vccnz .LBB95_2788
; %bb.2228:
	s_cmp_lt_i32 s28, 1
	s_mov_b64 s[18:19], 0
	s_cbranch_scc1 .LBB95_2232
; %bb.2229:
	s_cmp_gt_i32 s28, 1
	s_cbranch_scc0 .LBB95_2233
; %bb.2230:
	s_cmp_eq_u32 s28, 2
	s_cbranch_scc0 .LBB95_2234
; %bb.2231:
	s_waitcnt vmcnt(0)
	v_cmp_le_f64_e64 s[16:17], v[16:17], v[18:19]
	s_mov_b64 s[20:21], 0
	s_branch .LBB95_2235
.LBB95_2232:
	s_mov_b64 s[22:23], -1
                                        ; implicit-def: $sgpr16_sgpr17
	s_mov_b64 s[20:21], 0
	s_branch .LBB95_2239
.LBB95_2233:
	s_mov_b64 s[22:23], -1
	s_mov_b64 s[20:21], 0
                                        ; implicit-def: $sgpr16_sgpr17
	s_branch .LBB95_2236
.LBB95_2234:
	s_mov_b64 s[20:21], -1
                                        ; implicit-def: $sgpr16_sgpr17
.LBB95_2235:
	s_mov_b64 s[22:23], 0
.LBB95_2236:
	s_and_b64 vcc, exec, s[22:23]
	s_cbranch_vccz .LBB95_2238
; %bb.2237:
	s_waitcnt vmcnt(0)
	v_cmp_gt_f64_e32 vcc, v[16:17], v[18:19]
	s_andn2_b64 s[16:17], s[16:17], exec
	s_and_b64 s[22:23], vcc, exec
	s_or_b64 s[16:17], s[16:17], s[22:23]
.LBB95_2238:
	s_mov_b64 s[22:23], 0
.LBB95_2239:
	s_and_b64 vcc, exec, s[22:23]
	s_cbranch_vccz .LBB95_2250
; %bb.2240:
	s_cmp_lg_u32 s28, 0
	s_mov_b64 s[18:19], -1
	s_cselect_b64 s[20:21], -1, 0
	s_andn2_b64 vcc, exec, s[20:21]
	s_cbranch_vccz .LBB95_2251
.LBB95_2241:
	s_andn2_b64 vcc, exec, s[18:19]
	s_cbranch_vccnz .LBB95_2243
.LBB95_2242:
	s_waitcnt vmcnt(0)
	v_cmp_ge_f64_e32 vcc, v[16:17], v[18:19]
	s_andn2_b64 s[16:17], s[16:17], exec
	s_and_b64 s[18:19], vcc, exec
	s_or_b64 s[16:17], s[16:17], s[18:19]
.LBB95_2243:
	v_mov_b32_e32 v1, s11
	v_add_co_u32_e32 v14, vcc, s10, v13
	s_cmp_lt_i32 s29, 11
	v_addc_co_u32_e32 v15, vcc, 0, v1, vcc
	s_cbranch_scc1 .LBB95_2252
; %bb.2244:
	s_and_b32 s31, 0xffff, s29
	s_cmp_gt_i32 s31, 25
	s_mov_b64 s[20:21], 0
	s_cbranch_scc0 .LBB95_2253
; %bb.2245:
	s_cmp_gt_i32 s31, 28
	s_cbranch_scc0 .LBB95_2254
; %bb.2246:
	s_cmp_gt_i32 s31, 43
	;; [unrolled: 3-line block ×3, first 2 shown]
	s_cbranch_scc0 .LBB95_2257
; %bb.2248:
	s_cmp_eq_u32 s31, 46
	s_mov_b64 s[24:25], 0
	s_cbranch_scc0 .LBB95_2258
; %bb.2249:
	global_load_dword v1, v[14:15], off
	s_mov_b64 s[18:19], 0
	s_mov_b64 s[22:23], -1
	s_waitcnt vmcnt(0)
	v_lshlrev_b32_e32 v1, 16, v1
	v_cvt_f64_f32_e32 v[12:13], v1
	s_branch .LBB95_2259
.LBB95_2250:
	s_andn2_b64 vcc, exec, s[20:21]
	s_cbranch_vccnz .LBB95_2241
.LBB95_2251:
	s_waitcnt vmcnt(0)
	v_cmp_lt_f64_e32 vcc, v[16:17], v[18:19]
	s_andn2_b64 s[16:17], s[16:17], exec
	s_and_b64 s[20:21], vcc, exec
	s_or_b64 s[16:17], s[16:17], s[20:21]
	s_cbranch_execz .LBB95_2242
	s_branch .LBB95_2243
.LBB95_2252:
	s_mov_b64 s[18:19], -1
	s_mov_b64 s[22:23], 0
                                        ; implicit-def: $vgpr12_vgpr13
	s_branch .LBB95_2325
.LBB95_2253:
	s_mov_b64 s[24:25], -1
	s_mov_b64 s[22:23], 0
	s_mov_b64 s[18:19], 0
                                        ; implicit-def: $vgpr12_vgpr13
	s_branch .LBB95_2290
.LBB95_2254:
	s_mov_b64 s[24:25], -1
	s_mov_b64 s[22:23], 0
	s_mov_b64 s[18:19], 0
                                        ; implicit-def: $vgpr12_vgpr13
	s_branch .LBB95_2269
.LBB95_2255:
	s_mov_b64 s[24:25], -1
	s_mov_b64 s[22:23], 0
	s_mov_b64 s[18:19], 0
                                        ; implicit-def: $vgpr12_vgpr13
	s_branch .LBB95_2264
.LBB95_2256:
	s_trap 2
	s_or_b64 s[4:5], s[4:5], exec
	s_cbranch_execz .LBB95_2176
	s_branch .LBB95_2177
.LBB95_2257:
	s_mov_b64 s[24:25], -1
	s_mov_b64 s[22:23], 0
	s_mov_b64 s[18:19], 0
                                        ; implicit-def: $vgpr12_vgpr13
	s_branch .LBB95_2259
.LBB95_2258:
	s_mov_b64 s[18:19], -1
                                        ; implicit-def: $vgpr12_vgpr13
	s_mov_b64 s[22:23], 0
.LBB95_2259:
	s_and_b64 vcc, exec, s[24:25]
	s_cbranch_vccz .LBB95_2263
; %bb.2260:
	s_cmp_eq_u32 s31, 44
	s_cbranch_scc0 .LBB95_2262
; %bb.2261:
	global_load_ubyte v1, v[14:15], off
	s_movk_i32 s22, 0xff
	v_bfrev_b32_e32 v3, 4
	v_mov_b32_e32 v5, 0x7ff80000
	s_mov_b64 s[18:19], 0
	s_waitcnt vmcnt(0)
	v_lshlrev_b32_e32 v8, 23, v1
	v_cvt_f64_f32_e32 v[12:13], v8
	v_cmp_ne_u32_e32 vcc, s22, v1
	v_bfrev_b32_e32 v8, 28
	s_mov_b64 s[22:23], -1
	v_cndmask_b32_e32 v3, v3, v12, vcc
	v_cndmask_b32_e32 v5, v5, v13, vcc
	v_cmp_ne_u32_e32 vcc, 0, v1
	v_cndmask_b32_e32 v13, v8, v5, vcc
	v_cndmask_b32_e32 v12, 0, v3, vcc
	s_branch .LBB95_2263
.LBB95_2262:
	s_mov_b64 s[18:19], -1
                                        ; implicit-def: $vgpr12_vgpr13
.LBB95_2263:
	s_mov_b64 s[24:25], 0
.LBB95_2264:
	s_and_b64 vcc, exec, s[24:25]
	s_cbranch_vccz .LBB95_2268
; %bb.2265:
	s_cmp_eq_u32 s31, 29
	s_cbranch_scc0 .LBB95_2267
; %bb.2266:
	global_load_dwordx2 v[12:13], v[14:15], off
	s_mov_b64 s[18:19], 0
	s_mov_b64 s[22:23], -1
	s_mov_b64 s[24:25], 0
	s_waitcnt vmcnt(0)
	v_cvt_f64_u32_e32 v[16:17], v13
	v_cvt_f64_u32_e32 v[12:13], v12
	v_ldexp_f64 v[16:17], v[16:17], 32
	v_add_f64 v[12:13], v[16:17], v[12:13]
	s_branch .LBB95_2269
.LBB95_2267:
	s_mov_b64 s[18:19], -1
                                        ; implicit-def: $vgpr12_vgpr13
.LBB95_2268:
	s_mov_b64 s[24:25], 0
.LBB95_2269:
	s_and_b64 vcc, exec, s[24:25]
	s_cbranch_vccz .LBB95_2289
; %bb.2270:
	s_cmp_lt_i32 s31, 27
	s_cbranch_scc1 .LBB95_2273
; %bb.2271:
	s_cmp_gt_i32 s31, 27
	s_cbranch_scc0 .LBB95_2274
; %bb.2272:
	global_load_dword v1, v[14:15], off
	s_mov_b64 s[22:23], 0
	s_waitcnt vmcnt(0)
	v_cvt_f64_u32_e32 v[12:13], v1
	s_branch .LBB95_2275
.LBB95_2273:
	s_mov_b64 s[22:23], -1
                                        ; implicit-def: $vgpr12_vgpr13
	s_branch .LBB95_2278
.LBB95_2274:
	s_mov_b64 s[22:23], -1
                                        ; implicit-def: $vgpr12_vgpr13
.LBB95_2275:
	s_andn2_b64 vcc, exec, s[22:23]
	s_cbranch_vccnz .LBB95_2277
; %bb.2276:
	global_load_ushort v1, v[14:15], off
	s_waitcnt vmcnt(0)
	v_cvt_f64_u32_e32 v[12:13], v1
.LBB95_2277:
	s_mov_b64 s[22:23], 0
.LBB95_2278:
	s_andn2_b64 vcc, exec, s[22:23]
	s_cbranch_vccnz .LBB95_2288
; %bb.2279:
	global_load_ubyte v1, v[14:15], off
	s_movk_i32 s22, 0x7f
	s_waitcnt vmcnt(0)
	v_cmp_lt_i16_e32 vcc, s22, v1
	s_mov_b64 s[22:23], 0
	s_and_saveexec_b64 s[24:25], vcc
	s_xor_b64 s[24:25], exec, s[24:25]
	s_cbranch_execz .LBB95_2283
; %bb.2280:
	s_movk_i32 s22, 0x80
	v_cmp_eq_u16_e32 vcc, s22, v1
	s_mov_b64 s[22:23], -1
	s_and_saveexec_b64 s[26:27], vcc
; %bb.2281:
	s_xor_b64 s[22:23], exec, -1
; %bb.2282:
	s_or_b64 exec, exec, s[26:27]
	s_and_b64 s[22:23], s[22:23], exec
.LBB95_2283:
	s_or_saveexec_b64 s[24:25], s[24:25]
	v_bfrev_b32_e32 v12, 4
	v_mov_b32_e32 v13, 0x7ff80000
	s_xor_b64 exec, exec, s[24:25]
; %bb.2284:
	v_cmp_ne_u16_e32 vcc, 0, v1
	v_mov_b32_e32 v12, 0
	s_andn2_b64 s[22:23], s[22:23], exec
	s_and_b64 s[26:27], vcc, exec
	v_mov_b32_e32 v13, 0
	s_or_b64 s[22:23], s[22:23], s[26:27]
; %bb.2285:
	s_or_b64 exec, exec, s[24:25]
	s_and_saveexec_b64 s[24:25], s[22:23]
	s_cbranch_execz .LBB95_2287
; %bb.2286:
	v_lshlrev_b32_e32 v3, 24, v1
	v_and_b32_e32 v1, 0xffff, v1
	v_and_b32_e32 v5, 7, v1
	v_ffbh_u32_e32 v10, v5
	v_min_u32_e32 v10, 32, v10
	v_subrev_u32_e32 v12, 28, v10
	v_bfe_u32 v8, v1, 3, 4
	v_lshlrev_b32_e32 v1, v12, v1
	v_sub_u32_e32 v10, 29, v10
	v_and_b32_e32 v1, 7, v1
	v_cmp_eq_u32_e32 vcc, 0, v8
	v_cndmask_b32_e32 v8, v8, v10, vcc
	v_cndmask_b32_e32 v1, v5, v1, vcc
	v_mov_b32_e32 v5, 0x3b800000
	v_lshlrev_b32_e32 v1, 20, v1
	v_and_b32_e32 v3, 0x80000000, v3
	v_lshl_add_u32 v5, v8, 23, v5
	v_or3_b32 v1, v3, v5, v1
	v_cvt_f64_f32_e32 v[12:13], v1
.LBB95_2287:
	s_or_b64 exec, exec, s[24:25]
.LBB95_2288:
	s_mov_b64 s[22:23], -1
.LBB95_2289:
	s_mov_b64 s[24:25], 0
.LBB95_2290:
	s_and_b64 vcc, exec, s[24:25]
	s_cbranch_vccz .LBB95_2321
; %bb.2291:
	s_cmp_gt_i32 s31, 22
	s_cbranch_scc0 .LBB95_2303
; %bb.2292:
	s_cmp_lt_i32 s31, 24
	s_cbranch_scc1 .LBB95_2304
; %bb.2293:
	s_cmp_gt_i32 s31, 24
	s_cbranch_scc0 .LBB95_2305
; %bb.2294:
	global_load_ubyte v1, v[14:15], off
	s_movk_i32 s20, 0x7f
	s_waitcnt vmcnt(0)
	v_cmp_lt_i16_e32 vcc, s20, v1
	s_mov_b64 s[20:21], 0
	s_and_saveexec_b64 s[22:23], vcc
	s_xor_b64 s[22:23], exec, s[22:23]
	s_cbranch_execz .LBB95_2298
; %bb.2295:
	s_movk_i32 s20, 0x80
	v_cmp_eq_u16_e32 vcc, s20, v1
	s_mov_b64 s[20:21], -1
	s_and_saveexec_b64 s[24:25], vcc
; %bb.2296:
	s_xor_b64 s[20:21], exec, -1
; %bb.2297:
	s_or_b64 exec, exec, s[24:25]
	s_and_b64 s[20:21], s[20:21], exec
.LBB95_2298:
	s_or_saveexec_b64 s[22:23], s[22:23]
	v_bfrev_b32_e32 v12, 4
	v_mov_b32_e32 v13, 0x7ff80000
	s_xor_b64 exec, exec, s[22:23]
; %bb.2299:
	v_cmp_ne_u16_e32 vcc, 0, v1
	v_mov_b32_e32 v12, 0
	s_andn2_b64 s[20:21], s[20:21], exec
	s_and_b64 s[24:25], vcc, exec
	v_mov_b32_e32 v13, 0
	s_or_b64 s[20:21], s[20:21], s[24:25]
; %bb.2300:
	s_or_b64 exec, exec, s[22:23]
	s_and_saveexec_b64 s[22:23], s[20:21]
	s_cbranch_execz .LBB95_2302
; %bb.2301:
	v_lshlrev_b32_e32 v3, 24, v1
	v_and_b32_e32 v1, 0xffff, v1
	v_and_b32_e32 v5, 3, v1
	v_ffbh_u32_e32 v10, v5
	v_min_u32_e32 v10, 32, v10
	v_subrev_u32_e32 v12, 29, v10
	v_bfe_u32 v8, v1, 2, 5
	v_lshlrev_b32_e32 v1, v12, v1
	v_sub_u32_e32 v10, 30, v10
	v_and_b32_e32 v1, 3, v1
	v_cmp_eq_u32_e32 vcc, 0, v8
	v_cndmask_b32_e32 v8, v8, v10, vcc
	v_cndmask_b32_e32 v1, v5, v1, vcc
	v_mov_b32_e32 v5, 0x37800000
	v_lshlrev_b32_e32 v1, 21, v1
	v_and_b32_e32 v3, 0x80000000, v3
	v_lshl_add_u32 v5, v8, 23, v5
	v_or3_b32 v1, v3, v5, v1
	v_cvt_f64_f32_e32 v[12:13], v1
.LBB95_2302:
	s_or_b64 exec, exec, s[22:23]
	s_mov_b64 s[20:21], 0
	s_branch .LBB95_2306
.LBB95_2303:
	s_mov_b64 s[20:21], -1
                                        ; implicit-def: $vgpr12_vgpr13
	s_branch .LBB95_2312
.LBB95_2304:
	s_mov_b64 s[20:21], -1
                                        ; implicit-def: $vgpr12_vgpr13
	s_branch .LBB95_2309
.LBB95_2305:
	s_mov_b64 s[20:21], -1
                                        ; implicit-def: $vgpr12_vgpr13
.LBB95_2306:
	s_and_b64 vcc, exec, s[20:21]
	s_cbranch_vccz .LBB95_2308
; %bb.2307:
	global_load_ubyte v1, v[14:15], off
	s_mov_b32 s20, 0x7f800000
	s_waitcnt vmcnt(0)
	v_lshlrev_b32_e32 v1, 24, v1
	v_and_b32_e32 v3, 0x7f000000, v1
	v_ffbh_u32_e32 v5, v3
	v_min_u32_e32 v5, 32, v5
	v_sub_u32_e64 v5, v5, 4 clamp
	v_lshlrev_b32_e32 v10, v5, v3
	v_lshlrev_b32_e32 v5, 23, v5
	v_lshrrev_b32_e32 v10, 4, v10
	v_add_u32_e32 v8, 0x1000000, v3
	v_sub_u32_e32 v5, v10, v5
	v_ashrrev_i32_e32 v8, 8, v8
	v_add_u32_e32 v5, 0x3c000000, v5
	v_and_or_b32 v5, v8, s20, v5
	v_cmp_ne_u32_e32 vcc, 0, v3
	v_cndmask_b32_e32 v3, 0, v5, vcc
	s_brev_b32 s20, 1
	v_and_or_b32 v1, v1, s20, v3
	v_cvt_f64_f32_e32 v[12:13], v1
.LBB95_2308:
	s_mov_b64 s[20:21], 0
.LBB95_2309:
	s_andn2_b64 vcc, exec, s[20:21]
	s_cbranch_vccnz .LBB95_2311
; %bb.2310:
	global_load_ubyte v1, v[14:15], off
	s_movk_i32 s20, 0x7f00
	s_brev_b32 s21, 16
	s_waitcnt vmcnt(0)
	v_lshlrev_b16_e32 v3, 8, v1
	v_lshlrev_b32_e32 v1, 25, v1
	v_lshrrev_b32_e32 v5, 4, v1
	v_and_or_b32 v8, v3, s20, 0.5
	v_or_b32_e32 v5, 0x70000000, v5
	v_add_f32_e32 v8, -0.5, v8
	v_mul_f32_e32 v5, 0x7800000, v5
	v_cmp_gt_u32_e32 vcc, s21, v1
	v_bfe_i32 v3, v3, 0, 16
	v_cndmask_b32_e32 v1, v5, v8, vcc
	s_brev_b32 s20, 1
	v_and_or_b32 v1, v3, s20, v1
	v_cvt_f64_f32_e32 v[12:13], v1
.LBB95_2311:
	s_mov_b64 s[20:21], 0
	s_mov_b64 s[22:23], -1
.LBB95_2312:
	s_andn2_b64 vcc, exec, s[20:21]
	s_mov_b64 s[20:21], 0
	s_cbranch_vccnz .LBB95_2321
; %bb.2313:
	s_cmp_gt_i32 s31, 14
	s_cbranch_scc0 .LBB95_2316
; %bb.2314:
	s_cmp_eq_u32 s31, 15
	s_cbranch_scc0 .LBB95_2317
; %bb.2315:
	global_load_ushort v1, v[14:15], off
	s_mov_b64 s[18:19], 0
	s_mov_b64 s[22:23], -1
	s_waitcnt vmcnt(0)
	v_lshlrev_b32_e32 v1, 16, v1
	v_cvt_f64_f32_e32 v[12:13], v1
	s_branch .LBB95_2318
.LBB95_2316:
	s_mov_b64 s[24:25], -1
                                        ; implicit-def: $vgpr12_vgpr13
	s_branch .LBB95_2319
.LBB95_2317:
	s_mov_b64 s[18:19], -1
                                        ; implicit-def: $vgpr12_vgpr13
.LBB95_2318:
	s_mov_b64 s[24:25], 0
.LBB95_2319:
	s_and_b64 vcc, exec, s[24:25]
	s_cbranch_vccz .LBB95_2321
; %bb.2320:
	s_cmp_lg_u32 s31, 11
	s_mov_b64 s[20:21], -1
	s_cselect_b64 s[18:19], -1, 0
.LBB95_2321:
	s_and_b64 vcc, exec, s[18:19]
	s_cbranch_vccnz .LBB95_2386
; %bb.2322:
	s_andn2_b64 vcc, exec, s[20:21]
	s_cbranch_vccnz .LBB95_2324
.LBB95_2323:
	global_load_ubyte v1, v[14:15], off
	v_mov_b32_e32 v3, 0x3ff00000
	v_mov_b32_e32 v12, 0
	s_mov_b64 s[22:23], -1
	s_waitcnt vmcnt(0)
	v_cmp_ne_u16_e32 vcc, 0, v1
	v_cndmask_b32_e32 v13, 0, v3, vcc
.LBB95_2324:
	s_mov_b64 s[18:19], 0
.LBB95_2325:
	s_and_b64 vcc, exec, s[18:19]
	s_cbranch_vccz .LBB95_2374
; %bb.2326:
	s_and_b32 s20, 0xffff, s29
	s_cmp_lt_i32 s20, 5
	s_cbranch_scc1 .LBB95_2331
; %bb.2327:
	s_cmp_lt_i32 s20, 8
	s_cbranch_scc1 .LBB95_2332
; %bb.2328:
	;; [unrolled: 3-line block ×3, first 2 shown]
	s_cmp_gt_i32 s20, 9
	s_cbranch_scc0 .LBB95_2334
; %bb.2330:
	global_load_dwordx2 v[12:13], v[14:15], off
	s_mov_b64 s[18:19], 0
	s_branch .LBB95_2335
.LBB95_2331:
	s_mov_b64 s[18:19], -1
                                        ; implicit-def: $vgpr12_vgpr13
	s_branch .LBB95_2353
.LBB95_2332:
	s_mov_b64 s[18:19], -1
                                        ; implicit-def: $vgpr12_vgpr13
	s_branch .LBB95_2341
.LBB95_2333:
	s_mov_b64 s[18:19], -1
                                        ; implicit-def: $vgpr12_vgpr13
	s_branch .LBB95_2338
.LBB95_2334:
	s_mov_b64 s[18:19], -1
                                        ; implicit-def: $vgpr12_vgpr13
.LBB95_2335:
	s_andn2_b64 vcc, exec, s[18:19]
	s_cbranch_vccnz .LBB95_2337
; %bb.2336:
	global_load_dword v1, v[14:15], off
	s_waitcnt vmcnt(0)
	v_cvt_f64_f32_e32 v[12:13], v1
.LBB95_2337:
	s_mov_b64 s[18:19], 0
.LBB95_2338:
	s_andn2_b64 vcc, exec, s[18:19]
	s_cbranch_vccnz .LBB95_2340
; %bb.2339:
	global_load_dword v1, v[14:15], off
	s_waitcnt vmcnt(0)
	v_cvt_f32_f16_e32 v1, v1
	v_cvt_f64_f32_e32 v[12:13], v1
.LBB95_2340:
	s_mov_b64 s[18:19], 0
.LBB95_2341:
	s_andn2_b64 vcc, exec, s[18:19]
	s_cbranch_vccnz .LBB95_2352
; %bb.2342:
	s_cmp_lt_i32 s20, 6
	s_cbranch_scc1 .LBB95_2345
; %bb.2343:
	s_cmp_gt_i32 s20, 6
	s_cbranch_scc0 .LBB95_2346
; %bb.2344:
	global_load_dwordx2 v[12:13], v[14:15], off
	s_mov_b64 s[18:19], 0
	s_branch .LBB95_2347
.LBB95_2345:
	s_mov_b64 s[18:19], -1
                                        ; implicit-def: $vgpr12_vgpr13
	s_branch .LBB95_2350
.LBB95_2346:
	s_mov_b64 s[18:19], -1
                                        ; implicit-def: $vgpr12_vgpr13
.LBB95_2347:
	s_andn2_b64 vcc, exec, s[18:19]
	s_cbranch_vccnz .LBB95_2349
; %bb.2348:
	global_load_dword v1, v[14:15], off
	s_waitcnt vmcnt(0)
	v_cvt_f64_f32_e32 v[12:13], v1
.LBB95_2349:
	s_mov_b64 s[18:19], 0
.LBB95_2350:
	s_andn2_b64 vcc, exec, s[18:19]
	s_cbranch_vccnz .LBB95_2352
; %bb.2351:
	global_load_ushort v1, v[14:15], off
	s_waitcnt vmcnt(0)
	v_cvt_f32_f16_e32 v1, v1
	v_cvt_f64_f32_e32 v[12:13], v1
.LBB95_2352:
	s_mov_b64 s[18:19], 0
.LBB95_2353:
	s_andn2_b64 vcc, exec, s[18:19]
	s_cbranch_vccnz .LBB95_2373
; %bb.2354:
	s_cmp_lt_i32 s20, 2
	s_cbranch_scc1 .LBB95_2358
; %bb.2355:
	s_cmp_lt_i32 s20, 3
	s_cbranch_scc1 .LBB95_2359
; %bb.2356:
	s_cmp_gt_i32 s20, 3
	s_cbranch_scc0 .LBB95_2360
; %bb.2357:
	global_load_dwordx2 v[12:13], v[14:15], off
	s_mov_b64 s[18:19], 0
	s_waitcnt vmcnt(0)
	v_cvt_f64_i32_e32 v[16:17], v13
	v_cvt_f64_u32_e32 v[12:13], v12
	v_ldexp_f64 v[16:17], v[16:17], 32
	v_add_f64 v[12:13], v[16:17], v[12:13]
	s_branch .LBB95_2361
.LBB95_2358:
	s_mov_b64 s[18:19], -1
                                        ; implicit-def: $vgpr12_vgpr13
	s_branch .LBB95_2367
.LBB95_2359:
	s_mov_b64 s[18:19], -1
                                        ; implicit-def: $vgpr12_vgpr13
	s_branch .LBB95_2364
.LBB95_2360:
	s_mov_b64 s[18:19], -1
                                        ; implicit-def: $vgpr12_vgpr13
.LBB95_2361:
	s_andn2_b64 vcc, exec, s[18:19]
	s_cbranch_vccnz .LBB95_2363
; %bb.2362:
	global_load_dword v1, v[14:15], off
	s_waitcnt vmcnt(0)
	v_cvt_f64_i32_e32 v[12:13], v1
.LBB95_2363:
	s_mov_b64 s[18:19], 0
.LBB95_2364:
	s_andn2_b64 vcc, exec, s[18:19]
	s_cbranch_vccnz .LBB95_2366
; %bb.2365:
	global_load_sshort v1, v[14:15], off
	s_waitcnt vmcnt(0)
	v_cvt_f64_i32_e32 v[12:13], v1
.LBB95_2366:
	s_mov_b64 s[18:19], 0
.LBB95_2367:
	s_andn2_b64 vcc, exec, s[18:19]
	s_cbranch_vccnz .LBB95_2373
; %bb.2368:
	s_cmp_gt_i32 s20, 0
	s_cbranch_scc0 .LBB95_2370
; %bb.2369:
	global_load_sbyte v1, v[14:15], off
	s_mov_b64 s[18:19], 0
	s_waitcnt vmcnt(0)
	v_cvt_f64_i32_e32 v[12:13], v1
	s_branch .LBB95_2371
.LBB95_2370:
	s_mov_b64 s[18:19], -1
                                        ; implicit-def: $vgpr12_vgpr13
.LBB95_2371:
	s_andn2_b64 vcc, exec, s[18:19]
	s_cbranch_vccnz .LBB95_2373
; %bb.2372:
	global_load_ubyte v1, v[14:15], off
	s_waitcnt vmcnt(0)
	v_cvt_f64_u32_e32 v[12:13], v1
.LBB95_2373:
	s_mov_b64 s[22:23], -1
.LBB95_2374:
	s_andn2_b64 vcc, exec, s[22:23]
	s_cbranch_vccnz .LBB95_2788
; %bb.2375:
	v_mov_b32_e32 v1, s1
	v_add_co_u32_e32 v10, vcc, s0, v11
	s_cmp_lt_i32 s30, 11
	v_addc_co_u32_e32 v11, vcc, 0, v1, vcc
	s_cbranch_scc1 .LBB95_2382
; %bb.2376:
	s_and_b32 s31, 0xffff, s30
	s_cmp_gt_i32 s31, 25
	s_mov_b64 s[20:21], 0
	s_cbranch_scc0 .LBB95_2383
; %bb.2377:
	s_cmp_gt_i32 s31, 28
	s_cbranch_scc0 .LBB95_2384
; %bb.2378:
	s_cmp_gt_i32 s31, 43
	;; [unrolled: 3-line block ×3, first 2 shown]
	s_cbranch_scc0 .LBB95_2387
; %bb.2380:
	s_cmp_eq_u32 s31, 46
	s_mov_b64 s[24:25], 0
	s_cbranch_scc0 .LBB95_2390
; %bb.2381:
	global_load_dword v1, v[10:11], off
	s_mov_b64 s[18:19], 0
	s_mov_b64 s[22:23], -1
	s_waitcnt vmcnt(0)
	v_lshlrev_b32_e32 v1, 16, v1
	v_cvt_f64_f32_e32 v[14:15], v1
	s_branch .LBB95_2391
.LBB95_2382:
	s_mov_b64 s[18:19], -1
	s_mov_b64 s[22:23], 0
                                        ; implicit-def: $vgpr14_vgpr15
	s_branch .LBB95_2457
.LBB95_2383:
	s_mov_b64 s[24:25], -1
	s_mov_b64 s[22:23], 0
	s_mov_b64 s[18:19], 0
                                        ; implicit-def: $vgpr14_vgpr15
	s_branch .LBB95_2422
.LBB95_2384:
	s_mov_b64 s[24:25], -1
	s_mov_b64 s[22:23], 0
	s_mov_b64 s[18:19], 0
                                        ; implicit-def: $vgpr14_vgpr15
	s_branch .LBB95_2401
.LBB95_2385:
	s_mov_b64 s[24:25], -1
	s_mov_b64 s[22:23], 0
	s_mov_b64 s[18:19], 0
                                        ; implicit-def: $vgpr14_vgpr15
	s_branch .LBB95_2396
.LBB95_2386:
	s_trap 2
	s_or_b64 s[4:5], s[4:5], exec
	s_cbranch_execz .LBB95_2323
	s_branch .LBB95_2324
.LBB95_2387:
	s_mov_b64 s[24:25], -1
	s_mov_b64 s[22:23], 0
	s_mov_b64 s[18:19], 0
                                        ; implicit-def: $vgpr14_vgpr15
	s_branch .LBB95_2391
.LBB95_2388:
	s_andn2_saveexec_b64 s[66:67], s[66:67]
	s_cbranch_execz .LBB95_1169
.LBB95_2389:
	v_add_f32_e32 v2, 0x42800000, v3
	v_and_b32_e32 v2, 0xff, v2
	v_cmp_ne_u32_e32 vcc, 0, v2
	s_andn2_b64 s[64:65], s[64:65], exec
	s_and_b64 s[76:77], vcc, exec
	s_or_b64 s[64:65], s[64:65], s[76:77]
	s_or_b64 exec, exec, s[66:67]
	v_mov_b32_e32 v4, 0
	s_and_saveexec_b64 s[66:67], s[64:65]
	s_cbranch_execnz .LBB95_1170
	s_branch .LBB95_1171
.LBB95_2390:
	s_mov_b64 s[18:19], -1
                                        ; implicit-def: $vgpr14_vgpr15
	s_mov_b64 s[22:23], 0
.LBB95_2391:
	s_and_b64 vcc, exec, s[24:25]
	s_cbranch_vccz .LBB95_2395
; %bb.2392:
	s_cmp_eq_u32 s31, 44
	s_cbranch_scc0 .LBB95_2394
; %bb.2393:
	global_load_ubyte v1, v[10:11], off
	s_movk_i32 s22, 0xff
	v_bfrev_b32_e32 v3, 4
	v_mov_b32_e32 v5, 0x7ff80000
	s_mov_b64 s[18:19], 0
	s_waitcnt vmcnt(0)
	v_lshlrev_b32_e32 v8, 23, v1
	v_cvt_f64_f32_e32 v[14:15], v8
	v_cmp_ne_u32_e32 vcc, s22, v1
	v_bfrev_b32_e32 v8, 28
	s_mov_b64 s[22:23], -1
	v_cndmask_b32_e32 v3, v3, v14, vcc
	v_cndmask_b32_e32 v5, v5, v15, vcc
	v_cmp_ne_u32_e32 vcc, 0, v1
	v_cndmask_b32_e32 v15, v8, v5, vcc
	v_cndmask_b32_e32 v14, 0, v3, vcc
	s_branch .LBB95_2395
.LBB95_2394:
	s_mov_b64 s[18:19], -1
                                        ; implicit-def: $vgpr14_vgpr15
.LBB95_2395:
	s_mov_b64 s[24:25], 0
.LBB95_2396:
	s_and_b64 vcc, exec, s[24:25]
	s_cbranch_vccz .LBB95_2400
; %bb.2397:
	s_cmp_eq_u32 s31, 29
	s_cbranch_scc0 .LBB95_2399
; %bb.2398:
	global_load_dwordx2 v[14:15], v[10:11], off
	s_mov_b64 s[18:19], 0
	s_mov_b64 s[22:23], -1
	s_mov_b64 s[24:25], 0
	s_waitcnt vmcnt(0)
	v_cvt_f64_u32_e32 v[15:16], v15
	v_cvt_f64_u32_e32 v[17:18], v14
	v_ldexp_f64 v[15:16], v[15:16], 32
	v_add_f64 v[14:15], v[15:16], v[17:18]
	s_branch .LBB95_2401
.LBB95_2399:
	s_mov_b64 s[18:19], -1
                                        ; implicit-def: $vgpr14_vgpr15
.LBB95_2400:
	s_mov_b64 s[24:25], 0
.LBB95_2401:
	s_and_b64 vcc, exec, s[24:25]
	s_cbranch_vccz .LBB95_2421
; %bb.2402:
	s_cmp_lt_i32 s31, 27
	s_cbranch_scc1 .LBB95_2405
; %bb.2403:
	s_cmp_gt_i32 s31, 27
	s_cbranch_scc0 .LBB95_2406
; %bb.2404:
	global_load_dword v1, v[10:11], off
	s_mov_b64 s[22:23], 0
	s_waitcnt vmcnt(0)
	v_cvt_f64_u32_e32 v[14:15], v1
	s_branch .LBB95_2407
.LBB95_2405:
	s_mov_b64 s[22:23], -1
                                        ; implicit-def: $vgpr14_vgpr15
	s_branch .LBB95_2410
.LBB95_2406:
	s_mov_b64 s[22:23], -1
                                        ; implicit-def: $vgpr14_vgpr15
.LBB95_2407:
	s_andn2_b64 vcc, exec, s[22:23]
	s_cbranch_vccnz .LBB95_2409
; %bb.2408:
	global_load_ushort v1, v[10:11], off
	s_waitcnt vmcnt(0)
	v_cvt_f64_u32_e32 v[14:15], v1
.LBB95_2409:
	s_mov_b64 s[22:23], 0
.LBB95_2410:
	s_andn2_b64 vcc, exec, s[22:23]
	s_cbranch_vccnz .LBB95_2420
; %bb.2411:
	global_load_ubyte v1, v[10:11], off
	s_movk_i32 s22, 0x7f
	s_waitcnt vmcnt(0)
	v_cmp_lt_i16_e32 vcc, s22, v1
	s_mov_b64 s[22:23], 0
	s_and_saveexec_b64 s[24:25], vcc
	s_xor_b64 s[24:25], exec, s[24:25]
	s_cbranch_execz .LBB95_2415
; %bb.2412:
	s_movk_i32 s22, 0x80
	v_cmp_eq_u16_e32 vcc, s22, v1
	s_mov_b64 s[22:23], -1
	s_and_saveexec_b64 s[26:27], vcc
; %bb.2413:
	s_xor_b64 s[22:23], exec, -1
; %bb.2414:
	s_or_b64 exec, exec, s[26:27]
	s_and_b64 s[22:23], s[22:23], exec
.LBB95_2415:
	s_or_saveexec_b64 s[24:25], s[24:25]
	v_bfrev_b32_e32 v14, 4
	v_mov_b32_e32 v15, 0x7ff80000
	s_xor_b64 exec, exec, s[24:25]
; %bb.2416:
	v_cmp_ne_u16_e32 vcc, 0, v1
	v_mov_b32_e32 v14, 0
	s_andn2_b64 s[22:23], s[22:23], exec
	s_and_b64 s[26:27], vcc, exec
	v_mov_b32_e32 v15, 0
	s_or_b64 s[22:23], s[22:23], s[26:27]
; %bb.2417:
	s_or_b64 exec, exec, s[24:25]
	s_and_saveexec_b64 s[24:25], s[22:23]
	s_cbranch_execz .LBB95_2419
; %bb.2418:
	v_lshlrev_b32_e32 v3, 24, v1
	v_and_b32_e32 v1, 0xffff, v1
	v_and_b32_e32 v5, 7, v1
	v_ffbh_u32_e32 v14, v5
	v_min_u32_e32 v14, 32, v14
	v_subrev_u32_e32 v15, 28, v14
	v_bfe_u32 v8, v1, 3, 4
	v_lshlrev_b32_e32 v1, v15, v1
	v_sub_u32_e32 v14, 29, v14
	v_and_b32_e32 v1, 7, v1
	v_cmp_eq_u32_e32 vcc, 0, v8
	v_cndmask_b32_e32 v8, v8, v14, vcc
	v_cndmask_b32_e32 v1, v5, v1, vcc
	v_mov_b32_e32 v5, 0x3b800000
	v_lshlrev_b32_e32 v1, 20, v1
	v_and_b32_e32 v3, 0x80000000, v3
	v_lshl_add_u32 v5, v8, 23, v5
	v_or3_b32 v1, v3, v5, v1
	v_cvt_f64_f32_e32 v[14:15], v1
.LBB95_2419:
	s_or_b64 exec, exec, s[24:25]
.LBB95_2420:
	s_mov_b64 s[22:23], -1
.LBB95_2421:
	s_mov_b64 s[24:25], 0
.LBB95_2422:
	s_and_b64 vcc, exec, s[24:25]
	s_cbranch_vccz .LBB95_2453
; %bb.2423:
	s_cmp_gt_i32 s31, 22
	s_cbranch_scc0 .LBB95_2435
; %bb.2424:
	s_cmp_lt_i32 s31, 24
	s_cbranch_scc1 .LBB95_2436
; %bb.2425:
	s_cmp_gt_i32 s31, 24
	s_cbranch_scc0 .LBB95_2437
; %bb.2426:
	global_load_ubyte v1, v[10:11], off
	s_movk_i32 s20, 0x7f
	s_waitcnt vmcnt(0)
	v_cmp_lt_i16_e32 vcc, s20, v1
	s_mov_b64 s[20:21], 0
	s_and_saveexec_b64 s[22:23], vcc
	s_xor_b64 s[22:23], exec, s[22:23]
	s_cbranch_execz .LBB95_2430
; %bb.2427:
	s_movk_i32 s20, 0x80
	v_cmp_eq_u16_e32 vcc, s20, v1
	s_mov_b64 s[20:21], -1
	s_and_saveexec_b64 s[24:25], vcc
; %bb.2428:
	s_xor_b64 s[20:21], exec, -1
; %bb.2429:
	s_or_b64 exec, exec, s[24:25]
	s_and_b64 s[20:21], s[20:21], exec
.LBB95_2430:
	s_or_saveexec_b64 s[22:23], s[22:23]
	v_bfrev_b32_e32 v14, 4
	v_mov_b32_e32 v15, 0x7ff80000
	s_xor_b64 exec, exec, s[22:23]
; %bb.2431:
	v_cmp_ne_u16_e32 vcc, 0, v1
	v_mov_b32_e32 v14, 0
	s_andn2_b64 s[20:21], s[20:21], exec
	s_and_b64 s[24:25], vcc, exec
	v_mov_b32_e32 v15, 0
	s_or_b64 s[20:21], s[20:21], s[24:25]
; %bb.2432:
	s_or_b64 exec, exec, s[22:23]
	s_and_saveexec_b64 s[22:23], s[20:21]
	s_cbranch_execz .LBB95_2434
; %bb.2433:
	v_lshlrev_b32_e32 v3, 24, v1
	v_and_b32_e32 v1, 0xffff, v1
	v_and_b32_e32 v5, 3, v1
	v_ffbh_u32_e32 v14, v5
	v_min_u32_e32 v14, 32, v14
	v_subrev_u32_e32 v15, 29, v14
	v_bfe_u32 v8, v1, 2, 5
	v_lshlrev_b32_e32 v1, v15, v1
	v_sub_u32_e32 v14, 30, v14
	v_and_b32_e32 v1, 3, v1
	v_cmp_eq_u32_e32 vcc, 0, v8
	v_cndmask_b32_e32 v8, v8, v14, vcc
	v_cndmask_b32_e32 v1, v5, v1, vcc
	v_mov_b32_e32 v5, 0x37800000
	v_lshlrev_b32_e32 v1, 21, v1
	v_and_b32_e32 v3, 0x80000000, v3
	v_lshl_add_u32 v5, v8, 23, v5
	v_or3_b32 v1, v3, v5, v1
	v_cvt_f64_f32_e32 v[14:15], v1
.LBB95_2434:
	s_or_b64 exec, exec, s[22:23]
	s_mov_b64 s[20:21], 0
	s_branch .LBB95_2438
.LBB95_2435:
	s_mov_b64 s[20:21], -1
                                        ; implicit-def: $vgpr14_vgpr15
	s_branch .LBB95_2444
.LBB95_2436:
	s_mov_b64 s[20:21], -1
                                        ; implicit-def: $vgpr14_vgpr15
	s_branch .LBB95_2441
.LBB95_2437:
	s_mov_b64 s[20:21], -1
                                        ; implicit-def: $vgpr14_vgpr15
.LBB95_2438:
	s_and_b64 vcc, exec, s[20:21]
	s_cbranch_vccz .LBB95_2440
; %bb.2439:
	global_load_ubyte v1, v[10:11], off
	s_mov_b32 s20, 0x7f800000
	s_waitcnt vmcnt(0)
	v_lshlrev_b32_e32 v1, 24, v1
	v_and_b32_e32 v3, 0x7f000000, v1
	v_ffbh_u32_e32 v5, v3
	v_min_u32_e32 v5, 32, v5
	v_sub_u32_e64 v5, v5, 4 clamp
	v_lshlrev_b32_e32 v14, v5, v3
	v_lshlrev_b32_e32 v5, 23, v5
	v_lshrrev_b32_e32 v14, 4, v14
	v_add_u32_e32 v8, 0x1000000, v3
	v_sub_u32_e32 v5, v14, v5
	v_ashrrev_i32_e32 v8, 8, v8
	v_add_u32_e32 v5, 0x3c000000, v5
	v_and_or_b32 v5, v8, s20, v5
	v_cmp_ne_u32_e32 vcc, 0, v3
	v_cndmask_b32_e32 v3, 0, v5, vcc
	s_brev_b32 s20, 1
	v_and_or_b32 v1, v1, s20, v3
	v_cvt_f64_f32_e32 v[14:15], v1
.LBB95_2440:
	s_mov_b64 s[20:21], 0
.LBB95_2441:
	s_andn2_b64 vcc, exec, s[20:21]
	s_cbranch_vccnz .LBB95_2443
; %bb.2442:
	global_load_ubyte v1, v[10:11], off
	s_movk_i32 s20, 0x7f00
	s_brev_b32 s21, 16
	s_waitcnt vmcnt(0)
	v_lshlrev_b16_e32 v3, 8, v1
	v_lshlrev_b32_e32 v1, 25, v1
	v_lshrrev_b32_e32 v5, 4, v1
	v_and_or_b32 v8, v3, s20, 0.5
	v_or_b32_e32 v5, 0x70000000, v5
	v_add_f32_e32 v8, -0.5, v8
	v_mul_f32_e32 v5, 0x7800000, v5
	v_cmp_gt_u32_e32 vcc, s21, v1
	v_bfe_i32 v3, v3, 0, 16
	v_cndmask_b32_e32 v1, v5, v8, vcc
	s_brev_b32 s20, 1
	v_and_or_b32 v1, v3, s20, v1
	v_cvt_f64_f32_e32 v[14:15], v1
.LBB95_2443:
	s_mov_b64 s[20:21], 0
	s_mov_b64 s[22:23], -1
.LBB95_2444:
	s_andn2_b64 vcc, exec, s[20:21]
	s_mov_b64 s[20:21], 0
	s_cbranch_vccnz .LBB95_2453
; %bb.2445:
	s_cmp_gt_i32 s31, 14
	s_cbranch_scc0 .LBB95_2448
; %bb.2446:
	s_cmp_eq_u32 s31, 15
	s_cbranch_scc0 .LBB95_2449
; %bb.2447:
	global_load_ushort v1, v[10:11], off
	s_mov_b64 s[18:19], 0
	s_mov_b64 s[22:23], -1
	s_waitcnt vmcnt(0)
	v_lshlrev_b32_e32 v1, 16, v1
	v_cvt_f64_f32_e32 v[14:15], v1
	s_branch .LBB95_2450
.LBB95_2448:
	s_mov_b64 s[24:25], -1
                                        ; implicit-def: $vgpr14_vgpr15
	s_branch .LBB95_2451
.LBB95_2449:
	s_mov_b64 s[18:19], -1
                                        ; implicit-def: $vgpr14_vgpr15
.LBB95_2450:
	s_mov_b64 s[24:25], 0
.LBB95_2451:
	s_and_b64 vcc, exec, s[24:25]
	s_cbranch_vccz .LBB95_2453
; %bb.2452:
	s_cmp_lg_u32 s31, 11
	s_mov_b64 s[20:21], -1
	s_cselect_b64 s[18:19], -1, 0
.LBB95_2453:
	s_and_b64 vcc, exec, s[18:19]
	s_cbranch_vccnz .LBB95_2535
; %bb.2454:
	s_andn2_b64 vcc, exec, s[20:21]
	s_cbranch_vccnz .LBB95_2456
.LBB95_2455:
	global_load_ubyte v1, v[10:11], off
	v_mov_b32_e32 v3, 0x3ff00000
	v_mov_b32_e32 v14, 0
	s_mov_b64 s[22:23], -1
	s_waitcnt vmcnt(0)
	v_cmp_ne_u16_e32 vcc, 0, v1
	v_cndmask_b32_e32 v15, 0, v3, vcc
.LBB95_2456:
	s_mov_b64 s[18:19], 0
.LBB95_2457:
	s_and_b64 vcc, exec, s[18:19]
	s_cbranch_vccz .LBB95_2506
; %bb.2458:
	s_and_b32 s20, 0xffff, s30
	s_cmp_lt_i32 s20, 5
	s_cbranch_scc1 .LBB95_2463
; %bb.2459:
	s_cmp_lt_i32 s20, 8
	s_cbranch_scc1 .LBB95_2464
; %bb.2460:
	;; [unrolled: 3-line block ×3, first 2 shown]
	s_cmp_gt_i32 s20, 9
	s_cbranch_scc0 .LBB95_2466
; %bb.2462:
	global_load_dwordx2 v[14:15], v[10:11], off
	s_mov_b64 s[18:19], 0
	s_branch .LBB95_2467
.LBB95_2463:
	s_mov_b64 s[18:19], -1
                                        ; implicit-def: $vgpr14_vgpr15
	s_branch .LBB95_2485
.LBB95_2464:
	s_mov_b64 s[18:19], -1
                                        ; implicit-def: $vgpr14_vgpr15
	s_branch .LBB95_2473
.LBB95_2465:
	s_mov_b64 s[18:19], -1
                                        ; implicit-def: $vgpr14_vgpr15
	s_branch .LBB95_2470
.LBB95_2466:
	s_mov_b64 s[18:19], -1
                                        ; implicit-def: $vgpr14_vgpr15
.LBB95_2467:
	s_andn2_b64 vcc, exec, s[18:19]
	s_cbranch_vccnz .LBB95_2469
; %bb.2468:
	global_load_dword v1, v[10:11], off
	s_waitcnt vmcnt(0)
	v_cvt_f64_f32_e32 v[14:15], v1
.LBB95_2469:
	s_mov_b64 s[18:19], 0
.LBB95_2470:
	s_andn2_b64 vcc, exec, s[18:19]
	s_cbranch_vccnz .LBB95_2472
; %bb.2471:
	global_load_dword v1, v[10:11], off
	s_waitcnt vmcnt(0)
	v_cvt_f32_f16_e32 v1, v1
	v_cvt_f64_f32_e32 v[14:15], v1
.LBB95_2472:
	s_mov_b64 s[18:19], 0
.LBB95_2473:
	s_andn2_b64 vcc, exec, s[18:19]
	s_cbranch_vccnz .LBB95_2484
; %bb.2474:
	s_cmp_lt_i32 s20, 6
	s_cbranch_scc1 .LBB95_2477
; %bb.2475:
	s_cmp_gt_i32 s20, 6
	s_cbranch_scc0 .LBB95_2478
; %bb.2476:
	global_load_dwordx2 v[14:15], v[10:11], off
	s_mov_b64 s[18:19], 0
	s_branch .LBB95_2479
.LBB95_2477:
	s_mov_b64 s[18:19], -1
                                        ; implicit-def: $vgpr14_vgpr15
	s_branch .LBB95_2482
.LBB95_2478:
	s_mov_b64 s[18:19], -1
                                        ; implicit-def: $vgpr14_vgpr15
.LBB95_2479:
	s_andn2_b64 vcc, exec, s[18:19]
	s_cbranch_vccnz .LBB95_2481
; %bb.2480:
	global_load_dword v1, v[10:11], off
	s_waitcnt vmcnt(0)
	v_cvt_f64_f32_e32 v[14:15], v1
.LBB95_2481:
	s_mov_b64 s[18:19], 0
.LBB95_2482:
	s_andn2_b64 vcc, exec, s[18:19]
	s_cbranch_vccnz .LBB95_2484
; %bb.2483:
	global_load_ushort v1, v[10:11], off
	s_waitcnt vmcnt(0)
	v_cvt_f32_f16_e32 v1, v1
	v_cvt_f64_f32_e32 v[14:15], v1
.LBB95_2484:
	s_mov_b64 s[18:19], 0
.LBB95_2485:
	s_andn2_b64 vcc, exec, s[18:19]
	s_cbranch_vccnz .LBB95_2505
; %bb.2486:
	s_cmp_lt_i32 s20, 2
	s_cbranch_scc1 .LBB95_2490
; %bb.2487:
	s_cmp_lt_i32 s20, 3
	s_cbranch_scc1 .LBB95_2491
; %bb.2488:
	s_cmp_gt_i32 s20, 3
	s_cbranch_scc0 .LBB95_2492
; %bb.2489:
	global_load_dwordx2 v[14:15], v[10:11], off
	s_mov_b64 s[18:19], 0
	s_waitcnt vmcnt(0)
	v_cvt_f64_i32_e32 v[15:16], v15
	v_cvt_f64_u32_e32 v[17:18], v14
	v_ldexp_f64 v[15:16], v[15:16], 32
	v_add_f64 v[14:15], v[15:16], v[17:18]
	s_branch .LBB95_2493
.LBB95_2490:
	s_mov_b64 s[18:19], -1
                                        ; implicit-def: $vgpr14_vgpr15
	s_branch .LBB95_2499
.LBB95_2491:
	s_mov_b64 s[18:19], -1
                                        ; implicit-def: $vgpr14_vgpr15
	s_branch .LBB95_2496
.LBB95_2492:
	s_mov_b64 s[18:19], -1
                                        ; implicit-def: $vgpr14_vgpr15
.LBB95_2493:
	s_andn2_b64 vcc, exec, s[18:19]
	s_cbranch_vccnz .LBB95_2495
; %bb.2494:
	global_load_dword v1, v[10:11], off
	s_waitcnt vmcnt(0)
	v_cvt_f64_i32_e32 v[14:15], v1
.LBB95_2495:
	s_mov_b64 s[18:19], 0
.LBB95_2496:
	s_andn2_b64 vcc, exec, s[18:19]
	s_cbranch_vccnz .LBB95_2498
; %bb.2497:
	global_load_sshort v1, v[10:11], off
	s_waitcnt vmcnt(0)
	v_cvt_f64_i32_e32 v[14:15], v1
.LBB95_2498:
	s_mov_b64 s[18:19], 0
.LBB95_2499:
	s_andn2_b64 vcc, exec, s[18:19]
	s_cbranch_vccnz .LBB95_2505
; %bb.2500:
	s_cmp_gt_i32 s20, 0
	s_cbranch_scc0 .LBB95_2502
; %bb.2501:
	global_load_sbyte v1, v[10:11], off
	s_mov_b64 s[18:19], 0
	s_waitcnt vmcnt(0)
	v_cvt_f64_i32_e32 v[14:15], v1
	s_branch .LBB95_2503
.LBB95_2502:
	s_mov_b64 s[18:19], -1
                                        ; implicit-def: $vgpr14_vgpr15
.LBB95_2503:
	s_andn2_b64 vcc, exec, s[18:19]
	s_cbranch_vccnz .LBB95_2505
; %bb.2504:
	global_load_ubyte v1, v[10:11], off
	s_waitcnt vmcnt(0)
	v_cvt_f64_u32_e32 v[14:15], v1
.LBB95_2505:
	s_mov_b64 s[22:23], -1
.LBB95_2506:
	s_andn2_b64 vcc, exec, s[22:23]
	s_cbranch_vccnz .LBB95_2788
; %bb.2507:
	s_cmp_lt_i32 s28, 1
	s_mov_b64 s[20:21], 0
	s_cbranch_scc1 .LBB95_2511
; %bb.2508:
	s_cmp_gt_i32 s28, 1
	s_cbranch_scc0 .LBB95_2512
; %bb.2509:
	s_cmp_eq_u32 s28, 2
	s_cbranch_scc0 .LBB95_2513
; %bb.2510:
	s_waitcnt vmcnt(0)
	v_cmp_le_f64_e64 s[18:19], v[12:13], v[14:15]
	s_mov_b64 s[22:23], 0
	s_branch .LBB95_2514
.LBB95_2511:
	s_mov_b64 s[24:25], -1
                                        ; implicit-def: $sgpr18_sgpr19
	s_mov_b64 s[22:23], 0
	s_branch .LBB95_2518
.LBB95_2512:
	s_mov_b64 s[24:25], -1
	s_mov_b64 s[22:23], 0
                                        ; implicit-def: $sgpr18_sgpr19
	s_branch .LBB95_2515
.LBB95_2513:
	s_mov_b64 s[22:23], -1
                                        ; implicit-def: $sgpr18_sgpr19
.LBB95_2514:
	s_mov_b64 s[24:25], 0
.LBB95_2515:
	s_and_b64 vcc, exec, s[24:25]
	s_cbranch_vccz .LBB95_2517
; %bb.2516:
	s_waitcnt vmcnt(0)
	v_cmp_gt_f64_e32 vcc, v[12:13], v[14:15]
	s_andn2_b64 s[18:19], s[18:19], exec
	s_and_b64 s[24:25], vcc, exec
	s_or_b64 s[18:19], s[18:19], s[24:25]
.LBB95_2517:
	s_mov_b64 s[24:25], 0
.LBB95_2518:
	s_and_b64 vcc, exec, s[24:25]
	s_cbranch_vccz .LBB95_2529
; %bb.2519:
	s_cmp_lg_u32 s28, 0
	s_mov_b64 s[20:21], -1
	s_cselect_b64 s[22:23], -1, 0
	s_andn2_b64 vcc, exec, s[22:23]
	s_cbranch_vccz .LBB95_2530
.LBB95_2520:
	s_andn2_b64 vcc, exec, s[20:21]
	s_cbranch_vccnz .LBB95_2522
.LBB95_2521:
	s_waitcnt vmcnt(0)
	v_cmp_ge_f64_e32 vcc, v[12:13], v[14:15]
	s_andn2_b64 s[18:19], s[18:19], exec
	s_and_b64 s[20:21], vcc, exec
	s_or_b64 s[18:19], s[18:19], s[20:21]
.LBB95_2522:
	v_mov_b32_e32 v1, s11
	v_add_co_u32_e32 v10, vcc, s10, v9
	s_cmp_lt_i32 s29, 11
	v_addc_co_u32_e32 v11, vcc, 0, v1, vcc
	s_cbranch_scc1 .LBB95_2531
; %bb.2523:
	s_and_b32 s31, 0xffff, s29
	s_cmp_gt_i32 s31, 25
	s_mov_b64 s[20:21], 0
	s_cbranch_scc0 .LBB95_2532
; %bb.2524:
	s_cmp_gt_i32 s31, 28
	s_cbranch_scc0 .LBB95_2533
; %bb.2525:
	s_cmp_gt_i32 s31, 43
	;; [unrolled: 3-line block ×3, first 2 shown]
	s_cbranch_scc0 .LBB95_2536
; %bb.2527:
	s_cmp_eq_u32 s31, 46
	s_mov_b64 s[24:25], 0
	s_cbranch_scc0 .LBB95_2537
; %bb.2528:
	global_load_dword v1, v[10:11], off
	s_mov_b64 s[10:11], 0
	s_mov_b64 s[22:23], -1
	s_waitcnt vmcnt(0)
	v_lshlrev_b32_e32 v1, 16, v1
	v_cvt_f64_f32_e32 v[8:9], v1
	s_branch .LBB95_2538
.LBB95_2529:
	s_andn2_b64 vcc, exec, s[22:23]
	s_cbranch_vccnz .LBB95_2520
.LBB95_2530:
	s_waitcnt vmcnt(0)
	v_cmp_lt_f64_e32 vcc, v[12:13], v[14:15]
	s_andn2_b64 s[18:19], s[18:19], exec
	s_and_b64 s[22:23], vcc, exec
	s_or_b64 s[18:19], s[18:19], s[22:23]
	s_cbranch_execz .LBB95_2521
	s_branch .LBB95_2522
.LBB95_2531:
	s_mov_b64 s[10:11], -1
	s_mov_b64 s[22:23], 0
                                        ; implicit-def: $vgpr8_vgpr9
	s_branch .LBB95_2604
.LBB95_2532:
	s_mov_b64 s[24:25], -1
	s_mov_b64 s[22:23], 0
	s_mov_b64 s[10:11], 0
                                        ; implicit-def: $vgpr8_vgpr9
	s_branch .LBB95_2569
.LBB95_2533:
	s_mov_b64 s[24:25], -1
	s_mov_b64 s[22:23], 0
	s_mov_b64 s[10:11], 0
                                        ; implicit-def: $vgpr8_vgpr9
	s_branch .LBB95_2548
.LBB95_2534:
	s_mov_b64 s[24:25], -1
	s_mov_b64 s[22:23], 0
	s_mov_b64 s[10:11], 0
                                        ; implicit-def: $vgpr8_vgpr9
	s_branch .LBB95_2543
.LBB95_2535:
	s_trap 2
	s_or_b64 s[4:5], s[4:5], exec
	s_cbranch_execz .LBB95_2455
	s_branch .LBB95_2456
.LBB95_2536:
	s_mov_b64 s[24:25], -1
	s_mov_b64 s[22:23], 0
	s_mov_b64 s[10:11], 0
                                        ; implicit-def: $vgpr8_vgpr9
	s_branch .LBB95_2538
.LBB95_2537:
	s_mov_b64 s[10:11], -1
                                        ; implicit-def: $vgpr8_vgpr9
	s_mov_b64 s[22:23], 0
.LBB95_2538:
	s_and_b64 vcc, exec, s[24:25]
	s_cbranch_vccz .LBB95_2542
; %bb.2539:
	s_cmp_eq_u32 s31, 44
	s_cbranch_scc0 .LBB95_2541
; %bb.2540:
	global_load_ubyte v1, v[10:11], off
	s_movk_i32 s22, 0xff
	v_bfrev_b32_e32 v3, 4
	v_mov_b32_e32 v5, 0x7ff80000
	s_waitcnt vmcnt(1)
	v_bfrev_b32_e32 v12, 28
	s_mov_b64 s[10:11], 0
	s_waitcnt vmcnt(0)
	v_lshlrev_b32_e32 v8, 23, v1
	v_cvt_f64_f32_e32 v[8:9], v8
	v_cmp_ne_u32_e32 vcc, s22, v1
	s_mov_b64 s[22:23], -1
	v_cndmask_b32_e32 v3, v3, v8, vcc
	v_cndmask_b32_e32 v5, v5, v9, vcc
	v_cmp_ne_u32_e32 vcc, 0, v1
	v_cndmask_b32_e32 v9, v12, v5, vcc
	v_cndmask_b32_e32 v8, 0, v3, vcc
	s_branch .LBB95_2542
.LBB95_2541:
	s_mov_b64 s[10:11], -1
                                        ; implicit-def: $vgpr8_vgpr9
.LBB95_2542:
	s_mov_b64 s[24:25], 0
.LBB95_2543:
	s_and_b64 vcc, exec, s[24:25]
	s_cbranch_vccz .LBB95_2547
; %bb.2544:
	s_cmp_eq_u32 s31, 29
	s_cbranch_scc0 .LBB95_2546
; %bb.2545:
	global_load_dwordx2 v[8:9], v[10:11], off
	s_mov_b64 s[10:11], 0
	s_mov_b64 s[22:23], -1
	s_mov_b64 s[24:25], 0
	s_waitcnt vmcnt(0)
	v_cvt_f64_u32_e32 v[12:13], v9
	v_cvt_f64_u32_e32 v[8:9], v8
	v_ldexp_f64 v[12:13], v[12:13], 32
	v_add_f64 v[8:9], v[12:13], v[8:9]
	s_branch .LBB95_2548
.LBB95_2546:
	s_mov_b64 s[10:11], -1
                                        ; implicit-def: $vgpr8_vgpr9
.LBB95_2547:
	s_mov_b64 s[24:25], 0
.LBB95_2548:
	s_and_b64 vcc, exec, s[24:25]
	s_cbranch_vccz .LBB95_2568
; %bb.2549:
	s_cmp_lt_i32 s31, 27
	s_cbranch_scc1 .LBB95_2552
; %bb.2550:
	s_cmp_gt_i32 s31, 27
	s_cbranch_scc0 .LBB95_2553
; %bb.2551:
	global_load_dword v1, v[10:11], off
	s_mov_b64 s[22:23], 0
	s_waitcnt vmcnt(0)
	v_cvt_f64_u32_e32 v[8:9], v1
	s_branch .LBB95_2554
.LBB95_2552:
	s_mov_b64 s[22:23], -1
                                        ; implicit-def: $vgpr8_vgpr9
	s_branch .LBB95_2557
.LBB95_2553:
	s_mov_b64 s[22:23], -1
                                        ; implicit-def: $vgpr8_vgpr9
.LBB95_2554:
	s_andn2_b64 vcc, exec, s[22:23]
	s_cbranch_vccnz .LBB95_2556
; %bb.2555:
	global_load_ushort v1, v[10:11], off
	s_waitcnt vmcnt(0)
	v_cvt_f64_u32_e32 v[8:9], v1
.LBB95_2556:
	s_mov_b64 s[22:23], 0
.LBB95_2557:
	s_andn2_b64 vcc, exec, s[22:23]
	s_cbranch_vccnz .LBB95_2567
; %bb.2558:
	global_load_ubyte v1, v[10:11], off
	s_movk_i32 s22, 0x7f
	s_waitcnt vmcnt(0)
	v_cmp_lt_i16_e32 vcc, s22, v1
	s_mov_b64 s[22:23], 0
	s_and_saveexec_b64 s[24:25], vcc
	s_xor_b64 s[24:25], exec, s[24:25]
	s_cbranch_execz .LBB95_2562
; %bb.2559:
	s_movk_i32 s22, 0x80
	v_cmp_eq_u16_e32 vcc, s22, v1
	s_mov_b64 s[22:23], -1
	s_and_saveexec_b64 s[26:27], vcc
; %bb.2560:
	s_xor_b64 s[22:23], exec, -1
; %bb.2561:
	s_or_b64 exec, exec, s[26:27]
	s_and_b64 s[22:23], s[22:23], exec
.LBB95_2562:
	s_or_saveexec_b64 s[24:25], s[24:25]
	v_bfrev_b32_e32 v8, 4
	v_mov_b32_e32 v9, 0x7ff80000
	s_xor_b64 exec, exec, s[24:25]
; %bb.2563:
	v_cmp_ne_u16_e32 vcc, 0, v1
	v_mov_b32_e32 v8, 0
	s_andn2_b64 s[22:23], s[22:23], exec
	s_and_b64 s[26:27], vcc, exec
	v_mov_b32_e32 v9, 0
	s_or_b64 s[22:23], s[22:23], s[26:27]
; %bb.2564:
	s_or_b64 exec, exec, s[24:25]
	s_and_saveexec_b64 s[24:25], s[22:23]
	s_cbranch_execz .LBB95_2566
; %bb.2565:
	v_lshlrev_b32_e32 v3, 24, v1
	v_and_b32_e32 v1, 0xffff, v1
	v_and_b32_e32 v5, 7, v1
	v_ffbh_u32_e32 v9, v5
	v_min_u32_e32 v9, 32, v9
	v_subrev_u32_e32 v12, 28, v9
	v_bfe_u32 v8, v1, 3, 4
	v_lshlrev_b32_e32 v1, v12, v1
	v_sub_u32_e32 v9, 29, v9
	v_and_b32_e32 v1, 7, v1
	v_cmp_eq_u32_e32 vcc, 0, v8
	v_cndmask_b32_e32 v8, v8, v9, vcc
	v_cndmask_b32_e32 v1, v5, v1, vcc
	v_mov_b32_e32 v5, 0x3b800000
	v_lshlrev_b32_e32 v1, 20, v1
	v_and_b32_e32 v3, 0x80000000, v3
	v_lshl_add_u32 v5, v8, 23, v5
	v_or3_b32 v1, v3, v5, v1
	v_cvt_f64_f32_e32 v[8:9], v1
.LBB95_2566:
	s_or_b64 exec, exec, s[24:25]
.LBB95_2567:
	s_mov_b64 s[22:23], -1
.LBB95_2568:
	s_mov_b64 s[24:25], 0
.LBB95_2569:
	s_and_b64 vcc, exec, s[24:25]
	s_cbranch_vccz .LBB95_2600
; %bb.2570:
	s_cmp_gt_i32 s31, 22
	s_cbranch_scc0 .LBB95_2582
; %bb.2571:
	s_cmp_lt_i32 s31, 24
	s_cbranch_scc1 .LBB95_2583
; %bb.2572:
	s_cmp_gt_i32 s31, 24
	s_cbranch_scc0 .LBB95_2584
; %bb.2573:
	global_load_ubyte v1, v[10:11], off
	s_movk_i32 s20, 0x7f
	s_waitcnt vmcnt(0)
	v_cmp_lt_i16_e32 vcc, s20, v1
	s_mov_b64 s[20:21], 0
	s_and_saveexec_b64 s[22:23], vcc
	s_xor_b64 s[22:23], exec, s[22:23]
	s_cbranch_execz .LBB95_2577
; %bb.2574:
	s_movk_i32 s20, 0x80
	v_cmp_eq_u16_e32 vcc, s20, v1
	s_mov_b64 s[20:21], -1
	s_and_saveexec_b64 s[24:25], vcc
; %bb.2575:
	s_xor_b64 s[20:21], exec, -1
; %bb.2576:
	s_or_b64 exec, exec, s[24:25]
	s_and_b64 s[20:21], s[20:21], exec
.LBB95_2577:
	s_or_saveexec_b64 s[22:23], s[22:23]
	v_bfrev_b32_e32 v8, 4
	v_mov_b32_e32 v9, 0x7ff80000
	s_xor_b64 exec, exec, s[22:23]
; %bb.2578:
	v_cmp_ne_u16_e32 vcc, 0, v1
	v_mov_b32_e32 v8, 0
	s_andn2_b64 s[20:21], s[20:21], exec
	s_and_b64 s[24:25], vcc, exec
	v_mov_b32_e32 v9, 0
	s_or_b64 s[20:21], s[20:21], s[24:25]
; %bb.2579:
	s_or_b64 exec, exec, s[22:23]
	s_and_saveexec_b64 s[22:23], s[20:21]
	s_cbranch_execz .LBB95_2581
; %bb.2580:
	v_lshlrev_b32_e32 v3, 24, v1
	v_and_b32_e32 v1, 0xffff, v1
	v_and_b32_e32 v5, 3, v1
	v_ffbh_u32_e32 v9, v5
	v_min_u32_e32 v9, 32, v9
	v_subrev_u32_e32 v12, 29, v9
	v_bfe_u32 v8, v1, 2, 5
	v_lshlrev_b32_e32 v1, v12, v1
	v_sub_u32_e32 v9, 30, v9
	v_and_b32_e32 v1, 3, v1
	v_cmp_eq_u32_e32 vcc, 0, v8
	v_cndmask_b32_e32 v8, v8, v9, vcc
	v_cndmask_b32_e32 v1, v5, v1, vcc
	v_mov_b32_e32 v5, 0x37800000
	v_lshlrev_b32_e32 v1, 21, v1
	v_and_b32_e32 v3, 0x80000000, v3
	v_lshl_add_u32 v5, v8, 23, v5
	v_or3_b32 v1, v3, v5, v1
	v_cvt_f64_f32_e32 v[8:9], v1
.LBB95_2581:
	s_or_b64 exec, exec, s[22:23]
	s_mov_b64 s[20:21], 0
	s_branch .LBB95_2585
.LBB95_2582:
	s_mov_b64 s[20:21], -1
                                        ; implicit-def: $vgpr8_vgpr9
	s_branch .LBB95_2591
.LBB95_2583:
	s_mov_b64 s[20:21], -1
                                        ; implicit-def: $vgpr8_vgpr9
	s_branch .LBB95_2588
.LBB95_2584:
	s_mov_b64 s[20:21], -1
                                        ; implicit-def: $vgpr8_vgpr9
.LBB95_2585:
	s_and_b64 vcc, exec, s[20:21]
	s_cbranch_vccz .LBB95_2587
; %bb.2586:
	global_load_ubyte v1, v[10:11], off
	s_mov_b32 s20, 0x7f800000
	s_waitcnt vmcnt(0)
	v_lshlrev_b32_e32 v1, 24, v1
	v_and_b32_e32 v3, 0x7f000000, v1
	v_ffbh_u32_e32 v5, v3
	v_min_u32_e32 v5, 32, v5
	v_sub_u32_e64 v5, v5, 4 clamp
	v_lshlrev_b32_e32 v9, v5, v3
	v_lshlrev_b32_e32 v5, 23, v5
	v_lshrrev_b32_e32 v9, 4, v9
	v_add_u32_e32 v8, 0x1000000, v3
	v_sub_u32_e32 v5, v9, v5
	v_ashrrev_i32_e32 v8, 8, v8
	v_add_u32_e32 v5, 0x3c000000, v5
	v_and_or_b32 v5, v8, s20, v5
	v_cmp_ne_u32_e32 vcc, 0, v3
	v_cndmask_b32_e32 v3, 0, v5, vcc
	s_brev_b32 s20, 1
	v_and_or_b32 v1, v1, s20, v3
	v_cvt_f64_f32_e32 v[8:9], v1
.LBB95_2587:
	s_mov_b64 s[20:21], 0
.LBB95_2588:
	s_andn2_b64 vcc, exec, s[20:21]
	s_cbranch_vccnz .LBB95_2590
; %bb.2589:
	global_load_ubyte v1, v[10:11], off
	s_movk_i32 s20, 0x7f00
	s_brev_b32 s21, 16
	s_waitcnt vmcnt(0)
	v_lshlrev_b16_e32 v3, 8, v1
	v_lshlrev_b32_e32 v1, 25, v1
	v_lshrrev_b32_e32 v5, 4, v1
	v_and_or_b32 v8, v3, s20, 0.5
	v_or_b32_e32 v5, 0x70000000, v5
	v_add_f32_e32 v8, -0.5, v8
	v_mul_f32_e32 v5, 0x7800000, v5
	v_cmp_gt_u32_e32 vcc, s21, v1
	v_bfe_i32 v3, v3, 0, 16
	v_cndmask_b32_e32 v1, v5, v8, vcc
	s_brev_b32 s20, 1
	v_and_or_b32 v1, v3, s20, v1
	v_cvt_f64_f32_e32 v[8:9], v1
.LBB95_2590:
	s_mov_b64 s[20:21], 0
	s_mov_b64 s[22:23], -1
.LBB95_2591:
	s_andn2_b64 vcc, exec, s[20:21]
	s_mov_b64 s[20:21], 0
	s_cbranch_vccnz .LBB95_2600
; %bb.2592:
	s_cmp_gt_i32 s31, 14
	s_cbranch_scc0 .LBB95_2595
; %bb.2593:
	s_cmp_eq_u32 s31, 15
	s_cbranch_scc0 .LBB95_2596
; %bb.2594:
	global_load_ushort v1, v[10:11], off
	s_mov_b64 s[10:11], 0
	s_mov_b64 s[22:23], -1
	s_waitcnt vmcnt(0)
	v_lshlrev_b32_e32 v1, 16, v1
	v_cvt_f64_f32_e32 v[8:9], v1
	s_branch .LBB95_2597
.LBB95_2595:
	s_mov_b64 s[24:25], -1
                                        ; implicit-def: $vgpr8_vgpr9
	s_branch .LBB95_2598
.LBB95_2596:
	s_mov_b64 s[10:11], -1
                                        ; implicit-def: $vgpr8_vgpr9
.LBB95_2597:
	s_mov_b64 s[24:25], 0
.LBB95_2598:
	s_and_b64 vcc, exec, s[24:25]
	s_cbranch_vccz .LBB95_2600
; %bb.2599:
	s_cmp_lg_u32 s31, 11
	s_mov_b64 s[20:21], -1
	s_cselect_b64 s[10:11], -1, 0
.LBB95_2600:
	s_and_b64 vcc, exec, s[10:11]
	s_cbranch_vccnz .LBB95_2665
; %bb.2601:
	s_andn2_b64 vcc, exec, s[20:21]
	s_cbranch_vccnz .LBB95_2603
.LBB95_2602:
	global_load_ubyte v1, v[10:11], off
	v_mov_b32_e32 v3, 0x3ff00000
	v_mov_b32_e32 v8, 0
	s_mov_b64 s[22:23], -1
	s_waitcnt vmcnt(0)
	v_cmp_ne_u16_e32 vcc, 0, v1
	v_cndmask_b32_e32 v9, 0, v3, vcc
.LBB95_2603:
	s_mov_b64 s[10:11], 0
.LBB95_2604:
	s_and_b64 vcc, exec, s[10:11]
	s_cbranch_vccz .LBB95_2653
; %bb.2605:
	s_and_b32 s20, 0xffff, s29
	s_cmp_lt_i32 s20, 5
	s_cbranch_scc1 .LBB95_2610
; %bb.2606:
	s_cmp_lt_i32 s20, 8
	s_cbranch_scc1 .LBB95_2611
; %bb.2607:
	;; [unrolled: 3-line block ×3, first 2 shown]
	s_cmp_gt_i32 s20, 9
	s_cbranch_scc0 .LBB95_2613
; %bb.2609:
	global_load_dwordx2 v[8:9], v[10:11], off
	s_mov_b64 s[10:11], 0
	s_branch .LBB95_2614
.LBB95_2610:
	s_mov_b64 s[10:11], -1
                                        ; implicit-def: $vgpr8_vgpr9
	s_branch .LBB95_2632
.LBB95_2611:
	s_mov_b64 s[10:11], -1
                                        ; implicit-def: $vgpr8_vgpr9
	s_branch .LBB95_2620
.LBB95_2612:
	s_mov_b64 s[10:11], -1
                                        ; implicit-def: $vgpr8_vgpr9
	s_branch .LBB95_2617
.LBB95_2613:
	s_mov_b64 s[10:11], -1
                                        ; implicit-def: $vgpr8_vgpr9
.LBB95_2614:
	s_andn2_b64 vcc, exec, s[10:11]
	s_cbranch_vccnz .LBB95_2616
; %bb.2615:
	global_load_dword v1, v[10:11], off
	s_waitcnt vmcnt(0)
	v_cvt_f64_f32_e32 v[8:9], v1
.LBB95_2616:
	s_mov_b64 s[10:11], 0
.LBB95_2617:
	s_andn2_b64 vcc, exec, s[10:11]
	s_cbranch_vccnz .LBB95_2619
; %bb.2618:
	global_load_dword v1, v[10:11], off
	s_waitcnt vmcnt(0)
	v_cvt_f32_f16_e32 v1, v1
	v_cvt_f64_f32_e32 v[8:9], v1
.LBB95_2619:
	s_mov_b64 s[10:11], 0
.LBB95_2620:
	s_andn2_b64 vcc, exec, s[10:11]
	s_cbranch_vccnz .LBB95_2631
; %bb.2621:
	s_cmp_lt_i32 s20, 6
	s_cbranch_scc1 .LBB95_2624
; %bb.2622:
	s_cmp_gt_i32 s20, 6
	s_cbranch_scc0 .LBB95_2625
; %bb.2623:
	global_load_dwordx2 v[8:9], v[10:11], off
	s_mov_b64 s[10:11], 0
	s_branch .LBB95_2626
.LBB95_2624:
	s_mov_b64 s[10:11], -1
                                        ; implicit-def: $vgpr8_vgpr9
	s_branch .LBB95_2629
.LBB95_2625:
	s_mov_b64 s[10:11], -1
                                        ; implicit-def: $vgpr8_vgpr9
.LBB95_2626:
	s_andn2_b64 vcc, exec, s[10:11]
	s_cbranch_vccnz .LBB95_2628
; %bb.2627:
	global_load_dword v1, v[10:11], off
	s_waitcnt vmcnt(0)
	v_cvt_f64_f32_e32 v[8:9], v1
.LBB95_2628:
	s_mov_b64 s[10:11], 0
.LBB95_2629:
	s_andn2_b64 vcc, exec, s[10:11]
	s_cbranch_vccnz .LBB95_2631
; %bb.2630:
	global_load_ushort v1, v[10:11], off
	s_waitcnt vmcnt(0)
	v_cvt_f32_f16_e32 v1, v1
	v_cvt_f64_f32_e32 v[8:9], v1
.LBB95_2631:
	s_mov_b64 s[10:11], 0
.LBB95_2632:
	s_andn2_b64 vcc, exec, s[10:11]
	s_cbranch_vccnz .LBB95_2652
; %bb.2633:
	s_cmp_lt_i32 s20, 2
	s_cbranch_scc1 .LBB95_2637
; %bb.2634:
	s_cmp_lt_i32 s20, 3
	s_cbranch_scc1 .LBB95_2638
; %bb.2635:
	s_cmp_gt_i32 s20, 3
	s_cbranch_scc0 .LBB95_2639
; %bb.2636:
	global_load_dwordx2 v[8:9], v[10:11], off
	s_mov_b64 s[10:11], 0
	s_waitcnt vmcnt(0)
	v_cvt_f64_i32_e32 v[12:13], v9
	v_cvt_f64_u32_e32 v[8:9], v8
	v_ldexp_f64 v[12:13], v[12:13], 32
	v_add_f64 v[8:9], v[12:13], v[8:9]
	s_branch .LBB95_2640
.LBB95_2637:
	s_mov_b64 s[10:11], -1
                                        ; implicit-def: $vgpr8_vgpr9
	s_branch .LBB95_2646
.LBB95_2638:
	s_mov_b64 s[10:11], -1
                                        ; implicit-def: $vgpr8_vgpr9
	s_branch .LBB95_2643
.LBB95_2639:
	s_mov_b64 s[10:11], -1
                                        ; implicit-def: $vgpr8_vgpr9
.LBB95_2640:
	s_andn2_b64 vcc, exec, s[10:11]
	s_cbranch_vccnz .LBB95_2642
; %bb.2641:
	global_load_dword v1, v[10:11], off
	s_waitcnt vmcnt(0)
	v_cvt_f64_i32_e32 v[8:9], v1
.LBB95_2642:
	s_mov_b64 s[10:11], 0
.LBB95_2643:
	s_andn2_b64 vcc, exec, s[10:11]
	s_cbranch_vccnz .LBB95_2645
; %bb.2644:
	global_load_sshort v1, v[10:11], off
	s_waitcnt vmcnt(0)
	v_cvt_f64_i32_e32 v[8:9], v1
.LBB95_2645:
	s_mov_b64 s[10:11], 0
.LBB95_2646:
	s_andn2_b64 vcc, exec, s[10:11]
	s_cbranch_vccnz .LBB95_2652
; %bb.2647:
	s_cmp_gt_i32 s20, 0
	s_cbranch_scc0 .LBB95_2649
; %bb.2648:
	global_load_sbyte v1, v[10:11], off
	s_mov_b64 s[10:11], 0
	s_waitcnt vmcnt(0)
	v_cvt_f64_i32_e32 v[8:9], v1
	s_branch .LBB95_2650
.LBB95_2649:
	s_mov_b64 s[10:11], -1
                                        ; implicit-def: $vgpr8_vgpr9
.LBB95_2650:
	s_andn2_b64 vcc, exec, s[10:11]
	s_cbranch_vccnz .LBB95_2652
; %bb.2651:
	global_load_ubyte v1, v[10:11], off
	s_waitcnt vmcnt(0)
	v_cvt_f64_u32_e32 v[8:9], v1
.LBB95_2652:
	s_mov_b64 s[22:23], -1
.LBB95_2653:
	s_andn2_b64 vcc, exec, s[22:23]
	s_cbranch_vccnz .LBB95_2788
; %bb.2654:
	v_mov_b32_e32 v1, s1
	v_add_co_u32_e32 v10, vcc, s0, v7
	s_cmp_lt_i32 s30, 11
	v_addc_co_u32_e32 v11, vcc, 0, v1, vcc
	s_cbranch_scc1 .LBB95_2661
; %bb.2655:
	s_and_b32 s26, 0xffff, s30
	s_cmp_gt_i32 s26, 25
	s_mov_b64 s[10:11], 0
	s_cbranch_scc0 .LBB95_2662
; %bb.2656:
	s_cmp_gt_i32 s26, 28
	s_cbranch_scc0 .LBB95_2663
; %bb.2657:
	s_cmp_gt_i32 s26, 43
	;; [unrolled: 3-line block ×3, first 2 shown]
	s_cbranch_scc0 .LBB95_2666
; %bb.2659:
	s_cmp_eq_u32 s26, 46
	s_mov_b64 s[22:23], 0
	s_cbranch_scc0 .LBB95_2667
; %bb.2660:
	global_load_dword v1, v[10:11], off
	s_mov_b64 s[0:1], 0
	s_mov_b64 s[20:21], -1
	s_waitcnt vmcnt(0)
	v_lshlrev_b32_e32 v1, 16, v1
	v_cvt_f64_f32_e32 v[12:13], v1
	s_branch .LBB95_2668
.LBB95_2661:
	s_mov_b64 s[0:1], -1
	s_mov_b64 s[20:21], 0
                                        ; implicit-def: $vgpr12_vgpr13
	s_branch .LBB95_2734
.LBB95_2662:
	s_mov_b64 s[22:23], -1
	s_mov_b64 s[20:21], 0
	s_mov_b64 s[0:1], 0
                                        ; implicit-def: $vgpr12_vgpr13
	s_branch .LBB95_2699
.LBB95_2663:
	s_mov_b64 s[22:23], -1
	s_mov_b64 s[20:21], 0
	s_mov_b64 s[0:1], 0
                                        ; implicit-def: $vgpr12_vgpr13
	s_branch .LBB95_2678
.LBB95_2664:
	s_mov_b64 s[22:23], -1
	s_mov_b64 s[20:21], 0
	s_mov_b64 s[0:1], 0
                                        ; implicit-def: $vgpr12_vgpr13
	s_branch .LBB95_2673
.LBB95_2665:
	s_trap 2
	s_or_b64 s[4:5], s[4:5], exec
	s_cbranch_execz .LBB95_2602
	s_branch .LBB95_2603
.LBB95_2666:
	s_mov_b64 s[22:23], -1
	s_mov_b64 s[20:21], 0
	s_mov_b64 s[0:1], 0
                                        ; implicit-def: $vgpr12_vgpr13
	s_branch .LBB95_2668
.LBB95_2667:
	s_mov_b64 s[0:1], -1
                                        ; implicit-def: $vgpr12_vgpr13
	s_mov_b64 s[20:21], 0
.LBB95_2668:
	s_and_b64 vcc, exec, s[22:23]
	s_cbranch_vccz .LBB95_2672
; %bb.2669:
	s_cmp_eq_u32 s26, 44
	s_cbranch_scc0 .LBB95_2671
; %bb.2670:
	global_load_ubyte v1, v[10:11], off
	s_movk_i32 s20, 0xff
	v_bfrev_b32_e32 v3, 4
	v_mov_b32_e32 v5, 0x7ff80000
	s_mov_b64 s[0:1], 0
	s_waitcnt vmcnt(0)
	v_lshlrev_b32_e32 v7, 23, v1
	v_cvt_f64_f32_e32 v[12:13], v7
	v_cmp_ne_u32_e32 vcc, s20, v1
	v_bfrev_b32_e32 v7, 28
	s_mov_b64 s[20:21], -1
	v_cndmask_b32_e32 v3, v3, v12, vcc
	v_cndmask_b32_e32 v5, v5, v13, vcc
	v_cmp_ne_u32_e32 vcc, 0, v1
	v_cndmask_b32_e32 v13, v7, v5, vcc
	v_cndmask_b32_e32 v12, 0, v3, vcc
	s_branch .LBB95_2672
.LBB95_2671:
	s_mov_b64 s[0:1], -1
                                        ; implicit-def: $vgpr12_vgpr13
.LBB95_2672:
	s_mov_b64 s[22:23], 0
.LBB95_2673:
	s_and_b64 vcc, exec, s[22:23]
	s_cbranch_vccz .LBB95_2677
; %bb.2674:
	s_cmp_eq_u32 s26, 29
	s_cbranch_scc0 .LBB95_2676
; %bb.2675:
	global_load_dwordx2 v[12:13], v[10:11], off
	s_mov_b64 s[0:1], 0
	s_mov_b64 s[20:21], -1
	s_mov_b64 s[22:23], 0
	s_waitcnt vmcnt(0)
	v_cvt_f64_u32_e32 v[13:14], v13
	v_cvt_f64_u32_e32 v[15:16], v12
	v_ldexp_f64 v[13:14], v[13:14], 32
	v_add_f64 v[12:13], v[13:14], v[15:16]
	s_branch .LBB95_2678
.LBB95_2676:
	s_mov_b64 s[0:1], -1
                                        ; implicit-def: $vgpr12_vgpr13
.LBB95_2677:
	s_mov_b64 s[22:23], 0
.LBB95_2678:
	s_and_b64 vcc, exec, s[22:23]
	s_cbranch_vccz .LBB95_2698
; %bb.2679:
	s_cmp_lt_i32 s26, 27
	s_cbranch_scc1 .LBB95_2682
; %bb.2680:
	s_cmp_gt_i32 s26, 27
	s_cbranch_scc0 .LBB95_2683
; %bb.2681:
	global_load_dword v1, v[10:11], off
	s_mov_b64 s[20:21], 0
	s_waitcnt vmcnt(0)
	v_cvt_f64_u32_e32 v[12:13], v1
	s_branch .LBB95_2684
.LBB95_2682:
	s_mov_b64 s[20:21], -1
                                        ; implicit-def: $vgpr12_vgpr13
	s_branch .LBB95_2687
.LBB95_2683:
	s_mov_b64 s[20:21], -1
                                        ; implicit-def: $vgpr12_vgpr13
.LBB95_2684:
	s_andn2_b64 vcc, exec, s[20:21]
	s_cbranch_vccnz .LBB95_2686
; %bb.2685:
	global_load_ushort v1, v[10:11], off
	s_waitcnt vmcnt(0)
	v_cvt_f64_u32_e32 v[12:13], v1
.LBB95_2686:
	s_mov_b64 s[20:21], 0
.LBB95_2687:
	s_andn2_b64 vcc, exec, s[20:21]
	s_cbranch_vccnz .LBB95_2697
; %bb.2688:
	global_load_ubyte v1, v[10:11], off
	s_movk_i32 s20, 0x7f
	s_waitcnt vmcnt(0)
	v_cmp_lt_i16_e32 vcc, s20, v1
	s_mov_b64 s[20:21], 0
	s_and_saveexec_b64 s[22:23], vcc
	s_xor_b64 s[22:23], exec, s[22:23]
	s_cbranch_execz .LBB95_2692
; %bb.2689:
	s_movk_i32 s20, 0x80
	v_cmp_eq_u16_e32 vcc, s20, v1
	s_mov_b64 s[20:21], -1
	s_and_saveexec_b64 s[24:25], vcc
; %bb.2690:
	s_xor_b64 s[20:21], exec, -1
; %bb.2691:
	s_or_b64 exec, exec, s[24:25]
	s_and_b64 s[20:21], s[20:21], exec
.LBB95_2692:
	s_or_saveexec_b64 s[22:23], s[22:23]
	v_bfrev_b32_e32 v12, 4
	v_mov_b32_e32 v13, 0x7ff80000
	s_xor_b64 exec, exec, s[22:23]
; %bb.2693:
	v_cmp_ne_u16_e32 vcc, 0, v1
	v_mov_b32_e32 v12, 0
	s_andn2_b64 s[20:21], s[20:21], exec
	s_and_b64 s[24:25], vcc, exec
	v_mov_b32_e32 v13, 0
	s_or_b64 s[20:21], s[20:21], s[24:25]
; %bb.2694:
	s_or_b64 exec, exec, s[22:23]
	s_and_saveexec_b64 s[22:23], s[20:21]
	s_cbranch_execz .LBB95_2696
; %bb.2695:
	v_lshlrev_b32_e32 v3, 24, v1
	v_and_b32_e32 v1, 0xffff, v1
	v_and_b32_e32 v5, 7, v1
	v_ffbh_u32_e32 v12, v5
	v_min_u32_e32 v12, 32, v12
	v_subrev_u32_e32 v13, 28, v12
	v_bfe_u32 v7, v1, 3, 4
	v_lshlrev_b32_e32 v1, v13, v1
	v_sub_u32_e32 v12, 29, v12
	v_and_b32_e32 v1, 7, v1
	v_cmp_eq_u32_e32 vcc, 0, v7
	v_cndmask_b32_e32 v7, v7, v12, vcc
	v_cndmask_b32_e32 v1, v5, v1, vcc
	v_mov_b32_e32 v5, 0x3b800000
	v_lshlrev_b32_e32 v1, 20, v1
	v_and_b32_e32 v3, 0x80000000, v3
	v_lshl_add_u32 v5, v7, 23, v5
	v_or3_b32 v1, v3, v5, v1
	v_cvt_f64_f32_e32 v[12:13], v1
.LBB95_2696:
	s_or_b64 exec, exec, s[22:23]
.LBB95_2697:
	s_mov_b64 s[20:21], -1
.LBB95_2698:
	s_mov_b64 s[22:23], 0
.LBB95_2699:
	s_and_b64 vcc, exec, s[22:23]
	s_cbranch_vccz .LBB95_2730
; %bb.2700:
	s_cmp_gt_i32 s26, 22
	s_cbranch_scc0 .LBB95_2712
; %bb.2701:
	s_cmp_lt_i32 s26, 24
	s_cbranch_scc1 .LBB95_2713
; %bb.2702:
	s_cmp_gt_i32 s26, 24
	s_cbranch_scc0 .LBB95_2714
; %bb.2703:
	global_load_ubyte v1, v[10:11], off
	s_movk_i32 s10, 0x7f
	s_waitcnt vmcnt(0)
	v_cmp_lt_i16_e32 vcc, s10, v1
	s_mov_b64 s[10:11], 0
	s_and_saveexec_b64 s[20:21], vcc
	s_xor_b64 s[20:21], exec, s[20:21]
	s_cbranch_execz .LBB95_2707
; %bb.2704:
	s_movk_i32 s10, 0x80
	v_cmp_eq_u16_e32 vcc, s10, v1
	s_mov_b64 s[10:11], -1
	s_and_saveexec_b64 s[22:23], vcc
; %bb.2705:
	s_xor_b64 s[10:11], exec, -1
; %bb.2706:
	s_or_b64 exec, exec, s[22:23]
	s_and_b64 s[10:11], s[10:11], exec
.LBB95_2707:
	s_or_saveexec_b64 s[20:21], s[20:21]
	v_bfrev_b32_e32 v12, 4
	v_mov_b32_e32 v13, 0x7ff80000
	s_xor_b64 exec, exec, s[20:21]
; %bb.2708:
	v_cmp_ne_u16_e32 vcc, 0, v1
	v_mov_b32_e32 v12, 0
	s_andn2_b64 s[10:11], s[10:11], exec
	s_and_b64 s[22:23], vcc, exec
	v_mov_b32_e32 v13, 0
	s_or_b64 s[10:11], s[10:11], s[22:23]
; %bb.2709:
	s_or_b64 exec, exec, s[20:21]
	s_and_saveexec_b64 s[20:21], s[10:11]
	s_cbranch_execz .LBB95_2711
; %bb.2710:
	v_lshlrev_b32_e32 v3, 24, v1
	v_and_b32_e32 v1, 0xffff, v1
	v_and_b32_e32 v5, 3, v1
	v_ffbh_u32_e32 v12, v5
	v_min_u32_e32 v12, 32, v12
	v_subrev_u32_e32 v13, 29, v12
	v_bfe_u32 v7, v1, 2, 5
	v_lshlrev_b32_e32 v1, v13, v1
	v_sub_u32_e32 v12, 30, v12
	v_and_b32_e32 v1, 3, v1
	v_cmp_eq_u32_e32 vcc, 0, v7
	v_cndmask_b32_e32 v7, v7, v12, vcc
	v_cndmask_b32_e32 v1, v5, v1, vcc
	v_mov_b32_e32 v5, 0x37800000
	v_lshlrev_b32_e32 v1, 21, v1
	v_and_b32_e32 v3, 0x80000000, v3
	v_lshl_add_u32 v5, v7, 23, v5
	v_or3_b32 v1, v3, v5, v1
	v_cvt_f64_f32_e32 v[12:13], v1
.LBB95_2711:
	s_or_b64 exec, exec, s[20:21]
	s_mov_b64 s[10:11], 0
	s_branch .LBB95_2715
.LBB95_2712:
	s_mov_b64 s[10:11], -1
                                        ; implicit-def: $vgpr12_vgpr13
	s_branch .LBB95_2721
.LBB95_2713:
	s_mov_b64 s[10:11], -1
                                        ; implicit-def: $vgpr12_vgpr13
	s_branch .LBB95_2718
.LBB95_2714:
	s_mov_b64 s[10:11], -1
                                        ; implicit-def: $vgpr12_vgpr13
.LBB95_2715:
	s_and_b64 vcc, exec, s[10:11]
	s_cbranch_vccz .LBB95_2717
; %bb.2716:
	global_load_ubyte v1, v[10:11], off
	s_mov_b32 s10, 0x7f800000
	s_waitcnt vmcnt(0)
	v_lshlrev_b32_e32 v1, 24, v1
	v_and_b32_e32 v3, 0x7f000000, v1
	v_ffbh_u32_e32 v5, v3
	v_min_u32_e32 v5, 32, v5
	v_sub_u32_e64 v5, v5, 4 clamp
	v_lshlrev_b32_e32 v12, v5, v3
	v_lshlrev_b32_e32 v5, 23, v5
	v_lshrrev_b32_e32 v12, 4, v12
	v_add_u32_e32 v7, 0x1000000, v3
	v_sub_u32_e32 v5, v12, v5
	v_ashrrev_i32_e32 v7, 8, v7
	v_add_u32_e32 v5, 0x3c000000, v5
	v_and_or_b32 v5, v7, s10, v5
	v_cmp_ne_u32_e32 vcc, 0, v3
	v_cndmask_b32_e32 v3, 0, v5, vcc
	s_brev_b32 s10, 1
	v_and_or_b32 v1, v1, s10, v3
	v_cvt_f64_f32_e32 v[12:13], v1
.LBB95_2717:
	s_mov_b64 s[10:11], 0
.LBB95_2718:
	s_andn2_b64 vcc, exec, s[10:11]
	s_cbranch_vccnz .LBB95_2720
; %bb.2719:
	global_load_ubyte v1, v[10:11], off
	s_movk_i32 s10, 0x7f00
	s_brev_b32 s11, 16
	s_waitcnt vmcnt(0)
	v_lshlrev_b16_e32 v3, 8, v1
	v_lshlrev_b32_e32 v1, 25, v1
	v_lshrrev_b32_e32 v5, 4, v1
	v_and_or_b32 v7, v3, s10, 0.5
	v_or_b32_e32 v5, 0x70000000, v5
	v_add_f32_e32 v7, -0.5, v7
	v_mul_f32_e32 v5, 0x7800000, v5
	v_cmp_gt_u32_e32 vcc, s11, v1
	v_bfe_i32 v3, v3, 0, 16
	v_cndmask_b32_e32 v1, v5, v7, vcc
	s_brev_b32 s10, 1
	v_and_or_b32 v1, v3, s10, v1
	v_cvt_f64_f32_e32 v[12:13], v1
.LBB95_2720:
	s_mov_b64 s[10:11], 0
	s_mov_b64 s[20:21], -1
.LBB95_2721:
	s_andn2_b64 vcc, exec, s[10:11]
	s_mov_b64 s[10:11], 0
	s_cbranch_vccnz .LBB95_2730
; %bb.2722:
	s_cmp_gt_i32 s26, 14
	s_cbranch_scc0 .LBB95_2725
; %bb.2723:
	s_cmp_eq_u32 s26, 15
	s_cbranch_scc0 .LBB95_2726
; %bb.2724:
	global_load_ushort v1, v[10:11], off
	s_mov_b64 s[0:1], 0
	s_mov_b64 s[20:21], -1
	s_waitcnt vmcnt(0)
	v_lshlrev_b32_e32 v1, 16, v1
	v_cvt_f64_f32_e32 v[12:13], v1
	s_branch .LBB95_2727
.LBB95_2725:
	s_mov_b64 s[22:23], -1
                                        ; implicit-def: $vgpr12_vgpr13
	s_branch .LBB95_2728
.LBB95_2726:
	s_mov_b64 s[0:1], -1
                                        ; implicit-def: $vgpr12_vgpr13
.LBB95_2727:
	s_mov_b64 s[22:23], 0
.LBB95_2728:
	s_and_b64 vcc, exec, s[22:23]
	s_cbranch_vccz .LBB95_2730
; %bb.2729:
	s_cmp_lg_u32 s26, 11
	s_mov_b64 s[10:11], -1
	s_cselect_b64 s[0:1], -1, 0
.LBB95_2730:
	s_and_b64 vcc, exec, s[0:1]
	s_cbranch_vccnz .LBB95_3282
; %bb.2731:
	s_andn2_b64 vcc, exec, s[10:11]
	s_cbranch_vccnz .LBB95_2733
.LBB95_2732:
	global_load_ubyte v1, v[10:11], off
	v_mov_b32_e32 v3, 0x3ff00000
	s_waitcnt vmcnt(1)
	v_mov_b32_e32 v12, 0
	s_mov_b64 s[20:21], -1
	s_waitcnt vmcnt(0)
	v_cmp_ne_u16_e32 vcc, 0, v1
	v_cndmask_b32_e32 v13, 0, v3, vcc
.LBB95_2733:
	s_mov_b64 s[0:1], 0
.LBB95_2734:
	s_and_b64 vcc, exec, s[0:1]
	s_cbranch_vccz .LBB95_2783
; %bb.2735:
	s_and_b32 s10, 0xffff, s30
	s_cmp_lt_i32 s10, 5
	s_cbranch_scc1 .LBB95_2740
; %bb.2736:
	s_cmp_lt_i32 s10, 8
	s_cbranch_scc1 .LBB95_2741
; %bb.2737:
	;; [unrolled: 3-line block ×3, first 2 shown]
	s_cmp_gt_i32 s10, 9
	s_cbranch_scc0 .LBB95_2743
; %bb.2739:
	global_load_dwordx2 v[12:13], v[10:11], off
	s_mov_b64 s[0:1], 0
	s_branch .LBB95_2744
.LBB95_2740:
	s_mov_b64 s[0:1], -1
                                        ; implicit-def: $vgpr12_vgpr13
	s_branch .LBB95_2762
.LBB95_2741:
	s_mov_b64 s[0:1], -1
                                        ; implicit-def: $vgpr12_vgpr13
	s_branch .LBB95_2750
.LBB95_2742:
	s_mov_b64 s[0:1], -1
                                        ; implicit-def: $vgpr12_vgpr13
	s_branch .LBB95_2747
.LBB95_2743:
	s_mov_b64 s[0:1], -1
                                        ; implicit-def: $vgpr12_vgpr13
.LBB95_2744:
	s_andn2_b64 vcc, exec, s[0:1]
	s_cbranch_vccnz .LBB95_2746
; %bb.2745:
	global_load_dword v1, v[10:11], off
	s_waitcnt vmcnt(0)
	v_cvt_f64_f32_e32 v[12:13], v1
.LBB95_2746:
	s_mov_b64 s[0:1], 0
.LBB95_2747:
	s_andn2_b64 vcc, exec, s[0:1]
	s_cbranch_vccnz .LBB95_2749
; %bb.2748:
	global_load_dword v1, v[10:11], off
	s_waitcnt vmcnt(0)
	v_cvt_f32_f16_e32 v1, v1
	v_cvt_f64_f32_e32 v[12:13], v1
.LBB95_2749:
	s_mov_b64 s[0:1], 0
.LBB95_2750:
	s_andn2_b64 vcc, exec, s[0:1]
	s_cbranch_vccnz .LBB95_2761
; %bb.2751:
	s_cmp_lt_i32 s10, 6
	s_cbranch_scc1 .LBB95_2754
; %bb.2752:
	s_cmp_gt_i32 s10, 6
	s_cbranch_scc0 .LBB95_2755
; %bb.2753:
	global_load_dwordx2 v[12:13], v[10:11], off
	s_mov_b64 s[0:1], 0
	s_branch .LBB95_2756
.LBB95_2754:
	s_mov_b64 s[0:1], -1
                                        ; implicit-def: $vgpr12_vgpr13
	s_branch .LBB95_2759
.LBB95_2755:
	s_mov_b64 s[0:1], -1
                                        ; implicit-def: $vgpr12_vgpr13
.LBB95_2756:
	s_andn2_b64 vcc, exec, s[0:1]
	s_cbranch_vccnz .LBB95_2758
; %bb.2757:
	global_load_dword v1, v[10:11], off
	s_waitcnt vmcnt(0)
	v_cvt_f64_f32_e32 v[12:13], v1
.LBB95_2758:
	s_mov_b64 s[0:1], 0
.LBB95_2759:
	s_andn2_b64 vcc, exec, s[0:1]
	s_cbranch_vccnz .LBB95_2761
; %bb.2760:
	global_load_ushort v1, v[10:11], off
	s_waitcnt vmcnt(0)
	v_cvt_f32_f16_e32 v1, v1
	v_cvt_f64_f32_e32 v[12:13], v1
.LBB95_2761:
	s_mov_b64 s[0:1], 0
.LBB95_2762:
	s_andn2_b64 vcc, exec, s[0:1]
	s_cbranch_vccnz .LBB95_2782
; %bb.2763:
	s_cmp_lt_i32 s10, 2
	s_cbranch_scc1 .LBB95_2767
; %bb.2764:
	s_cmp_lt_i32 s10, 3
	s_cbranch_scc1 .LBB95_2768
; %bb.2765:
	s_cmp_gt_i32 s10, 3
	s_cbranch_scc0 .LBB95_2769
; %bb.2766:
	global_load_dwordx2 v[12:13], v[10:11], off
	s_mov_b64 s[0:1], 0
	s_waitcnt vmcnt(0)
	v_cvt_f64_i32_e32 v[13:14], v13
	v_cvt_f64_u32_e32 v[15:16], v12
	v_ldexp_f64 v[13:14], v[13:14], 32
	v_add_f64 v[12:13], v[13:14], v[15:16]
	s_branch .LBB95_2770
.LBB95_2767:
	s_mov_b64 s[0:1], -1
                                        ; implicit-def: $vgpr12_vgpr13
	s_branch .LBB95_2776
.LBB95_2768:
	s_mov_b64 s[0:1], -1
                                        ; implicit-def: $vgpr12_vgpr13
	s_branch .LBB95_2773
.LBB95_2769:
	s_mov_b64 s[0:1], -1
                                        ; implicit-def: $vgpr12_vgpr13
.LBB95_2770:
	s_andn2_b64 vcc, exec, s[0:1]
	s_cbranch_vccnz .LBB95_2772
; %bb.2771:
	global_load_dword v1, v[10:11], off
	s_waitcnt vmcnt(0)
	v_cvt_f64_i32_e32 v[12:13], v1
.LBB95_2772:
	s_mov_b64 s[0:1], 0
.LBB95_2773:
	s_andn2_b64 vcc, exec, s[0:1]
	s_cbranch_vccnz .LBB95_2775
; %bb.2774:
	global_load_sshort v1, v[10:11], off
	s_waitcnt vmcnt(0)
	v_cvt_f64_i32_e32 v[12:13], v1
.LBB95_2775:
	s_mov_b64 s[0:1], 0
.LBB95_2776:
	s_andn2_b64 vcc, exec, s[0:1]
	s_cbranch_vccnz .LBB95_2782
; %bb.2777:
	s_cmp_gt_i32 s10, 0
	s_cbranch_scc0 .LBB95_2779
; %bb.2778:
	global_load_sbyte v1, v[10:11], off
	s_mov_b64 s[0:1], 0
	s_waitcnt vmcnt(0)
	v_cvt_f64_i32_e32 v[12:13], v1
	s_branch .LBB95_2780
.LBB95_2779:
	s_mov_b64 s[0:1], -1
                                        ; implicit-def: $vgpr12_vgpr13
.LBB95_2780:
	s_andn2_b64 vcc, exec, s[0:1]
	s_cbranch_vccnz .LBB95_2782
; %bb.2781:
	global_load_ubyte v1, v[10:11], off
	s_waitcnt vmcnt(0)
	v_cvt_f64_u32_e32 v[12:13], v1
.LBB95_2782:
	s_mov_b64 s[20:21], -1
.LBB95_2783:
	s_andn2_b64 vcc, exec, s[20:21]
	s_cbranch_vccnz .LBB95_2788
; %bb.2784:
	s_cmp_lt_i32 s28, 1
	s_mov_b64 s[0:1], 0
	s_cbranch_scc1 .LBB95_2834
; %bb.2785:
	s_cmp_gt_i32 s28, 1
	s_cbranch_scc0 .LBB95_2835
; %bb.2786:
	s_cmp_eq_u32 s28, 2
	s_cbranch_scc0 .LBB95_2836
; %bb.2787:
	s_waitcnt vmcnt(0)
	v_cmp_le_f64_e64 s[10:11], v[8:9], v[12:13]
	s_mov_b64 s[20:21], 0
	s_branch .LBB95_2837
.LBB95_2788:
	s_mov_b64 s[0:1], 0
                                        ; implicit-def: $sgpr10_sgpr11
.LBB95_2789:
	s_mov_b64 s[2:3], 0
                                        ; implicit-def: $vgpr0_vgpr1
                                        ; implicit-def: $sgpr26
.LBB95_2790:
	s_and_b64 s[6:7], s[2:3], exec
	s_andn2_b64 s[2:3], s[12:13], exec
	s_and_b64 s[4:5], s[4:5], exec
	s_and_b64 s[0:1], s[0:1], exec
	s_or_b64 s[12:13], s[2:3], s[4:5]
.LBB95_2791:
	s_or_b64 exec, exec, s[14:15]
	s_and_saveexec_b64 s[2:3], s[12:13]
	s_cbranch_execz .LBB95_2794
; %bb.2792:
	; divergent unreachable
	s_or_b64 exec, exec, s[2:3]
	s_and_saveexec_b64 s[2:3], s[6:7]
	s_xor_b64 s[2:3], exec, s[2:3]
	s_cbranch_execnz .LBB95_2795
.LBB95_2793:
	s_or_b64 exec, exec, s[2:3]
	s_and_saveexec_b64 s[2:3], s[0:1]
	s_cbranch_execnz .LBB95_2796
	s_branch .LBB95_2833
.LBB95_2794:
	s_or_b64 exec, exec, s[2:3]
	s_and_saveexec_b64 s[2:3], s[6:7]
	s_xor_b64 s[2:3], exec, s[2:3]
	s_cbranch_execz .LBB95_2793
.LBB95_2795:
	s_waitcnt vmcnt(0)
	v_cndmask_b32_e64 v2, 0, 1, s[10:11]
	global_store_byte v[0:1], v2, off
	s_or_b64 exec, exec, s[2:3]
	s_and_saveexec_b64 s[2:3], s[0:1]
	s_cbranch_execz .LBB95_2833
.LBB95_2796:
	s_sext_i32_i16 s2, s26
	s_cmp_lt_i32 s2, 5
	s_mov_b64 s[0:1], -1
	s_cbranch_scc1 .LBB95_2817
; %bb.2797:
	s_cmp_lt_i32 s2, 8
	s_cbranch_scc1 .LBB95_2807
; %bb.2798:
	s_cmp_lt_i32 s2, 9
	s_cbranch_scc1 .LBB95_2804
; %bb.2799:
	s_cmp_gt_i32 s2, 9
	s_cbranch_scc0 .LBB95_2801
; %bb.2800:
	s_waitcnt vmcnt(0)
	v_cndmask_b32_e64 v2, 0, 1, s[10:11]
	v_cvt_f64_u32_e32 v[2:3], v2
	v_mov_b32_e32 v4, 0
	v_mov_b32_e32 v5, v4
	s_mov_b64 s[0:1], 0
	global_store_dwordx4 v[0:1], v[2:5], off
.LBB95_2801:
	s_andn2_b64 vcc, exec, s[0:1]
	s_cbranch_vccnz .LBB95_2803
; %bb.2802:
	s_waitcnt vmcnt(0)
	v_cndmask_b32_e64 v2, 0, 1.0, s[10:11]
	v_mov_b32_e32 v3, 0
	global_store_dwordx2 v[0:1], v[2:3], off
.LBB95_2803:
	s_mov_b64 s[0:1], 0
.LBB95_2804:
	s_andn2_b64 vcc, exec, s[0:1]
	s_cbranch_vccnz .LBB95_2806
; %bb.2805:
	s_waitcnt vmcnt(0)
	v_cndmask_b32_e64 v2, 0, 1.0, s[10:11]
	v_cvt_f16_f32_e32 v2, v2
	global_store_dword v[0:1], v2, off
.LBB95_2806:
	s_mov_b64 s[0:1], 0
.LBB95_2807:
	s_andn2_b64 vcc, exec, s[0:1]
	s_cbranch_vccnz .LBB95_2816
; %bb.2808:
	s_sext_i32_i16 s2, s26
	s_cmp_lt_i32 s2, 6
	s_mov_b64 s[0:1], -1
	s_cbranch_scc1 .LBB95_2814
; %bb.2809:
	s_cmp_gt_i32 s2, 6
	s_cbranch_scc0 .LBB95_2811
; %bb.2810:
	s_waitcnt vmcnt(0)
	v_cndmask_b32_e64 v2, 0, 1, s[10:11]
	v_cvt_f64_u32_e32 v[2:3], v2
	s_mov_b64 s[0:1], 0
	global_store_dwordx2 v[0:1], v[2:3], off
.LBB95_2811:
	s_andn2_b64 vcc, exec, s[0:1]
	s_cbranch_vccnz .LBB95_2813
; %bb.2812:
	s_waitcnt vmcnt(0)
	v_cndmask_b32_e64 v2, 0, 1.0, s[10:11]
	global_store_dword v[0:1], v2, off
.LBB95_2813:
	s_mov_b64 s[0:1], 0
.LBB95_2814:
	s_andn2_b64 vcc, exec, s[0:1]
	s_cbranch_vccnz .LBB95_2816
; %bb.2815:
	s_waitcnt vmcnt(0)
	v_cndmask_b32_e64 v2, 0, 1.0, s[10:11]
	v_cvt_f16_f32_e32 v2, v2
	global_store_short v[0:1], v2, off
.LBB95_2816:
	s_mov_b64 s[0:1], 0
.LBB95_2817:
	s_andn2_b64 vcc, exec, s[0:1]
	s_cbranch_vccnz .LBB95_2833
; %bb.2818:
	s_sext_i32_i16 s2, s26
	s_cmp_lt_i32 s2, 2
	s_mov_b64 s[0:1], -1
	s_cbranch_scc1 .LBB95_2828
; %bb.2819:
	s_cmp_lt_i32 s2, 3
	s_cbranch_scc1 .LBB95_2825
; %bb.2820:
	s_cmp_gt_i32 s2, 3
	s_cbranch_scc0 .LBB95_2822
; %bb.2821:
	s_mov_b32 s0, 0
	s_waitcnt vmcnt(0)
	v_cndmask_b32_e64 v2, 0, 1, s[10:11]
	v_mov_b32_e32 v3, s0
	global_store_dwordx2 v[0:1], v[2:3], off
	s_mov_b64 s[0:1], 0
.LBB95_2822:
	s_andn2_b64 vcc, exec, s[0:1]
	s_cbranch_vccnz .LBB95_2824
; %bb.2823:
	s_waitcnt vmcnt(0)
	v_cndmask_b32_e64 v2, 0, 1, s[10:11]
	global_store_dword v[0:1], v2, off
.LBB95_2824:
	s_mov_b64 s[0:1], 0
.LBB95_2825:
	s_andn2_b64 vcc, exec, s[0:1]
	s_cbranch_vccnz .LBB95_2827
; %bb.2826:
	s_waitcnt vmcnt(0)
	v_cndmask_b32_e64 v2, 0, 1, s[10:11]
	global_store_short v[0:1], v2, off
.LBB95_2827:
	s_mov_b64 s[0:1], 0
.LBB95_2828:
	s_andn2_b64 vcc, exec, s[0:1]
	s_cbranch_vccnz .LBB95_2833
; %bb.2829:
	s_sext_i32_i16 s0, s26
	s_cmp_gt_i32 s0, 0
	s_mov_b64 s[0:1], -1
	s_cbranch_scc0 .LBB95_2831
; %bb.2830:
	s_waitcnt vmcnt(0)
	v_cndmask_b32_e64 v2, 0, 1, s[10:11]
	global_store_byte v[0:1], v2, off
	s_mov_b64 s[0:1], 0
.LBB95_2831:
	s_andn2_b64 vcc, exec, s[0:1]
	s_cbranch_vccnz .LBB95_2833
; %bb.2832:
	s_waitcnt vmcnt(0)
	v_cndmask_b32_e64 v2, 0, 1, s[10:11]
	global_store_byte v[0:1], v2, off
	s_endpgm
.LBB95_2833:
	s_endpgm
.LBB95_2834:
	s_mov_b64 s[22:23], -1
                                        ; implicit-def: $sgpr10_sgpr11
	s_mov_b64 s[20:21], 0
	s_branch .LBB95_2841
.LBB95_2835:
	s_mov_b64 s[22:23], -1
	s_mov_b64 s[20:21], 0
                                        ; implicit-def: $sgpr10_sgpr11
	s_branch .LBB95_2838
.LBB95_2836:
	s_mov_b64 s[20:21], -1
                                        ; implicit-def: $sgpr10_sgpr11
.LBB95_2837:
	s_mov_b64 s[22:23], 0
.LBB95_2838:
	s_and_b64 vcc, exec, s[22:23]
	s_cbranch_vccz .LBB95_2840
; %bb.2839:
	s_waitcnt vmcnt(0)
	v_cmp_gt_f64_e32 vcc, v[8:9], v[12:13]
	s_andn2_b64 s[10:11], s[10:11], exec
	s_and_b64 s[22:23], vcc, exec
	s_or_b64 s[10:11], s[10:11], s[22:23]
.LBB95_2840:
	s_mov_b64 s[22:23], 0
.LBB95_2841:
	s_and_b64 vcc, exec, s[22:23]
	s_cbranch_vccz .LBB95_2923
; %bb.2842:
	s_cmp_lg_u32 s28, 0
	s_mov_b64 s[0:1], -1
	s_cselect_b64 s[20:21], -1, 0
	s_andn2_b64 vcc, exec, s[20:21]
	s_cbranch_vccz .LBB95_2924
.LBB95_2843:
	s_andn2_b64 vcc, exec, s[0:1]
	s_cbranch_vccnz .LBB95_2845
.LBB95_2844:
	s_waitcnt vmcnt(0)
	v_cmp_ge_f64_e32 vcc, v[8:9], v[12:13]
	s_andn2_b64 s[0:1], s[10:11], exec
	s_and_b64 s[10:11], vcc, exec
	s_or_b64 s[10:11], s[0:1], s[10:11]
.LBB95_2845:
	s_load_dword s0, s[2:3], 0x1a4
	v_mov_b32_e32 v1, s9
	v_add_co_u32_e32 v5, vcc, s8, v6
	v_addc_co_u32_e32 v6, vcc, 0, v1, vcc
	s_waitcnt lgkmcnt(0)
	s_and_b32 s26, s0, 0xff
	s_cmp_lt_i32 s26, 11
	s_cbranch_scc1 .LBB95_2925
; %bb.2846:
	s_and_b32 s27, 0xffff, s26
	s_mov_b64 s[22:23], -1
	s_mov_b64 s[2:3], 0
	s_cmp_gt_i32 s27, 25
	s_mov_b64 s[20:21], 0
	s_mov_b64 s[0:1], 0
	s_cbranch_scc0 .LBB95_2879
; %bb.2847:
	s_cmp_gt_i32 s27, 28
	s_cbranch_scc0 .LBB95_2862
; %bb.2848:
	s_cmp_gt_i32 s27, 43
	;; [unrolled: 3-line block ×3, first 2 shown]
	s_cbranch_scc0 .LBB95_2852
; %bb.2850:
	s_mov_b64 s[0:1], -1
	s_mov_b64 s[22:23], 0
	s_cmp_eq_u32 s27, 46
	s_cbranch_scc0 .LBB95_2852
; %bb.2851:
	v_cndmask_b32_e64 v1, 0, 1.0, s[6:7]
	v_bfe_u32 v3, v1, 16, 1
	s_movk_i32 s0, 0x7fff
	v_add3_u32 v1, v1, v3, s0
	v_lshrrev_b32_e32 v1, 16, v1
	global_store_dword v[5:6], v1, off
	s_mov_b64 s[0:1], 0
	s_mov_b64 s[20:21], -1
.LBB95_2852:
	s_and_b64 vcc, exec, s[22:23]
	s_cbranch_vccz .LBB95_2857
; %bb.2853:
	s_cmp_eq_u32 s27, 44
	s_mov_b64 s[0:1], -1
	s_cbranch_scc0 .LBB95_2857
; %bb.2854:
	v_cndmask_b32_e64 v3, 0, 1.0, s[6:7]
	v_lshrrev_b32_e32 v1, 23, v3
	s_movk_i32 s0, 0xff
	v_cmp_ne_u32_e32 vcc, s0, v1
	v_mov_b32_e32 v7, 0xff
	s_and_saveexec_b64 s[20:21], vcc
; %bb.2855:
	s_mov_b32 s0, 0x3fffff
	v_and_b32_e32 v7, 0x400000, v3
	v_and_or_b32 v3, v3, s0, v1
	v_cmp_ne_u32_e32 vcc, 0, v7
	v_cmp_ne_u32_e64 s[0:1], 0, v3
	s_and_b64 s[0:1], vcc, s[0:1]
	v_cndmask_b32_e64 v3, 0, 1, s[0:1]
	v_add_u32_e32 v7, v1, v3
; %bb.2856:
	s_or_b64 exec, exec, s[20:21]
	s_mov_b64 s[0:1], 0
	s_mov_b64 s[20:21], -1
	global_store_byte v[5:6], v7, off
.LBB95_2857:
	s_mov_b64 s[22:23], 0
.LBB95_2858:
	s_and_b64 vcc, exec, s[22:23]
	s_cbranch_vccz .LBB95_2861
; %bb.2859:
	s_cmp_eq_u32 s27, 29
	s_mov_b64 s[0:1], -1
	s_cbranch_scc0 .LBB95_2861
; %bb.2860:
	s_mov_b32 s0, 0
	v_cndmask_b32_e64 v7, 0, 1, s[6:7]
	s_waitcnt vmcnt(0)
	v_mov_b32_e32 v8, s0
	global_store_dwordx2 v[5:6], v[7:8], off
	s_mov_b64 s[0:1], 0
	s_mov_b64 s[20:21], -1
.LBB95_2861:
	s_mov_b64 s[22:23], 0
.LBB95_2862:
	s_and_b64 vcc, exec, s[22:23]
	s_cbranch_vccz .LBB95_2878
; %bb.2863:
	s_cmp_lt_i32 s27, 27
	s_mov_b64 s[20:21], -1
	s_cbranch_scc1 .LBB95_2869
; %bb.2864:
	s_cmp_gt_i32 s27, 27
	s_cbranch_scc0 .LBB95_2866
; %bb.2865:
	v_cndmask_b32_e64 v1, 0, 1, s[6:7]
	s_mov_b64 s[20:21], 0
	global_store_dword v[5:6], v1, off
.LBB95_2866:
	s_andn2_b64 vcc, exec, s[20:21]
	s_cbranch_vccnz .LBB95_2868
; %bb.2867:
	v_cndmask_b32_e64 v1, 0, 1, s[6:7]
	global_store_short v[5:6], v1, off
.LBB95_2868:
	s_mov_b64 s[20:21], 0
.LBB95_2869:
	s_andn2_b64 vcc, exec, s[20:21]
	s_cbranch_vccnz .LBB95_2877
; %bb.2870:
	v_cndmask_b32_e64 v3, 0, 1.0, s[6:7]
	s_mov_b32 s20, 0x43800000
	v_cmp_gt_u32_e32 vcc, s20, v3
	v_mov_b32_e32 v7, 0x80
	s_and_saveexec_b64 s[20:21], vcc
	s_cbranch_execz .LBB95_2876
; %bb.2871:
	s_mov_b32 s22, 0x3bffffff
	v_cmp_lt_u32_e32 vcc, s22, v3
	s_mov_b64 s[22:23], 0
                                        ; implicit-def: $vgpr1
	s_and_saveexec_b64 s[24:25], vcc
	s_xor_b64 s[24:25], exec, s[24:25]
	s_cbranch_execz .LBB95_3283
; %bb.2872:
	v_bfe_u32 v1, v3, 20, 1
	s_mov_b32 s28, 0x487ffff
	v_add3_u32 v1, v3, v1, s28
	s_mov_b64 s[22:23], exec
	v_lshrrev_b32_e32 v1, 20, v1
                                        ; implicit-def: $vgpr3
	s_andn2_saveexec_b64 s[24:25], s[24:25]
	s_cbranch_execnz .LBB95_3284
.LBB95_2873:
	s_or_b64 exec, exec, s[24:25]
	v_mov_b32_e32 v7, 0
	s_and_saveexec_b64 s[24:25], s[22:23]
.LBB95_2874:
	v_mov_b32_e32 v7, v1
.LBB95_2875:
	s_or_b64 exec, exec, s[24:25]
.LBB95_2876:
	s_or_b64 exec, exec, s[20:21]
	global_store_byte v[5:6], v7, off
.LBB95_2877:
	s_mov_b64 s[20:21], -1
.LBB95_2878:
	s_mov_b64 s[22:23], 0
.LBB95_2879:
	s_and_b64 vcc, exec, s[22:23]
	s_cbranch_vccz .LBB95_2919
; %bb.2880:
	s_cmp_gt_i32 s27, 22
	s_mov_b64 s[2:3], -1
	s_cbranch_scc0 .LBB95_2912
; %bb.2881:
	s_cmp_lt_i32 s27, 24
	s_cbranch_scc1 .LBB95_2901
; %bb.2882:
	s_cmp_gt_i32 s27, 24
	s_cbranch_scc0 .LBB95_2890
; %bb.2883:
	v_cndmask_b32_e64 v3, 0, 1.0, s[6:7]
	s_mov_b32 s2, 0x47800000
	v_cmp_gt_u32_e32 vcc, s2, v3
	v_mov_b32_e32 v7, 0x80
	s_and_saveexec_b64 s[2:3], vcc
	s_cbranch_execz .LBB95_2889
; %bb.2884:
	s_mov_b32 s20, 0x37ffffff
	v_cmp_lt_u32_e32 vcc, s20, v3
	s_mov_b64 s[20:21], 0
                                        ; implicit-def: $vgpr1
	s_and_saveexec_b64 s[22:23], vcc
	s_xor_b64 s[22:23], exec, s[22:23]
	s_cbranch_execz .LBB95_3286
; %bb.2885:
	v_bfe_u32 v1, v3, 21, 1
	s_mov_b32 s24, 0x88fffff
	v_add3_u32 v1, v3, v1, s24
	s_mov_b64 s[20:21], exec
	v_lshrrev_b32_e32 v1, 21, v1
                                        ; implicit-def: $vgpr3
	s_andn2_saveexec_b64 s[22:23], s[22:23]
	s_cbranch_execnz .LBB95_3287
.LBB95_2886:
	s_or_b64 exec, exec, s[22:23]
	v_mov_b32_e32 v7, 0
	s_and_saveexec_b64 s[22:23], s[20:21]
.LBB95_2887:
	v_mov_b32_e32 v7, v1
.LBB95_2888:
	s_or_b64 exec, exec, s[22:23]
.LBB95_2889:
	s_or_b64 exec, exec, s[2:3]
	s_mov_b64 s[2:3], 0
	global_store_byte v[5:6], v7, off
.LBB95_2890:
	s_and_b64 vcc, exec, s[2:3]
	s_cbranch_vccz .LBB95_2900
; %bb.2891:
	v_cndmask_b32_e64 v1, 0, 1.0, s[6:7]
	s_mov_b32 s2, 0x43f00000
	v_cmp_gt_u32_e32 vcc, s2, v1
                                        ; implicit-def: $vgpr3
	s_and_saveexec_b64 s[2:3], vcc
	s_xor_b64 s[2:3], exec, s[2:3]
	s_cbranch_execz .LBB95_2897
; %bb.2892:
	s_mov_b32 s20, 0x3c7fffff
	v_cmp_lt_u32_e32 vcc, s20, v1
                                        ; implicit-def: $vgpr3
	s_and_saveexec_b64 s[20:21], vcc
	s_xor_b64 s[20:21], exec, s[20:21]
; %bb.2893:
	v_bfe_u32 v3, v1, 20, 1
	s_mov_b32 s22, 0x407ffff
	v_add3_u32 v1, v1, v3, s22
	v_lshrrev_b32_e32 v3, 20, v1
	v_and_b32_e32 v1, 0xff00000, v1
	s_mov_b32 s22, 0x7f00000
	v_mov_b32_e32 v7, 0x7e
	v_cmp_ne_u32_e32 vcc, s22, v1
	v_cndmask_b32_e32 v3, v7, v3, vcc
                                        ; implicit-def: $vgpr1
; %bb.2894:
	s_andn2_saveexec_b64 s[20:21], s[20:21]
; %bb.2895:
	v_add_f32_e32 v3, 0x46800000, v1
; %bb.2896:
	s_or_b64 exec, exec, s[20:21]
                                        ; implicit-def: $vgpr1
.LBB95_2897:
	s_andn2_saveexec_b64 s[2:3], s[2:3]
; %bb.2898:
	s_mov_b32 s20, 0x7f800000
	v_mov_b32_e32 v3, 0x7e
	v_mov_b32_e32 v7, 0x7f
	v_cmp_lt_u32_e32 vcc, s20, v1
	v_cndmask_b32_e32 v3, v3, v7, vcc
; %bb.2899:
	s_or_b64 exec, exec, s[2:3]
	global_store_byte v[5:6], v3, off
.LBB95_2900:
	s_mov_b64 s[2:3], 0
.LBB95_2901:
	s_andn2_b64 vcc, exec, s[2:3]
	s_cbranch_vccnz .LBB95_2911
; %bb.2902:
	v_cndmask_b32_e64 v1, 0, 1.0, s[6:7]
	s_mov_b32 s2, 0x47800000
	v_cmp_gt_u32_e32 vcc, s2, v1
                                        ; implicit-def: $vgpr3
	s_and_saveexec_b64 s[2:3], vcc
	s_xor_b64 s[2:3], exec, s[2:3]
	s_cbranch_execz .LBB95_2908
; %bb.2903:
	s_mov_b32 s20, 0x387fffff
	v_cmp_lt_u32_e32 vcc, s20, v1
                                        ; implicit-def: $vgpr3
	s_and_saveexec_b64 s[20:21], vcc
	s_xor_b64 s[20:21], exec, s[20:21]
; %bb.2904:
	v_bfe_u32 v3, v1, 21, 1
	s_mov_b32 s22, 0x80fffff
	v_add3_u32 v1, v1, v3, s22
	v_lshrrev_b32_e32 v3, 21, v1
                                        ; implicit-def: $vgpr1
; %bb.2905:
	s_andn2_saveexec_b64 s[20:21], s[20:21]
; %bb.2906:
	v_add_f32_e32 v3, 0x43000000, v1
; %bb.2907:
	s_or_b64 exec, exec, s[20:21]
                                        ; implicit-def: $vgpr1
.LBB95_2908:
	s_andn2_saveexec_b64 s[2:3], s[2:3]
; %bb.2909:
	s_mov_b32 s20, 0x7f800000
	v_mov_b32_e32 v3, 0x7c
	v_mov_b32_e32 v7, 0x7f
	v_cmp_lt_u32_e32 vcc, s20, v1
	v_cndmask_b32_e32 v3, v3, v7, vcc
; %bb.2910:
	s_or_b64 exec, exec, s[2:3]
	global_store_byte v[5:6], v3, off
.LBB95_2911:
	s_mov_b64 s[2:3], 0
	s_mov_b64 s[20:21], -1
.LBB95_2912:
	s_andn2_b64 vcc, exec, s[2:3]
	s_mov_b64 s[2:3], 0
	s_cbranch_vccnz .LBB95_2919
; %bb.2913:
	s_cmp_gt_i32 s27, 14
	s_mov_b64 s[22:23], -1
	s_cbranch_scc0 .LBB95_2917
; %bb.2914:
	s_cmp_eq_u32 s27, 15
	s_mov_b64 s[0:1], -1
	s_cbranch_scc0 .LBB95_2916
; %bb.2915:
	v_cndmask_b32_e64 v1, 0, 1.0, s[6:7]
	v_bfe_u32 v3, v1, 16, 1
	s_movk_i32 s0, 0x7fff
	v_add3_u32 v1, v1, v3, s0
	global_store_short_d16_hi v[5:6], v1, off
	s_mov_b64 s[0:1], 0
	s_mov_b64 s[20:21], -1
.LBB95_2916:
	s_mov_b64 s[22:23], 0
.LBB95_2917:
	s_and_b64 vcc, exec, s[22:23]
	s_cbranch_vccz .LBB95_2919
; %bb.2918:
	s_cmp_lg_u32 s27, 11
	s_mov_b64 s[2:3], -1
	s_cselect_b64 s[0:1], -1, 0
.LBB95_2919:
	s_and_b64 vcc, exec, s[0:1]
	s_cbranch_vccnz .LBB95_3285
; %bb.2920:
	s_andn2_b64 vcc, exec, s[2:3]
	s_cbranch_vccnz .LBB95_2922
.LBB95_2921:
	v_cndmask_b32_e64 v1, 0, 1, s[6:7]
	s_mov_b64 s[20:21], -1
	global_store_byte v[5:6], v1, off
.LBB95_2922:
	s_mov_b64 s[0:1], 0
	s_branch .LBB95_2926
.LBB95_2923:
	s_andn2_b64 vcc, exec, s[20:21]
	s_cbranch_vccnz .LBB95_2843
.LBB95_2924:
	s_waitcnt vmcnt(0)
	v_cmp_lt_f64_e32 vcc, v[8:9], v[12:13]
	s_andn2_b64 s[10:11], s[10:11], exec
	s_and_b64 s[20:21], vcc, exec
	s_or_b64 s[10:11], s[10:11], s[20:21]
	s_cbranch_execz .LBB95_2844
	s_branch .LBB95_2845
.LBB95_2925:
	s_mov_b64 s[0:1], -1
	s_mov_b64 s[20:21], 0
.LBB95_2926:
	s_and_b64 vcc, exec, s[0:1]
	s_cbranch_vccz .LBB95_2965
; %bb.2927:
	s_and_b32 s2, 0xffff, s26
	s_cmp_lt_i32 s2, 5
	s_mov_b64 s[0:1], -1
	s_cbranch_scc1 .LBB95_2948
; %bb.2928:
	s_cmp_lt_i32 s2, 8
	s_cbranch_scc1 .LBB95_2938
; %bb.2929:
	s_cmp_lt_i32 s2, 9
	s_cbranch_scc1 .LBB95_2935
; %bb.2930:
	s_cmp_gt_i32 s2, 9
	s_cbranch_scc0 .LBB95_2932
; %bb.2931:
	v_cndmask_b32_e64 v1, 0, 1, s[6:7]
	s_waitcnt vmcnt(0)
	v_cvt_f64_u32_e32 v[7:8], v1
	v_mov_b32_e32 v9, 0
	v_mov_b32_e32 v10, v9
	s_mov_b64 s[0:1], 0
	global_store_dwordx4 v[5:6], v[7:10], off
.LBB95_2932:
	s_andn2_b64 vcc, exec, s[0:1]
	s_cbranch_vccnz .LBB95_2934
; %bb.2933:
	v_cndmask_b32_e64 v7, 0, 1.0, s[6:7]
	s_waitcnt vmcnt(0)
	v_mov_b32_e32 v8, 0
	global_store_dwordx2 v[5:6], v[7:8], off
.LBB95_2934:
	s_mov_b64 s[0:1], 0
.LBB95_2935:
	s_andn2_b64 vcc, exec, s[0:1]
	s_cbranch_vccnz .LBB95_2937
; %bb.2936:
	v_cndmask_b32_e64 v1, 0, 1.0, s[6:7]
	v_cvt_f16_f32_e32 v1, v1
	global_store_dword v[5:6], v1, off
.LBB95_2937:
	s_mov_b64 s[0:1], 0
.LBB95_2938:
	s_andn2_b64 vcc, exec, s[0:1]
	s_cbranch_vccnz .LBB95_2947
; %bb.2939:
	s_cmp_lt_i32 s2, 6
	s_mov_b64 s[0:1], -1
	s_cbranch_scc1 .LBB95_2945
; %bb.2940:
	s_cmp_gt_i32 s2, 6
	s_cbranch_scc0 .LBB95_2942
; %bb.2941:
	v_cndmask_b32_e64 v1, 0, 1, s[6:7]
	s_waitcnt vmcnt(0)
	v_cvt_f64_u32_e32 v[7:8], v1
	s_mov_b64 s[0:1], 0
	global_store_dwordx2 v[5:6], v[7:8], off
.LBB95_2942:
	s_andn2_b64 vcc, exec, s[0:1]
	s_cbranch_vccnz .LBB95_2944
; %bb.2943:
	v_cndmask_b32_e64 v1, 0, 1.0, s[6:7]
	global_store_dword v[5:6], v1, off
.LBB95_2944:
	s_mov_b64 s[0:1], 0
.LBB95_2945:
	s_andn2_b64 vcc, exec, s[0:1]
	s_cbranch_vccnz .LBB95_2947
; %bb.2946:
	v_cndmask_b32_e64 v1, 0, 1.0, s[6:7]
	v_cvt_f16_f32_e32 v1, v1
	global_store_short v[5:6], v1, off
.LBB95_2947:
	s_mov_b64 s[0:1], 0
.LBB95_2948:
	s_andn2_b64 vcc, exec, s[0:1]
	s_cbranch_vccnz .LBB95_2964
; %bb.2949:
	s_cmp_lt_i32 s2, 2
	s_mov_b64 s[0:1], -1
	s_cbranch_scc1 .LBB95_2959
; %bb.2950:
	s_cmp_lt_i32 s2, 3
	s_cbranch_scc1 .LBB95_2956
; %bb.2951:
	s_cmp_gt_i32 s2, 3
	s_cbranch_scc0 .LBB95_2953
; %bb.2952:
	s_mov_b32 s0, 0
	v_cndmask_b32_e64 v7, 0, 1, s[6:7]
	s_waitcnt vmcnt(0)
	v_mov_b32_e32 v8, s0
	global_store_dwordx2 v[5:6], v[7:8], off
	s_mov_b64 s[0:1], 0
.LBB95_2953:
	s_andn2_b64 vcc, exec, s[0:1]
	s_cbranch_vccnz .LBB95_2955
; %bb.2954:
	v_cndmask_b32_e64 v1, 0, 1, s[6:7]
	global_store_dword v[5:6], v1, off
.LBB95_2955:
	s_mov_b64 s[0:1], 0
.LBB95_2956:
	s_andn2_b64 vcc, exec, s[0:1]
	s_cbranch_vccnz .LBB95_2958
; %bb.2957:
	v_cndmask_b32_e64 v1, 0, 1, s[6:7]
	global_store_short v[5:6], v1, off
.LBB95_2958:
	s_mov_b64 s[0:1], 0
.LBB95_2959:
	s_andn2_b64 vcc, exec, s[0:1]
	s_cbranch_vccnz .LBB95_2964
; %bb.2960:
	s_mov_b64 s[0:1], -1
	s_cmp_gt_i32 s2, 0
	v_cndmask_b32_e64 v1, 0, 1, s[6:7]
	s_cbranch_scc0 .LBB95_2962
; %bb.2961:
	global_store_byte v[5:6], v1, off
	s_mov_b64 s[0:1], 0
.LBB95_2962:
	s_andn2_b64 vcc, exec, s[0:1]
	s_cbranch_vccnz .LBB95_2964
; %bb.2963:
	global_store_byte v[5:6], v1, off
.LBB95_2964:
	s_mov_b64 s[20:21], -1
.LBB95_2965:
	s_andn2_b64 vcc, exec, s[20:21]
	s_cbranch_vccnz .LBB95_3280
; %bb.2966:
	v_mov_b32_e32 v1, s9
	s_and_b32 s24, 0xffff, s26
	v_add_co_u32_e32 v3, vcc, s8, v4
	s_cmp_lt_i32 s24, 11
	v_addc_co_u32_e32 v4, vcc, 0, v1, vcc
	s_cbranch_scc1 .LBB95_3044
; %bb.2967:
	s_mov_b64 s[20:21], -1
	s_mov_b64 s[2:3], 0
	s_cmp_gt_i32 s24, 25
	s_mov_b64 s[6:7], 0
	s_mov_b64 s[0:1], 0
	s_cbranch_scc0 .LBB95_3000
; %bb.2968:
	s_cmp_gt_i32 s24, 28
	s_cbranch_scc0 .LBB95_2983
; %bb.2969:
	s_cmp_gt_i32 s24, 43
	;; [unrolled: 3-line block ×3, first 2 shown]
	s_cbranch_scc0 .LBB95_2973
; %bb.2971:
	s_mov_b64 s[0:1], -1
	s_mov_b64 s[20:21], 0
	s_cmp_eq_u32 s24, 46
	s_cbranch_scc0 .LBB95_2973
; %bb.2972:
	v_cndmask_b32_e64 v1, 0, 1.0, s[16:17]
	v_bfe_u32 v5, v1, 16, 1
	s_movk_i32 s0, 0x7fff
	v_add3_u32 v1, v1, v5, s0
	v_lshrrev_b32_e32 v1, 16, v1
	global_store_dword v[3:4], v1, off
	s_mov_b64 s[0:1], 0
	s_mov_b64 s[6:7], -1
.LBB95_2973:
	s_and_b64 vcc, exec, s[20:21]
	s_cbranch_vccz .LBB95_2978
; %bb.2974:
	s_cmp_eq_u32 s24, 44
	s_mov_b64 s[0:1], -1
	s_cbranch_scc0 .LBB95_2978
; %bb.2975:
	v_cndmask_b32_e64 v5, 0, 1.0, s[16:17]
	v_lshrrev_b32_e32 v1, 23, v5
	s_movk_i32 s0, 0xff
	v_cmp_ne_u32_e32 vcc, s0, v1
	v_mov_b32_e32 v6, 0xff
	s_and_saveexec_b64 s[6:7], vcc
; %bb.2976:
	s_mov_b32 s0, 0x3fffff
	v_and_b32_e32 v6, 0x400000, v5
	v_and_or_b32 v5, v5, s0, v1
	v_cmp_ne_u32_e32 vcc, 0, v6
	v_cmp_ne_u32_e64 s[0:1], 0, v5
	s_and_b64 s[0:1], vcc, s[0:1]
	v_cndmask_b32_e64 v5, 0, 1, s[0:1]
	v_add_u32_e32 v6, v1, v5
; %bb.2977:
	s_or_b64 exec, exec, s[6:7]
	s_mov_b64 s[0:1], 0
	s_mov_b64 s[6:7], -1
	global_store_byte v[3:4], v6, off
.LBB95_2978:
	s_mov_b64 s[20:21], 0
.LBB95_2979:
	s_and_b64 vcc, exec, s[20:21]
	s_cbranch_vccz .LBB95_2982
; %bb.2980:
	s_cmp_eq_u32 s24, 29
	s_mov_b64 s[0:1], -1
	s_cbranch_scc0 .LBB95_2982
; %bb.2981:
	s_mov_b32 s0, 0
	v_cndmask_b32_e64 v5, 0, 1, s[16:17]
	v_mov_b32_e32 v6, s0
	global_store_dwordx2 v[3:4], v[5:6], off
	s_mov_b64 s[0:1], 0
	s_mov_b64 s[6:7], -1
.LBB95_2982:
	s_mov_b64 s[20:21], 0
.LBB95_2983:
	s_and_b64 vcc, exec, s[20:21]
	s_cbranch_vccz .LBB95_2999
; %bb.2984:
	s_cmp_lt_i32 s24, 27
	s_mov_b64 s[6:7], -1
	s_cbranch_scc1 .LBB95_2990
; %bb.2985:
	s_cmp_gt_i32 s24, 27
	s_cbranch_scc0 .LBB95_2987
; %bb.2986:
	v_cndmask_b32_e64 v1, 0, 1, s[16:17]
	s_mov_b64 s[6:7], 0
	global_store_dword v[3:4], v1, off
.LBB95_2987:
	s_andn2_b64 vcc, exec, s[6:7]
	s_cbranch_vccnz .LBB95_2989
; %bb.2988:
	v_cndmask_b32_e64 v1, 0, 1, s[16:17]
	global_store_short v[3:4], v1, off
.LBB95_2989:
	s_mov_b64 s[6:7], 0
.LBB95_2990:
	s_andn2_b64 vcc, exec, s[6:7]
	s_cbranch_vccnz .LBB95_2998
; %bb.2991:
	v_cndmask_b32_e64 v5, 0, 1.0, s[16:17]
	s_mov_b32 s6, 0x43800000
	v_cmp_gt_u32_e32 vcc, s6, v5
	v_mov_b32_e32 v6, 0x80
	s_and_saveexec_b64 s[6:7], vcc
	s_cbranch_execz .LBB95_2997
; %bb.2992:
	s_mov_b32 s20, 0x3bffffff
	v_cmp_lt_u32_e32 vcc, s20, v5
	s_mov_b64 s[20:21], 0
                                        ; implicit-def: $vgpr1
	s_and_saveexec_b64 s[22:23], vcc
	s_xor_b64 s[22:23], exec, s[22:23]
	s_cbranch_execz .LBB95_3288
; %bb.2993:
	v_bfe_u32 v1, v5, 20, 1
	s_mov_b32 s25, 0x487ffff
	v_add3_u32 v1, v5, v1, s25
	s_mov_b64 s[20:21], exec
	v_lshrrev_b32_e32 v1, 20, v1
                                        ; implicit-def: $vgpr5
	s_andn2_saveexec_b64 s[22:23], s[22:23]
	s_cbranch_execnz .LBB95_3289
.LBB95_2994:
	s_or_b64 exec, exec, s[22:23]
	v_mov_b32_e32 v6, 0
	s_and_saveexec_b64 s[22:23], s[20:21]
.LBB95_2995:
	v_mov_b32_e32 v6, v1
.LBB95_2996:
	s_or_b64 exec, exec, s[22:23]
.LBB95_2997:
	s_or_b64 exec, exec, s[6:7]
	global_store_byte v[3:4], v6, off
.LBB95_2998:
	s_mov_b64 s[6:7], -1
.LBB95_2999:
	s_mov_b64 s[20:21], 0
.LBB95_3000:
	s_and_b64 vcc, exec, s[20:21]
	s_cbranch_vccz .LBB95_3040
; %bb.3001:
	s_cmp_gt_i32 s24, 22
	s_mov_b64 s[2:3], -1
	s_cbranch_scc0 .LBB95_3033
; %bb.3002:
	s_cmp_lt_i32 s24, 24
	s_cbranch_scc1 .LBB95_3022
; %bb.3003:
	s_cmp_gt_i32 s24, 24
	s_cbranch_scc0 .LBB95_3011
; %bb.3004:
	v_cndmask_b32_e64 v5, 0, 1.0, s[16:17]
	s_mov_b32 s2, 0x47800000
	v_cmp_gt_u32_e32 vcc, s2, v5
	v_mov_b32_e32 v6, 0x80
	s_and_saveexec_b64 s[2:3], vcc
	s_cbranch_execz .LBB95_3010
; %bb.3005:
	s_mov_b32 s6, 0x37ffffff
	v_cmp_lt_u32_e32 vcc, s6, v5
	s_mov_b64 s[6:7], 0
                                        ; implicit-def: $vgpr1
	s_and_saveexec_b64 s[20:21], vcc
	s_xor_b64 s[20:21], exec, s[20:21]
	s_cbranch_execz .LBB95_3291
; %bb.3006:
	v_bfe_u32 v1, v5, 21, 1
	s_mov_b32 s22, 0x88fffff
	v_add3_u32 v1, v5, v1, s22
	s_mov_b64 s[6:7], exec
	v_lshrrev_b32_e32 v1, 21, v1
                                        ; implicit-def: $vgpr5
	s_andn2_saveexec_b64 s[20:21], s[20:21]
	s_cbranch_execnz .LBB95_3292
.LBB95_3007:
	s_or_b64 exec, exec, s[20:21]
	v_mov_b32_e32 v6, 0
	s_and_saveexec_b64 s[20:21], s[6:7]
.LBB95_3008:
	v_mov_b32_e32 v6, v1
.LBB95_3009:
	s_or_b64 exec, exec, s[20:21]
.LBB95_3010:
	s_or_b64 exec, exec, s[2:3]
	s_mov_b64 s[2:3], 0
	global_store_byte v[3:4], v6, off
.LBB95_3011:
	s_and_b64 vcc, exec, s[2:3]
	s_cbranch_vccz .LBB95_3021
; %bb.3012:
	v_cndmask_b32_e64 v1, 0, 1.0, s[16:17]
	s_mov_b32 s2, 0x43f00000
	v_cmp_gt_u32_e32 vcc, s2, v1
                                        ; implicit-def: $vgpr5
	s_and_saveexec_b64 s[2:3], vcc
	s_xor_b64 s[2:3], exec, s[2:3]
	s_cbranch_execz .LBB95_3018
; %bb.3013:
	s_mov_b32 s6, 0x3c7fffff
	v_cmp_lt_u32_e32 vcc, s6, v1
                                        ; implicit-def: $vgpr5
	s_and_saveexec_b64 s[6:7], vcc
	s_xor_b64 s[6:7], exec, s[6:7]
; %bb.3014:
	v_bfe_u32 v5, v1, 20, 1
	s_mov_b32 s20, 0x407ffff
	v_add3_u32 v1, v1, v5, s20
	v_lshrrev_b32_e32 v5, 20, v1
	v_and_b32_e32 v1, 0xff00000, v1
	s_mov_b32 s20, 0x7f00000
	v_mov_b32_e32 v6, 0x7e
	v_cmp_ne_u32_e32 vcc, s20, v1
	v_cndmask_b32_e32 v5, v6, v5, vcc
                                        ; implicit-def: $vgpr1
; %bb.3015:
	s_andn2_saveexec_b64 s[6:7], s[6:7]
; %bb.3016:
	v_add_f32_e32 v5, 0x46800000, v1
; %bb.3017:
	s_or_b64 exec, exec, s[6:7]
                                        ; implicit-def: $vgpr1
.LBB95_3018:
	s_andn2_saveexec_b64 s[2:3], s[2:3]
; %bb.3019:
	s_mov_b32 s6, 0x7f800000
	v_mov_b32_e32 v5, 0x7e
	v_mov_b32_e32 v6, 0x7f
	v_cmp_lt_u32_e32 vcc, s6, v1
	v_cndmask_b32_e32 v5, v5, v6, vcc
; %bb.3020:
	s_or_b64 exec, exec, s[2:3]
	global_store_byte v[3:4], v5, off
.LBB95_3021:
	s_mov_b64 s[2:3], 0
.LBB95_3022:
	s_andn2_b64 vcc, exec, s[2:3]
	s_cbranch_vccnz .LBB95_3032
; %bb.3023:
	v_cndmask_b32_e64 v1, 0, 1.0, s[16:17]
	s_mov_b32 s2, 0x47800000
	v_cmp_gt_u32_e32 vcc, s2, v1
                                        ; implicit-def: $vgpr5
	s_and_saveexec_b64 s[2:3], vcc
	s_xor_b64 s[2:3], exec, s[2:3]
	s_cbranch_execz .LBB95_3029
; %bb.3024:
	s_mov_b32 s6, 0x387fffff
	v_cmp_lt_u32_e32 vcc, s6, v1
                                        ; implicit-def: $vgpr5
	s_and_saveexec_b64 s[6:7], vcc
	s_xor_b64 s[6:7], exec, s[6:7]
; %bb.3025:
	v_bfe_u32 v5, v1, 21, 1
	s_mov_b32 s20, 0x80fffff
	v_add3_u32 v1, v1, v5, s20
	v_lshrrev_b32_e32 v5, 21, v1
                                        ; implicit-def: $vgpr1
; %bb.3026:
	s_andn2_saveexec_b64 s[6:7], s[6:7]
; %bb.3027:
	v_add_f32_e32 v5, 0x43000000, v1
; %bb.3028:
	s_or_b64 exec, exec, s[6:7]
                                        ; implicit-def: $vgpr1
.LBB95_3029:
	s_andn2_saveexec_b64 s[2:3], s[2:3]
; %bb.3030:
	s_mov_b32 s6, 0x7f800000
	v_mov_b32_e32 v5, 0x7c
	v_mov_b32_e32 v6, 0x7f
	v_cmp_lt_u32_e32 vcc, s6, v1
	v_cndmask_b32_e32 v5, v5, v6, vcc
; %bb.3031:
	s_or_b64 exec, exec, s[2:3]
	global_store_byte v[3:4], v5, off
.LBB95_3032:
	s_mov_b64 s[2:3], 0
	s_mov_b64 s[6:7], -1
.LBB95_3033:
	s_andn2_b64 vcc, exec, s[2:3]
	s_mov_b64 s[2:3], 0
	s_cbranch_vccnz .LBB95_3040
; %bb.3034:
	s_cmp_gt_i32 s24, 14
	s_mov_b64 s[20:21], -1
	s_cbranch_scc0 .LBB95_3038
; %bb.3035:
	s_cmp_eq_u32 s24, 15
	s_mov_b64 s[0:1], -1
	s_cbranch_scc0 .LBB95_3037
; %bb.3036:
	v_cndmask_b32_e64 v1, 0, 1.0, s[16:17]
	v_bfe_u32 v5, v1, 16, 1
	s_movk_i32 s0, 0x7fff
	v_add3_u32 v1, v1, v5, s0
	global_store_short_d16_hi v[3:4], v1, off
	s_mov_b64 s[0:1], 0
	s_mov_b64 s[6:7], -1
.LBB95_3037:
	s_mov_b64 s[20:21], 0
.LBB95_3038:
	s_and_b64 vcc, exec, s[20:21]
	s_cbranch_vccz .LBB95_3040
; %bb.3039:
	s_cmp_lg_u32 s24, 11
	s_mov_b64 s[2:3], -1
	s_cselect_b64 s[0:1], -1, 0
.LBB95_3040:
	s_and_b64 vcc, exec, s[0:1]
	s_cbranch_vccnz .LBB95_3290
; %bb.3041:
	s_andn2_b64 vcc, exec, s[2:3]
	s_cbranch_vccnz .LBB95_3043
.LBB95_3042:
	v_cndmask_b32_e64 v1, 0, 1, s[16:17]
	s_mov_b64 s[6:7], -1
	global_store_byte v[3:4], v1, off
.LBB95_3043:
	s_mov_b64 s[0:1], 0
	s_branch .LBB95_3045
.LBB95_3044:
	s_mov_b64 s[0:1], -1
	s_mov_b64 s[6:7], 0
.LBB95_3045:
	s_and_b64 vcc, exec, s[0:1]
	s_cbranch_vccz .LBB95_3084
; %bb.3046:
	s_cmp_lt_i32 s24, 5
	s_mov_b64 s[0:1], -1
	s_cbranch_scc1 .LBB95_3067
; %bb.3047:
	s_cmp_lt_i32 s24, 8
	s_cbranch_scc1 .LBB95_3057
; %bb.3048:
	s_cmp_lt_i32 s24, 9
	s_cbranch_scc1 .LBB95_3054
; %bb.3049:
	s_cmp_gt_i32 s24, 9
	s_cbranch_scc0 .LBB95_3051
; %bb.3050:
	v_cndmask_b32_e64 v1, 0, 1, s[16:17]
	v_cvt_f64_u32_e32 v[5:6], v1
	v_mov_b32_e32 v7, 0
	s_waitcnt vmcnt(0)
	v_mov_b32_e32 v8, v7
	s_mov_b64 s[0:1], 0
	global_store_dwordx4 v[3:4], v[5:8], off
.LBB95_3051:
	s_andn2_b64 vcc, exec, s[0:1]
	s_cbranch_vccnz .LBB95_3053
; %bb.3052:
	v_cndmask_b32_e64 v5, 0, 1.0, s[16:17]
	v_mov_b32_e32 v6, 0
	global_store_dwordx2 v[3:4], v[5:6], off
.LBB95_3053:
	s_mov_b64 s[0:1], 0
.LBB95_3054:
	s_andn2_b64 vcc, exec, s[0:1]
	s_cbranch_vccnz .LBB95_3056
; %bb.3055:
	v_cndmask_b32_e64 v1, 0, 1.0, s[16:17]
	v_cvt_f16_f32_e32 v1, v1
	global_store_dword v[3:4], v1, off
.LBB95_3056:
	s_mov_b64 s[0:1], 0
.LBB95_3057:
	s_andn2_b64 vcc, exec, s[0:1]
	s_cbranch_vccnz .LBB95_3066
; %bb.3058:
	s_cmp_lt_i32 s24, 6
	s_mov_b64 s[0:1], -1
	s_cbranch_scc1 .LBB95_3064
; %bb.3059:
	s_cmp_gt_i32 s24, 6
	s_cbranch_scc0 .LBB95_3061
; %bb.3060:
	v_cndmask_b32_e64 v1, 0, 1, s[16:17]
	v_cvt_f64_u32_e32 v[5:6], v1
	s_mov_b64 s[0:1], 0
	global_store_dwordx2 v[3:4], v[5:6], off
.LBB95_3061:
	s_andn2_b64 vcc, exec, s[0:1]
	s_cbranch_vccnz .LBB95_3063
; %bb.3062:
	v_cndmask_b32_e64 v1, 0, 1.0, s[16:17]
	global_store_dword v[3:4], v1, off
.LBB95_3063:
	s_mov_b64 s[0:1], 0
.LBB95_3064:
	s_andn2_b64 vcc, exec, s[0:1]
	s_cbranch_vccnz .LBB95_3066
; %bb.3065:
	v_cndmask_b32_e64 v1, 0, 1.0, s[16:17]
	v_cvt_f16_f32_e32 v1, v1
	global_store_short v[3:4], v1, off
.LBB95_3066:
	s_mov_b64 s[0:1], 0
.LBB95_3067:
	s_andn2_b64 vcc, exec, s[0:1]
	s_cbranch_vccnz .LBB95_3083
; %bb.3068:
	s_cmp_lt_i32 s24, 2
	s_mov_b64 s[0:1], -1
	s_cbranch_scc1 .LBB95_3078
; %bb.3069:
	s_cmp_lt_i32 s24, 3
	s_cbranch_scc1 .LBB95_3075
; %bb.3070:
	s_cmp_gt_i32 s24, 3
	s_cbranch_scc0 .LBB95_3072
; %bb.3071:
	s_mov_b32 s0, 0
	v_cndmask_b32_e64 v5, 0, 1, s[16:17]
	v_mov_b32_e32 v6, s0
	global_store_dwordx2 v[3:4], v[5:6], off
	s_mov_b64 s[0:1], 0
.LBB95_3072:
	s_andn2_b64 vcc, exec, s[0:1]
	s_cbranch_vccnz .LBB95_3074
; %bb.3073:
	v_cndmask_b32_e64 v1, 0, 1, s[16:17]
	global_store_dword v[3:4], v1, off
.LBB95_3074:
	s_mov_b64 s[0:1], 0
.LBB95_3075:
	s_andn2_b64 vcc, exec, s[0:1]
	s_cbranch_vccnz .LBB95_3077
; %bb.3076:
	v_cndmask_b32_e64 v1, 0, 1, s[16:17]
	global_store_short v[3:4], v1, off
.LBB95_3077:
	s_mov_b64 s[0:1], 0
.LBB95_3078:
	s_andn2_b64 vcc, exec, s[0:1]
	s_cbranch_vccnz .LBB95_3083
; %bb.3079:
	s_mov_b64 s[0:1], -1
	s_cmp_gt_i32 s24, 0
	v_cndmask_b32_e64 v1, 0, 1, s[16:17]
	s_cbranch_scc0 .LBB95_3081
; %bb.3080:
	global_store_byte v[3:4], v1, off
	s_mov_b64 s[0:1], 0
.LBB95_3081:
	s_andn2_b64 vcc, exec, s[0:1]
	s_cbranch_vccnz .LBB95_3083
; %bb.3082:
	global_store_byte v[3:4], v1, off
.LBB95_3083:
	s_mov_b64 s[6:7], -1
.LBB95_3084:
	s_andn2_b64 vcc, exec, s[6:7]
	s_cbranch_vccnz .LBB95_3280
; %bb.3085:
	v_mov_b32_e32 v3, s9
	v_add_co_u32_e32 v1, vcc, s8, v2
	s_cmp_lt_i32 s24, 11
	v_addc_co_u32_e32 v2, vcc, 0, v3, vcc
	s_cbranch_scc1 .LBB95_3163
; %bb.3086:
	s_mov_b64 s[16:17], -1
	s_mov_b64 s[2:3], 0
	s_cmp_gt_i32 s24, 25
	s_mov_b64 s[6:7], 0
	s_mov_b64 s[0:1], 0
	s_cbranch_scc0 .LBB95_3119
; %bb.3087:
	s_cmp_gt_i32 s24, 28
	s_cbranch_scc0 .LBB95_3102
; %bb.3088:
	s_cmp_gt_i32 s24, 43
	;; [unrolled: 3-line block ×3, first 2 shown]
	s_cbranch_scc0 .LBB95_3092
; %bb.3090:
	s_mov_b64 s[0:1], -1
	s_mov_b64 s[16:17], 0
	s_cmp_eq_u32 s24, 46
	s_cbranch_scc0 .LBB95_3092
; %bb.3091:
	v_cndmask_b32_e64 v3, 0, 1.0, s[18:19]
	v_bfe_u32 v4, v3, 16, 1
	s_movk_i32 s0, 0x7fff
	v_add3_u32 v3, v3, v4, s0
	v_lshrrev_b32_e32 v3, 16, v3
	global_store_dword v[1:2], v3, off
	s_mov_b64 s[0:1], 0
	s_mov_b64 s[6:7], -1
.LBB95_3092:
	s_and_b64 vcc, exec, s[16:17]
	s_cbranch_vccz .LBB95_3097
; %bb.3093:
	s_cmp_eq_u32 s24, 44
	s_mov_b64 s[0:1], -1
	s_cbranch_scc0 .LBB95_3097
; %bb.3094:
	v_cndmask_b32_e64 v4, 0, 1.0, s[18:19]
	v_lshrrev_b32_e32 v3, 23, v4
	s_movk_i32 s0, 0xff
	v_cmp_ne_u32_e32 vcc, s0, v3
	v_mov_b32_e32 v5, 0xff
	s_and_saveexec_b64 s[6:7], vcc
; %bb.3095:
	s_mov_b32 s0, 0x3fffff
	v_and_b32_e32 v5, 0x400000, v4
	v_and_or_b32 v4, v4, s0, v3
	v_cmp_ne_u32_e32 vcc, 0, v5
	v_cmp_ne_u32_e64 s[0:1], 0, v4
	s_and_b64 s[0:1], vcc, s[0:1]
	v_cndmask_b32_e64 v4, 0, 1, s[0:1]
	v_add_u32_e32 v5, v3, v4
; %bb.3096:
	s_or_b64 exec, exec, s[6:7]
	s_mov_b64 s[0:1], 0
	s_mov_b64 s[6:7], -1
	global_store_byte v[1:2], v5, off
.LBB95_3097:
	s_mov_b64 s[16:17], 0
.LBB95_3098:
	s_and_b64 vcc, exec, s[16:17]
	s_cbranch_vccz .LBB95_3101
; %bb.3099:
	s_cmp_eq_u32 s24, 29
	s_mov_b64 s[0:1], -1
	s_cbranch_scc0 .LBB95_3101
; %bb.3100:
	s_mov_b32 s0, 0
	v_cndmask_b32_e64 v3, 0, 1, s[18:19]
	v_mov_b32_e32 v4, s0
	global_store_dwordx2 v[1:2], v[3:4], off
	s_mov_b64 s[0:1], 0
	s_mov_b64 s[6:7], -1
.LBB95_3101:
	s_mov_b64 s[16:17], 0
.LBB95_3102:
	s_and_b64 vcc, exec, s[16:17]
	s_cbranch_vccz .LBB95_3118
; %bb.3103:
	s_cmp_lt_i32 s24, 27
	s_mov_b64 s[6:7], -1
	s_cbranch_scc1 .LBB95_3109
; %bb.3104:
	s_cmp_gt_i32 s24, 27
	s_cbranch_scc0 .LBB95_3106
; %bb.3105:
	v_cndmask_b32_e64 v3, 0, 1, s[18:19]
	s_mov_b64 s[6:7], 0
	global_store_dword v[1:2], v3, off
.LBB95_3106:
	s_andn2_b64 vcc, exec, s[6:7]
	s_cbranch_vccnz .LBB95_3108
; %bb.3107:
	v_cndmask_b32_e64 v3, 0, 1, s[18:19]
	global_store_short v[1:2], v3, off
.LBB95_3108:
	s_mov_b64 s[6:7], 0
.LBB95_3109:
	s_andn2_b64 vcc, exec, s[6:7]
	s_cbranch_vccnz .LBB95_3117
; %bb.3110:
	v_cndmask_b32_e64 v4, 0, 1.0, s[18:19]
	s_mov_b32 s6, 0x43800000
	v_cmp_gt_u32_e32 vcc, s6, v4
	v_mov_b32_e32 v5, 0x80
	s_and_saveexec_b64 s[6:7], vcc
	s_cbranch_execz .LBB95_3116
; %bb.3111:
	s_mov_b32 s16, 0x3bffffff
	v_cmp_lt_u32_e32 vcc, s16, v4
	s_mov_b64 s[16:17], 0
                                        ; implicit-def: $vgpr3
	s_and_saveexec_b64 s[20:21], vcc
	s_xor_b64 s[20:21], exec, s[20:21]
	s_cbranch_execz .LBB95_3293
; %bb.3112:
	v_bfe_u32 v3, v4, 20, 1
	s_mov_b32 s22, 0x487ffff
	v_add3_u32 v3, v4, v3, s22
	s_mov_b64 s[16:17], exec
	v_lshrrev_b32_e32 v3, 20, v3
                                        ; implicit-def: $vgpr4
	s_andn2_saveexec_b64 s[20:21], s[20:21]
	s_cbranch_execnz .LBB95_3294
.LBB95_3113:
	s_or_b64 exec, exec, s[20:21]
	v_mov_b32_e32 v5, 0
	s_and_saveexec_b64 s[20:21], s[16:17]
.LBB95_3114:
	v_mov_b32_e32 v5, v3
.LBB95_3115:
	s_or_b64 exec, exec, s[20:21]
.LBB95_3116:
	s_or_b64 exec, exec, s[6:7]
	global_store_byte v[1:2], v5, off
.LBB95_3117:
	s_mov_b64 s[6:7], -1
.LBB95_3118:
	s_mov_b64 s[16:17], 0
.LBB95_3119:
	s_and_b64 vcc, exec, s[16:17]
	s_cbranch_vccz .LBB95_3159
; %bb.3120:
	s_cmp_gt_i32 s24, 22
	s_mov_b64 s[2:3], -1
	s_cbranch_scc0 .LBB95_3152
; %bb.3121:
	s_cmp_lt_i32 s24, 24
	s_cbranch_scc1 .LBB95_3141
; %bb.3122:
	s_cmp_gt_i32 s24, 24
	s_cbranch_scc0 .LBB95_3130
; %bb.3123:
	v_cndmask_b32_e64 v4, 0, 1.0, s[18:19]
	s_mov_b32 s2, 0x47800000
	v_cmp_gt_u32_e32 vcc, s2, v4
	v_mov_b32_e32 v5, 0x80
	s_and_saveexec_b64 s[2:3], vcc
	s_cbranch_execz .LBB95_3129
; %bb.3124:
	s_mov_b32 s6, 0x37ffffff
	v_cmp_lt_u32_e32 vcc, s6, v4
	s_mov_b64 s[6:7], 0
                                        ; implicit-def: $vgpr3
	s_and_saveexec_b64 s[16:17], vcc
	s_xor_b64 s[16:17], exec, s[16:17]
	s_cbranch_execz .LBB95_3296
; %bb.3125:
	v_bfe_u32 v3, v4, 21, 1
	s_mov_b32 s20, 0x88fffff
	v_add3_u32 v3, v4, v3, s20
	s_mov_b64 s[6:7], exec
	v_lshrrev_b32_e32 v3, 21, v3
                                        ; implicit-def: $vgpr4
	s_andn2_saveexec_b64 s[16:17], s[16:17]
	s_cbranch_execnz .LBB95_3297
.LBB95_3126:
	s_or_b64 exec, exec, s[16:17]
	v_mov_b32_e32 v5, 0
	s_and_saveexec_b64 s[16:17], s[6:7]
.LBB95_3127:
	v_mov_b32_e32 v5, v3
.LBB95_3128:
	s_or_b64 exec, exec, s[16:17]
.LBB95_3129:
	s_or_b64 exec, exec, s[2:3]
	s_mov_b64 s[2:3], 0
	global_store_byte v[1:2], v5, off
.LBB95_3130:
	s_and_b64 vcc, exec, s[2:3]
	s_cbranch_vccz .LBB95_3140
; %bb.3131:
	v_cndmask_b32_e64 v3, 0, 1.0, s[18:19]
	s_mov_b32 s2, 0x43f00000
	v_cmp_gt_u32_e32 vcc, s2, v3
                                        ; implicit-def: $vgpr4
	s_and_saveexec_b64 s[2:3], vcc
	s_xor_b64 s[2:3], exec, s[2:3]
	s_cbranch_execz .LBB95_3137
; %bb.3132:
	s_mov_b32 s6, 0x3c7fffff
	v_cmp_lt_u32_e32 vcc, s6, v3
                                        ; implicit-def: $vgpr4
	s_and_saveexec_b64 s[6:7], vcc
	s_xor_b64 s[6:7], exec, s[6:7]
; %bb.3133:
	v_bfe_u32 v4, v3, 20, 1
	s_mov_b32 s16, 0x407ffff
	v_add3_u32 v3, v3, v4, s16
	v_lshrrev_b32_e32 v4, 20, v3
	v_and_b32_e32 v3, 0xff00000, v3
	s_mov_b32 s16, 0x7f00000
	v_mov_b32_e32 v5, 0x7e
	v_cmp_ne_u32_e32 vcc, s16, v3
	v_cndmask_b32_e32 v4, v5, v4, vcc
                                        ; implicit-def: $vgpr3
; %bb.3134:
	s_andn2_saveexec_b64 s[6:7], s[6:7]
; %bb.3135:
	v_add_f32_e32 v4, 0x46800000, v3
; %bb.3136:
	s_or_b64 exec, exec, s[6:7]
                                        ; implicit-def: $vgpr3
.LBB95_3137:
	s_andn2_saveexec_b64 s[2:3], s[2:3]
; %bb.3138:
	s_mov_b32 s6, 0x7f800000
	v_mov_b32_e32 v4, 0x7e
	v_mov_b32_e32 v5, 0x7f
	v_cmp_lt_u32_e32 vcc, s6, v3
	v_cndmask_b32_e32 v4, v4, v5, vcc
; %bb.3139:
	s_or_b64 exec, exec, s[2:3]
	global_store_byte v[1:2], v4, off
.LBB95_3140:
	s_mov_b64 s[2:3], 0
.LBB95_3141:
	s_andn2_b64 vcc, exec, s[2:3]
	s_cbranch_vccnz .LBB95_3151
; %bb.3142:
	v_cndmask_b32_e64 v3, 0, 1.0, s[18:19]
	s_mov_b32 s2, 0x47800000
	v_cmp_gt_u32_e32 vcc, s2, v3
                                        ; implicit-def: $vgpr4
	s_and_saveexec_b64 s[2:3], vcc
	s_xor_b64 s[2:3], exec, s[2:3]
	s_cbranch_execz .LBB95_3148
; %bb.3143:
	s_mov_b32 s6, 0x387fffff
	v_cmp_lt_u32_e32 vcc, s6, v3
                                        ; implicit-def: $vgpr4
	s_and_saveexec_b64 s[6:7], vcc
	s_xor_b64 s[6:7], exec, s[6:7]
; %bb.3144:
	v_bfe_u32 v4, v3, 21, 1
	s_mov_b32 s16, 0x80fffff
	v_add3_u32 v3, v3, v4, s16
	v_lshrrev_b32_e32 v4, 21, v3
                                        ; implicit-def: $vgpr3
; %bb.3145:
	s_andn2_saveexec_b64 s[6:7], s[6:7]
; %bb.3146:
	v_add_f32_e32 v4, 0x43000000, v3
; %bb.3147:
	s_or_b64 exec, exec, s[6:7]
                                        ; implicit-def: $vgpr3
.LBB95_3148:
	s_andn2_saveexec_b64 s[2:3], s[2:3]
; %bb.3149:
	s_mov_b32 s6, 0x7f800000
	v_mov_b32_e32 v4, 0x7c
	v_mov_b32_e32 v5, 0x7f
	v_cmp_lt_u32_e32 vcc, s6, v3
	v_cndmask_b32_e32 v4, v4, v5, vcc
; %bb.3150:
	s_or_b64 exec, exec, s[2:3]
	global_store_byte v[1:2], v4, off
.LBB95_3151:
	s_mov_b64 s[2:3], 0
	s_mov_b64 s[6:7], -1
.LBB95_3152:
	s_andn2_b64 vcc, exec, s[2:3]
	s_mov_b64 s[2:3], 0
	s_cbranch_vccnz .LBB95_3159
; %bb.3153:
	s_cmp_gt_i32 s24, 14
	s_mov_b64 s[16:17], -1
	s_cbranch_scc0 .LBB95_3157
; %bb.3154:
	s_cmp_eq_u32 s24, 15
	s_mov_b64 s[0:1], -1
	s_cbranch_scc0 .LBB95_3156
; %bb.3155:
	v_cndmask_b32_e64 v3, 0, 1.0, s[18:19]
	v_bfe_u32 v4, v3, 16, 1
	s_movk_i32 s0, 0x7fff
	v_add3_u32 v3, v3, v4, s0
	global_store_short_d16_hi v[1:2], v3, off
	s_mov_b64 s[0:1], 0
	s_mov_b64 s[6:7], -1
.LBB95_3156:
	s_mov_b64 s[16:17], 0
.LBB95_3157:
	s_and_b64 vcc, exec, s[16:17]
	s_cbranch_vccz .LBB95_3159
; %bb.3158:
	s_cmp_lg_u32 s24, 11
	s_mov_b64 s[2:3], -1
	s_cselect_b64 s[0:1], -1, 0
.LBB95_3159:
	s_and_b64 vcc, exec, s[0:1]
	s_cbranch_vccnz .LBB95_3295
; %bb.3160:
	s_andn2_b64 vcc, exec, s[2:3]
	s_cbranch_vccnz .LBB95_3162
.LBB95_3161:
	v_cndmask_b32_e64 v3, 0, 1, s[18:19]
	s_mov_b64 s[6:7], -1
	global_store_byte v[1:2], v3, off
.LBB95_3162:
	s_mov_b64 s[0:1], 0
	s_branch .LBB95_3164
.LBB95_3163:
	s_mov_b64 s[0:1], -1
	s_mov_b64 s[6:7], 0
.LBB95_3164:
	s_and_b64 vcc, exec, s[0:1]
	s_cbranch_vccz .LBB95_3203
; %bb.3165:
	s_cmp_lt_i32 s24, 5
	s_mov_b64 s[0:1], -1
	s_cbranch_scc1 .LBB95_3186
; %bb.3166:
	s_cmp_lt_i32 s24, 8
	s_cbranch_scc1 .LBB95_3176
; %bb.3167:
	s_cmp_lt_i32 s24, 9
	s_cbranch_scc1 .LBB95_3173
; %bb.3168:
	s_cmp_gt_i32 s24, 9
	s_cbranch_scc0 .LBB95_3170
; %bb.3169:
	v_cndmask_b32_e64 v3, 0, 1, s[18:19]
	v_cvt_f64_u32_e32 v[3:4], v3
	v_mov_b32_e32 v5, 0
	v_mov_b32_e32 v6, v5
	s_mov_b64 s[0:1], 0
	global_store_dwordx4 v[1:2], v[3:6], off
.LBB95_3170:
	s_andn2_b64 vcc, exec, s[0:1]
	s_cbranch_vccnz .LBB95_3172
; %bb.3171:
	v_cndmask_b32_e64 v3, 0, 1.0, s[18:19]
	v_mov_b32_e32 v4, 0
	global_store_dwordx2 v[1:2], v[3:4], off
.LBB95_3172:
	s_mov_b64 s[0:1], 0
.LBB95_3173:
	s_andn2_b64 vcc, exec, s[0:1]
	s_cbranch_vccnz .LBB95_3175
; %bb.3174:
	v_cndmask_b32_e64 v3, 0, 1.0, s[18:19]
	v_cvt_f16_f32_e32 v3, v3
	global_store_dword v[1:2], v3, off
.LBB95_3175:
	s_mov_b64 s[0:1], 0
.LBB95_3176:
	s_andn2_b64 vcc, exec, s[0:1]
	s_cbranch_vccnz .LBB95_3185
; %bb.3177:
	s_cmp_lt_i32 s24, 6
	s_mov_b64 s[0:1], -1
	s_cbranch_scc1 .LBB95_3183
; %bb.3178:
	s_cmp_gt_i32 s24, 6
	s_cbranch_scc0 .LBB95_3180
; %bb.3179:
	v_cndmask_b32_e64 v3, 0, 1, s[18:19]
	v_cvt_f64_u32_e32 v[3:4], v3
	s_mov_b64 s[0:1], 0
	global_store_dwordx2 v[1:2], v[3:4], off
.LBB95_3180:
	s_andn2_b64 vcc, exec, s[0:1]
	s_cbranch_vccnz .LBB95_3182
; %bb.3181:
	v_cndmask_b32_e64 v3, 0, 1.0, s[18:19]
	global_store_dword v[1:2], v3, off
.LBB95_3182:
	s_mov_b64 s[0:1], 0
.LBB95_3183:
	s_andn2_b64 vcc, exec, s[0:1]
	s_cbranch_vccnz .LBB95_3185
; %bb.3184:
	v_cndmask_b32_e64 v3, 0, 1.0, s[18:19]
	v_cvt_f16_f32_e32 v3, v3
	global_store_short v[1:2], v3, off
.LBB95_3185:
	s_mov_b64 s[0:1], 0
.LBB95_3186:
	s_andn2_b64 vcc, exec, s[0:1]
	s_cbranch_vccnz .LBB95_3202
; %bb.3187:
	s_cmp_lt_i32 s24, 2
	s_mov_b64 s[0:1], -1
	s_cbranch_scc1 .LBB95_3197
; %bb.3188:
	s_cmp_lt_i32 s24, 3
	s_cbranch_scc1 .LBB95_3194
; %bb.3189:
	s_cmp_gt_i32 s24, 3
	s_cbranch_scc0 .LBB95_3191
; %bb.3190:
	s_mov_b32 s0, 0
	v_cndmask_b32_e64 v3, 0, 1, s[18:19]
	v_mov_b32_e32 v4, s0
	global_store_dwordx2 v[1:2], v[3:4], off
	s_mov_b64 s[0:1], 0
.LBB95_3191:
	s_andn2_b64 vcc, exec, s[0:1]
	s_cbranch_vccnz .LBB95_3193
; %bb.3192:
	v_cndmask_b32_e64 v3, 0, 1, s[18:19]
	global_store_dword v[1:2], v3, off
.LBB95_3193:
	s_mov_b64 s[0:1], 0
.LBB95_3194:
	s_andn2_b64 vcc, exec, s[0:1]
	s_cbranch_vccnz .LBB95_3196
; %bb.3195:
	v_cndmask_b32_e64 v3, 0, 1, s[18:19]
	global_store_short v[1:2], v3, off
.LBB95_3196:
	s_mov_b64 s[0:1], 0
.LBB95_3197:
	s_andn2_b64 vcc, exec, s[0:1]
	s_cbranch_vccnz .LBB95_3202
; %bb.3198:
	s_cmp_gt_i32 s24, 0
	s_mov_b64 s[0:1], -1
	s_cbranch_scc0 .LBB95_3200
; %bb.3199:
	v_cndmask_b32_e64 v3, 0, 1, s[18:19]
	global_store_byte v[1:2], v3, off
	s_mov_b64 s[0:1], 0
.LBB95_3200:
	s_andn2_b64 vcc, exec, s[0:1]
	s_cbranch_vccnz .LBB95_3202
; %bb.3201:
	v_cndmask_b32_e64 v3, 0, 1, s[18:19]
	global_store_byte v[1:2], v3, off
.LBB95_3202:
	s_mov_b64 s[6:7], -1
.LBB95_3203:
	s_andn2_b64 vcc, exec, s[6:7]
	s_cbranch_vccnz .LBB95_3280
; %bb.3204:
	v_mov_b32_e32 v1, s9
	v_add_co_u32_e32 v0, vcc, s8, v0
	s_cmp_lt_i32 s24, 11
	v_addc_co_u32_e32 v1, vcc, 0, v1, vcc
	s_cbranch_scc1 .LBB95_3281
; %bb.3205:
	s_mov_b64 s[6:7], -1
	s_mov_b64 s[2:3], 0
	s_cmp_gt_i32 s24, 25
	s_mov_b64 s[0:1], 0
	s_cbranch_scc0 .LBB95_3238
; %bb.3206:
	s_cmp_gt_i32 s24, 28
	s_cbranch_scc0 .LBB95_3222
; %bb.3207:
	s_cmp_gt_i32 s24, 43
	;; [unrolled: 3-line block ×3, first 2 shown]
	s_cbranch_scc0 .LBB95_3212
; %bb.3209:
	s_cmp_eq_u32 s24, 46
	s_mov_b64 s[0:1], -1
	s_cbranch_scc0 .LBB95_3211
; %bb.3210:
	v_cndmask_b32_e64 v2, 0, 1.0, s[10:11]
	v_bfe_u32 v3, v2, 16, 1
	s_movk_i32 s0, 0x7fff
	v_add3_u32 v2, v2, v3, s0
	v_lshrrev_b32_e32 v2, 16, v2
	global_store_dword v[0:1], v2, off
	s_mov_b64 s[0:1], 0
.LBB95_3211:
	s_mov_b64 s[6:7], 0
.LBB95_3212:
	s_and_b64 vcc, exec, s[6:7]
	s_cbranch_vccz .LBB95_3217
; %bb.3213:
	s_cmp_eq_u32 s24, 44
	s_mov_b64 s[0:1], -1
	s_cbranch_scc0 .LBB95_3217
; %bb.3214:
	v_cndmask_b32_e64 v3, 0, 1.0, s[10:11]
	v_lshrrev_b32_e32 v2, 23, v3
	s_movk_i32 s0, 0xff
	v_cmp_ne_u32_e32 vcc, s0, v2
	v_mov_b32_e32 v4, 0xff
	s_and_saveexec_b64 s[6:7], vcc
; %bb.3215:
	s_mov_b32 s0, 0x3fffff
	v_and_b32_e32 v4, 0x400000, v3
	v_and_or_b32 v3, v3, s0, v2
	v_cmp_ne_u32_e32 vcc, 0, v4
	v_cmp_ne_u32_e64 s[0:1], 0, v3
	s_and_b64 s[0:1], vcc, s[0:1]
	v_cndmask_b32_e64 v3, 0, 1, s[0:1]
	v_add_u32_e32 v4, v2, v3
; %bb.3216:
	s_or_b64 exec, exec, s[6:7]
	s_mov_b64 s[0:1], 0
	global_store_byte v[0:1], v4, off
.LBB95_3217:
	s_mov_b64 s[6:7], 0
.LBB95_3218:
	s_and_b64 vcc, exec, s[6:7]
	s_cbranch_vccz .LBB95_3221
; %bb.3219:
	s_cmp_eq_u32 s24, 29
	s_mov_b64 s[0:1], -1
	s_cbranch_scc0 .LBB95_3221
; %bb.3220:
	s_mov_b32 s0, 0
	v_cndmask_b32_e64 v2, 0, 1, s[10:11]
	v_mov_b32_e32 v3, s0
	global_store_dwordx2 v[0:1], v[2:3], off
	s_mov_b64 s[0:1], 0
.LBB95_3221:
	s_mov_b64 s[6:7], 0
.LBB95_3222:
	s_and_b64 vcc, exec, s[6:7]
	s_cbranch_vccz .LBB95_3237
; %bb.3223:
	s_cmp_lt_i32 s24, 27
	s_mov_b64 s[6:7], -1
	s_cbranch_scc1 .LBB95_3229
; %bb.3224:
	s_cmp_gt_i32 s24, 27
	v_cndmask_b32_e64 v2, 0, 1, s[10:11]
	s_cbranch_scc0 .LBB95_3226
; %bb.3225:
	global_store_dword v[0:1], v2, off
	s_mov_b64 s[6:7], 0
.LBB95_3226:
	s_andn2_b64 vcc, exec, s[6:7]
	s_cbranch_vccnz .LBB95_3228
; %bb.3227:
	global_store_short v[0:1], v2, off
.LBB95_3228:
	s_mov_b64 s[6:7], 0
.LBB95_3229:
	s_andn2_b64 vcc, exec, s[6:7]
	s_cbranch_vccnz .LBB95_3237
; %bb.3230:
	v_cndmask_b32_e64 v3, 0, 1.0, s[10:11]
	s_mov_b32 s6, 0x43800000
	v_cmp_gt_u32_e32 vcc, s6, v3
	v_mov_b32_e32 v4, 0x80
	s_and_saveexec_b64 s[6:7], vcc
	s_cbranch_execz .LBB95_3236
; %bb.3231:
	s_mov_b32 s8, 0x3bffffff
	v_cmp_lt_u32_e32 vcc, s8, v3
	s_mov_b64 s[8:9], 0
                                        ; implicit-def: $vgpr2
	s_and_saveexec_b64 s[16:17], vcc
	s_xor_b64 s[16:17], exec, s[16:17]
	s_cbranch_execz .LBB95_3298
; %bb.3232:
	v_bfe_u32 v2, v3, 20, 1
	s_mov_b32 s18, 0x487ffff
	v_add3_u32 v2, v3, v2, s18
	s_mov_b64 s[8:9], exec
	v_lshrrev_b32_e32 v2, 20, v2
                                        ; implicit-def: $vgpr3
	s_andn2_saveexec_b64 s[16:17], s[16:17]
	s_cbranch_execnz .LBB95_3299
.LBB95_3233:
	s_or_b64 exec, exec, s[16:17]
	v_mov_b32_e32 v4, 0
	s_and_saveexec_b64 s[16:17], s[8:9]
.LBB95_3234:
	v_mov_b32_e32 v4, v2
.LBB95_3235:
	s_or_b64 exec, exec, s[16:17]
.LBB95_3236:
	s_or_b64 exec, exec, s[6:7]
	global_store_byte v[0:1], v4, off
.LBB95_3237:
	s_mov_b64 s[6:7], 0
.LBB95_3238:
	s_and_b64 vcc, exec, s[6:7]
	s_cbranch_vccz .LBB95_3278
; %bb.3239:
	s_cmp_gt_i32 s24, 22
	s_mov_b64 s[2:3], -1
	s_cbranch_scc0 .LBB95_3271
; %bb.3240:
	s_cmp_lt_i32 s24, 24
	s_cbranch_scc1 .LBB95_3260
; %bb.3241:
	s_cmp_gt_i32 s24, 24
	s_cbranch_scc0 .LBB95_3249
; %bb.3242:
	v_cndmask_b32_e64 v3, 0, 1.0, s[10:11]
	s_mov_b32 s2, 0x47800000
	v_cmp_gt_u32_e32 vcc, s2, v3
	v_mov_b32_e32 v4, 0x80
	s_and_saveexec_b64 s[2:3], vcc
	s_cbranch_execz .LBB95_3248
; %bb.3243:
	s_mov_b32 s6, 0x37ffffff
	v_cmp_lt_u32_e32 vcc, s6, v3
	s_mov_b64 s[6:7], 0
                                        ; implicit-def: $vgpr2
	s_and_saveexec_b64 s[8:9], vcc
	s_xor_b64 s[8:9], exec, s[8:9]
	s_cbranch_execz .LBB95_3301
; %bb.3244:
	v_bfe_u32 v2, v3, 21, 1
	s_mov_b32 s16, 0x88fffff
	v_add3_u32 v2, v3, v2, s16
	s_mov_b64 s[6:7], exec
	v_lshrrev_b32_e32 v2, 21, v2
                                        ; implicit-def: $vgpr3
	s_andn2_saveexec_b64 s[8:9], s[8:9]
	s_cbranch_execnz .LBB95_3302
.LBB95_3245:
	s_or_b64 exec, exec, s[8:9]
	v_mov_b32_e32 v4, 0
	s_and_saveexec_b64 s[8:9], s[6:7]
.LBB95_3246:
	v_mov_b32_e32 v4, v2
.LBB95_3247:
	s_or_b64 exec, exec, s[8:9]
.LBB95_3248:
	s_or_b64 exec, exec, s[2:3]
	s_mov_b64 s[2:3], 0
	global_store_byte v[0:1], v4, off
.LBB95_3249:
	s_and_b64 vcc, exec, s[2:3]
	s_cbranch_vccz .LBB95_3259
; %bb.3250:
	v_cndmask_b32_e64 v2, 0, 1.0, s[10:11]
	s_mov_b32 s2, 0x43f00000
	v_cmp_gt_u32_e32 vcc, s2, v2
                                        ; implicit-def: $vgpr3
	s_and_saveexec_b64 s[2:3], vcc
	s_xor_b64 s[2:3], exec, s[2:3]
	s_cbranch_execz .LBB95_3256
; %bb.3251:
	s_mov_b32 s6, 0x3c7fffff
	v_cmp_lt_u32_e32 vcc, s6, v2
                                        ; implicit-def: $vgpr3
	s_and_saveexec_b64 s[6:7], vcc
	s_xor_b64 s[6:7], exec, s[6:7]
; %bb.3252:
	v_bfe_u32 v3, v2, 20, 1
	s_mov_b32 s8, 0x407ffff
	v_add3_u32 v2, v2, v3, s8
	v_lshrrev_b32_e32 v3, 20, v2
	v_and_b32_e32 v2, 0xff00000, v2
	s_mov_b32 s8, 0x7f00000
	v_mov_b32_e32 v4, 0x7e
	v_cmp_ne_u32_e32 vcc, s8, v2
	v_cndmask_b32_e32 v3, v4, v3, vcc
                                        ; implicit-def: $vgpr2
; %bb.3253:
	s_andn2_saveexec_b64 s[6:7], s[6:7]
; %bb.3254:
	v_add_f32_e32 v3, 0x46800000, v2
; %bb.3255:
	s_or_b64 exec, exec, s[6:7]
                                        ; implicit-def: $vgpr2
.LBB95_3256:
	s_andn2_saveexec_b64 s[2:3], s[2:3]
; %bb.3257:
	s_mov_b32 s6, 0x7f800000
	v_mov_b32_e32 v3, 0x7e
	v_mov_b32_e32 v4, 0x7f
	v_cmp_lt_u32_e32 vcc, s6, v2
	v_cndmask_b32_e32 v3, v3, v4, vcc
; %bb.3258:
	s_or_b64 exec, exec, s[2:3]
	global_store_byte v[0:1], v3, off
.LBB95_3259:
	s_mov_b64 s[2:3], 0
.LBB95_3260:
	s_andn2_b64 vcc, exec, s[2:3]
	s_cbranch_vccnz .LBB95_3270
; %bb.3261:
	v_cndmask_b32_e64 v2, 0, 1.0, s[10:11]
	s_mov_b32 s2, 0x47800000
	v_cmp_gt_u32_e32 vcc, s2, v2
                                        ; implicit-def: $vgpr3
	s_and_saveexec_b64 s[2:3], vcc
	s_xor_b64 s[2:3], exec, s[2:3]
	s_cbranch_execz .LBB95_3267
; %bb.3262:
	s_mov_b32 s6, 0x387fffff
	v_cmp_lt_u32_e32 vcc, s6, v2
                                        ; implicit-def: $vgpr3
	s_and_saveexec_b64 s[6:7], vcc
	s_xor_b64 s[6:7], exec, s[6:7]
; %bb.3263:
	v_bfe_u32 v3, v2, 21, 1
	s_mov_b32 s8, 0x80fffff
	v_add3_u32 v2, v2, v3, s8
	v_lshrrev_b32_e32 v3, 21, v2
                                        ; implicit-def: $vgpr2
; %bb.3264:
	s_andn2_saveexec_b64 s[6:7], s[6:7]
; %bb.3265:
	v_add_f32_e32 v3, 0x43000000, v2
; %bb.3266:
	s_or_b64 exec, exec, s[6:7]
                                        ; implicit-def: $vgpr2
.LBB95_3267:
	s_andn2_saveexec_b64 s[2:3], s[2:3]
; %bb.3268:
	s_mov_b32 s6, 0x7f800000
	v_mov_b32_e32 v3, 0x7c
	v_mov_b32_e32 v4, 0x7f
	v_cmp_lt_u32_e32 vcc, s6, v2
	v_cndmask_b32_e32 v3, v3, v4, vcc
; %bb.3269:
	s_or_b64 exec, exec, s[2:3]
	global_store_byte v[0:1], v3, off
.LBB95_3270:
	s_mov_b64 s[2:3], 0
.LBB95_3271:
	s_andn2_b64 vcc, exec, s[2:3]
	s_mov_b64 s[2:3], 0
	s_cbranch_vccnz .LBB95_3278
; %bb.3272:
	s_cmp_gt_i32 s24, 14
	s_mov_b64 s[6:7], -1
	s_cbranch_scc0 .LBB95_3276
; %bb.3273:
	s_cmp_eq_u32 s24, 15
	s_mov_b64 s[0:1], -1
	s_cbranch_scc0 .LBB95_3275
; %bb.3274:
	v_cndmask_b32_e64 v2, 0, 1.0, s[10:11]
	v_bfe_u32 v3, v2, 16, 1
	s_movk_i32 s0, 0x7fff
	v_add3_u32 v2, v2, v3, s0
	global_store_short_d16_hi v[0:1], v2, off
	s_mov_b64 s[0:1], 0
.LBB95_3275:
	s_mov_b64 s[6:7], 0
.LBB95_3276:
	s_and_b64 vcc, exec, s[6:7]
	s_cbranch_vccz .LBB95_3278
; %bb.3277:
	s_cmp_lg_u32 s24, 11
	s_mov_b64 s[2:3], -1
	s_cselect_b64 s[0:1], -1, 0
.LBB95_3278:
	s_and_b64 vcc, exec, s[0:1]
	s_cbranch_vccnz .LBB95_3300
.LBB95_3279:
	s_mov_b64 s[0:1], 0
	s_branch .LBB95_2790
.LBB95_3280:
	s_mov_b64 s[0:1], 0
	s_branch .LBB95_2789
.LBB95_3281:
	s_mov_b64 s[2:3], 0
	s_mov_b64 s[0:1], -1
	s_branch .LBB95_2790
.LBB95_3282:
	s_trap 2
	s_or_b64 s[4:5], s[4:5], exec
	s_cbranch_execz .LBB95_2732
	s_branch .LBB95_2733
.LBB95_3283:
	s_andn2_saveexec_b64 s[24:25], s[24:25]
	s_cbranch_execz .LBB95_2873
.LBB95_3284:
	v_add_f32_e32 v1, 0x46000000, v3
	v_and_b32_e32 v1, 0xff, v1
	v_cmp_ne_u32_e32 vcc, 0, v1
	s_andn2_b64 s[22:23], s[22:23], exec
	s_and_b64 s[28:29], vcc, exec
	s_or_b64 s[22:23], s[22:23], s[28:29]
	s_or_b64 exec, exec, s[24:25]
	v_mov_b32_e32 v7, 0
	s_and_saveexec_b64 s[24:25], s[22:23]
	s_cbranch_execnz .LBB95_2874
	s_branch .LBB95_2875
.LBB95_3285:
	s_trap 2
	s_or_b64 s[4:5], s[4:5], exec
	s_cbranch_execz .LBB95_2921
	s_branch .LBB95_2922
.LBB95_3286:
	s_andn2_saveexec_b64 s[22:23], s[22:23]
	s_cbranch_execz .LBB95_2886
.LBB95_3287:
	v_add_f32_e32 v1, 0x42800000, v3
	v_and_b32_e32 v1, 0xff, v1
	v_cmp_ne_u32_e32 vcc, 0, v1
	s_andn2_b64 s[20:21], s[20:21], exec
	s_and_b64 s[24:25], vcc, exec
	s_or_b64 s[20:21], s[20:21], s[24:25]
	s_or_b64 exec, exec, s[22:23]
	v_mov_b32_e32 v7, 0
	s_and_saveexec_b64 s[22:23], s[20:21]
	s_cbranch_execnz .LBB95_2887
	s_branch .LBB95_2888
.LBB95_3288:
	s_andn2_saveexec_b64 s[22:23], s[22:23]
	s_cbranch_execz .LBB95_2994
.LBB95_3289:
	v_add_f32_e32 v1, 0x46000000, v5
	v_and_b32_e32 v1, 0xff, v1
	v_cmp_ne_u32_e32 vcc, 0, v1
	s_andn2_b64 s[20:21], s[20:21], exec
	s_and_b64 s[28:29], vcc, exec
	s_or_b64 s[20:21], s[20:21], s[28:29]
	s_or_b64 exec, exec, s[22:23]
	v_mov_b32_e32 v6, 0
	s_and_saveexec_b64 s[22:23], s[20:21]
	s_cbranch_execnz .LBB95_2995
	s_branch .LBB95_2996
.LBB95_3290:
	s_trap 2
	s_or_b64 s[4:5], s[4:5], exec
	s_cbranch_execz .LBB95_3042
	s_branch .LBB95_3043
.LBB95_3291:
	s_andn2_saveexec_b64 s[20:21], s[20:21]
	s_cbranch_execz .LBB95_3007
.LBB95_3292:
	v_add_f32_e32 v1, 0x42800000, v5
	v_and_b32_e32 v1, 0xff, v1
	v_cmp_ne_u32_e32 vcc, 0, v1
	s_andn2_b64 s[6:7], s[6:7], exec
	s_and_b64 s[22:23], vcc, exec
	s_or_b64 s[6:7], s[6:7], s[22:23]
	s_or_b64 exec, exec, s[20:21]
	v_mov_b32_e32 v6, 0
	s_and_saveexec_b64 s[20:21], s[6:7]
	s_cbranch_execnz .LBB95_3008
	s_branch .LBB95_3009
.LBB95_3293:
	s_andn2_saveexec_b64 s[20:21], s[20:21]
	s_cbranch_execz .LBB95_3113
.LBB95_3294:
	v_add_f32_e32 v3, 0x46000000, v4
	v_and_b32_e32 v3, 0xff, v3
	v_cmp_ne_u32_e32 vcc, 0, v3
	s_andn2_b64 s[16:17], s[16:17], exec
	s_and_b64 s[22:23], vcc, exec
	s_or_b64 s[16:17], s[16:17], s[22:23]
	s_or_b64 exec, exec, s[20:21]
	v_mov_b32_e32 v5, 0
	s_and_saveexec_b64 s[20:21], s[16:17]
	s_cbranch_execnz .LBB95_3114
	s_branch .LBB95_3115
.LBB95_3295:
	s_trap 2
	s_or_b64 s[4:5], s[4:5], exec
	s_cbranch_execz .LBB95_3161
	s_branch .LBB95_3162
.LBB95_3296:
	s_andn2_saveexec_b64 s[16:17], s[16:17]
	s_cbranch_execz .LBB95_3126
.LBB95_3297:
	v_add_f32_e32 v3, 0x42800000, v4
	v_and_b32_e32 v3, 0xff, v3
	v_cmp_ne_u32_e32 vcc, 0, v3
	s_andn2_b64 s[6:7], s[6:7], exec
	s_and_b64 s[20:21], vcc, exec
	s_or_b64 s[6:7], s[6:7], s[20:21]
	s_or_b64 exec, exec, s[16:17]
	v_mov_b32_e32 v5, 0
	s_and_saveexec_b64 s[16:17], s[6:7]
	s_cbranch_execnz .LBB95_3127
	s_branch .LBB95_3128
.LBB95_3298:
	s_andn2_saveexec_b64 s[16:17], s[16:17]
	s_cbranch_execz .LBB95_3233
.LBB95_3299:
	v_add_f32_e32 v2, 0x46000000, v3
	v_and_b32_e32 v2, 0xff, v2
	v_cmp_ne_u32_e32 vcc, 0, v2
	s_andn2_b64 s[8:9], s[8:9], exec
	s_and_b64 s[18:19], vcc, exec
	s_or_b64 s[8:9], s[8:9], s[18:19]
	s_or_b64 exec, exec, s[16:17]
	v_mov_b32_e32 v4, 0
	s_and_saveexec_b64 s[16:17], s[8:9]
	s_cbranch_execnz .LBB95_3234
	s_branch .LBB95_3235
.LBB95_3300:
	s_mov_b64 s[2:3], 0
	s_or_b64 s[4:5], s[4:5], exec
	s_trap 2
	s_branch .LBB95_3279
.LBB95_3301:
	s_andn2_saveexec_b64 s[8:9], s[8:9]
	s_cbranch_execz .LBB95_3245
.LBB95_3302:
	v_add_f32_e32 v2, 0x42800000, v3
	v_and_b32_e32 v2, 0xff, v2
	v_cmp_ne_u32_e32 vcc, 0, v2
	s_andn2_b64 s[6:7], s[6:7], exec
	s_and_b64 s[16:17], vcc, exec
	s_or_b64 s[6:7], s[6:7], s[16:17]
	s_or_b64 exec, exec, s[8:9]
	v_mov_b32_e32 v4, 0
	s_and_saveexec_b64 s[8:9], s[6:7]
	s_cbranch_execnz .LBB95_3246
	s_branch .LBB95_3247
	.section	.rodata,"a",@progbits
	.p2align	6, 0x0
	.amdhsa_kernel _ZN2at6native32elementwise_kernel_manual_unrollILi128ELi4EZNS0_15gpu_kernel_implINS0_12_GLOBAL__N_114CompareFunctorIdEEEEvRNS_18TensorIteratorBaseERKT_EUlibE0_EEviT1_
		.amdhsa_group_segment_fixed_size 0
		.amdhsa_private_segment_fixed_size 0
		.amdhsa_kernarg_size 432
		.amdhsa_user_sgpr_count 6
		.amdhsa_user_sgpr_private_segment_buffer 1
		.amdhsa_user_sgpr_dispatch_ptr 0
		.amdhsa_user_sgpr_queue_ptr 0
		.amdhsa_user_sgpr_kernarg_segment_ptr 1
		.amdhsa_user_sgpr_dispatch_id 0
		.amdhsa_user_sgpr_flat_scratch_init 0
		.amdhsa_user_sgpr_private_segment_size 0
		.amdhsa_uses_dynamic_stack 0
		.amdhsa_system_sgpr_private_segment_wavefront_offset 0
		.amdhsa_system_sgpr_workgroup_id_x 1
		.amdhsa_system_sgpr_workgroup_id_y 0
		.amdhsa_system_sgpr_workgroup_id_z 0
		.amdhsa_system_sgpr_workgroup_info 0
		.amdhsa_system_vgpr_workitem_id 0
		.amdhsa_next_free_vgpr 27
		.amdhsa_next_free_sgpr 80
		.amdhsa_reserve_vcc 1
		.amdhsa_reserve_flat_scratch 0
		.amdhsa_float_round_mode_32 0
		.amdhsa_float_round_mode_16_64 0
		.amdhsa_float_denorm_mode_32 3
		.amdhsa_float_denorm_mode_16_64 3
		.amdhsa_dx10_clamp 1
		.amdhsa_ieee_mode 1
		.amdhsa_fp16_overflow 0
		.amdhsa_exception_fp_ieee_invalid_op 0
		.amdhsa_exception_fp_denorm_src 0
		.amdhsa_exception_fp_ieee_div_zero 0
		.amdhsa_exception_fp_ieee_overflow 0
		.amdhsa_exception_fp_ieee_underflow 0
		.amdhsa_exception_fp_ieee_inexact 0
		.amdhsa_exception_int_div_zero 0
	.end_amdhsa_kernel
	.section	.text._ZN2at6native32elementwise_kernel_manual_unrollILi128ELi4EZNS0_15gpu_kernel_implINS0_12_GLOBAL__N_114CompareFunctorIdEEEEvRNS_18TensorIteratorBaseERKT_EUlibE0_EEviT1_,"axG",@progbits,_ZN2at6native32elementwise_kernel_manual_unrollILi128ELi4EZNS0_15gpu_kernel_implINS0_12_GLOBAL__N_114CompareFunctorIdEEEEvRNS_18TensorIteratorBaseERKT_EUlibE0_EEviT1_,comdat
.Lfunc_end95:
	.size	_ZN2at6native32elementwise_kernel_manual_unrollILi128ELi4EZNS0_15gpu_kernel_implINS0_12_GLOBAL__N_114CompareFunctorIdEEEEvRNS_18TensorIteratorBaseERKT_EUlibE0_EEviT1_, .Lfunc_end95-_ZN2at6native32elementwise_kernel_manual_unrollILi128ELi4EZNS0_15gpu_kernel_implINS0_12_GLOBAL__N_114CompareFunctorIdEEEEvRNS_18TensorIteratorBaseERKT_EUlibE0_EEviT1_
                                        ; -- End function
	.set _ZN2at6native32elementwise_kernel_manual_unrollILi128ELi4EZNS0_15gpu_kernel_implINS0_12_GLOBAL__N_114CompareFunctorIdEEEEvRNS_18TensorIteratorBaseERKT_EUlibE0_EEviT1_.num_vgpr, 27
	.set _ZN2at6native32elementwise_kernel_manual_unrollILi128ELi4EZNS0_15gpu_kernel_implINS0_12_GLOBAL__N_114CompareFunctorIdEEEEvRNS_18TensorIteratorBaseERKT_EUlibE0_EEviT1_.num_agpr, 0
	.set _ZN2at6native32elementwise_kernel_manual_unrollILi128ELi4EZNS0_15gpu_kernel_implINS0_12_GLOBAL__N_114CompareFunctorIdEEEEvRNS_18TensorIteratorBaseERKT_EUlibE0_EEviT1_.numbered_sgpr, 80
	.set _ZN2at6native32elementwise_kernel_manual_unrollILi128ELi4EZNS0_15gpu_kernel_implINS0_12_GLOBAL__N_114CompareFunctorIdEEEEvRNS_18TensorIteratorBaseERKT_EUlibE0_EEviT1_.num_named_barrier, 0
	.set _ZN2at6native32elementwise_kernel_manual_unrollILi128ELi4EZNS0_15gpu_kernel_implINS0_12_GLOBAL__N_114CompareFunctorIdEEEEvRNS_18TensorIteratorBaseERKT_EUlibE0_EEviT1_.private_seg_size, 0
	.set _ZN2at6native32elementwise_kernel_manual_unrollILi128ELi4EZNS0_15gpu_kernel_implINS0_12_GLOBAL__N_114CompareFunctorIdEEEEvRNS_18TensorIteratorBaseERKT_EUlibE0_EEviT1_.uses_vcc, 1
	.set _ZN2at6native32elementwise_kernel_manual_unrollILi128ELi4EZNS0_15gpu_kernel_implINS0_12_GLOBAL__N_114CompareFunctorIdEEEEvRNS_18TensorIteratorBaseERKT_EUlibE0_EEviT1_.uses_flat_scratch, 0
	.set _ZN2at6native32elementwise_kernel_manual_unrollILi128ELi4EZNS0_15gpu_kernel_implINS0_12_GLOBAL__N_114CompareFunctorIdEEEEvRNS_18TensorIteratorBaseERKT_EUlibE0_EEviT1_.has_dyn_sized_stack, 0
	.set _ZN2at6native32elementwise_kernel_manual_unrollILi128ELi4EZNS0_15gpu_kernel_implINS0_12_GLOBAL__N_114CompareFunctorIdEEEEvRNS_18TensorIteratorBaseERKT_EUlibE0_EEviT1_.has_recursion, 0
	.set _ZN2at6native32elementwise_kernel_manual_unrollILi128ELi4EZNS0_15gpu_kernel_implINS0_12_GLOBAL__N_114CompareFunctorIdEEEEvRNS_18TensorIteratorBaseERKT_EUlibE0_EEviT1_.has_indirect_call, 0
	.section	.AMDGPU.csdata,"",@progbits
; Kernel info:
; codeLenInByte = 51532
; TotalNumSgprs: 84
; NumVgprs: 27
; ScratchSize: 0
; MemoryBound: 1
; FloatMode: 240
; IeeeMode: 1
; LDSByteSize: 0 bytes/workgroup (compile time only)
; SGPRBlocks: 10
; VGPRBlocks: 6
; NumSGPRsForWavesPerEU: 84
; NumVGPRsForWavesPerEU: 27
; Occupancy: 9
; WaveLimiterHint : 1
; COMPUTE_PGM_RSRC2:SCRATCH_EN: 0
; COMPUTE_PGM_RSRC2:USER_SGPR: 6
; COMPUTE_PGM_RSRC2:TRAP_HANDLER: 0
; COMPUTE_PGM_RSRC2:TGID_X_EN: 1
; COMPUTE_PGM_RSRC2:TGID_Y_EN: 0
; COMPUTE_PGM_RSRC2:TGID_Z_EN: 0
; COMPUTE_PGM_RSRC2:TIDIG_COMP_CNT: 0
	.section	.text._ZN2at6native29vectorized_elementwise_kernelILi16EZNS0_21compare_scalar_kernelIfEEvRNS_18TensorIteratorBaseENS0_12_GLOBAL__N_16OpTypeET_EUlfE_St5arrayIPcLm2EEEEviT0_T1_,"axG",@progbits,_ZN2at6native29vectorized_elementwise_kernelILi16EZNS0_21compare_scalar_kernelIfEEvRNS_18TensorIteratorBaseENS0_12_GLOBAL__N_16OpTypeET_EUlfE_St5arrayIPcLm2EEEEviT0_T1_,comdat
	.globl	_ZN2at6native29vectorized_elementwise_kernelILi16EZNS0_21compare_scalar_kernelIfEEvRNS_18TensorIteratorBaseENS0_12_GLOBAL__N_16OpTypeET_EUlfE_St5arrayIPcLm2EEEEviT0_T1_ ; -- Begin function _ZN2at6native29vectorized_elementwise_kernelILi16EZNS0_21compare_scalar_kernelIfEEvRNS_18TensorIteratorBaseENS0_12_GLOBAL__N_16OpTypeET_EUlfE_St5arrayIPcLm2EEEEviT0_T1_
	.p2align	8
	.type	_ZN2at6native29vectorized_elementwise_kernelILi16EZNS0_21compare_scalar_kernelIfEEvRNS_18TensorIteratorBaseENS0_12_GLOBAL__N_16OpTypeET_EUlfE_St5arrayIPcLm2EEEEviT0_T1_,@function
_ZN2at6native29vectorized_elementwise_kernelILi16EZNS0_21compare_scalar_kernelIfEEvRNS_18TensorIteratorBaseENS0_12_GLOBAL__N_16OpTypeET_EUlfE_St5arrayIPcLm2EEEEviT0_T1_: ; @_ZN2at6native29vectorized_elementwise_kernelILi16EZNS0_21compare_scalar_kernelIfEEvRNS_18TensorIteratorBaseENS0_12_GLOBAL__N_16OpTypeET_EUlfE_St5arrayIPcLm2EEEEviT0_T1_
; %bb.0:
	s_load_dwordx8 s[8:15], s[4:5], 0x0
	s_lshl_b32 s2, s6, 12
	s_mov_b64 s[0:1], -1
	s_waitcnt lgkmcnt(0)
	s_sub_i32 s8, s8, s2
	s_cmpk_gt_i32 s8, 0xfff
	s_cbranch_scc0 .LBB96_211
; %bb.1:
	s_ashr_i32 s3, s2, 31
	s_lshl_b64 s[0:1], s[2:3], 2
	s_add_u32 s0, s14, s0
	s_addc_u32 s1, s15, s1
	v_lshlrev_b32_e32 v17, 6, v0
	global_load_dwordx4 v[1:4], v17, s[0:1] offset:48
	global_load_dwordx4 v[5:8], v17, s[0:1] offset:32
	;; [unrolled: 1-line block ×3, first 2 shown]
	global_load_dwordx4 v[13:16], v17, s[0:1]
	s_cmp_lt_i32 s9, 1
	s_mov_b64 s[4:5], 0
	s_cbranch_scc1 .LBB96_5
; %bb.2:
	s_cmp_gt_i32 s9, 1
	s_cbranch_scc0 .LBB96_6
; %bb.3:
	s_cmp_eq_u32 s9, 2
	s_cbranch_scc0 .LBB96_7
; %bb.4:
	s_waitcnt vmcnt(0)
	v_cmp_ge_f32_e64 s[0:1], s10, v13
	s_mov_b64 s[6:7], 0
	s_branch .LBB96_8
.LBB96_5:
                                        ; implicit-def: $sgpr0_sgpr1
	s_mov_b64 s[6:7], 0
	s_cbranch_execnz .LBB96_11
	s_branch .LBB96_12
.LBB96_6:
	s_mov_b64 s[6:7], 0
                                        ; implicit-def: $sgpr0_sgpr1
	s_cbranch_execnz .LBB96_9
	s_branch .LBB96_10
.LBB96_7:
	s_mov_b64 s[6:7], -1
                                        ; implicit-def: $sgpr0_sgpr1
.LBB96_8:
	s_branch .LBB96_10
.LBB96_9:
	s_waitcnt vmcnt(0)
	v_cmp_lt_f32_e32 vcc, s10, v13
	s_andn2_b64 s[0:1], s[0:1], exec
	s_and_b64 s[16:17], vcc, exec
	s_or_b64 s[0:1], s[0:1], s[16:17]
.LBB96_10:
	s_branch .LBB96_12
.LBB96_11:
	s_cmp_lg_u32 s9, 0
	s_mov_b64 s[4:5], -1
	s_cselect_b64 s[6:7], -1, 0
.LBB96_12:
	s_andn2_b64 vcc, exec, s[6:7]
	s_cbranch_vccz .LBB96_18
; %bb.13:
	s_andn2_b64 vcc, exec, s[4:5]
	s_cbranch_vccz .LBB96_19
.LBB96_14:
	s_cmp_lt_i32 s9, 1
	s_mov_b64 s[6:7], 0
	s_cbranch_scc1 .LBB96_20
.LBB96_15:
	s_cmp_gt_i32 s9, 1
	s_cbranch_scc0 .LBB96_21
; %bb.16:
	s_cmp_eq_u32 s9, 2
	s_cbranch_scc0 .LBB96_251
; %bb.17:
	s_waitcnt vmcnt(0)
	v_cmp_ge_f32_e64 s[4:5], s10, v14
	s_mov_b64 s[16:17], 0
	s_branch .LBB96_23
.LBB96_18:
	s_waitcnt vmcnt(0)
	v_cmp_gt_f32_e32 vcc, s10, v13
	s_andn2_b64 s[0:1], s[0:1], exec
	s_and_b64 s[6:7], vcc, exec
	s_or_b64 s[0:1], s[0:1], s[6:7]
	s_cbranch_execnz .LBB96_14
.LBB96_19:
	s_waitcnt vmcnt(0)
	v_cmp_le_f32_e32 vcc, s10, v13
	s_andn2_b64 s[0:1], s[0:1], exec
	s_and_b64 s[4:5], vcc, exec
	s_or_b64 s[0:1], s[0:1], s[4:5]
	s_cmp_lt_i32 s9, 1
	s_mov_b64 s[6:7], 0
	s_cbranch_scc0 .LBB96_15
.LBB96_20:
                                        ; implicit-def: $sgpr4_sgpr5
	s_mov_b64 s[16:17], 0
	s_cbranch_execnz .LBB96_24
	s_branch .LBB96_25
.LBB96_21:
	s_mov_b64 s[16:17], 0
                                        ; implicit-def: $sgpr4_sgpr5
	s_cbranch_execz .LBB96_23
; %bb.22:
	s_waitcnt vmcnt(0)
	v_cmp_lt_f32_e32 vcc, s10, v14
	s_andn2_b64 s[4:5], s[4:5], exec
	s_and_b64 s[18:19], vcc, exec
	s_or_b64 s[4:5], s[4:5], s[18:19]
.LBB96_23:
	s_branch .LBB96_25
.LBB96_24:
	s_cmp_lg_u32 s9, 0
	s_mov_b64 s[6:7], -1
	s_cselect_b64 s[16:17], -1, 0
.LBB96_25:
	s_andn2_b64 vcc, exec, s[16:17]
	s_cbranch_vccz .LBB96_31
; %bb.26:
	s_andn2_b64 vcc, exec, s[6:7]
	s_cbranch_vccz .LBB96_32
.LBB96_27:
	s_cmp_lt_i32 s9, 1
	s_mov_b64 s[16:17], 0
	s_cbranch_scc1 .LBB96_33
.LBB96_28:
	s_cmp_gt_i32 s9, 1
	s_cbranch_scc0 .LBB96_34
; %bb.29:
	s_cmp_eq_u32 s9, 2
	s_cbranch_scc0 .LBB96_252
; %bb.30:
	s_waitcnt vmcnt(0)
	v_cmp_ge_f32_e64 s[6:7], s10, v15
	s_mov_b64 s[18:19], 0
	s_branch .LBB96_36
.LBB96_31:
	s_waitcnt vmcnt(0)
	v_cmp_gt_f32_e32 vcc, s10, v14
	s_andn2_b64 s[4:5], s[4:5], exec
	s_and_b64 s[16:17], vcc, exec
	s_or_b64 s[4:5], s[4:5], s[16:17]
	s_cbranch_execnz .LBB96_27
.LBB96_32:
	s_waitcnt vmcnt(0)
	v_cmp_le_f32_e32 vcc, s10, v14
	s_andn2_b64 s[4:5], s[4:5], exec
	s_and_b64 s[6:7], vcc, exec
	s_or_b64 s[4:5], s[4:5], s[6:7]
	s_cmp_lt_i32 s9, 1
	s_mov_b64 s[16:17], 0
	s_cbranch_scc0 .LBB96_28
.LBB96_33:
                                        ; implicit-def: $sgpr6_sgpr7
	s_mov_b64 s[18:19], 0
	s_cbranch_execnz .LBB96_37
	s_branch .LBB96_38
.LBB96_34:
	s_mov_b64 s[18:19], 0
                                        ; implicit-def: $sgpr6_sgpr7
	s_cbranch_execz .LBB96_36
; %bb.35:
	s_waitcnt vmcnt(0)
	v_cmp_lt_f32_e32 vcc, s10, v15
	s_andn2_b64 s[6:7], s[6:7], exec
	s_and_b64 s[20:21], vcc, exec
	s_or_b64 s[6:7], s[6:7], s[20:21]
.LBB96_36:
	s_branch .LBB96_38
.LBB96_37:
	s_cmp_lg_u32 s9, 0
	s_mov_b64 s[16:17], -1
	s_cselect_b64 s[18:19], -1, 0
.LBB96_38:
	s_andn2_b64 vcc, exec, s[18:19]
	s_cbranch_vccz .LBB96_44
; %bb.39:
	s_andn2_b64 vcc, exec, s[16:17]
	s_cbranch_vccz .LBB96_45
.LBB96_40:
	s_cmp_lt_i32 s9, 1
	s_mov_b64 s[18:19], 0
	s_cbranch_scc1 .LBB96_46
.LBB96_41:
	s_cmp_gt_i32 s9, 1
	s_cbranch_scc0 .LBB96_47
; %bb.42:
	s_cmp_eq_u32 s9, 2
	s_cbranch_scc0 .LBB96_253
; %bb.43:
	s_waitcnt vmcnt(0)
	v_cmp_ge_f32_e64 s[16:17], s10, v16
	s_mov_b64 s[20:21], 0
	s_branch .LBB96_49
.LBB96_44:
	s_waitcnt vmcnt(0)
	v_cmp_gt_f32_e32 vcc, s10, v15
	s_andn2_b64 s[6:7], s[6:7], exec
	s_and_b64 s[18:19], vcc, exec
	s_or_b64 s[6:7], s[6:7], s[18:19]
	s_cbranch_execnz .LBB96_40
.LBB96_45:
	s_waitcnt vmcnt(0)
	v_cmp_le_f32_e32 vcc, s10, v15
	s_andn2_b64 s[6:7], s[6:7], exec
	s_and_b64 s[16:17], vcc, exec
	s_or_b64 s[6:7], s[6:7], s[16:17]
	s_cmp_lt_i32 s9, 1
	s_mov_b64 s[18:19], 0
	s_cbranch_scc0 .LBB96_41
.LBB96_46:
                                        ; implicit-def: $sgpr16_sgpr17
	s_mov_b64 s[20:21], 0
	s_cbranch_execnz .LBB96_50
	s_branch .LBB96_51
.LBB96_47:
	s_mov_b64 s[20:21], 0
                                        ; implicit-def: $sgpr16_sgpr17
	s_cbranch_execz .LBB96_49
; %bb.48:
	s_waitcnt vmcnt(0)
	v_cmp_lt_f32_e32 vcc, s10, v16
	s_andn2_b64 s[16:17], s[16:17], exec
	s_and_b64 s[22:23], vcc, exec
	s_or_b64 s[16:17], s[16:17], s[22:23]
.LBB96_49:
	s_branch .LBB96_51
.LBB96_50:
	s_cmp_lg_u32 s9, 0
	s_mov_b64 s[18:19], -1
	s_cselect_b64 s[20:21], -1, 0
.LBB96_51:
	s_andn2_b64 vcc, exec, s[20:21]
	s_cbranch_vccz .LBB96_57
; %bb.52:
	s_andn2_b64 vcc, exec, s[18:19]
	s_cbranch_vccz .LBB96_58
.LBB96_53:
	s_cmp_lt_i32 s9, 1
	s_mov_b64 s[20:21], 0
	s_cbranch_scc1 .LBB96_59
.LBB96_54:
	s_cmp_gt_i32 s9, 1
	s_cbranch_scc0 .LBB96_60
; %bb.55:
	s_cmp_eq_u32 s9, 2
	s_cbranch_scc0 .LBB96_254
; %bb.56:
	s_waitcnt vmcnt(1)
	v_cmp_ge_f32_e64 s[18:19], s10, v9
	s_mov_b64 s[22:23], 0
	s_branch .LBB96_62
.LBB96_57:
	s_waitcnt vmcnt(0)
	v_cmp_gt_f32_e32 vcc, s10, v16
	s_andn2_b64 s[16:17], s[16:17], exec
	s_and_b64 s[20:21], vcc, exec
	s_or_b64 s[16:17], s[16:17], s[20:21]
	s_cbranch_execnz .LBB96_53
.LBB96_58:
	s_waitcnt vmcnt(0)
	v_cmp_le_f32_e32 vcc, s10, v16
	s_andn2_b64 s[16:17], s[16:17], exec
	s_and_b64 s[18:19], vcc, exec
	s_or_b64 s[16:17], s[16:17], s[18:19]
	s_cmp_lt_i32 s9, 1
	s_mov_b64 s[20:21], 0
	s_cbranch_scc0 .LBB96_54
.LBB96_59:
                                        ; implicit-def: $sgpr18_sgpr19
	s_mov_b64 s[22:23], 0
	s_cbranch_execnz .LBB96_63
	s_branch .LBB96_64
.LBB96_60:
	s_mov_b64 s[22:23], 0
                                        ; implicit-def: $sgpr18_sgpr19
	s_cbranch_execz .LBB96_62
; %bb.61:
	s_waitcnt vmcnt(1)
	v_cmp_lt_f32_e32 vcc, s10, v9
	s_andn2_b64 s[18:19], s[18:19], exec
	s_and_b64 s[24:25], vcc, exec
	s_or_b64 s[18:19], s[18:19], s[24:25]
.LBB96_62:
	s_branch .LBB96_64
.LBB96_63:
	s_cmp_lg_u32 s9, 0
	s_mov_b64 s[20:21], -1
	s_cselect_b64 s[22:23], -1, 0
.LBB96_64:
	s_andn2_b64 vcc, exec, s[22:23]
	s_cbranch_vccz .LBB96_70
; %bb.65:
	s_andn2_b64 vcc, exec, s[20:21]
	s_cbranch_vccz .LBB96_71
.LBB96_66:
	s_cmp_lt_i32 s9, 1
	s_mov_b64 s[22:23], 0
	s_cbranch_scc1 .LBB96_72
.LBB96_67:
	s_cmp_gt_i32 s9, 1
	s_cbranch_scc0 .LBB96_73
; %bb.68:
	s_cmp_eq_u32 s9, 2
	s_cbranch_scc0 .LBB96_255
; %bb.69:
	s_waitcnt vmcnt(1)
	v_cmp_ge_f32_e64 s[20:21], s10, v10
	s_mov_b64 s[24:25], 0
	s_branch .LBB96_75
.LBB96_70:
	s_waitcnt vmcnt(1)
	v_cmp_gt_f32_e32 vcc, s10, v9
	s_andn2_b64 s[18:19], s[18:19], exec
	s_and_b64 s[22:23], vcc, exec
	s_or_b64 s[18:19], s[18:19], s[22:23]
	s_cbranch_execnz .LBB96_66
.LBB96_71:
	s_waitcnt vmcnt(1)
	v_cmp_le_f32_e32 vcc, s10, v9
	s_andn2_b64 s[18:19], s[18:19], exec
	s_and_b64 s[20:21], vcc, exec
	s_or_b64 s[18:19], s[18:19], s[20:21]
	s_cmp_lt_i32 s9, 1
	s_mov_b64 s[22:23], 0
	s_cbranch_scc0 .LBB96_67
.LBB96_72:
                                        ; implicit-def: $sgpr20_sgpr21
	s_mov_b64 s[24:25], 0
	s_cbranch_execnz .LBB96_76
	s_branch .LBB96_77
.LBB96_73:
	s_mov_b64 s[24:25], 0
                                        ; implicit-def: $sgpr20_sgpr21
	s_cbranch_execz .LBB96_75
; %bb.74:
	s_waitcnt vmcnt(1)
	v_cmp_lt_f32_e32 vcc, s10, v10
	s_andn2_b64 s[20:21], s[20:21], exec
	s_and_b64 s[26:27], vcc, exec
	s_or_b64 s[20:21], s[20:21], s[26:27]
.LBB96_75:
	s_branch .LBB96_77
.LBB96_76:
	s_cmp_lg_u32 s9, 0
	s_mov_b64 s[22:23], -1
	s_cselect_b64 s[24:25], -1, 0
.LBB96_77:
	s_andn2_b64 vcc, exec, s[24:25]
	s_cbranch_vccz .LBB96_83
; %bb.78:
	s_andn2_b64 vcc, exec, s[22:23]
	s_cbranch_vccz .LBB96_84
.LBB96_79:
	s_cmp_lt_i32 s9, 1
	s_mov_b64 s[24:25], 0
	s_cbranch_scc1 .LBB96_85
.LBB96_80:
	s_cmp_gt_i32 s9, 1
	s_cbranch_scc0 .LBB96_86
; %bb.81:
	s_cmp_eq_u32 s9, 2
	s_cbranch_scc0 .LBB96_256
; %bb.82:
	s_waitcnt vmcnt(1)
	v_cmp_ge_f32_e64 s[22:23], s10, v11
	s_mov_b64 s[26:27], 0
	s_branch .LBB96_88
.LBB96_83:
	s_waitcnt vmcnt(1)
	v_cmp_gt_f32_e32 vcc, s10, v10
	s_andn2_b64 s[20:21], s[20:21], exec
	s_and_b64 s[24:25], vcc, exec
	s_or_b64 s[20:21], s[20:21], s[24:25]
	s_cbranch_execnz .LBB96_79
.LBB96_84:
	s_waitcnt vmcnt(1)
	v_cmp_le_f32_e32 vcc, s10, v10
	s_andn2_b64 s[20:21], s[20:21], exec
	s_and_b64 s[22:23], vcc, exec
	s_or_b64 s[20:21], s[20:21], s[22:23]
	s_cmp_lt_i32 s9, 1
	s_mov_b64 s[24:25], 0
	s_cbranch_scc0 .LBB96_80
.LBB96_85:
                                        ; implicit-def: $sgpr22_sgpr23
	s_mov_b64 s[26:27], 0
	s_cbranch_execnz .LBB96_89
	s_branch .LBB96_90
.LBB96_86:
	s_mov_b64 s[26:27], 0
                                        ; implicit-def: $sgpr22_sgpr23
	s_cbranch_execz .LBB96_88
; %bb.87:
	s_waitcnt vmcnt(1)
	v_cmp_lt_f32_e32 vcc, s10, v11
	s_andn2_b64 s[22:23], s[22:23], exec
	s_and_b64 s[28:29], vcc, exec
	s_or_b64 s[22:23], s[22:23], s[28:29]
.LBB96_88:
	s_branch .LBB96_90
.LBB96_89:
	s_cmp_lg_u32 s9, 0
	s_mov_b64 s[24:25], -1
	s_cselect_b64 s[26:27], -1, 0
.LBB96_90:
	s_andn2_b64 vcc, exec, s[26:27]
	s_cbranch_vccz .LBB96_96
; %bb.91:
	s_andn2_b64 vcc, exec, s[24:25]
	s_cbranch_vccz .LBB96_97
.LBB96_92:
	s_cmp_lt_i32 s9, 1
	s_mov_b64 s[26:27], 0
	s_cbranch_scc1 .LBB96_98
.LBB96_93:
	s_cmp_gt_i32 s9, 1
	s_cbranch_scc0 .LBB96_99
; %bb.94:
	s_cmp_eq_u32 s9, 2
	s_cbranch_scc0 .LBB96_257
; %bb.95:
	s_waitcnt vmcnt(1)
	v_cmp_ge_f32_e64 s[24:25], s10, v12
	s_mov_b64 s[28:29], 0
	s_branch .LBB96_101
.LBB96_96:
	s_waitcnt vmcnt(1)
	v_cmp_gt_f32_e32 vcc, s10, v11
	s_andn2_b64 s[22:23], s[22:23], exec
	s_and_b64 s[26:27], vcc, exec
	s_or_b64 s[22:23], s[22:23], s[26:27]
	s_cbranch_execnz .LBB96_92
.LBB96_97:
	s_waitcnt vmcnt(1)
	v_cmp_le_f32_e32 vcc, s10, v11
	s_andn2_b64 s[22:23], s[22:23], exec
	s_and_b64 s[24:25], vcc, exec
	s_or_b64 s[22:23], s[22:23], s[24:25]
	s_cmp_lt_i32 s9, 1
	s_mov_b64 s[26:27], 0
	s_cbranch_scc0 .LBB96_93
.LBB96_98:
                                        ; implicit-def: $sgpr24_sgpr25
	s_mov_b64 s[28:29], 0
	s_cbranch_execnz .LBB96_102
	s_branch .LBB96_103
.LBB96_99:
	s_mov_b64 s[28:29], 0
                                        ; implicit-def: $sgpr24_sgpr25
	s_cbranch_execz .LBB96_101
; %bb.100:
	s_waitcnt vmcnt(1)
	v_cmp_lt_f32_e32 vcc, s10, v12
	s_andn2_b64 s[24:25], s[24:25], exec
	s_and_b64 s[30:31], vcc, exec
	s_or_b64 s[24:25], s[24:25], s[30:31]
.LBB96_101:
	s_branch .LBB96_103
.LBB96_102:
	s_cmp_lg_u32 s9, 0
	s_mov_b64 s[26:27], -1
	s_cselect_b64 s[28:29], -1, 0
.LBB96_103:
	s_andn2_b64 vcc, exec, s[28:29]
	s_cbranch_vccz .LBB96_109
; %bb.104:
	s_andn2_b64 vcc, exec, s[26:27]
	s_cbranch_vccz .LBB96_110
.LBB96_105:
	s_cmp_lt_i32 s9, 1
	s_mov_b64 s[28:29], 0
	s_cbranch_scc1 .LBB96_111
.LBB96_106:
	s_cmp_gt_i32 s9, 1
	s_cbranch_scc0 .LBB96_112
; %bb.107:
	s_cmp_eq_u32 s9, 2
	s_cbranch_scc0 .LBB96_258
; %bb.108:
	s_waitcnt vmcnt(2)
	v_cmp_ge_f32_e64 s[26:27], s10, v5
	s_mov_b64 s[30:31], 0
	s_branch .LBB96_114
.LBB96_109:
	s_waitcnt vmcnt(1)
	v_cmp_gt_f32_e32 vcc, s10, v12
	s_andn2_b64 s[24:25], s[24:25], exec
	s_and_b64 s[28:29], vcc, exec
	s_or_b64 s[24:25], s[24:25], s[28:29]
	s_cbranch_execnz .LBB96_105
.LBB96_110:
	s_waitcnt vmcnt(1)
	v_cmp_le_f32_e32 vcc, s10, v12
	s_andn2_b64 s[24:25], s[24:25], exec
	s_and_b64 s[26:27], vcc, exec
	s_or_b64 s[24:25], s[24:25], s[26:27]
	s_cmp_lt_i32 s9, 1
	s_mov_b64 s[28:29], 0
	s_cbranch_scc0 .LBB96_106
.LBB96_111:
                                        ; implicit-def: $sgpr26_sgpr27
	s_mov_b64 s[30:31], 0
	s_cbranch_execnz .LBB96_115
	s_branch .LBB96_116
.LBB96_112:
	s_mov_b64 s[30:31], 0
                                        ; implicit-def: $sgpr26_sgpr27
	s_cbranch_execz .LBB96_114
; %bb.113:
	s_waitcnt vmcnt(2)
	v_cmp_lt_f32_e32 vcc, s10, v5
	s_andn2_b64 s[26:27], s[26:27], exec
	s_and_b64 s[34:35], vcc, exec
	s_or_b64 s[26:27], s[26:27], s[34:35]
.LBB96_114:
	s_branch .LBB96_116
.LBB96_115:
	s_cmp_lg_u32 s9, 0
	s_mov_b64 s[28:29], -1
	s_cselect_b64 s[30:31], -1, 0
.LBB96_116:
	s_andn2_b64 vcc, exec, s[30:31]
	s_cbranch_vccz .LBB96_122
; %bb.117:
	s_andn2_b64 vcc, exec, s[28:29]
	s_cbranch_vccz .LBB96_123
.LBB96_118:
	s_cmp_lt_i32 s9, 1
	s_mov_b64 s[30:31], 0
	s_cbranch_scc1 .LBB96_124
.LBB96_119:
	s_cmp_gt_i32 s9, 1
	s_cbranch_scc0 .LBB96_125
; %bb.120:
	s_cmp_eq_u32 s9, 2
	s_cbranch_scc0 .LBB96_259
; %bb.121:
	s_waitcnt vmcnt(2)
	v_cmp_ge_f32_e64 s[28:29], s10, v6
	s_mov_b64 s[34:35], 0
	s_branch .LBB96_127
.LBB96_122:
	s_waitcnt vmcnt(2)
	v_cmp_gt_f32_e32 vcc, s10, v5
	s_andn2_b64 s[26:27], s[26:27], exec
	s_and_b64 s[30:31], vcc, exec
	s_or_b64 s[26:27], s[26:27], s[30:31]
	s_cbranch_execnz .LBB96_118
.LBB96_123:
	s_waitcnt vmcnt(2)
	v_cmp_le_f32_e32 vcc, s10, v5
	s_andn2_b64 s[26:27], s[26:27], exec
	s_and_b64 s[28:29], vcc, exec
	s_or_b64 s[26:27], s[26:27], s[28:29]
	s_cmp_lt_i32 s9, 1
	s_mov_b64 s[30:31], 0
	s_cbranch_scc0 .LBB96_119
.LBB96_124:
                                        ; implicit-def: $sgpr28_sgpr29
	s_mov_b64 s[34:35], 0
	s_cbranch_execnz .LBB96_128
	s_branch .LBB96_129
.LBB96_125:
	s_mov_b64 s[34:35], 0
                                        ; implicit-def: $sgpr28_sgpr29
	s_cbranch_execz .LBB96_127
; %bb.126:
	s_waitcnt vmcnt(2)
	v_cmp_lt_f32_e32 vcc, s10, v6
	s_andn2_b64 s[28:29], s[28:29], exec
	s_and_b64 s[36:37], vcc, exec
	s_or_b64 s[28:29], s[28:29], s[36:37]
.LBB96_127:
	s_branch .LBB96_129
.LBB96_128:
	s_cmp_lg_u32 s9, 0
	s_mov_b64 s[30:31], -1
	s_cselect_b64 s[34:35], -1, 0
.LBB96_129:
	s_andn2_b64 vcc, exec, s[34:35]
	s_cbranch_vccz .LBB96_135
; %bb.130:
	s_andn2_b64 vcc, exec, s[30:31]
	s_cbranch_vccz .LBB96_136
.LBB96_131:
	s_cmp_lt_i32 s9, 1
	s_mov_b64 s[34:35], 0
	s_cbranch_scc1 .LBB96_137
.LBB96_132:
	s_cmp_gt_i32 s9, 1
	s_cbranch_scc0 .LBB96_138
; %bb.133:
	s_cmp_eq_u32 s9, 2
	s_cbranch_scc0 .LBB96_260
; %bb.134:
	s_waitcnt vmcnt(2)
	v_cmp_ge_f32_e64 s[30:31], s10, v7
	s_mov_b64 s[36:37], 0
	s_branch .LBB96_140
.LBB96_135:
	s_waitcnt vmcnt(2)
	v_cmp_gt_f32_e32 vcc, s10, v6
	s_andn2_b64 s[28:29], s[28:29], exec
	s_and_b64 s[34:35], vcc, exec
	s_or_b64 s[28:29], s[28:29], s[34:35]
	s_cbranch_execnz .LBB96_131
.LBB96_136:
	s_waitcnt vmcnt(2)
	v_cmp_le_f32_e32 vcc, s10, v6
	s_andn2_b64 s[28:29], s[28:29], exec
	s_and_b64 s[30:31], vcc, exec
	s_or_b64 s[28:29], s[28:29], s[30:31]
	s_cmp_lt_i32 s9, 1
	s_mov_b64 s[34:35], 0
	s_cbranch_scc0 .LBB96_132
.LBB96_137:
                                        ; implicit-def: $sgpr30_sgpr31
	s_mov_b64 s[36:37], 0
	s_cbranch_execnz .LBB96_141
	s_branch .LBB96_142
.LBB96_138:
	s_mov_b64 s[36:37], 0
                                        ; implicit-def: $sgpr30_sgpr31
	s_cbranch_execz .LBB96_140
; %bb.139:
	s_waitcnt vmcnt(2)
	v_cmp_lt_f32_e32 vcc, s10, v7
	s_andn2_b64 s[30:31], s[30:31], exec
	s_and_b64 s[38:39], vcc, exec
	s_or_b64 s[30:31], s[30:31], s[38:39]
.LBB96_140:
	s_branch .LBB96_142
.LBB96_141:
	s_cmp_lg_u32 s9, 0
	s_mov_b64 s[34:35], -1
	s_cselect_b64 s[36:37], -1, 0
.LBB96_142:
	s_andn2_b64 vcc, exec, s[36:37]
	s_cbranch_vccz .LBB96_148
; %bb.143:
	s_andn2_b64 vcc, exec, s[34:35]
	s_cbranch_vccz .LBB96_149
.LBB96_144:
	s_cmp_lt_i32 s9, 1
	s_mov_b64 s[36:37], 0
	s_cbranch_scc1 .LBB96_150
.LBB96_145:
	s_cmp_gt_i32 s9, 1
	s_cbranch_scc0 .LBB96_151
; %bb.146:
	s_cmp_eq_u32 s9, 2
	s_cbranch_scc0 .LBB96_261
; %bb.147:
	s_waitcnt vmcnt(2)
	v_cmp_ge_f32_e64 s[34:35], s10, v8
	s_mov_b64 s[38:39], 0
	s_branch .LBB96_153
.LBB96_148:
	s_waitcnt vmcnt(2)
	v_cmp_gt_f32_e32 vcc, s10, v7
	s_andn2_b64 s[30:31], s[30:31], exec
	s_and_b64 s[36:37], vcc, exec
	s_or_b64 s[30:31], s[30:31], s[36:37]
	s_cbranch_execnz .LBB96_144
.LBB96_149:
	s_waitcnt vmcnt(2)
	v_cmp_le_f32_e32 vcc, s10, v7
	s_andn2_b64 s[30:31], s[30:31], exec
	s_and_b64 s[34:35], vcc, exec
	s_or_b64 s[30:31], s[30:31], s[34:35]
	s_cmp_lt_i32 s9, 1
	s_mov_b64 s[36:37], 0
	s_cbranch_scc0 .LBB96_145
.LBB96_150:
                                        ; implicit-def: $sgpr34_sgpr35
	s_mov_b64 s[38:39], 0
	s_cbranch_execnz .LBB96_154
	s_branch .LBB96_155
.LBB96_151:
	s_mov_b64 s[38:39], 0
                                        ; implicit-def: $sgpr34_sgpr35
	s_cbranch_execz .LBB96_153
; %bb.152:
	s_waitcnt vmcnt(2)
	v_cmp_lt_f32_e32 vcc, s10, v8
	s_andn2_b64 s[34:35], s[34:35], exec
	s_and_b64 s[40:41], vcc, exec
	s_or_b64 s[34:35], s[34:35], s[40:41]
.LBB96_153:
	s_branch .LBB96_155
.LBB96_154:
	s_cmp_lg_u32 s9, 0
	s_mov_b64 s[36:37], -1
	s_cselect_b64 s[38:39], -1, 0
.LBB96_155:
	s_andn2_b64 vcc, exec, s[38:39]
	s_cbranch_vccz .LBB96_161
; %bb.156:
	s_andn2_b64 vcc, exec, s[36:37]
	s_cbranch_vccz .LBB96_162
.LBB96_157:
	s_cmp_lt_i32 s9, 1
	s_mov_b64 s[38:39], 0
	s_cbranch_scc1 .LBB96_163
.LBB96_158:
	s_cmp_gt_i32 s9, 1
	s_cbranch_scc0 .LBB96_164
; %bb.159:
	s_cmp_eq_u32 s9, 2
	s_cbranch_scc0 .LBB96_262
; %bb.160:
	s_waitcnt vmcnt(3)
	v_cmp_ge_f32_e64 s[36:37], s10, v1
	s_mov_b64 s[40:41], 0
	s_branch .LBB96_166
.LBB96_161:
	s_waitcnt vmcnt(2)
	v_cmp_gt_f32_e32 vcc, s10, v8
	s_andn2_b64 s[34:35], s[34:35], exec
	s_and_b64 s[38:39], vcc, exec
	s_or_b64 s[34:35], s[34:35], s[38:39]
	s_cbranch_execnz .LBB96_157
.LBB96_162:
	s_waitcnt vmcnt(2)
	v_cmp_le_f32_e32 vcc, s10, v8
	s_andn2_b64 s[34:35], s[34:35], exec
	s_and_b64 s[36:37], vcc, exec
	s_or_b64 s[34:35], s[34:35], s[36:37]
	s_cmp_lt_i32 s9, 1
	s_mov_b64 s[38:39], 0
	s_cbranch_scc0 .LBB96_158
.LBB96_163:
                                        ; implicit-def: $sgpr36_sgpr37
	s_mov_b64 s[40:41], 0
	s_cbranch_execnz .LBB96_167
	s_branch .LBB96_168
.LBB96_164:
	s_mov_b64 s[40:41], 0
                                        ; implicit-def: $sgpr36_sgpr37
	s_cbranch_execz .LBB96_166
; %bb.165:
	s_waitcnt vmcnt(3)
	v_cmp_lt_f32_e32 vcc, s10, v1
	s_andn2_b64 s[36:37], s[36:37], exec
	s_and_b64 s[42:43], vcc, exec
	s_or_b64 s[36:37], s[36:37], s[42:43]
.LBB96_166:
	s_branch .LBB96_168
.LBB96_167:
	s_cmp_lg_u32 s9, 0
	s_mov_b64 s[38:39], -1
	s_cselect_b64 s[40:41], -1, 0
.LBB96_168:
	s_andn2_b64 vcc, exec, s[40:41]
	s_cbranch_vccz .LBB96_174
; %bb.169:
	s_andn2_b64 vcc, exec, s[38:39]
	s_cbranch_vccz .LBB96_175
.LBB96_170:
	s_cmp_lt_i32 s9, 1
	s_mov_b64 s[40:41], 0
	s_cbranch_scc1 .LBB96_176
.LBB96_171:
	s_cmp_gt_i32 s9, 1
	s_cbranch_scc0 .LBB96_177
; %bb.172:
	s_cmp_eq_u32 s9, 2
	s_cbranch_scc0 .LBB96_263
; %bb.173:
	s_waitcnt vmcnt(3)
	v_cmp_ge_f32_e64 s[38:39], s10, v2
	s_mov_b64 s[42:43], 0
	s_branch .LBB96_179
.LBB96_174:
	s_waitcnt vmcnt(3)
	v_cmp_gt_f32_e32 vcc, s10, v1
	s_andn2_b64 s[36:37], s[36:37], exec
	s_and_b64 s[40:41], vcc, exec
	s_or_b64 s[36:37], s[36:37], s[40:41]
	s_cbranch_execnz .LBB96_170
.LBB96_175:
	s_waitcnt vmcnt(3)
	v_cmp_le_f32_e32 vcc, s10, v1
	s_andn2_b64 s[36:37], s[36:37], exec
	s_and_b64 s[38:39], vcc, exec
	s_or_b64 s[36:37], s[36:37], s[38:39]
	s_cmp_lt_i32 s9, 1
	s_mov_b64 s[40:41], 0
	s_cbranch_scc0 .LBB96_171
.LBB96_176:
                                        ; implicit-def: $sgpr38_sgpr39
	s_mov_b64 s[42:43], 0
	s_cbranch_execnz .LBB96_180
	s_branch .LBB96_181
.LBB96_177:
	s_mov_b64 s[42:43], 0
                                        ; implicit-def: $sgpr38_sgpr39
	s_cbranch_execz .LBB96_179
; %bb.178:
	s_waitcnt vmcnt(3)
	v_cmp_lt_f32_e32 vcc, s10, v2
	s_andn2_b64 s[38:39], s[38:39], exec
	s_and_b64 s[44:45], vcc, exec
	s_or_b64 s[38:39], s[38:39], s[44:45]
.LBB96_179:
	s_branch .LBB96_181
.LBB96_180:
	s_cmp_lg_u32 s9, 0
	s_mov_b64 s[40:41], -1
	s_cselect_b64 s[42:43], -1, 0
.LBB96_181:
	s_andn2_b64 vcc, exec, s[42:43]
	s_cbranch_vccz .LBB96_187
; %bb.182:
	s_andn2_b64 vcc, exec, s[40:41]
	s_cbranch_vccz .LBB96_188
.LBB96_183:
	s_cmp_lt_i32 s9, 1
	s_mov_b64 s[42:43], 0
	s_cbranch_scc1 .LBB96_189
.LBB96_184:
	s_cmp_gt_i32 s9, 1
	s_cbranch_scc0 .LBB96_190
; %bb.185:
	s_cmp_eq_u32 s9, 2
	s_cbranch_scc0 .LBB96_264
; %bb.186:
	s_waitcnt vmcnt(3)
	v_cmp_ge_f32_e64 s[40:41], s10, v3
	s_mov_b64 s[44:45], 0
	s_branch .LBB96_192
.LBB96_187:
	s_waitcnt vmcnt(3)
	v_cmp_gt_f32_e32 vcc, s10, v2
	s_andn2_b64 s[38:39], s[38:39], exec
	s_and_b64 s[42:43], vcc, exec
	s_or_b64 s[38:39], s[38:39], s[42:43]
	s_cbranch_execnz .LBB96_183
.LBB96_188:
	s_waitcnt vmcnt(3)
	v_cmp_le_f32_e32 vcc, s10, v2
	s_andn2_b64 s[38:39], s[38:39], exec
	s_and_b64 s[40:41], vcc, exec
	s_or_b64 s[38:39], s[38:39], s[40:41]
	s_cmp_lt_i32 s9, 1
	s_mov_b64 s[42:43], 0
	s_cbranch_scc0 .LBB96_184
.LBB96_189:
                                        ; implicit-def: $sgpr40_sgpr41
	s_mov_b64 s[44:45], 0
	s_cbranch_execnz .LBB96_193
	s_branch .LBB96_194
.LBB96_190:
	s_mov_b64 s[44:45], 0
                                        ; implicit-def: $sgpr40_sgpr41
	s_cbranch_execz .LBB96_192
; %bb.191:
	s_waitcnt vmcnt(3)
	v_cmp_lt_f32_e32 vcc, s10, v3
	s_andn2_b64 s[40:41], s[40:41], exec
	s_and_b64 s[46:47], vcc, exec
	s_or_b64 s[40:41], s[40:41], s[46:47]
.LBB96_192:
	s_branch .LBB96_194
.LBB96_193:
	s_cmp_lg_u32 s9, 0
	s_mov_b64 s[42:43], -1
	s_cselect_b64 s[44:45], -1, 0
.LBB96_194:
	s_andn2_b64 vcc, exec, s[44:45]
	s_cbranch_vccz .LBB96_200
; %bb.195:
	s_andn2_b64 vcc, exec, s[42:43]
	s_cbranch_vccz .LBB96_201
.LBB96_196:
	s_cmp_lt_i32 s9, 1
	s_mov_b64 s[44:45], 0
	s_cbranch_scc1 .LBB96_202
.LBB96_197:
	s_cmp_gt_i32 s9, 1
	s_cbranch_scc0 .LBB96_203
; %bb.198:
	s_cmp_eq_u32 s9, 2
	s_cbranch_scc0 .LBB96_265
; %bb.199:
	s_waitcnt vmcnt(3)
	v_cmp_ge_f32_e64 s[42:43], s10, v4
	s_mov_b64 s[46:47], 0
	s_branch .LBB96_205
.LBB96_200:
	s_waitcnt vmcnt(3)
	v_cmp_gt_f32_e32 vcc, s10, v3
	s_andn2_b64 s[40:41], s[40:41], exec
	s_and_b64 s[44:45], vcc, exec
	s_or_b64 s[40:41], s[40:41], s[44:45]
	s_cbranch_execnz .LBB96_196
.LBB96_201:
	s_waitcnt vmcnt(3)
	v_cmp_le_f32_e32 vcc, s10, v3
	s_andn2_b64 s[40:41], s[40:41], exec
	s_and_b64 s[42:43], vcc, exec
	s_or_b64 s[40:41], s[40:41], s[42:43]
	s_cmp_lt_i32 s9, 1
	s_mov_b64 s[44:45], 0
	s_cbranch_scc0 .LBB96_197
.LBB96_202:
                                        ; implicit-def: $sgpr42_sgpr43
	s_mov_b64 s[46:47], 0
	s_cbranch_execnz .LBB96_206
	s_branch .LBB96_207
.LBB96_203:
	s_mov_b64 s[46:47], 0
                                        ; implicit-def: $sgpr42_sgpr43
	s_cbranch_execz .LBB96_205
; %bb.204:
	s_waitcnt vmcnt(3)
	v_cmp_lt_f32_e32 vcc, s10, v4
	s_andn2_b64 s[42:43], s[42:43], exec
	s_and_b64 s[48:49], vcc, exec
	s_or_b64 s[42:43], s[42:43], s[48:49]
.LBB96_205:
	s_branch .LBB96_207
.LBB96_206:
	s_cmp_lg_u32 s9, 0
	s_mov_b64 s[44:45], -1
	s_cselect_b64 s[46:47], -1, 0
.LBB96_207:
	s_andn2_b64 vcc, exec, s[46:47]
	s_cbranch_vccz .LBB96_243
; %bb.208:
	s_andn2_b64 vcc, exec, s[44:45]
	s_cbranch_vccnz .LBB96_210
.LBB96_209:
	s_waitcnt vmcnt(3)
	v_cmp_le_f32_e32 vcc, s10, v4
	s_andn2_b64 s[42:43], s[42:43], exec
	s_and_b64 s[44:45], vcc, exec
	s_or_b64 s[42:43], s[42:43], s[44:45]
.LBB96_210:
	s_waitcnt vmcnt(3)
	v_cndmask_b32_e64 v1, 0, 1, s[4:5]
	v_lshlrev_b16_e32 v1, 8, v1
	v_cndmask_b32_e64 v2, 0, 1, s[0:1]
	v_or_b32_e32 v1, v2, v1
	v_cndmask_b32_e64 v2, 0, 1, s[16:17]
	v_lshlrev_b16_e32 v2, 8, v2
	v_cndmask_b32_e64 v3, 0, 1, s[6:7]
	v_or_b32_sdwa v2, v3, v2 dst_sel:WORD_1 dst_unused:UNUSED_PAD src0_sel:DWORD src1_sel:DWORD
	v_or_b32_sdwa v1, v1, v2 dst_sel:DWORD dst_unused:UNUSED_PAD src0_sel:WORD_0 src1_sel:DWORD
	v_cndmask_b32_e64 v2, 0, 1, s[20:21]
	v_lshlrev_b16_e32 v2, 8, v2
	v_cndmask_b32_e64 v3, 0, 1, s[18:19]
	v_or_b32_e32 v2, v3, v2
	v_cndmask_b32_e64 v3, 0, 1, s[24:25]
	v_lshlrev_b16_e32 v3, 8, v3
	v_cndmask_b32_e64 v4, 0, 1, s[22:23]
	v_or_b32_sdwa v3, v4, v3 dst_sel:WORD_1 dst_unused:UNUSED_PAD src0_sel:DWORD src1_sel:DWORD
	v_or_b32_sdwa v2, v2, v3 dst_sel:DWORD dst_unused:UNUSED_PAD src0_sel:WORD_0 src1_sel:DWORD
	v_cndmask_b32_e64 v3, 0, 1, s[28:29]
	v_lshlrev_b16_e32 v3, 8, v3
	v_cndmask_b32_e64 v4, 0, 1, s[26:27]
	v_or_b32_e32 v3, v4, v3
	v_cndmask_b32_e64 v4, 0, 1, s[34:35]
	v_lshlrev_b16_e32 v4, 8, v4
	s_waitcnt vmcnt(2)
	v_cndmask_b32_e64 v6, 0, 1, s[30:31]
	v_or_b32_sdwa v4, v6, v4 dst_sel:WORD_1 dst_unused:UNUSED_PAD src0_sel:DWORD src1_sel:DWORD
	v_or_b32_sdwa v3, v3, v4 dst_sel:DWORD dst_unused:UNUSED_PAD src0_sel:WORD_0 src1_sel:DWORD
	v_cndmask_b32_e64 v4, 0, 1, s[38:39]
	v_lshlrev_b16_e32 v4, 8, v4
	v_cndmask_b32_e64 v6, 0, 1, s[36:37]
	v_or_b32_e32 v4, v6, v4
	v_cndmask_b32_e64 v6, 0, 1, s[42:43]
	v_lshlrev_b16_e32 v6, 8, v6
	v_cndmask_b32_e64 v7, 0, 1, s[40:41]
	s_add_u32 s44, s12, s2
	v_or_b32_sdwa v6, v7, v6 dst_sel:WORD_1 dst_unused:UNUSED_PAD src0_sel:DWORD src1_sel:DWORD
	s_addc_u32 s45, s13, s3
	v_lshlrev_b32_e32 v5, 4, v0
	v_or_b32_sdwa v4, v4, v6 dst_sel:DWORD dst_unused:UNUSED_PAD src0_sel:WORD_0 src1_sel:DWORD
	global_store_dwordx4 v5, v[1:4], s[44:45]
	s_mov_b64 s[0:1], 0
.LBB96_211:
	s_and_b64 vcc, exec, s[0:1]
	s_cbranch_vccz .LBB96_519
; %bb.212:
	v_cmp_gt_i32_e64 s[0:1], s8, v0
	s_waitcnt vmcnt(2)
	v_mov_b32_e32 v9, 0
	v_or_b32_e32 v1, s2, v0
	v_mov_b32_e32 v5, 0
	v_mov_b32_e32 v3, v0
	s_and_saveexec_b64 s[4:5], s[0:1]
	s_cbranch_execz .LBB96_214
; %bb.213:
	v_mov_b32_e32 v2, 0
	v_lshlrev_b64 v[2:3], 2, v[1:2]
	v_mov_b32_e32 v4, s15
	v_add_co_u32_e32 v2, vcc, s14, v2
	v_addc_co_u32_e32 v3, vcc, v4, v3, vcc
	global_load_dword v5, v[2:3], off
	v_or_b32_e32 v3, 0x100, v0
.LBB96_214:
	s_or_b64 exec, exec, s[4:5]
	v_cmp_gt_i32_e32 vcc, s8, v3
	s_and_saveexec_b64 s[4:5], vcc
	s_cbranch_execz .LBB96_216
; %bb.215:
	v_add_u32_e32 v6, s2, v3
	v_mov_b32_e32 v7, 0
	v_lshlrev_b64 v[6:7], 2, v[6:7]
	v_mov_b32_e32 v2, s15
	v_add_co_u32_e32 v6, vcc, s14, v6
	v_addc_co_u32_e32 v7, vcc, v2, v7, vcc
	global_load_dword v9, v[6:7], off
	v_add_u32_e32 v3, 0x100, v3
.LBB96_216:
	s_or_b64 exec, exec, s[4:5]
	v_cmp_gt_i32_e32 vcc, s8, v3
	s_waitcnt vmcnt(1)
	v_mov_b32_e32 v13, 0
	v_mov_b32_e32 v11, 0
	s_and_saveexec_b64 s[4:5], vcc
	s_cbranch_execz .LBB96_218
; %bb.217:
	v_add_u32_e32 v6, s2, v3
	v_mov_b32_e32 v7, 0
	v_lshlrev_b64 v[6:7], 2, v[6:7]
	v_mov_b32_e32 v2, s15
	v_add_co_u32_e32 v6, vcc, s14, v6
	v_addc_co_u32_e32 v7, vcc, v2, v7, vcc
	global_load_dword v11, v[6:7], off
	v_add_u32_e32 v3, 0x100, v3
.LBB96_218:
	s_or_b64 exec, exec, s[4:5]
	v_cmp_gt_i32_e32 vcc, s8, v3
	s_and_saveexec_b64 s[4:5], vcc
	s_cbranch_execz .LBB96_220
; %bb.219:
	v_add_u32_e32 v6, s2, v3
	v_mov_b32_e32 v7, 0
	v_lshlrev_b64 v[6:7], 2, v[6:7]
	v_mov_b32_e32 v2, s15
	v_add_co_u32_e32 v6, vcc, s14, v6
	v_addc_co_u32_e32 v7, vcc, v2, v7, vcc
	global_load_dword v13, v[6:7], off
	v_add_u32_e32 v3, 0x100, v3
.LBB96_220:
	s_or_b64 exec, exec, s[4:5]
	v_cmp_gt_i32_e32 vcc, s8, v3
	v_mov_b32_e32 v18, 0
	v_mov_b32_e32 v15, 0
	s_and_saveexec_b64 s[4:5], vcc
	s_cbranch_execz .LBB96_222
; %bb.221:
	v_add_u32_e32 v6, s2, v3
	v_mov_b32_e32 v7, 0
	v_lshlrev_b64 v[6:7], 2, v[6:7]
	v_mov_b32_e32 v2, s15
	v_add_co_u32_e32 v6, vcc, s14, v6
	v_addc_co_u32_e32 v7, vcc, v2, v7, vcc
	global_load_dword v15, v[6:7], off
	v_add_u32_e32 v3, 0x100, v3
.LBB96_222:
	s_or_b64 exec, exec, s[4:5]
	v_cmp_gt_i32_e32 vcc, s8, v3
	s_and_saveexec_b64 s[4:5], vcc
	s_cbranch_execz .LBB96_224
; %bb.223:
	v_add_u32_e32 v6, s2, v3
	v_mov_b32_e32 v7, 0
	v_lshlrev_b64 v[6:7], 2, v[6:7]
	v_mov_b32_e32 v2, s15
	v_add_co_u32_e32 v6, vcc, s14, v6
	v_addc_co_u32_e32 v7, vcc, v2, v7, vcc
	global_load_dword v18, v[6:7], off
	v_add_u32_e32 v3, 0x100, v3
.LBB96_224:
	s_or_b64 exec, exec, s[4:5]
	v_cmp_gt_i32_e32 vcc, s8, v3
	v_mov_b32_e32 v17, 0
	v_mov_b32_e32 v19, 0
	s_and_saveexec_b64 s[4:5], vcc
	s_cbranch_execz .LBB96_226
; %bb.225:
	v_add_u32_e32 v6, s2, v3
	v_mov_b32_e32 v7, 0
	v_lshlrev_b64 v[6:7], 2, v[6:7]
	v_mov_b32_e32 v2, s15
	v_add_co_u32_e32 v6, vcc, s14, v6
	v_addc_co_u32_e32 v7, vcc, v2, v7, vcc
	global_load_dword v19, v[6:7], off
	v_add_u32_e32 v3, 0x100, v3
.LBB96_226:
	s_or_b64 exec, exec, s[4:5]
	v_cmp_gt_i32_e32 vcc, s8, v3
	s_and_saveexec_b64 s[4:5], vcc
	s_cbranch_execz .LBB96_228
; %bb.227:
	v_add_u32_e32 v6, s2, v3
	v_mov_b32_e32 v7, 0
	v_lshlrev_b64 v[6:7], 2, v[6:7]
	v_mov_b32_e32 v2, s15
	v_add_co_u32_e32 v6, vcc, s14, v6
	v_addc_co_u32_e32 v7, vcc, v2, v7, vcc
	global_load_dword v17, v[6:7], off
	v_add_u32_e32 v3, 0x100, v3
.LBB96_228:
	s_or_b64 exec, exec, s[4:5]
	v_cmp_gt_i32_e32 vcc, s8, v3
	v_mov_b32_e32 v14, 0
	v_mov_b32_e32 v16, 0
	s_and_saveexec_b64 s[4:5], vcc
	s_cbranch_execz .LBB96_230
; %bb.229:
	v_add_u32_e32 v6, s2, v3
	v_mov_b32_e32 v7, 0
	v_lshlrev_b64 v[6:7], 2, v[6:7]
	v_mov_b32_e32 v2, s15
	v_add_co_u32_e32 v6, vcc, s14, v6
	v_addc_co_u32_e32 v7, vcc, v2, v7, vcc
	global_load_dword v16, v[6:7], off
	v_add_u32_e32 v3, 0x100, v3
.LBB96_230:
	s_or_b64 exec, exec, s[4:5]
	v_cmp_gt_i32_e32 vcc, s8, v3
	s_and_saveexec_b64 s[4:5], vcc
	s_cbranch_execz .LBB96_232
; %bb.231:
	v_add_u32_e32 v6, s2, v3
	v_mov_b32_e32 v7, 0
	v_lshlrev_b64 v[6:7], 2, v[6:7]
	v_mov_b32_e32 v2, s15
	v_add_co_u32_e32 v6, vcc, s14, v6
	v_addc_co_u32_e32 v7, vcc, v2, v7, vcc
	global_load_dword v14, v[6:7], off
	v_add_u32_e32 v3, 0x100, v3
.LBB96_232:
	s_or_b64 exec, exec, s[4:5]
	v_cmp_gt_i32_e32 vcc, s8, v3
	v_mov_b32_e32 v10, 0
	v_mov_b32_e32 v12, 0
	s_and_saveexec_b64 s[4:5], vcc
	s_cbranch_execz .LBB96_234
; %bb.233:
	v_add_u32_e32 v6, s2, v3
	v_mov_b32_e32 v7, 0
	v_lshlrev_b64 v[6:7], 2, v[6:7]
	v_mov_b32_e32 v2, s15
	v_add_co_u32_e32 v6, vcc, s14, v6
	v_addc_co_u32_e32 v7, vcc, v2, v7, vcc
	global_load_dword v12, v[6:7], off
	v_add_u32_e32 v3, 0x100, v3
.LBB96_234:
	s_or_b64 exec, exec, s[4:5]
	v_cmp_gt_i32_e32 vcc, s8, v3
	s_and_saveexec_b64 s[4:5], vcc
	s_cbranch_execz .LBB96_236
; %bb.235:
	v_add_u32_e32 v6, s2, v3
	v_mov_b32_e32 v7, 0
	v_lshlrev_b64 v[6:7], 2, v[6:7]
	v_mov_b32_e32 v2, s15
	v_add_co_u32_e32 v6, vcc, s14, v6
	v_addc_co_u32_e32 v7, vcc, v2, v7, vcc
	global_load_dword v10, v[6:7], off
	v_add_u32_e32 v3, 0x100, v3
.LBB96_236:
	s_or_b64 exec, exec, s[4:5]
	v_cmp_gt_i32_e32 vcc, s8, v3
	v_mov_b32_e32 v6, 0
	v_mov_b32_e32 v8, 0
	s_and_saveexec_b64 s[4:5], vcc
	s_cbranch_execz .LBB96_238
; %bb.237:
	v_add_u32_e32 v7, s2, v3
	v_mov_b32_e32 v8, 0
	v_lshlrev_b64 v[7:8], 2, v[7:8]
	v_mov_b32_e32 v2, s15
	v_add_co_u32_e32 v7, vcc, s14, v7
	v_addc_co_u32_e32 v8, vcc, v2, v8, vcc
	global_load_dword v8, v[7:8], off
	v_add_u32_e32 v3, 0x100, v3
.LBB96_238:
	s_or_b64 exec, exec, s[4:5]
	v_cmp_gt_i32_e32 vcc, s8, v3
	s_and_saveexec_b64 s[4:5], vcc
	s_cbranch_execz .LBB96_240
; %bb.239:
	v_add_u32_e32 v6, s2, v3
	v_mov_b32_e32 v7, 0
	v_lshlrev_b64 v[6:7], 2, v[6:7]
	v_mov_b32_e32 v2, s15
	v_add_co_u32_e32 v6, vcc, s14, v6
	v_addc_co_u32_e32 v7, vcc, v2, v7, vcc
	global_load_dword v6, v[6:7], off
	v_add_u32_e32 v3, 0x100, v3
.LBB96_240:
	s_or_b64 exec, exec, s[4:5]
	v_cmp_gt_i32_e32 vcc, s8, v3
	v_mov_b32_e32 v2, 0
	v_mov_b32_e32 v4, 0
	s_and_saveexec_b64 s[4:5], vcc
	s_cbranch_execnz .LBB96_244
; %bb.241:
	s_or_b64 exec, exec, s[4:5]
	v_cmp_gt_i32_e32 vcc, s8, v3
	s_and_saveexec_b64 s[4:5], vcc
	s_cbranch_execnz .LBB96_245
.LBB96_242:
	s_or_b64 exec, exec, s[4:5]
                                        ; implicit-def: $vgpr3
	s_and_saveexec_b64 s[4:5], s[0:1]
	s_cbranch_execnz .LBB96_246
	s_branch .LBB96_276
.LBB96_243:
	s_waitcnt vmcnt(3)
	v_cmp_gt_f32_e32 vcc, s10, v4
	s_andn2_b64 s[42:43], s[42:43], exec
	s_and_b64 s[46:47], vcc, exec
	s_or_b64 s[42:43], s[42:43], s[46:47]
	s_cbranch_execz .LBB96_209
	s_branch .LBB96_210
.LBB96_244:
	v_add_u32_e32 v20, s2, v3
	v_mov_b32_e32 v21, 0
	v_lshlrev_b64 v[20:21], 2, v[20:21]
	v_mov_b32_e32 v4, s15
	v_add_co_u32_e32 v20, vcc, s14, v20
	v_addc_co_u32_e32 v21, vcc, v4, v21, vcc
	global_load_dword v4, v[20:21], off
	v_add_u32_e32 v3, 0x100, v3
	s_or_b64 exec, exec, s[4:5]
	v_cmp_gt_i32_e32 vcc, s8, v3
	s_and_saveexec_b64 s[4:5], vcc
	s_cbranch_execz .LBB96_242
.LBB96_245:
	v_add_u32_e32 v2, s2, v3
	v_mov_b32_e32 v3, 0
	v_lshlrev_b64 v[2:3], 2, v[2:3]
	v_mov_b32_e32 v7, s15
	v_add_co_u32_e32 v2, vcc, s14, v2
	v_addc_co_u32_e32 v3, vcc, v7, v3, vcc
	global_load_dword v2, v[2:3], off
	s_or_b64 exec, exec, s[4:5]
                                        ; implicit-def: $vgpr3
	s_and_saveexec_b64 s[4:5], s[0:1]
	s_cbranch_execz .LBB96_276
.LBB96_246:
	s_cmp_lt_i32 s9, 1
	s_mov_b64 s[6:7], 0
	s_cbranch_scc1 .LBB96_250
; %bb.247:
	s_cmp_gt_i32 s9, 1
	s_cbranch_scc0 .LBB96_266
; %bb.248:
	s_cmp_eq_u32 s9, 2
	s_cbranch_scc0 .LBB96_267
; %bb.249:
	s_waitcnt vmcnt(0)
	v_cmp_ge_f32_e64 s[14:15], s10, v5
	s_mov_b64 s[16:17], 0
	s_branch .LBB96_268
.LBB96_250:
                                        ; implicit-def: $sgpr14_sgpr15
	s_mov_b64 s[16:17], 0
	s_cbranch_execnz .LBB96_271
	s_branch .LBB96_272
.LBB96_251:
	s_mov_b64 s[16:17], -1
                                        ; implicit-def: $sgpr4_sgpr5
	s_branch .LBB96_23
.LBB96_252:
	s_mov_b64 s[18:19], -1
                                        ; implicit-def: $sgpr6_sgpr7
	s_branch .LBB96_36
.LBB96_253:
	s_mov_b64 s[20:21], -1
                                        ; implicit-def: $sgpr16_sgpr17
	s_branch .LBB96_49
.LBB96_254:
	s_mov_b64 s[22:23], -1
                                        ; implicit-def: $sgpr18_sgpr19
	s_branch .LBB96_62
.LBB96_255:
	s_mov_b64 s[24:25], -1
                                        ; implicit-def: $sgpr20_sgpr21
	s_branch .LBB96_75
.LBB96_256:
	s_mov_b64 s[26:27], -1
                                        ; implicit-def: $sgpr22_sgpr23
	s_branch .LBB96_88
.LBB96_257:
	s_mov_b64 s[28:29], -1
                                        ; implicit-def: $sgpr24_sgpr25
	s_branch .LBB96_101
.LBB96_258:
	s_mov_b64 s[30:31], -1
                                        ; implicit-def: $sgpr26_sgpr27
	s_branch .LBB96_114
.LBB96_259:
	s_mov_b64 s[34:35], -1
                                        ; implicit-def: $sgpr28_sgpr29
	s_branch .LBB96_127
.LBB96_260:
	s_mov_b64 s[36:37], -1
                                        ; implicit-def: $sgpr30_sgpr31
	s_branch .LBB96_140
.LBB96_261:
	s_mov_b64 s[38:39], -1
                                        ; implicit-def: $sgpr34_sgpr35
	s_branch .LBB96_153
.LBB96_262:
	s_mov_b64 s[40:41], -1
                                        ; implicit-def: $sgpr36_sgpr37
	s_branch .LBB96_166
.LBB96_263:
	s_mov_b64 s[42:43], -1
                                        ; implicit-def: $sgpr38_sgpr39
	s_branch .LBB96_179
.LBB96_264:
	s_mov_b64 s[44:45], -1
                                        ; implicit-def: $sgpr40_sgpr41
	s_branch .LBB96_192
.LBB96_265:
	s_mov_b64 s[46:47], -1
                                        ; implicit-def: $sgpr42_sgpr43
	s_branch .LBB96_205
.LBB96_266:
	s_mov_b64 s[16:17], 0
                                        ; implicit-def: $sgpr14_sgpr15
	s_cbranch_execnz .LBB96_269
	s_branch .LBB96_270
.LBB96_267:
	s_mov_b64 s[16:17], -1
                                        ; implicit-def: $sgpr14_sgpr15
.LBB96_268:
	s_branch .LBB96_270
.LBB96_269:
	s_waitcnt vmcnt(0)
	v_cmp_lt_f32_e32 vcc, s10, v5
	s_andn2_b64 s[14:15], s[14:15], exec
	s_and_b64 s[18:19], vcc, exec
	s_or_b64 s[14:15], s[14:15], s[18:19]
.LBB96_270:
	s_branch .LBB96_272
.LBB96_271:
	s_cmp_lg_u32 s9, 0
	s_mov_b64 s[6:7], -1
	s_cselect_b64 s[16:17], -1, 0
.LBB96_272:
	s_andn2_b64 vcc, exec, s[16:17]
	s_cbranch_vccz .LBB96_281
; %bb.273:
	s_andn2_b64 vcc, exec, s[6:7]
	s_cbranch_vccnz .LBB96_275
.LBB96_274:
	s_waitcnt vmcnt(0)
	v_cmp_le_f32_e32 vcc, s10, v5
	s_andn2_b64 s[6:7], s[14:15], exec
	s_and_b64 s[14:15], vcc, exec
	s_or_b64 s[14:15], s[6:7], s[14:15]
.LBB96_275:
	v_cndmask_b32_e64 v3, 0, 1, s[14:15]
.LBB96_276:
	s_or_b64 exec, exec, s[4:5]
	s_waitcnt vmcnt(0)
	v_or_b32_e32 v5, 0x100, v0
	v_cmp_gt_i32_e32 vcc, s8, v5
                                        ; implicit-def: $vgpr7
	s_and_saveexec_b64 s[4:5], vcc
	s_cbranch_execz .LBB96_291
; %bb.277:
	s_cmp_lt_i32 s9, 1
	s_mov_b64 s[6:7], 0
	s_cbranch_scc1 .LBB96_282
; %bb.278:
	s_cmp_gt_i32 s9, 1
	s_cbranch_scc0 .LBB96_283
; %bb.279:
	s_cmp_eq_u32 s9, 2
	s_cbranch_scc0 .LBB96_535
; %bb.280:
	v_cmp_ge_f32_e64 s[14:15], s10, v9
	s_mov_b64 s[16:17], 0
	s_branch .LBB96_285
.LBB96_281:
	s_waitcnt vmcnt(0)
	v_cmp_gt_f32_e32 vcc, s10, v5
	s_andn2_b64 s[14:15], s[14:15], exec
	s_and_b64 s[16:17], vcc, exec
	s_or_b64 s[14:15], s[14:15], s[16:17]
	s_cbranch_execz .LBB96_274
	s_branch .LBB96_275
.LBB96_282:
                                        ; implicit-def: $sgpr14_sgpr15
	s_mov_b64 s[16:17], 0
	s_cbranch_execnz .LBB96_286
	s_branch .LBB96_287
.LBB96_283:
	s_mov_b64 s[16:17], 0
                                        ; implicit-def: $sgpr14_sgpr15
	s_cbranch_execz .LBB96_285
; %bb.284:
	v_cmp_lt_f32_e32 vcc, s10, v9
	s_andn2_b64 s[14:15], s[14:15], exec
	s_and_b64 s[18:19], vcc, exec
	s_or_b64 s[14:15], s[14:15], s[18:19]
.LBB96_285:
	s_branch .LBB96_287
.LBB96_286:
	s_cmp_lg_u32 s9, 0
	s_mov_b64 s[6:7], -1
	s_cselect_b64 s[16:17], -1, 0
.LBB96_287:
	s_andn2_b64 vcc, exec, s[16:17]
	s_cbranch_vccz .LBB96_296
; %bb.288:
	s_andn2_b64 vcc, exec, s[6:7]
	s_cbranch_vccnz .LBB96_290
.LBB96_289:
	v_cmp_le_f32_e32 vcc, s10, v9
	s_andn2_b64 s[6:7], s[14:15], exec
	s_and_b64 s[14:15], vcc, exec
	s_or_b64 s[14:15], s[6:7], s[14:15]
.LBB96_290:
	v_cndmask_b32_e64 v7, 0, 1, s[14:15]
.LBB96_291:
	s_or_b64 exec, exec, s[4:5]
	v_or_b32_e32 v9, 0x200, v0
	v_cmp_gt_i32_e32 vcc, s8, v9
                                        ; implicit-def: $vgpr9
	s_and_saveexec_b64 s[4:5], vcc
	s_cbranch_execz .LBB96_306
; %bb.292:
	s_cmp_lt_i32 s9, 1
	s_mov_b64 s[6:7], 0
	s_cbranch_scc1 .LBB96_297
; %bb.293:
	s_cmp_gt_i32 s9, 1
	s_cbranch_scc0 .LBB96_298
; %bb.294:
	s_cmp_eq_u32 s9, 2
	s_cbranch_scc0 .LBB96_536
; %bb.295:
	v_cmp_ge_f32_e64 s[14:15], s10, v11
	s_mov_b64 s[16:17], 0
	s_branch .LBB96_300
.LBB96_296:
	v_cmp_gt_f32_e32 vcc, s10, v9
	s_andn2_b64 s[14:15], s[14:15], exec
	s_and_b64 s[16:17], vcc, exec
	s_or_b64 s[14:15], s[14:15], s[16:17]
	s_cbranch_execz .LBB96_289
	s_branch .LBB96_290
.LBB96_297:
                                        ; implicit-def: $sgpr14_sgpr15
	s_mov_b64 s[16:17], 0
	s_cbranch_execnz .LBB96_301
	s_branch .LBB96_302
.LBB96_298:
	s_mov_b64 s[16:17], 0
                                        ; implicit-def: $sgpr14_sgpr15
	s_cbranch_execz .LBB96_300
; %bb.299:
	v_cmp_lt_f32_e32 vcc, s10, v11
	s_andn2_b64 s[14:15], s[14:15], exec
	s_and_b64 s[18:19], vcc, exec
	s_or_b64 s[14:15], s[14:15], s[18:19]
.LBB96_300:
	s_branch .LBB96_302
.LBB96_301:
	s_cmp_lg_u32 s9, 0
	s_mov_b64 s[6:7], -1
	s_cselect_b64 s[16:17], -1, 0
.LBB96_302:
	s_andn2_b64 vcc, exec, s[16:17]
	s_cbranch_vccz .LBB96_311
; %bb.303:
	s_andn2_b64 vcc, exec, s[6:7]
	s_cbranch_vccnz .LBB96_305
.LBB96_304:
	v_cmp_le_f32_e32 vcc, s10, v11
	s_andn2_b64 s[6:7], s[14:15], exec
	s_and_b64 s[14:15], vcc, exec
	s_or_b64 s[14:15], s[6:7], s[14:15]
.LBB96_305:
	v_cndmask_b32_e64 v9, 0, 1, s[14:15]
.LBB96_306:
	s_or_b64 exec, exec, s[4:5]
	v_or_b32_e32 v11, 0x300, v0
	v_cmp_gt_i32_e32 vcc, s8, v11
                                        ; implicit-def: $vgpr11
	s_and_saveexec_b64 s[4:5], vcc
	s_cbranch_execz .LBB96_321
; %bb.307:
	s_cmp_lt_i32 s9, 1
	s_mov_b64 s[6:7], 0
	s_cbranch_scc1 .LBB96_312
; %bb.308:
	s_cmp_gt_i32 s9, 1
	s_cbranch_scc0 .LBB96_313
; %bb.309:
	s_cmp_eq_u32 s9, 2
	s_cbranch_scc0 .LBB96_537
; %bb.310:
	v_cmp_ge_f32_e64 s[14:15], s10, v13
	s_mov_b64 s[16:17], 0
	s_branch .LBB96_315
.LBB96_311:
	v_cmp_gt_f32_e32 vcc, s10, v11
	s_andn2_b64 s[14:15], s[14:15], exec
	s_and_b64 s[16:17], vcc, exec
	s_or_b64 s[14:15], s[14:15], s[16:17]
	s_cbranch_execz .LBB96_304
	s_branch .LBB96_305
.LBB96_312:
                                        ; implicit-def: $sgpr14_sgpr15
	s_mov_b64 s[16:17], 0
	s_cbranch_execnz .LBB96_316
	s_branch .LBB96_317
.LBB96_313:
	s_mov_b64 s[16:17], 0
                                        ; implicit-def: $sgpr14_sgpr15
	s_cbranch_execz .LBB96_315
; %bb.314:
	v_cmp_lt_f32_e32 vcc, s10, v13
	s_andn2_b64 s[14:15], s[14:15], exec
	s_and_b64 s[18:19], vcc, exec
	s_or_b64 s[14:15], s[14:15], s[18:19]
.LBB96_315:
	s_branch .LBB96_317
.LBB96_316:
	s_cmp_lg_u32 s9, 0
	s_mov_b64 s[6:7], -1
	s_cselect_b64 s[16:17], -1, 0
.LBB96_317:
	s_andn2_b64 vcc, exec, s[16:17]
	s_cbranch_vccz .LBB96_326
; %bb.318:
	s_andn2_b64 vcc, exec, s[6:7]
	s_cbranch_vccnz .LBB96_320
.LBB96_319:
	v_cmp_le_f32_e32 vcc, s10, v13
	s_andn2_b64 s[6:7], s[14:15], exec
	s_and_b64 s[14:15], vcc, exec
	s_or_b64 s[14:15], s[6:7], s[14:15]
.LBB96_320:
	v_cndmask_b32_e64 v11, 0, 1, s[14:15]
.LBB96_321:
	s_or_b64 exec, exec, s[4:5]
	v_or_b32_e32 v13, 0x400, v0
	v_cmp_gt_i32_e32 vcc, s8, v13
                                        ; implicit-def: $vgpr13
	s_and_saveexec_b64 s[4:5], vcc
	s_cbranch_execz .LBB96_336
; %bb.322:
	s_cmp_lt_i32 s9, 1
	s_mov_b64 s[6:7], 0
	s_cbranch_scc1 .LBB96_327
; %bb.323:
	s_cmp_gt_i32 s9, 1
	s_cbranch_scc0 .LBB96_328
; %bb.324:
	s_cmp_eq_u32 s9, 2
	s_cbranch_scc0 .LBB96_538
; %bb.325:
	v_cmp_ge_f32_e64 s[14:15], s10, v15
	s_mov_b64 s[16:17], 0
	s_branch .LBB96_330
.LBB96_326:
	v_cmp_gt_f32_e32 vcc, s10, v13
	s_andn2_b64 s[14:15], s[14:15], exec
	s_and_b64 s[16:17], vcc, exec
	s_or_b64 s[14:15], s[14:15], s[16:17]
	s_cbranch_execz .LBB96_319
	s_branch .LBB96_320
.LBB96_327:
                                        ; implicit-def: $sgpr14_sgpr15
	s_mov_b64 s[16:17], 0
	s_cbranch_execnz .LBB96_331
	s_branch .LBB96_332
.LBB96_328:
	s_mov_b64 s[16:17], 0
                                        ; implicit-def: $sgpr14_sgpr15
	s_cbranch_execz .LBB96_330
; %bb.329:
	v_cmp_lt_f32_e32 vcc, s10, v15
	s_andn2_b64 s[14:15], s[14:15], exec
	s_and_b64 s[18:19], vcc, exec
	s_or_b64 s[14:15], s[14:15], s[18:19]
.LBB96_330:
	s_branch .LBB96_332
.LBB96_331:
	s_cmp_lg_u32 s9, 0
	s_mov_b64 s[6:7], -1
	s_cselect_b64 s[16:17], -1, 0
.LBB96_332:
	s_andn2_b64 vcc, exec, s[16:17]
	s_cbranch_vccz .LBB96_341
; %bb.333:
	s_andn2_b64 vcc, exec, s[6:7]
	s_cbranch_vccnz .LBB96_335
.LBB96_334:
	v_cmp_le_f32_e32 vcc, s10, v15
	s_andn2_b64 s[6:7], s[14:15], exec
	s_and_b64 s[14:15], vcc, exec
	s_or_b64 s[14:15], s[6:7], s[14:15]
.LBB96_335:
	v_cndmask_b32_e64 v13, 0, 1, s[14:15]
.LBB96_336:
	s_or_b64 exec, exec, s[4:5]
	v_or_b32_e32 v15, 0x500, v0
	v_cmp_gt_i32_e32 vcc, s8, v15
                                        ; implicit-def: $vgpr15
	s_and_saveexec_b64 s[4:5], vcc
	s_cbranch_execz .LBB96_351
; %bb.337:
	s_cmp_lt_i32 s9, 1
	s_mov_b64 s[6:7], 0
	s_cbranch_scc1 .LBB96_342
; %bb.338:
	s_cmp_gt_i32 s9, 1
	s_cbranch_scc0 .LBB96_343
; %bb.339:
	s_cmp_eq_u32 s9, 2
	s_cbranch_scc0 .LBB96_539
; %bb.340:
	v_cmp_ge_f32_e64 s[14:15], s10, v18
	s_mov_b64 s[16:17], 0
	s_branch .LBB96_345
.LBB96_341:
	v_cmp_gt_f32_e32 vcc, s10, v15
	s_andn2_b64 s[14:15], s[14:15], exec
	s_and_b64 s[16:17], vcc, exec
	s_or_b64 s[14:15], s[14:15], s[16:17]
	s_cbranch_execz .LBB96_334
	s_branch .LBB96_335
.LBB96_342:
                                        ; implicit-def: $sgpr14_sgpr15
	s_mov_b64 s[16:17], 0
	s_cbranch_execnz .LBB96_346
	s_branch .LBB96_347
.LBB96_343:
	s_mov_b64 s[16:17], 0
                                        ; implicit-def: $sgpr14_sgpr15
	s_cbranch_execz .LBB96_345
; %bb.344:
	v_cmp_lt_f32_e32 vcc, s10, v18
	s_andn2_b64 s[14:15], s[14:15], exec
	s_and_b64 s[18:19], vcc, exec
	s_or_b64 s[14:15], s[14:15], s[18:19]
.LBB96_345:
	s_branch .LBB96_347
.LBB96_346:
	s_cmp_lg_u32 s9, 0
	s_mov_b64 s[6:7], -1
	s_cselect_b64 s[16:17], -1, 0
.LBB96_347:
	s_andn2_b64 vcc, exec, s[16:17]
	s_cbranch_vccz .LBB96_356
; %bb.348:
	s_andn2_b64 vcc, exec, s[6:7]
	s_cbranch_vccnz .LBB96_350
.LBB96_349:
	v_cmp_le_f32_e32 vcc, s10, v18
	s_andn2_b64 s[6:7], s[14:15], exec
	s_and_b64 s[14:15], vcc, exec
	s_or_b64 s[14:15], s[6:7], s[14:15]
.LBB96_350:
	v_cndmask_b32_e64 v15, 0, 1, s[14:15]
.LBB96_351:
	s_or_b64 exec, exec, s[4:5]
	v_or_b32_e32 v18, 0x600, v0
	v_cmp_gt_i32_e32 vcc, s8, v18
                                        ; implicit-def: $vgpr18
	s_and_saveexec_b64 s[4:5], vcc
	s_cbranch_execz .LBB96_366
; %bb.352:
	s_cmp_lt_i32 s9, 1
	s_mov_b64 s[6:7], 0
	s_cbranch_scc1 .LBB96_357
; %bb.353:
	s_cmp_gt_i32 s9, 1
	s_cbranch_scc0 .LBB96_358
; %bb.354:
	s_cmp_eq_u32 s9, 2
	s_cbranch_scc0 .LBB96_540
; %bb.355:
	v_cmp_ge_f32_e64 s[14:15], s10, v19
	s_mov_b64 s[16:17], 0
	s_branch .LBB96_360
.LBB96_356:
	v_cmp_gt_f32_e32 vcc, s10, v18
	s_andn2_b64 s[14:15], s[14:15], exec
	s_and_b64 s[16:17], vcc, exec
	s_or_b64 s[14:15], s[14:15], s[16:17]
	s_cbranch_execz .LBB96_349
	s_branch .LBB96_350
.LBB96_357:
                                        ; implicit-def: $sgpr14_sgpr15
	s_mov_b64 s[16:17], 0
	s_cbranch_execnz .LBB96_361
	s_branch .LBB96_362
.LBB96_358:
	s_mov_b64 s[16:17], 0
                                        ; implicit-def: $sgpr14_sgpr15
	s_cbranch_execz .LBB96_360
; %bb.359:
	v_cmp_lt_f32_e32 vcc, s10, v19
	s_andn2_b64 s[14:15], s[14:15], exec
	s_and_b64 s[18:19], vcc, exec
	s_or_b64 s[14:15], s[14:15], s[18:19]
.LBB96_360:
	s_branch .LBB96_362
.LBB96_361:
	s_cmp_lg_u32 s9, 0
	s_mov_b64 s[6:7], -1
	s_cselect_b64 s[16:17], -1, 0
.LBB96_362:
	s_andn2_b64 vcc, exec, s[16:17]
	s_cbranch_vccz .LBB96_371
; %bb.363:
	s_andn2_b64 vcc, exec, s[6:7]
	s_cbranch_vccnz .LBB96_365
.LBB96_364:
	v_cmp_le_f32_e32 vcc, s10, v19
	s_andn2_b64 s[6:7], s[14:15], exec
	s_and_b64 s[14:15], vcc, exec
	s_or_b64 s[14:15], s[6:7], s[14:15]
.LBB96_365:
	v_cndmask_b32_e64 v18, 0, 1, s[14:15]
.LBB96_366:
	s_or_b64 exec, exec, s[4:5]
	v_or_b32_e32 v19, 0x700, v0
	v_cmp_gt_i32_e32 vcc, s8, v19
                                        ; implicit-def: $vgpr19
	s_and_saveexec_b64 s[4:5], vcc
	s_cbranch_execz .LBB96_381
; %bb.367:
	s_cmp_lt_i32 s9, 1
	s_mov_b64 s[6:7], 0
	s_cbranch_scc1 .LBB96_372
; %bb.368:
	s_cmp_gt_i32 s9, 1
	s_cbranch_scc0 .LBB96_373
; %bb.369:
	s_cmp_eq_u32 s9, 2
	s_cbranch_scc0 .LBB96_541
; %bb.370:
	v_cmp_ge_f32_e64 s[14:15], s10, v17
	s_mov_b64 s[16:17], 0
	s_branch .LBB96_375
.LBB96_371:
	v_cmp_gt_f32_e32 vcc, s10, v19
	s_andn2_b64 s[14:15], s[14:15], exec
	s_and_b64 s[16:17], vcc, exec
	s_or_b64 s[14:15], s[14:15], s[16:17]
	s_cbranch_execz .LBB96_364
	s_branch .LBB96_365
.LBB96_372:
                                        ; implicit-def: $sgpr14_sgpr15
	s_mov_b64 s[16:17], 0
	s_cbranch_execnz .LBB96_376
	s_branch .LBB96_377
.LBB96_373:
	s_mov_b64 s[16:17], 0
                                        ; implicit-def: $sgpr14_sgpr15
	s_cbranch_execz .LBB96_375
; %bb.374:
	v_cmp_lt_f32_e32 vcc, s10, v17
	s_andn2_b64 s[14:15], s[14:15], exec
	s_and_b64 s[18:19], vcc, exec
	s_or_b64 s[14:15], s[14:15], s[18:19]
.LBB96_375:
	s_branch .LBB96_377
.LBB96_376:
	s_cmp_lg_u32 s9, 0
	s_mov_b64 s[6:7], -1
	s_cselect_b64 s[16:17], -1, 0
.LBB96_377:
	s_andn2_b64 vcc, exec, s[16:17]
	s_cbranch_vccz .LBB96_386
; %bb.378:
	s_andn2_b64 vcc, exec, s[6:7]
	s_cbranch_vccnz .LBB96_380
.LBB96_379:
	v_cmp_le_f32_e32 vcc, s10, v17
	s_andn2_b64 s[6:7], s[14:15], exec
	s_and_b64 s[14:15], vcc, exec
	s_or_b64 s[14:15], s[6:7], s[14:15]
.LBB96_380:
	v_cndmask_b32_e64 v19, 0, 1, s[14:15]
.LBB96_381:
	s_or_b64 exec, exec, s[4:5]
	v_or_b32_e32 v17, 0x800, v0
	v_cmp_gt_i32_e32 vcc, s8, v17
                                        ; implicit-def: $vgpr17
	s_and_saveexec_b64 s[4:5], vcc
	s_cbranch_execz .LBB96_396
; %bb.382:
	s_cmp_lt_i32 s9, 1
	s_mov_b64 s[6:7], 0
	s_cbranch_scc1 .LBB96_387
; %bb.383:
	s_cmp_gt_i32 s9, 1
	s_cbranch_scc0 .LBB96_388
; %bb.384:
	s_cmp_eq_u32 s9, 2
	s_cbranch_scc0 .LBB96_542
; %bb.385:
	v_cmp_ge_f32_e64 s[14:15], s10, v16
	s_mov_b64 s[16:17], 0
	s_branch .LBB96_390
.LBB96_386:
	v_cmp_gt_f32_e32 vcc, s10, v17
	s_andn2_b64 s[14:15], s[14:15], exec
	s_and_b64 s[16:17], vcc, exec
	s_or_b64 s[14:15], s[14:15], s[16:17]
	s_cbranch_execz .LBB96_379
	s_branch .LBB96_380
.LBB96_387:
                                        ; implicit-def: $sgpr14_sgpr15
	s_mov_b64 s[16:17], 0
	s_cbranch_execnz .LBB96_391
	s_branch .LBB96_392
.LBB96_388:
	s_mov_b64 s[16:17], 0
                                        ; implicit-def: $sgpr14_sgpr15
	s_cbranch_execz .LBB96_390
; %bb.389:
	v_cmp_lt_f32_e32 vcc, s10, v16
	s_andn2_b64 s[14:15], s[14:15], exec
	s_and_b64 s[18:19], vcc, exec
	s_or_b64 s[14:15], s[14:15], s[18:19]
.LBB96_390:
	s_branch .LBB96_392
.LBB96_391:
	s_cmp_lg_u32 s9, 0
	s_mov_b64 s[6:7], -1
	s_cselect_b64 s[16:17], -1, 0
.LBB96_392:
	s_andn2_b64 vcc, exec, s[16:17]
	s_cbranch_vccz .LBB96_401
; %bb.393:
	s_andn2_b64 vcc, exec, s[6:7]
	s_cbranch_vccnz .LBB96_395
.LBB96_394:
	v_cmp_le_f32_e32 vcc, s10, v16
	s_andn2_b64 s[6:7], s[14:15], exec
	s_and_b64 s[14:15], vcc, exec
	s_or_b64 s[14:15], s[6:7], s[14:15]
.LBB96_395:
	v_cndmask_b32_e64 v17, 0, 1, s[14:15]
.LBB96_396:
	s_or_b64 exec, exec, s[4:5]
	v_or_b32_e32 v16, 0x900, v0
	v_cmp_gt_i32_e32 vcc, s8, v16
                                        ; implicit-def: $vgpr16
	s_and_saveexec_b64 s[4:5], vcc
	s_cbranch_execz .LBB96_411
; %bb.397:
	s_cmp_lt_i32 s9, 1
	s_mov_b64 s[6:7], 0
	s_cbranch_scc1 .LBB96_402
; %bb.398:
	s_cmp_gt_i32 s9, 1
	s_cbranch_scc0 .LBB96_403
; %bb.399:
	s_cmp_eq_u32 s9, 2
	s_cbranch_scc0 .LBB96_543
; %bb.400:
	v_cmp_ge_f32_e64 s[14:15], s10, v14
	s_mov_b64 s[16:17], 0
	s_branch .LBB96_405
.LBB96_401:
	v_cmp_gt_f32_e32 vcc, s10, v16
	s_andn2_b64 s[14:15], s[14:15], exec
	s_and_b64 s[16:17], vcc, exec
	s_or_b64 s[14:15], s[14:15], s[16:17]
	s_cbranch_execz .LBB96_394
	s_branch .LBB96_395
.LBB96_402:
                                        ; implicit-def: $sgpr14_sgpr15
	s_mov_b64 s[16:17], 0
	s_cbranch_execnz .LBB96_406
	s_branch .LBB96_407
.LBB96_403:
	s_mov_b64 s[16:17], 0
                                        ; implicit-def: $sgpr14_sgpr15
	s_cbranch_execz .LBB96_405
; %bb.404:
	v_cmp_lt_f32_e32 vcc, s10, v14
	s_andn2_b64 s[14:15], s[14:15], exec
	s_and_b64 s[18:19], vcc, exec
	s_or_b64 s[14:15], s[14:15], s[18:19]
.LBB96_405:
	s_branch .LBB96_407
.LBB96_406:
	s_cmp_lg_u32 s9, 0
	s_mov_b64 s[6:7], -1
	s_cselect_b64 s[16:17], -1, 0
.LBB96_407:
	s_andn2_b64 vcc, exec, s[16:17]
	s_cbranch_vccz .LBB96_416
; %bb.408:
	s_andn2_b64 vcc, exec, s[6:7]
	s_cbranch_vccnz .LBB96_410
.LBB96_409:
	v_cmp_le_f32_e32 vcc, s10, v14
	s_andn2_b64 s[6:7], s[14:15], exec
	s_and_b64 s[14:15], vcc, exec
	s_or_b64 s[14:15], s[6:7], s[14:15]
.LBB96_410:
	v_cndmask_b32_e64 v16, 0, 1, s[14:15]
.LBB96_411:
	s_or_b64 exec, exec, s[4:5]
	v_or_b32_e32 v14, 0xa00, v0
	v_cmp_gt_i32_e32 vcc, s8, v14
                                        ; implicit-def: $vgpr14
	s_and_saveexec_b64 s[4:5], vcc
	s_cbranch_execz .LBB96_426
; %bb.412:
	s_cmp_lt_i32 s9, 1
	s_mov_b64 s[6:7], 0
	s_cbranch_scc1 .LBB96_417
; %bb.413:
	s_cmp_gt_i32 s9, 1
	s_cbranch_scc0 .LBB96_418
; %bb.414:
	s_cmp_eq_u32 s9, 2
	s_cbranch_scc0 .LBB96_544
; %bb.415:
	v_cmp_ge_f32_e64 s[14:15], s10, v12
	s_mov_b64 s[16:17], 0
	s_branch .LBB96_420
.LBB96_416:
	v_cmp_gt_f32_e32 vcc, s10, v14
	s_andn2_b64 s[14:15], s[14:15], exec
	s_and_b64 s[16:17], vcc, exec
	s_or_b64 s[14:15], s[14:15], s[16:17]
	s_cbranch_execz .LBB96_409
	s_branch .LBB96_410
.LBB96_417:
                                        ; implicit-def: $sgpr14_sgpr15
	s_mov_b64 s[16:17], 0
	s_cbranch_execnz .LBB96_421
	s_branch .LBB96_422
.LBB96_418:
	s_mov_b64 s[16:17], 0
                                        ; implicit-def: $sgpr14_sgpr15
	s_cbranch_execz .LBB96_420
; %bb.419:
	v_cmp_lt_f32_e32 vcc, s10, v12
	s_andn2_b64 s[14:15], s[14:15], exec
	s_and_b64 s[18:19], vcc, exec
	s_or_b64 s[14:15], s[14:15], s[18:19]
.LBB96_420:
	s_branch .LBB96_422
.LBB96_421:
	s_cmp_lg_u32 s9, 0
	s_mov_b64 s[6:7], -1
	s_cselect_b64 s[16:17], -1, 0
.LBB96_422:
	s_andn2_b64 vcc, exec, s[16:17]
	s_cbranch_vccz .LBB96_431
; %bb.423:
	s_andn2_b64 vcc, exec, s[6:7]
	s_cbranch_vccnz .LBB96_425
.LBB96_424:
	v_cmp_le_f32_e32 vcc, s10, v12
	s_andn2_b64 s[6:7], s[14:15], exec
	s_and_b64 s[14:15], vcc, exec
	s_or_b64 s[14:15], s[6:7], s[14:15]
.LBB96_425:
	v_cndmask_b32_e64 v14, 0, 1, s[14:15]
.LBB96_426:
	s_or_b64 exec, exec, s[4:5]
	v_or_b32_e32 v12, 0xb00, v0
	v_cmp_gt_i32_e32 vcc, s8, v12
                                        ; implicit-def: $vgpr12
	s_and_saveexec_b64 s[4:5], vcc
	s_cbranch_execz .LBB96_441
; %bb.427:
	s_cmp_lt_i32 s9, 1
	s_mov_b64 s[6:7], 0
	s_cbranch_scc1 .LBB96_432
; %bb.428:
	s_cmp_gt_i32 s9, 1
	s_cbranch_scc0 .LBB96_433
; %bb.429:
	s_cmp_eq_u32 s9, 2
	s_cbranch_scc0 .LBB96_545
; %bb.430:
	v_cmp_ge_f32_e64 s[14:15], s10, v10
	s_mov_b64 s[16:17], 0
	s_branch .LBB96_435
.LBB96_431:
	v_cmp_gt_f32_e32 vcc, s10, v12
	s_andn2_b64 s[14:15], s[14:15], exec
	s_and_b64 s[16:17], vcc, exec
	s_or_b64 s[14:15], s[14:15], s[16:17]
	s_cbranch_execz .LBB96_424
	s_branch .LBB96_425
.LBB96_432:
                                        ; implicit-def: $sgpr14_sgpr15
	s_mov_b64 s[16:17], 0
	s_cbranch_execnz .LBB96_436
	s_branch .LBB96_437
.LBB96_433:
	s_mov_b64 s[16:17], 0
                                        ; implicit-def: $sgpr14_sgpr15
	s_cbranch_execz .LBB96_435
; %bb.434:
	v_cmp_lt_f32_e32 vcc, s10, v10
	s_andn2_b64 s[14:15], s[14:15], exec
	s_and_b64 s[18:19], vcc, exec
	s_or_b64 s[14:15], s[14:15], s[18:19]
.LBB96_435:
	s_branch .LBB96_437
.LBB96_436:
	s_cmp_lg_u32 s9, 0
	s_mov_b64 s[6:7], -1
	s_cselect_b64 s[16:17], -1, 0
.LBB96_437:
	s_andn2_b64 vcc, exec, s[16:17]
	s_cbranch_vccz .LBB96_446
; %bb.438:
	s_andn2_b64 vcc, exec, s[6:7]
	s_cbranch_vccnz .LBB96_440
.LBB96_439:
	v_cmp_le_f32_e32 vcc, s10, v10
	s_andn2_b64 s[6:7], s[14:15], exec
	s_and_b64 s[14:15], vcc, exec
	s_or_b64 s[14:15], s[6:7], s[14:15]
.LBB96_440:
	v_cndmask_b32_e64 v12, 0, 1, s[14:15]
.LBB96_441:
	s_or_b64 exec, exec, s[4:5]
	v_or_b32_e32 v10, 0xc00, v0
	v_cmp_gt_i32_e32 vcc, s8, v10
                                        ; implicit-def: $vgpr10
	s_and_saveexec_b64 s[4:5], vcc
	s_cbranch_execz .LBB96_456
; %bb.442:
	s_cmp_lt_i32 s9, 1
	s_mov_b64 s[6:7], 0
	s_cbranch_scc1 .LBB96_447
; %bb.443:
	s_cmp_gt_i32 s9, 1
	s_cbranch_scc0 .LBB96_448
; %bb.444:
	s_cmp_eq_u32 s9, 2
	s_cbranch_scc0 .LBB96_546
; %bb.445:
	v_cmp_ge_f32_e64 s[14:15], s10, v8
	s_mov_b64 s[16:17], 0
	s_branch .LBB96_450
.LBB96_446:
	v_cmp_gt_f32_e32 vcc, s10, v10
	s_andn2_b64 s[14:15], s[14:15], exec
	s_and_b64 s[16:17], vcc, exec
	s_or_b64 s[14:15], s[14:15], s[16:17]
	s_cbranch_execz .LBB96_439
	s_branch .LBB96_440
.LBB96_447:
                                        ; implicit-def: $sgpr14_sgpr15
	s_mov_b64 s[16:17], 0
	s_cbranch_execnz .LBB96_451
	s_branch .LBB96_452
.LBB96_448:
	s_mov_b64 s[16:17], 0
                                        ; implicit-def: $sgpr14_sgpr15
	s_cbranch_execz .LBB96_450
; %bb.449:
	v_cmp_lt_f32_e32 vcc, s10, v8
	s_andn2_b64 s[14:15], s[14:15], exec
	s_and_b64 s[18:19], vcc, exec
	s_or_b64 s[14:15], s[14:15], s[18:19]
.LBB96_450:
	s_branch .LBB96_452
.LBB96_451:
	s_cmp_lg_u32 s9, 0
	s_mov_b64 s[6:7], -1
	s_cselect_b64 s[16:17], -1, 0
.LBB96_452:
	s_andn2_b64 vcc, exec, s[16:17]
	s_cbranch_vccz .LBB96_461
; %bb.453:
	s_andn2_b64 vcc, exec, s[6:7]
	s_cbranch_vccnz .LBB96_455
.LBB96_454:
	v_cmp_le_f32_e32 vcc, s10, v8
	s_andn2_b64 s[6:7], s[14:15], exec
	s_and_b64 s[14:15], vcc, exec
	s_or_b64 s[14:15], s[6:7], s[14:15]
.LBB96_455:
	v_cndmask_b32_e64 v10, 0, 1, s[14:15]
.LBB96_456:
	s_or_b64 exec, exec, s[4:5]
	v_or_b32_e32 v8, 0xd00, v0
	v_cmp_gt_i32_e32 vcc, s8, v8
                                        ; implicit-def: $vgpr8
	s_and_saveexec_b64 s[4:5], vcc
	s_cbranch_execz .LBB96_471
; %bb.457:
	s_cmp_lt_i32 s9, 1
	s_mov_b64 s[6:7], 0
	s_cbranch_scc1 .LBB96_462
; %bb.458:
	s_cmp_gt_i32 s9, 1
	s_cbranch_scc0 .LBB96_463
; %bb.459:
	s_cmp_eq_u32 s9, 2
	s_cbranch_scc0 .LBB96_547
; %bb.460:
	v_cmp_ge_f32_e64 s[14:15], s10, v6
	s_mov_b64 s[16:17], 0
	s_branch .LBB96_465
.LBB96_461:
	v_cmp_gt_f32_e32 vcc, s10, v8
	s_andn2_b64 s[14:15], s[14:15], exec
	s_and_b64 s[16:17], vcc, exec
	s_or_b64 s[14:15], s[14:15], s[16:17]
	s_cbranch_execz .LBB96_454
	s_branch .LBB96_455
.LBB96_462:
                                        ; implicit-def: $sgpr14_sgpr15
	s_mov_b64 s[16:17], 0
	s_cbranch_execnz .LBB96_466
	s_branch .LBB96_467
.LBB96_463:
	s_mov_b64 s[16:17], 0
                                        ; implicit-def: $sgpr14_sgpr15
	s_cbranch_execz .LBB96_465
; %bb.464:
	v_cmp_lt_f32_e32 vcc, s10, v6
	s_andn2_b64 s[14:15], s[14:15], exec
	s_and_b64 s[18:19], vcc, exec
	s_or_b64 s[14:15], s[14:15], s[18:19]
.LBB96_465:
	s_branch .LBB96_467
.LBB96_466:
	s_cmp_lg_u32 s9, 0
	s_mov_b64 s[6:7], -1
	s_cselect_b64 s[16:17], -1, 0
.LBB96_467:
	s_andn2_b64 vcc, exec, s[16:17]
	s_cbranch_vccz .LBB96_476
; %bb.468:
	s_andn2_b64 vcc, exec, s[6:7]
	s_cbranch_vccnz .LBB96_470
.LBB96_469:
	v_cmp_le_f32_e32 vcc, s10, v6
	s_andn2_b64 s[6:7], s[14:15], exec
	s_and_b64 s[14:15], vcc, exec
	s_or_b64 s[14:15], s[6:7], s[14:15]
.LBB96_470:
	v_cndmask_b32_e64 v8, 0, 1, s[14:15]
.LBB96_471:
	s_or_b64 exec, exec, s[4:5]
	v_or_b32_e32 v6, 0xe00, v0
	v_cmp_gt_i32_e32 vcc, s8, v6
                                        ; implicit-def: $vgpr6
	s_and_saveexec_b64 s[4:5], vcc
	s_cbranch_execz .LBB96_486
; %bb.472:
	s_cmp_lt_i32 s9, 1
	s_mov_b64 s[6:7], 0
	s_cbranch_scc1 .LBB96_477
; %bb.473:
	s_cmp_gt_i32 s9, 1
	s_cbranch_scc0 .LBB96_478
; %bb.474:
	s_cmp_eq_u32 s9, 2
	s_cbranch_scc0 .LBB96_548
; %bb.475:
	v_cmp_ge_f32_e64 s[14:15], s10, v4
	s_mov_b64 s[16:17], 0
	s_branch .LBB96_480
.LBB96_476:
	v_cmp_gt_f32_e32 vcc, s10, v6
	s_andn2_b64 s[14:15], s[14:15], exec
	s_and_b64 s[16:17], vcc, exec
	s_or_b64 s[14:15], s[14:15], s[16:17]
	s_cbranch_execz .LBB96_469
	s_branch .LBB96_470
.LBB96_477:
                                        ; implicit-def: $sgpr14_sgpr15
	s_mov_b64 s[16:17], 0
	s_cbranch_execnz .LBB96_481
	s_branch .LBB96_482
.LBB96_478:
	s_mov_b64 s[16:17], 0
                                        ; implicit-def: $sgpr14_sgpr15
	s_cbranch_execz .LBB96_480
; %bb.479:
	v_cmp_lt_f32_e32 vcc, s10, v4
	s_andn2_b64 s[14:15], s[14:15], exec
	s_and_b64 s[18:19], vcc, exec
	s_or_b64 s[14:15], s[14:15], s[18:19]
.LBB96_480:
	s_branch .LBB96_482
.LBB96_481:
	s_cmp_lg_u32 s9, 0
	s_mov_b64 s[6:7], -1
	s_cselect_b64 s[16:17], -1, 0
.LBB96_482:
	s_andn2_b64 vcc, exec, s[16:17]
	s_cbranch_vccz .LBB96_491
; %bb.483:
	s_andn2_b64 vcc, exec, s[6:7]
	s_cbranch_vccnz .LBB96_485
.LBB96_484:
	v_cmp_le_f32_e32 vcc, s10, v4
	s_andn2_b64 s[6:7], s[14:15], exec
	s_and_b64 s[14:15], vcc, exec
	s_or_b64 s[14:15], s[6:7], s[14:15]
.LBB96_485:
	v_cndmask_b32_e64 v6, 0, 1, s[14:15]
.LBB96_486:
	s_or_b64 exec, exec, s[4:5]
	v_or_b32_e32 v4, 0xf00, v0
	v_cmp_gt_i32_e32 vcc, s8, v4
                                        ; implicit-def: $vgpr4
	s_and_saveexec_b64 s[4:5], vcc
	s_cbranch_execz .LBB96_501
; %bb.487:
	s_cmp_lt_i32 s9, 1
	s_mov_b64 s[6:7], 0
	s_cbranch_scc1 .LBB96_492
; %bb.488:
	s_cmp_gt_i32 s9, 1
	s_cbranch_scc0 .LBB96_493
; %bb.489:
	s_cmp_eq_u32 s9, 2
	s_cbranch_scc0 .LBB96_549
; %bb.490:
	v_cmp_ge_f32_e64 s[14:15], s10, v2
	s_mov_b64 s[16:17], 0
	s_branch .LBB96_495
.LBB96_491:
	v_cmp_gt_f32_e32 vcc, s10, v4
	s_andn2_b64 s[14:15], s[14:15], exec
	s_and_b64 s[16:17], vcc, exec
	s_or_b64 s[14:15], s[14:15], s[16:17]
	s_cbranch_execz .LBB96_484
	s_branch .LBB96_485
.LBB96_492:
                                        ; implicit-def: $sgpr14_sgpr15
	s_mov_b64 s[16:17], 0
	s_cbranch_execnz .LBB96_496
	s_branch .LBB96_497
.LBB96_493:
	s_mov_b64 s[16:17], 0
                                        ; implicit-def: $sgpr14_sgpr15
	s_cbranch_execz .LBB96_495
; %bb.494:
	v_cmp_lt_f32_e32 vcc, s10, v2
	s_andn2_b64 s[14:15], s[14:15], exec
	s_and_b64 s[18:19], vcc, exec
	s_or_b64 s[14:15], s[14:15], s[18:19]
.LBB96_495:
	s_branch .LBB96_497
.LBB96_496:
	s_cmp_lg_u32 s9, 0
	s_mov_b64 s[6:7], -1
	s_cselect_b64 s[16:17], -1, 0
.LBB96_497:
	s_andn2_b64 vcc, exec, s[16:17]
	s_cbranch_vccz .LBB96_534
; %bb.498:
	s_andn2_b64 vcc, exec, s[6:7]
	s_cbranch_vccnz .LBB96_500
.LBB96_499:
	v_cmp_le_f32_e32 vcc, s10, v2
	s_andn2_b64 s[6:7], s[14:15], exec
	s_and_b64 s[10:11], vcc, exec
	s_or_b64 s[14:15], s[6:7], s[10:11]
.LBB96_500:
	v_cndmask_b32_e64 v4, 0, 1, s[14:15]
.LBB96_501:
	s_or_b64 exec, exec, s[4:5]
	s_and_saveexec_b64 s[4:5], s[0:1]
	s_xor_b64 s[0:1], exec, s[4:5]
	s_cbranch_execz .LBB96_503
; %bb.502:
	v_mov_b32_e32 v0, v5
	global_store_byte v1, v3, s[12:13]
.LBB96_503:
	s_or_b64 exec, exec, s[0:1]
	v_cmp_gt_i32_e32 vcc, s8, v0
	s_and_saveexec_b64 s[0:1], vcc
	s_cbranch_execnz .LBB96_520
; %bb.504:
	s_or_b64 exec, exec, s[0:1]
	v_cmp_gt_i32_e32 vcc, s8, v0
	s_and_saveexec_b64 s[0:1], vcc
	s_cbranch_execnz .LBB96_521
.LBB96_505:
	s_or_b64 exec, exec, s[0:1]
	v_cmp_gt_i32_e32 vcc, s8, v0
	s_and_saveexec_b64 s[0:1], vcc
	s_cbranch_execnz .LBB96_522
.LBB96_506:
	s_or_b64 exec, exec, s[0:1]
	v_cmp_gt_i32_e32 vcc, s8, v0
	s_and_saveexec_b64 s[0:1], vcc
	s_cbranch_execnz .LBB96_523
.LBB96_507:
	s_or_b64 exec, exec, s[0:1]
	v_cmp_gt_i32_e32 vcc, s8, v0
	s_and_saveexec_b64 s[0:1], vcc
	s_cbranch_execnz .LBB96_524
.LBB96_508:
	s_or_b64 exec, exec, s[0:1]
	v_cmp_gt_i32_e32 vcc, s8, v0
	s_and_saveexec_b64 s[0:1], vcc
	s_cbranch_execnz .LBB96_525
.LBB96_509:
	s_or_b64 exec, exec, s[0:1]
	v_cmp_gt_i32_e32 vcc, s8, v0
	s_and_saveexec_b64 s[0:1], vcc
	s_cbranch_execnz .LBB96_526
.LBB96_510:
	s_or_b64 exec, exec, s[0:1]
	v_cmp_gt_i32_e32 vcc, s8, v0
	s_and_saveexec_b64 s[0:1], vcc
	s_cbranch_execnz .LBB96_527
.LBB96_511:
	s_or_b64 exec, exec, s[0:1]
	v_cmp_gt_i32_e32 vcc, s8, v0
	s_and_saveexec_b64 s[0:1], vcc
	s_cbranch_execnz .LBB96_528
.LBB96_512:
	s_or_b64 exec, exec, s[0:1]
	v_cmp_gt_i32_e32 vcc, s8, v0
	s_and_saveexec_b64 s[0:1], vcc
	s_cbranch_execnz .LBB96_529
.LBB96_513:
	s_or_b64 exec, exec, s[0:1]
	v_cmp_gt_i32_e32 vcc, s8, v0
	s_and_saveexec_b64 s[0:1], vcc
	s_cbranch_execnz .LBB96_530
.LBB96_514:
	s_or_b64 exec, exec, s[0:1]
	v_cmp_gt_i32_e32 vcc, s8, v0
	s_and_saveexec_b64 s[0:1], vcc
	s_cbranch_execnz .LBB96_531
.LBB96_515:
	s_or_b64 exec, exec, s[0:1]
	v_cmp_gt_i32_e32 vcc, s8, v0
	s_and_saveexec_b64 s[0:1], vcc
	s_cbranch_execnz .LBB96_532
.LBB96_516:
	s_or_b64 exec, exec, s[0:1]
	v_cmp_gt_i32_e32 vcc, s8, v0
	s_and_saveexec_b64 s[0:1], vcc
	s_cbranch_execnz .LBB96_533
.LBB96_517:
	s_or_b64 exec, exec, s[0:1]
	v_cmp_gt_i32_e32 vcc, s8, v0
	s_and_saveexec_b64 s[0:1], vcc
	s_cbranch_execz .LBB96_519
.LBB96_518:
	v_add_u32_e32 v0, s2, v0
	global_store_byte v0, v4, s[12:13]
.LBB96_519:
	s_endpgm
.LBB96_520:
	v_add_u32_e32 v1, s2, v0
	v_add_u32_e32 v0, 0x100, v0
	global_store_byte v1, v7, s[12:13]
	s_or_b64 exec, exec, s[0:1]
	v_cmp_gt_i32_e32 vcc, s8, v0
	s_and_saveexec_b64 s[0:1], vcc
	s_cbranch_execz .LBB96_505
.LBB96_521:
	v_add_u32_e32 v1, s2, v0
	v_add_u32_e32 v0, 0x100, v0
	global_store_byte v1, v9, s[12:13]
	s_or_b64 exec, exec, s[0:1]
	v_cmp_gt_i32_e32 vcc, s8, v0
	s_and_saveexec_b64 s[0:1], vcc
	s_cbranch_execz .LBB96_506
.LBB96_522:
	v_add_u32_e32 v1, s2, v0
	v_add_u32_e32 v0, 0x100, v0
	global_store_byte v1, v11, s[12:13]
	s_or_b64 exec, exec, s[0:1]
	v_cmp_gt_i32_e32 vcc, s8, v0
	s_and_saveexec_b64 s[0:1], vcc
	s_cbranch_execz .LBB96_507
.LBB96_523:
	v_add_u32_e32 v1, s2, v0
	v_add_u32_e32 v0, 0x100, v0
	global_store_byte v1, v13, s[12:13]
	s_or_b64 exec, exec, s[0:1]
	v_cmp_gt_i32_e32 vcc, s8, v0
	s_and_saveexec_b64 s[0:1], vcc
	s_cbranch_execz .LBB96_508
.LBB96_524:
	v_add_u32_e32 v1, s2, v0
	v_add_u32_e32 v0, 0x100, v0
	global_store_byte v1, v15, s[12:13]
	s_or_b64 exec, exec, s[0:1]
	v_cmp_gt_i32_e32 vcc, s8, v0
	s_and_saveexec_b64 s[0:1], vcc
	s_cbranch_execz .LBB96_509
.LBB96_525:
	v_add_u32_e32 v1, s2, v0
	v_add_u32_e32 v0, 0x100, v0
	global_store_byte v1, v18, s[12:13]
	s_or_b64 exec, exec, s[0:1]
	v_cmp_gt_i32_e32 vcc, s8, v0
	s_and_saveexec_b64 s[0:1], vcc
	s_cbranch_execz .LBB96_510
.LBB96_526:
	v_add_u32_e32 v1, s2, v0
	v_add_u32_e32 v0, 0x100, v0
	global_store_byte v1, v19, s[12:13]
	s_or_b64 exec, exec, s[0:1]
	v_cmp_gt_i32_e32 vcc, s8, v0
	s_and_saveexec_b64 s[0:1], vcc
	s_cbranch_execz .LBB96_511
.LBB96_527:
	v_add_u32_e32 v1, s2, v0
	v_add_u32_e32 v0, 0x100, v0
	global_store_byte v1, v17, s[12:13]
	s_or_b64 exec, exec, s[0:1]
	v_cmp_gt_i32_e32 vcc, s8, v0
	s_and_saveexec_b64 s[0:1], vcc
	s_cbranch_execz .LBB96_512
.LBB96_528:
	v_add_u32_e32 v1, s2, v0
	v_add_u32_e32 v0, 0x100, v0
	global_store_byte v1, v16, s[12:13]
	s_or_b64 exec, exec, s[0:1]
	v_cmp_gt_i32_e32 vcc, s8, v0
	s_and_saveexec_b64 s[0:1], vcc
	s_cbranch_execz .LBB96_513
.LBB96_529:
	v_add_u32_e32 v1, s2, v0
	v_add_u32_e32 v0, 0x100, v0
	global_store_byte v1, v14, s[12:13]
	s_or_b64 exec, exec, s[0:1]
	v_cmp_gt_i32_e32 vcc, s8, v0
	s_and_saveexec_b64 s[0:1], vcc
	s_cbranch_execz .LBB96_514
.LBB96_530:
	v_add_u32_e32 v1, s2, v0
	v_add_u32_e32 v0, 0x100, v0
	global_store_byte v1, v12, s[12:13]
	s_or_b64 exec, exec, s[0:1]
	v_cmp_gt_i32_e32 vcc, s8, v0
	s_and_saveexec_b64 s[0:1], vcc
	s_cbranch_execz .LBB96_515
.LBB96_531:
	v_add_u32_e32 v1, s2, v0
	v_add_u32_e32 v0, 0x100, v0
	global_store_byte v1, v10, s[12:13]
	s_or_b64 exec, exec, s[0:1]
	v_cmp_gt_i32_e32 vcc, s8, v0
	s_and_saveexec_b64 s[0:1], vcc
	s_cbranch_execz .LBB96_516
.LBB96_532:
	v_add_u32_e32 v1, s2, v0
	v_add_u32_e32 v0, 0x100, v0
	global_store_byte v1, v8, s[12:13]
	s_or_b64 exec, exec, s[0:1]
	v_cmp_gt_i32_e32 vcc, s8, v0
	s_and_saveexec_b64 s[0:1], vcc
	s_cbranch_execz .LBB96_517
.LBB96_533:
	v_add_u32_e32 v1, s2, v0
	v_add_u32_e32 v0, 0x100, v0
	global_store_byte v1, v6, s[12:13]
	s_or_b64 exec, exec, s[0:1]
	v_cmp_gt_i32_e32 vcc, s8, v0
	s_and_saveexec_b64 s[0:1], vcc
	s_cbranch_execnz .LBB96_518
	s_branch .LBB96_519
.LBB96_534:
	v_cmp_gt_f32_e32 vcc, s10, v2
	s_andn2_b64 s[14:15], s[14:15], exec
	s_and_b64 s[16:17], vcc, exec
	s_or_b64 s[14:15], s[14:15], s[16:17]
	s_cbranch_execz .LBB96_499
	s_branch .LBB96_500
.LBB96_535:
	s_mov_b64 s[16:17], -1
                                        ; implicit-def: $sgpr14_sgpr15
	s_branch .LBB96_285
.LBB96_536:
	s_mov_b64 s[16:17], -1
                                        ; implicit-def: $sgpr14_sgpr15
	s_branch .LBB96_300
.LBB96_537:
	s_mov_b64 s[16:17], -1
                                        ; implicit-def: $sgpr14_sgpr15
	s_branch .LBB96_315
.LBB96_538:
	s_mov_b64 s[16:17], -1
                                        ; implicit-def: $sgpr14_sgpr15
	s_branch .LBB96_330
.LBB96_539:
	s_mov_b64 s[16:17], -1
                                        ; implicit-def: $sgpr14_sgpr15
	s_branch .LBB96_345
.LBB96_540:
	s_mov_b64 s[16:17], -1
                                        ; implicit-def: $sgpr14_sgpr15
	s_branch .LBB96_360
.LBB96_541:
	s_mov_b64 s[16:17], -1
                                        ; implicit-def: $sgpr14_sgpr15
	s_branch .LBB96_375
.LBB96_542:
	s_mov_b64 s[16:17], -1
                                        ; implicit-def: $sgpr14_sgpr15
	s_branch .LBB96_390
.LBB96_543:
	s_mov_b64 s[16:17], -1
                                        ; implicit-def: $sgpr14_sgpr15
	s_branch .LBB96_405
.LBB96_544:
	s_mov_b64 s[16:17], -1
                                        ; implicit-def: $sgpr14_sgpr15
	s_branch .LBB96_420
.LBB96_545:
	s_mov_b64 s[16:17], -1
                                        ; implicit-def: $sgpr14_sgpr15
	s_branch .LBB96_435
.LBB96_546:
	s_mov_b64 s[16:17], -1
                                        ; implicit-def: $sgpr14_sgpr15
	s_branch .LBB96_450
.LBB96_547:
	s_mov_b64 s[16:17], -1
                                        ; implicit-def: $sgpr14_sgpr15
	s_branch .LBB96_465
.LBB96_548:
	s_mov_b64 s[16:17], -1
                                        ; implicit-def: $sgpr14_sgpr15
	s_branch .LBB96_480
.LBB96_549:
	s_mov_b64 s[16:17], -1
                                        ; implicit-def: $sgpr14_sgpr15
	s_branch .LBB96_495
	.section	.rodata,"a",@progbits
	.p2align	6, 0x0
	.amdhsa_kernel _ZN2at6native29vectorized_elementwise_kernelILi16EZNS0_21compare_scalar_kernelIfEEvRNS_18TensorIteratorBaseENS0_12_GLOBAL__N_16OpTypeET_EUlfE_St5arrayIPcLm2EEEEviT0_T1_
		.amdhsa_group_segment_fixed_size 0
		.amdhsa_private_segment_fixed_size 0
		.amdhsa_kernarg_size 32
		.amdhsa_user_sgpr_count 6
		.amdhsa_user_sgpr_private_segment_buffer 1
		.amdhsa_user_sgpr_dispatch_ptr 0
		.amdhsa_user_sgpr_queue_ptr 0
		.amdhsa_user_sgpr_kernarg_segment_ptr 1
		.amdhsa_user_sgpr_dispatch_id 0
		.amdhsa_user_sgpr_flat_scratch_init 0
		.amdhsa_user_sgpr_private_segment_size 0
		.amdhsa_uses_dynamic_stack 0
		.amdhsa_system_sgpr_private_segment_wavefront_offset 0
		.amdhsa_system_sgpr_workgroup_id_x 1
		.amdhsa_system_sgpr_workgroup_id_y 0
		.amdhsa_system_sgpr_workgroup_id_z 0
		.amdhsa_system_sgpr_workgroup_info 0
		.amdhsa_system_vgpr_workitem_id 0
		.amdhsa_next_free_vgpr 22
		.amdhsa_next_free_sgpr 50
		.amdhsa_reserve_vcc 1
		.amdhsa_reserve_flat_scratch 0
		.amdhsa_float_round_mode_32 0
		.amdhsa_float_round_mode_16_64 0
		.amdhsa_float_denorm_mode_32 3
		.amdhsa_float_denorm_mode_16_64 3
		.amdhsa_dx10_clamp 1
		.amdhsa_ieee_mode 1
		.amdhsa_fp16_overflow 0
		.amdhsa_exception_fp_ieee_invalid_op 0
		.amdhsa_exception_fp_denorm_src 0
		.amdhsa_exception_fp_ieee_div_zero 0
		.amdhsa_exception_fp_ieee_overflow 0
		.amdhsa_exception_fp_ieee_underflow 0
		.amdhsa_exception_fp_ieee_inexact 0
		.amdhsa_exception_int_div_zero 0
	.end_amdhsa_kernel
	.section	.text._ZN2at6native29vectorized_elementwise_kernelILi16EZNS0_21compare_scalar_kernelIfEEvRNS_18TensorIteratorBaseENS0_12_GLOBAL__N_16OpTypeET_EUlfE_St5arrayIPcLm2EEEEviT0_T1_,"axG",@progbits,_ZN2at6native29vectorized_elementwise_kernelILi16EZNS0_21compare_scalar_kernelIfEEvRNS_18TensorIteratorBaseENS0_12_GLOBAL__N_16OpTypeET_EUlfE_St5arrayIPcLm2EEEEviT0_T1_,comdat
.Lfunc_end96:
	.size	_ZN2at6native29vectorized_elementwise_kernelILi16EZNS0_21compare_scalar_kernelIfEEvRNS_18TensorIteratorBaseENS0_12_GLOBAL__N_16OpTypeET_EUlfE_St5arrayIPcLm2EEEEviT0_T1_, .Lfunc_end96-_ZN2at6native29vectorized_elementwise_kernelILi16EZNS0_21compare_scalar_kernelIfEEvRNS_18TensorIteratorBaseENS0_12_GLOBAL__N_16OpTypeET_EUlfE_St5arrayIPcLm2EEEEviT0_T1_
                                        ; -- End function
	.set _ZN2at6native29vectorized_elementwise_kernelILi16EZNS0_21compare_scalar_kernelIfEEvRNS_18TensorIteratorBaseENS0_12_GLOBAL__N_16OpTypeET_EUlfE_St5arrayIPcLm2EEEEviT0_T1_.num_vgpr, 22
	.set _ZN2at6native29vectorized_elementwise_kernelILi16EZNS0_21compare_scalar_kernelIfEEvRNS_18TensorIteratorBaseENS0_12_GLOBAL__N_16OpTypeET_EUlfE_St5arrayIPcLm2EEEEviT0_T1_.num_agpr, 0
	.set _ZN2at6native29vectorized_elementwise_kernelILi16EZNS0_21compare_scalar_kernelIfEEvRNS_18TensorIteratorBaseENS0_12_GLOBAL__N_16OpTypeET_EUlfE_St5arrayIPcLm2EEEEviT0_T1_.numbered_sgpr, 50
	.set _ZN2at6native29vectorized_elementwise_kernelILi16EZNS0_21compare_scalar_kernelIfEEvRNS_18TensorIteratorBaseENS0_12_GLOBAL__N_16OpTypeET_EUlfE_St5arrayIPcLm2EEEEviT0_T1_.num_named_barrier, 0
	.set _ZN2at6native29vectorized_elementwise_kernelILi16EZNS0_21compare_scalar_kernelIfEEvRNS_18TensorIteratorBaseENS0_12_GLOBAL__N_16OpTypeET_EUlfE_St5arrayIPcLm2EEEEviT0_T1_.private_seg_size, 0
	.set _ZN2at6native29vectorized_elementwise_kernelILi16EZNS0_21compare_scalar_kernelIfEEvRNS_18TensorIteratorBaseENS0_12_GLOBAL__N_16OpTypeET_EUlfE_St5arrayIPcLm2EEEEviT0_T1_.uses_vcc, 1
	.set _ZN2at6native29vectorized_elementwise_kernelILi16EZNS0_21compare_scalar_kernelIfEEvRNS_18TensorIteratorBaseENS0_12_GLOBAL__N_16OpTypeET_EUlfE_St5arrayIPcLm2EEEEviT0_T1_.uses_flat_scratch, 0
	.set _ZN2at6native29vectorized_elementwise_kernelILi16EZNS0_21compare_scalar_kernelIfEEvRNS_18TensorIteratorBaseENS0_12_GLOBAL__N_16OpTypeET_EUlfE_St5arrayIPcLm2EEEEviT0_T1_.has_dyn_sized_stack, 0
	.set _ZN2at6native29vectorized_elementwise_kernelILi16EZNS0_21compare_scalar_kernelIfEEvRNS_18TensorIteratorBaseENS0_12_GLOBAL__N_16OpTypeET_EUlfE_St5arrayIPcLm2EEEEviT0_T1_.has_recursion, 0
	.set _ZN2at6native29vectorized_elementwise_kernelILi16EZNS0_21compare_scalar_kernelIfEEvRNS_18TensorIteratorBaseENS0_12_GLOBAL__N_16OpTypeET_EUlfE_St5arrayIPcLm2EEEEviT0_T1_.has_indirect_call, 0
	.section	.AMDGPU.csdata,"",@progbits
; Kernel info:
; codeLenInByte = 8240
; TotalNumSgprs: 54
; NumVgprs: 22
; ScratchSize: 0
; MemoryBound: 1
; FloatMode: 240
; IeeeMode: 1
; LDSByteSize: 0 bytes/workgroup (compile time only)
; SGPRBlocks: 6
; VGPRBlocks: 5
; NumSGPRsForWavesPerEU: 54
; NumVGPRsForWavesPerEU: 22
; Occupancy: 10
; WaveLimiterHint : 0
; COMPUTE_PGM_RSRC2:SCRATCH_EN: 0
; COMPUTE_PGM_RSRC2:USER_SGPR: 6
; COMPUTE_PGM_RSRC2:TRAP_HANDLER: 0
; COMPUTE_PGM_RSRC2:TGID_X_EN: 1
; COMPUTE_PGM_RSRC2:TGID_Y_EN: 0
; COMPUTE_PGM_RSRC2:TGID_Z_EN: 0
; COMPUTE_PGM_RSRC2:TIDIG_COMP_CNT: 0
	.section	.text._ZN2at6native29vectorized_elementwise_kernelILi8EZNS0_21compare_scalar_kernelIfEEvRNS_18TensorIteratorBaseENS0_12_GLOBAL__N_16OpTypeET_EUlfE_St5arrayIPcLm2EEEEviT0_T1_,"axG",@progbits,_ZN2at6native29vectorized_elementwise_kernelILi8EZNS0_21compare_scalar_kernelIfEEvRNS_18TensorIteratorBaseENS0_12_GLOBAL__N_16OpTypeET_EUlfE_St5arrayIPcLm2EEEEviT0_T1_,comdat
	.globl	_ZN2at6native29vectorized_elementwise_kernelILi8EZNS0_21compare_scalar_kernelIfEEvRNS_18TensorIteratorBaseENS0_12_GLOBAL__N_16OpTypeET_EUlfE_St5arrayIPcLm2EEEEviT0_T1_ ; -- Begin function _ZN2at6native29vectorized_elementwise_kernelILi8EZNS0_21compare_scalar_kernelIfEEvRNS_18TensorIteratorBaseENS0_12_GLOBAL__N_16OpTypeET_EUlfE_St5arrayIPcLm2EEEEviT0_T1_
	.p2align	8
	.type	_ZN2at6native29vectorized_elementwise_kernelILi8EZNS0_21compare_scalar_kernelIfEEvRNS_18TensorIteratorBaseENS0_12_GLOBAL__N_16OpTypeET_EUlfE_St5arrayIPcLm2EEEEviT0_T1_,@function
_ZN2at6native29vectorized_elementwise_kernelILi8EZNS0_21compare_scalar_kernelIfEEvRNS_18TensorIteratorBaseENS0_12_GLOBAL__N_16OpTypeET_EUlfE_St5arrayIPcLm2EEEEviT0_T1_: ; @_ZN2at6native29vectorized_elementwise_kernelILi8EZNS0_21compare_scalar_kernelIfEEvRNS_18TensorIteratorBaseENS0_12_GLOBAL__N_16OpTypeET_EUlfE_St5arrayIPcLm2EEEEviT0_T1_
; %bb.0:
	s_load_dwordx8 s[8:15], s[4:5], 0x0
	s_lshl_b32 s2, s6, 12
	s_mov_b64 s[0:1], -1
	s_waitcnt lgkmcnt(0)
	s_sub_i32 s8, s8, s2
	s_cmpk_gt_i32 s8, 0xfff
	s_cbranch_scc0 .LBB97_211
; %bb.1:
	s_ashr_i32 s3, s2, 31
	s_lshl_b64 s[0:1], s[2:3], 2
	s_add_u32 s0, s14, s0
	s_addc_u32 s1, s15, s1
	v_lshlrev_b32_e32 v1, 5, v0
	v_mov_b32_e32 v2, s1
	v_add_co_u32_e32 v3, vcc, s0, v1
	v_addc_co_u32_e32 v2, vcc, 0, v2, vcc
	v_add_co_u32_e32 v17, vcc, 0x2000, v3
	global_load_dwordx4 v[9:12], v1, s[0:1] offset:16
	global_load_dwordx4 v[13:16], v1, s[0:1]
	v_addc_co_u32_e64 v18, s[0:1], 0, v2, vcc
	v_addc_co_u32_e32 v20, vcc, 0, v2, vcc
	v_mov_b32_e32 v19, v17
	global_load_dwordx4 v[5:8], v[19:20], off
	global_load_dwordx4 v[1:4], v[17:18], off offset:16
	s_cmp_lt_i32 s9, 1
	s_mov_b64 s[4:5], 0
	s_cbranch_scc1 .LBB97_5
; %bb.2:
	s_cmp_gt_i32 s9, 1
	s_cbranch_scc0 .LBB97_6
; %bb.3:
	s_cmp_eq_u32 s9, 2
	s_cbranch_scc0 .LBB97_7
; %bb.4:
	s_waitcnt vmcnt(2)
	v_cmp_ge_f32_e64 s[0:1], s10, v13
	s_mov_b64 s[6:7], 0
	s_branch .LBB97_8
.LBB97_5:
                                        ; implicit-def: $sgpr0_sgpr1
	s_mov_b64 s[6:7], 0
	s_cbranch_execnz .LBB97_11
	s_branch .LBB97_12
.LBB97_6:
	s_mov_b64 s[6:7], 0
                                        ; implicit-def: $sgpr0_sgpr1
	s_cbranch_execnz .LBB97_9
	s_branch .LBB97_10
.LBB97_7:
	s_mov_b64 s[6:7], -1
                                        ; implicit-def: $sgpr0_sgpr1
.LBB97_8:
	s_branch .LBB97_10
.LBB97_9:
	s_waitcnt vmcnt(2)
	v_cmp_lt_f32_e32 vcc, s10, v13
	s_andn2_b64 s[0:1], s[0:1], exec
	s_and_b64 s[16:17], vcc, exec
	s_or_b64 s[0:1], s[0:1], s[16:17]
.LBB97_10:
	s_branch .LBB97_12
.LBB97_11:
	s_cmp_lg_u32 s9, 0
	s_mov_b64 s[4:5], -1
	s_cselect_b64 s[6:7], -1, 0
.LBB97_12:
	s_andn2_b64 vcc, exec, s[6:7]
	s_cbranch_vccz .LBB97_18
; %bb.13:
	s_andn2_b64 vcc, exec, s[4:5]
	s_cbranch_vccz .LBB97_19
.LBB97_14:
	s_cmp_lt_i32 s9, 1
	s_mov_b64 s[6:7], 0
	s_cbranch_scc1 .LBB97_20
.LBB97_15:
	s_cmp_gt_i32 s9, 1
	s_cbranch_scc0 .LBB97_21
; %bb.16:
	s_cmp_eq_u32 s9, 2
	s_cbranch_scc0 .LBB97_251
; %bb.17:
	s_waitcnt vmcnt(2)
	v_cmp_ge_f32_e64 s[4:5], s10, v14
	s_mov_b64 s[16:17], 0
	s_branch .LBB97_23
.LBB97_18:
	s_waitcnt vmcnt(2)
	v_cmp_gt_f32_e32 vcc, s10, v13
	s_andn2_b64 s[0:1], s[0:1], exec
	s_and_b64 s[6:7], vcc, exec
	s_or_b64 s[0:1], s[0:1], s[6:7]
	s_cbranch_execnz .LBB97_14
.LBB97_19:
	s_waitcnt vmcnt(2)
	v_cmp_le_f32_e32 vcc, s10, v13
	s_andn2_b64 s[0:1], s[0:1], exec
	s_and_b64 s[4:5], vcc, exec
	s_or_b64 s[0:1], s[0:1], s[4:5]
	s_cmp_lt_i32 s9, 1
	s_mov_b64 s[6:7], 0
	s_cbranch_scc0 .LBB97_15
.LBB97_20:
                                        ; implicit-def: $sgpr4_sgpr5
	s_mov_b64 s[16:17], 0
	s_cbranch_execnz .LBB97_24
	s_branch .LBB97_25
.LBB97_21:
	s_mov_b64 s[16:17], 0
                                        ; implicit-def: $sgpr4_sgpr5
	s_cbranch_execz .LBB97_23
; %bb.22:
	s_waitcnt vmcnt(2)
	v_cmp_lt_f32_e32 vcc, s10, v14
	s_andn2_b64 s[4:5], s[4:5], exec
	s_and_b64 s[18:19], vcc, exec
	s_or_b64 s[4:5], s[4:5], s[18:19]
.LBB97_23:
	s_branch .LBB97_25
.LBB97_24:
	s_cmp_lg_u32 s9, 0
	s_mov_b64 s[6:7], -1
	s_cselect_b64 s[16:17], -1, 0
.LBB97_25:
	s_andn2_b64 vcc, exec, s[16:17]
	s_cbranch_vccz .LBB97_31
; %bb.26:
	s_andn2_b64 vcc, exec, s[6:7]
	s_cbranch_vccz .LBB97_32
.LBB97_27:
	s_cmp_lt_i32 s9, 1
	s_mov_b64 s[16:17], 0
	s_cbranch_scc1 .LBB97_33
.LBB97_28:
	s_cmp_gt_i32 s9, 1
	s_cbranch_scc0 .LBB97_34
; %bb.29:
	s_cmp_eq_u32 s9, 2
	s_cbranch_scc0 .LBB97_252
; %bb.30:
	s_waitcnt vmcnt(2)
	v_cmp_ge_f32_e64 s[6:7], s10, v15
	s_mov_b64 s[18:19], 0
	s_branch .LBB97_36
.LBB97_31:
	s_waitcnt vmcnt(2)
	v_cmp_gt_f32_e32 vcc, s10, v14
	s_andn2_b64 s[4:5], s[4:5], exec
	s_and_b64 s[16:17], vcc, exec
	s_or_b64 s[4:5], s[4:5], s[16:17]
	s_cbranch_execnz .LBB97_27
.LBB97_32:
	s_waitcnt vmcnt(2)
	v_cmp_le_f32_e32 vcc, s10, v14
	s_andn2_b64 s[4:5], s[4:5], exec
	s_and_b64 s[6:7], vcc, exec
	s_or_b64 s[4:5], s[4:5], s[6:7]
	s_cmp_lt_i32 s9, 1
	s_mov_b64 s[16:17], 0
	s_cbranch_scc0 .LBB97_28
.LBB97_33:
                                        ; implicit-def: $sgpr6_sgpr7
	s_mov_b64 s[18:19], 0
	s_cbranch_execnz .LBB97_37
	s_branch .LBB97_38
.LBB97_34:
	s_mov_b64 s[18:19], 0
                                        ; implicit-def: $sgpr6_sgpr7
	s_cbranch_execz .LBB97_36
; %bb.35:
	s_waitcnt vmcnt(2)
	v_cmp_lt_f32_e32 vcc, s10, v15
	s_andn2_b64 s[6:7], s[6:7], exec
	s_and_b64 s[20:21], vcc, exec
	s_or_b64 s[6:7], s[6:7], s[20:21]
.LBB97_36:
	s_branch .LBB97_38
.LBB97_37:
	s_cmp_lg_u32 s9, 0
	s_mov_b64 s[16:17], -1
	s_cselect_b64 s[18:19], -1, 0
.LBB97_38:
	s_andn2_b64 vcc, exec, s[18:19]
	s_cbranch_vccz .LBB97_44
; %bb.39:
	s_andn2_b64 vcc, exec, s[16:17]
	s_cbranch_vccz .LBB97_45
.LBB97_40:
	s_cmp_lt_i32 s9, 1
	s_mov_b64 s[18:19], 0
	s_cbranch_scc1 .LBB97_46
.LBB97_41:
	s_cmp_gt_i32 s9, 1
	s_cbranch_scc0 .LBB97_47
; %bb.42:
	s_cmp_eq_u32 s9, 2
	s_cbranch_scc0 .LBB97_253
; %bb.43:
	s_waitcnt vmcnt(2)
	v_cmp_ge_f32_e64 s[16:17], s10, v16
	s_mov_b64 s[20:21], 0
	s_branch .LBB97_49
.LBB97_44:
	s_waitcnt vmcnt(2)
	v_cmp_gt_f32_e32 vcc, s10, v15
	s_andn2_b64 s[6:7], s[6:7], exec
	s_and_b64 s[18:19], vcc, exec
	s_or_b64 s[6:7], s[6:7], s[18:19]
	s_cbranch_execnz .LBB97_40
.LBB97_45:
	s_waitcnt vmcnt(2)
	v_cmp_le_f32_e32 vcc, s10, v15
	s_andn2_b64 s[6:7], s[6:7], exec
	s_and_b64 s[16:17], vcc, exec
	s_or_b64 s[6:7], s[6:7], s[16:17]
	s_cmp_lt_i32 s9, 1
	s_mov_b64 s[18:19], 0
	s_cbranch_scc0 .LBB97_41
.LBB97_46:
                                        ; implicit-def: $sgpr16_sgpr17
	s_mov_b64 s[20:21], 0
	s_cbranch_execnz .LBB97_50
	s_branch .LBB97_51
.LBB97_47:
	s_mov_b64 s[20:21], 0
                                        ; implicit-def: $sgpr16_sgpr17
	s_cbranch_execz .LBB97_49
; %bb.48:
	s_waitcnt vmcnt(2)
	v_cmp_lt_f32_e32 vcc, s10, v16
	s_andn2_b64 s[16:17], s[16:17], exec
	s_and_b64 s[22:23], vcc, exec
	s_or_b64 s[16:17], s[16:17], s[22:23]
.LBB97_49:
	s_branch .LBB97_51
.LBB97_50:
	s_cmp_lg_u32 s9, 0
	s_mov_b64 s[18:19], -1
	s_cselect_b64 s[20:21], -1, 0
.LBB97_51:
	s_andn2_b64 vcc, exec, s[20:21]
	s_cbranch_vccz .LBB97_57
; %bb.52:
	s_andn2_b64 vcc, exec, s[18:19]
	s_cbranch_vccz .LBB97_58
.LBB97_53:
	s_cmp_lt_i32 s9, 1
	s_mov_b64 s[20:21], 0
	s_cbranch_scc1 .LBB97_59
.LBB97_54:
	s_cmp_gt_i32 s9, 1
	s_cbranch_scc0 .LBB97_60
; %bb.55:
	s_cmp_eq_u32 s9, 2
	s_cbranch_scc0 .LBB97_254
; %bb.56:
	s_waitcnt vmcnt(3)
	v_cmp_ge_f32_e64 s[18:19], s10, v9
	s_mov_b64 s[22:23], 0
	s_branch .LBB97_62
.LBB97_57:
	s_waitcnt vmcnt(2)
	v_cmp_gt_f32_e32 vcc, s10, v16
	s_andn2_b64 s[16:17], s[16:17], exec
	s_and_b64 s[20:21], vcc, exec
	s_or_b64 s[16:17], s[16:17], s[20:21]
	s_cbranch_execnz .LBB97_53
.LBB97_58:
	s_waitcnt vmcnt(2)
	v_cmp_le_f32_e32 vcc, s10, v16
	s_andn2_b64 s[16:17], s[16:17], exec
	s_and_b64 s[18:19], vcc, exec
	s_or_b64 s[16:17], s[16:17], s[18:19]
	s_cmp_lt_i32 s9, 1
	s_mov_b64 s[20:21], 0
	s_cbranch_scc0 .LBB97_54
.LBB97_59:
                                        ; implicit-def: $sgpr18_sgpr19
	s_mov_b64 s[22:23], 0
	s_cbranch_execnz .LBB97_63
	s_branch .LBB97_64
.LBB97_60:
	s_mov_b64 s[22:23], 0
                                        ; implicit-def: $sgpr18_sgpr19
	s_cbranch_execz .LBB97_62
; %bb.61:
	s_waitcnt vmcnt(3)
	v_cmp_lt_f32_e32 vcc, s10, v9
	s_andn2_b64 s[18:19], s[18:19], exec
	s_and_b64 s[24:25], vcc, exec
	s_or_b64 s[18:19], s[18:19], s[24:25]
.LBB97_62:
	s_branch .LBB97_64
.LBB97_63:
	s_cmp_lg_u32 s9, 0
	s_mov_b64 s[20:21], -1
	s_cselect_b64 s[22:23], -1, 0
.LBB97_64:
	s_andn2_b64 vcc, exec, s[22:23]
	s_cbranch_vccz .LBB97_70
; %bb.65:
	s_andn2_b64 vcc, exec, s[20:21]
	s_cbranch_vccz .LBB97_71
.LBB97_66:
	s_cmp_lt_i32 s9, 1
	s_mov_b64 s[22:23], 0
	s_cbranch_scc1 .LBB97_72
.LBB97_67:
	s_cmp_gt_i32 s9, 1
	s_cbranch_scc0 .LBB97_73
; %bb.68:
	s_cmp_eq_u32 s9, 2
	s_cbranch_scc0 .LBB97_255
; %bb.69:
	s_waitcnt vmcnt(3)
	v_cmp_ge_f32_e64 s[20:21], s10, v10
	s_mov_b64 s[24:25], 0
	s_branch .LBB97_75
.LBB97_70:
	s_waitcnt vmcnt(3)
	v_cmp_gt_f32_e32 vcc, s10, v9
	s_andn2_b64 s[18:19], s[18:19], exec
	s_and_b64 s[22:23], vcc, exec
	s_or_b64 s[18:19], s[18:19], s[22:23]
	s_cbranch_execnz .LBB97_66
.LBB97_71:
	s_waitcnt vmcnt(3)
	v_cmp_le_f32_e32 vcc, s10, v9
	s_andn2_b64 s[18:19], s[18:19], exec
	s_and_b64 s[20:21], vcc, exec
	s_or_b64 s[18:19], s[18:19], s[20:21]
	s_cmp_lt_i32 s9, 1
	s_mov_b64 s[22:23], 0
	s_cbranch_scc0 .LBB97_67
.LBB97_72:
                                        ; implicit-def: $sgpr20_sgpr21
	s_mov_b64 s[24:25], 0
	s_cbranch_execnz .LBB97_76
	s_branch .LBB97_77
.LBB97_73:
	s_mov_b64 s[24:25], 0
                                        ; implicit-def: $sgpr20_sgpr21
	s_cbranch_execz .LBB97_75
; %bb.74:
	s_waitcnt vmcnt(3)
	v_cmp_lt_f32_e32 vcc, s10, v10
	s_andn2_b64 s[20:21], s[20:21], exec
	s_and_b64 s[26:27], vcc, exec
	s_or_b64 s[20:21], s[20:21], s[26:27]
.LBB97_75:
	s_branch .LBB97_77
.LBB97_76:
	s_cmp_lg_u32 s9, 0
	s_mov_b64 s[22:23], -1
	s_cselect_b64 s[24:25], -1, 0
.LBB97_77:
	s_andn2_b64 vcc, exec, s[24:25]
	s_cbranch_vccz .LBB97_83
; %bb.78:
	s_andn2_b64 vcc, exec, s[22:23]
	s_cbranch_vccz .LBB97_84
.LBB97_79:
	s_cmp_lt_i32 s9, 1
	s_mov_b64 s[24:25], 0
	s_cbranch_scc1 .LBB97_85
.LBB97_80:
	s_cmp_gt_i32 s9, 1
	s_cbranch_scc0 .LBB97_86
; %bb.81:
	s_cmp_eq_u32 s9, 2
	s_cbranch_scc0 .LBB97_256
; %bb.82:
	s_waitcnt vmcnt(3)
	v_cmp_ge_f32_e64 s[22:23], s10, v11
	s_mov_b64 s[26:27], 0
	s_branch .LBB97_88
.LBB97_83:
	s_waitcnt vmcnt(3)
	v_cmp_gt_f32_e32 vcc, s10, v10
	s_andn2_b64 s[20:21], s[20:21], exec
	s_and_b64 s[24:25], vcc, exec
	s_or_b64 s[20:21], s[20:21], s[24:25]
	s_cbranch_execnz .LBB97_79
.LBB97_84:
	s_waitcnt vmcnt(3)
	v_cmp_le_f32_e32 vcc, s10, v10
	s_andn2_b64 s[20:21], s[20:21], exec
	s_and_b64 s[22:23], vcc, exec
	s_or_b64 s[20:21], s[20:21], s[22:23]
	s_cmp_lt_i32 s9, 1
	s_mov_b64 s[24:25], 0
	s_cbranch_scc0 .LBB97_80
.LBB97_85:
                                        ; implicit-def: $sgpr22_sgpr23
	s_mov_b64 s[26:27], 0
	s_cbranch_execnz .LBB97_89
	s_branch .LBB97_90
.LBB97_86:
	s_mov_b64 s[26:27], 0
                                        ; implicit-def: $sgpr22_sgpr23
	s_cbranch_execz .LBB97_88
; %bb.87:
	s_waitcnt vmcnt(3)
	v_cmp_lt_f32_e32 vcc, s10, v11
	s_andn2_b64 s[22:23], s[22:23], exec
	s_and_b64 s[28:29], vcc, exec
	s_or_b64 s[22:23], s[22:23], s[28:29]
.LBB97_88:
	s_branch .LBB97_90
.LBB97_89:
	s_cmp_lg_u32 s9, 0
	s_mov_b64 s[24:25], -1
	s_cselect_b64 s[26:27], -1, 0
.LBB97_90:
	s_andn2_b64 vcc, exec, s[26:27]
	s_cbranch_vccz .LBB97_96
; %bb.91:
	s_andn2_b64 vcc, exec, s[24:25]
	s_cbranch_vccz .LBB97_97
.LBB97_92:
	s_cmp_lt_i32 s9, 1
	s_mov_b64 s[26:27], 0
	s_cbranch_scc1 .LBB97_98
.LBB97_93:
	s_cmp_gt_i32 s9, 1
	s_cbranch_scc0 .LBB97_99
; %bb.94:
	s_cmp_eq_u32 s9, 2
	s_cbranch_scc0 .LBB97_257
; %bb.95:
	s_waitcnt vmcnt(3)
	v_cmp_ge_f32_e64 s[24:25], s10, v12
	s_mov_b64 s[28:29], 0
	s_branch .LBB97_101
.LBB97_96:
	s_waitcnt vmcnt(3)
	v_cmp_gt_f32_e32 vcc, s10, v11
	s_andn2_b64 s[22:23], s[22:23], exec
	s_and_b64 s[26:27], vcc, exec
	s_or_b64 s[22:23], s[22:23], s[26:27]
	s_cbranch_execnz .LBB97_92
.LBB97_97:
	s_waitcnt vmcnt(3)
	v_cmp_le_f32_e32 vcc, s10, v11
	s_andn2_b64 s[22:23], s[22:23], exec
	s_and_b64 s[24:25], vcc, exec
	s_or_b64 s[22:23], s[22:23], s[24:25]
	s_cmp_lt_i32 s9, 1
	s_mov_b64 s[26:27], 0
	s_cbranch_scc0 .LBB97_93
.LBB97_98:
                                        ; implicit-def: $sgpr24_sgpr25
	s_mov_b64 s[28:29], 0
	s_cbranch_execnz .LBB97_102
	s_branch .LBB97_103
.LBB97_99:
	s_mov_b64 s[28:29], 0
                                        ; implicit-def: $sgpr24_sgpr25
	s_cbranch_execz .LBB97_101
; %bb.100:
	s_waitcnt vmcnt(3)
	v_cmp_lt_f32_e32 vcc, s10, v12
	s_andn2_b64 s[24:25], s[24:25], exec
	s_and_b64 s[30:31], vcc, exec
	s_or_b64 s[24:25], s[24:25], s[30:31]
.LBB97_101:
	s_branch .LBB97_103
.LBB97_102:
	s_cmp_lg_u32 s9, 0
	s_mov_b64 s[26:27], -1
	s_cselect_b64 s[28:29], -1, 0
.LBB97_103:
	s_andn2_b64 vcc, exec, s[28:29]
	s_cbranch_vccz .LBB97_109
; %bb.104:
	s_andn2_b64 vcc, exec, s[26:27]
	s_cbranch_vccz .LBB97_110
.LBB97_105:
	s_cmp_lt_i32 s9, 1
	s_mov_b64 s[28:29], 0
	s_cbranch_scc1 .LBB97_111
.LBB97_106:
	s_cmp_gt_i32 s9, 1
	s_cbranch_scc0 .LBB97_112
; %bb.107:
	s_cmp_eq_u32 s9, 2
	s_cbranch_scc0 .LBB97_258
; %bb.108:
	s_waitcnt vmcnt(1)
	v_cmp_ge_f32_e64 s[26:27], s10, v5
	s_mov_b64 s[30:31], 0
	s_branch .LBB97_114
.LBB97_109:
	s_waitcnt vmcnt(3)
	v_cmp_gt_f32_e32 vcc, s10, v12
	s_andn2_b64 s[24:25], s[24:25], exec
	s_and_b64 s[28:29], vcc, exec
	s_or_b64 s[24:25], s[24:25], s[28:29]
	s_cbranch_execnz .LBB97_105
.LBB97_110:
	s_waitcnt vmcnt(3)
	v_cmp_le_f32_e32 vcc, s10, v12
	s_andn2_b64 s[24:25], s[24:25], exec
	s_and_b64 s[26:27], vcc, exec
	s_or_b64 s[24:25], s[24:25], s[26:27]
	s_cmp_lt_i32 s9, 1
	s_mov_b64 s[28:29], 0
	s_cbranch_scc0 .LBB97_106
.LBB97_111:
                                        ; implicit-def: $sgpr26_sgpr27
	s_mov_b64 s[30:31], 0
	s_cbranch_execnz .LBB97_115
	s_branch .LBB97_116
.LBB97_112:
	s_mov_b64 s[30:31], 0
                                        ; implicit-def: $sgpr26_sgpr27
	s_cbranch_execz .LBB97_114
; %bb.113:
	s_waitcnt vmcnt(1)
	v_cmp_lt_f32_e32 vcc, s10, v5
	s_andn2_b64 s[26:27], s[26:27], exec
	s_and_b64 s[34:35], vcc, exec
	s_or_b64 s[26:27], s[26:27], s[34:35]
.LBB97_114:
	s_branch .LBB97_116
.LBB97_115:
	s_cmp_lg_u32 s9, 0
	s_mov_b64 s[28:29], -1
	s_cselect_b64 s[30:31], -1, 0
.LBB97_116:
	s_andn2_b64 vcc, exec, s[30:31]
	s_cbranch_vccz .LBB97_122
; %bb.117:
	s_andn2_b64 vcc, exec, s[28:29]
	s_cbranch_vccz .LBB97_123
.LBB97_118:
	s_cmp_lt_i32 s9, 1
	s_mov_b64 s[30:31], 0
	s_cbranch_scc1 .LBB97_124
.LBB97_119:
	s_cmp_gt_i32 s9, 1
	s_cbranch_scc0 .LBB97_125
; %bb.120:
	s_cmp_eq_u32 s9, 2
	s_cbranch_scc0 .LBB97_259
; %bb.121:
	s_waitcnt vmcnt(1)
	v_cmp_ge_f32_e64 s[28:29], s10, v6
	s_mov_b64 s[34:35], 0
	s_branch .LBB97_127
.LBB97_122:
	s_waitcnt vmcnt(1)
	v_cmp_gt_f32_e32 vcc, s10, v5
	s_andn2_b64 s[26:27], s[26:27], exec
	s_and_b64 s[30:31], vcc, exec
	s_or_b64 s[26:27], s[26:27], s[30:31]
	s_cbranch_execnz .LBB97_118
.LBB97_123:
	s_waitcnt vmcnt(1)
	v_cmp_le_f32_e32 vcc, s10, v5
	s_andn2_b64 s[26:27], s[26:27], exec
	s_and_b64 s[28:29], vcc, exec
	s_or_b64 s[26:27], s[26:27], s[28:29]
	s_cmp_lt_i32 s9, 1
	s_mov_b64 s[30:31], 0
	s_cbranch_scc0 .LBB97_119
.LBB97_124:
                                        ; implicit-def: $sgpr28_sgpr29
	s_mov_b64 s[34:35], 0
	s_cbranch_execnz .LBB97_128
	s_branch .LBB97_129
.LBB97_125:
	s_mov_b64 s[34:35], 0
                                        ; implicit-def: $sgpr28_sgpr29
	s_cbranch_execz .LBB97_127
; %bb.126:
	s_waitcnt vmcnt(1)
	v_cmp_lt_f32_e32 vcc, s10, v6
	s_andn2_b64 s[28:29], s[28:29], exec
	s_and_b64 s[36:37], vcc, exec
	s_or_b64 s[28:29], s[28:29], s[36:37]
.LBB97_127:
	s_branch .LBB97_129
.LBB97_128:
	s_cmp_lg_u32 s9, 0
	s_mov_b64 s[30:31], -1
	s_cselect_b64 s[34:35], -1, 0
.LBB97_129:
	s_andn2_b64 vcc, exec, s[34:35]
	s_cbranch_vccz .LBB97_135
; %bb.130:
	s_andn2_b64 vcc, exec, s[30:31]
	s_cbranch_vccz .LBB97_136
.LBB97_131:
	s_cmp_lt_i32 s9, 1
	s_mov_b64 s[34:35], 0
	s_cbranch_scc1 .LBB97_137
.LBB97_132:
	s_cmp_gt_i32 s9, 1
	s_cbranch_scc0 .LBB97_138
; %bb.133:
	s_cmp_eq_u32 s9, 2
	s_cbranch_scc0 .LBB97_260
; %bb.134:
	s_waitcnt vmcnt(1)
	v_cmp_ge_f32_e64 s[30:31], s10, v7
	s_mov_b64 s[36:37], 0
	s_branch .LBB97_140
.LBB97_135:
	s_waitcnt vmcnt(1)
	v_cmp_gt_f32_e32 vcc, s10, v6
	s_andn2_b64 s[28:29], s[28:29], exec
	s_and_b64 s[34:35], vcc, exec
	s_or_b64 s[28:29], s[28:29], s[34:35]
	s_cbranch_execnz .LBB97_131
.LBB97_136:
	s_waitcnt vmcnt(1)
	v_cmp_le_f32_e32 vcc, s10, v6
	s_andn2_b64 s[28:29], s[28:29], exec
	s_and_b64 s[30:31], vcc, exec
	s_or_b64 s[28:29], s[28:29], s[30:31]
	s_cmp_lt_i32 s9, 1
	s_mov_b64 s[34:35], 0
	s_cbranch_scc0 .LBB97_132
.LBB97_137:
                                        ; implicit-def: $sgpr30_sgpr31
	s_mov_b64 s[36:37], 0
	s_cbranch_execnz .LBB97_141
	s_branch .LBB97_142
.LBB97_138:
	s_mov_b64 s[36:37], 0
                                        ; implicit-def: $sgpr30_sgpr31
	s_cbranch_execz .LBB97_140
; %bb.139:
	s_waitcnt vmcnt(1)
	v_cmp_lt_f32_e32 vcc, s10, v7
	s_andn2_b64 s[30:31], s[30:31], exec
	s_and_b64 s[38:39], vcc, exec
	s_or_b64 s[30:31], s[30:31], s[38:39]
.LBB97_140:
	s_branch .LBB97_142
.LBB97_141:
	s_cmp_lg_u32 s9, 0
	s_mov_b64 s[34:35], -1
	s_cselect_b64 s[36:37], -1, 0
.LBB97_142:
	s_andn2_b64 vcc, exec, s[36:37]
	s_cbranch_vccz .LBB97_148
; %bb.143:
	s_andn2_b64 vcc, exec, s[34:35]
	s_cbranch_vccz .LBB97_149
.LBB97_144:
	s_cmp_lt_i32 s9, 1
	s_mov_b64 s[36:37], 0
	s_cbranch_scc1 .LBB97_150
.LBB97_145:
	s_cmp_gt_i32 s9, 1
	s_cbranch_scc0 .LBB97_151
; %bb.146:
	s_cmp_eq_u32 s9, 2
	s_cbranch_scc0 .LBB97_261
; %bb.147:
	s_waitcnt vmcnt(1)
	v_cmp_ge_f32_e64 s[34:35], s10, v8
	s_mov_b64 s[38:39], 0
	s_branch .LBB97_153
.LBB97_148:
	s_waitcnt vmcnt(1)
	v_cmp_gt_f32_e32 vcc, s10, v7
	s_andn2_b64 s[30:31], s[30:31], exec
	s_and_b64 s[36:37], vcc, exec
	s_or_b64 s[30:31], s[30:31], s[36:37]
	s_cbranch_execnz .LBB97_144
.LBB97_149:
	s_waitcnt vmcnt(1)
	v_cmp_le_f32_e32 vcc, s10, v7
	s_andn2_b64 s[30:31], s[30:31], exec
	s_and_b64 s[34:35], vcc, exec
	s_or_b64 s[30:31], s[30:31], s[34:35]
	s_cmp_lt_i32 s9, 1
	s_mov_b64 s[36:37], 0
	s_cbranch_scc0 .LBB97_145
.LBB97_150:
                                        ; implicit-def: $sgpr34_sgpr35
	s_mov_b64 s[38:39], 0
	s_cbranch_execnz .LBB97_154
	s_branch .LBB97_155
.LBB97_151:
	s_mov_b64 s[38:39], 0
                                        ; implicit-def: $sgpr34_sgpr35
	s_cbranch_execz .LBB97_153
; %bb.152:
	s_waitcnt vmcnt(1)
	v_cmp_lt_f32_e32 vcc, s10, v8
	s_andn2_b64 s[34:35], s[34:35], exec
	s_and_b64 s[40:41], vcc, exec
	s_or_b64 s[34:35], s[34:35], s[40:41]
.LBB97_153:
	s_branch .LBB97_155
.LBB97_154:
	s_cmp_lg_u32 s9, 0
	s_mov_b64 s[36:37], -1
	s_cselect_b64 s[38:39], -1, 0
.LBB97_155:
	s_andn2_b64 vcc, exec, s[38:39]
	s_cbranch_vccz .LBB97_161
; %bb.156:
	s_andn2_b64 vcc, exec, s[36:37]
	s_cbranch_vccz .LBB97_162
.LBB97_157:
	s_cmp_lt_i32 s9, 1
	s_mov_b64 s[38:39], 0
	s_cbranch_scc1 .LBB97_163
.LBB97_158:
	s_cmp_gt_i32 s9, 1
	s_cbranch_scc0 .LBB97_164
; %bb.159:
	s_cmp_eq_u32 s9, 2
	s_cbranch_scc0 .LBB97_262
; %bb.160:
	s_waitcnt vmcnt(0)
	v_cmp_ge_f32_e64 s[36:37], s10, v1
	s_mov_b64 s[40:41], 0
	s_branch .LBB97_166
.LBB97_161:
	s_waitcnt vmcnt(1)
	v_cmp_gt_f32_e32 vcc, s10, v8
	s_andn2_b64 s[34:35], s[34:35], exec
	s_and_b64 s[38:39], vcc, exec
	s_or_b64 s[34:35], s[34:35], s[38:39]
	s_cbranch_execnz .LBB97_157
.LBB97_162:
	s_waitcnt vmcnt(1)
	v_cmp_le_f32_e32 vcc, s10, v8
	s_andn2_b64 s[34:35], s[34:35], exec
	s_and_b64 s[36:37], vcc, exec
	s_or_b64 s[34:35], s[34:35], s[36:37]
	s_cmp_lt_i32 s9, 1
	s_mov_b64 s[38:39], 0
	s_cbranch_scc0 .LBB97_158
.LBB97_163:
                                        ; implicit-def: $sgpr36_sgpr37
	s_mov_b64 s[40:41], 0
	s_cbranch_execnz .LBB97_167
	s_branch .LBB97_168
.LBB97_164:
	s_mov_b64 s[40:41], 0
                                        ; implicit-def: $sgpr36_sgpr37
	s_cbranch_execz .LBB97_166
; %bb.165:
	s_waitcnt vmcnt(0)
	v_cmp_lt_f32_e32 vcc, s10, v1
	s_andn2_b64 s[36:37], s[36:37], exec
	s_and_b64 s[42:43], vcc, exec
	s_or_b64 s[36:37], s[36:37], s[42:43]
.LBB97_166:
	s_branch .LBB97_168
.LBB97_167:
	s_cmp_lg_u32 s9, 0
	s_mov_b64 s[38:39], -1
	s_cselect_b64 s[40:41], -1, 0
.LBB97_168:
	s_andn2_b64 vcc, exec, s[40:41]
	s_cbranch_vccz .LBB97_174
; %bb.169:
	s_andn2_b64 vcc, exec, s[38:39]
	s_cbranch_vccz .LBB97_175
.LBB97_170:
	s_cmp_lt_i32 s9, 1
	s_mov_b64 s[40:41], 0
	s_cbranch_scc1 .LBB97_176
.LBB97_171:
	s_cmp_gt_i32 s9, 1
	s_cbranch_scc0 .LBB97_177
; %bb.172:
	s_cmp_eq_u32 s9, 2
	s_cbranch_scc0 .LBB97_263
; %bb.173:
	s_waitcnt vmcnt(0)
	v_cmp_ge_f32_e64 s[38:39], s10, v2
	s_mov_b64 s[42:43], 0
	s_branch .LBB97_179
.LBB97_174:
	s_waitcnt vmcnt(0)
	v_cmp_gt_f32_e32 vcc, s10, v1
	s_andn2_b64 s[36:37], s[36:37], exec
	s_and_b64 s[40:41], vcc, exec
	s_or_b64 s[36:37], s[36:37], s[40:41]
	s_cbranch_execnz .LBB97_170
.LBB97_175:
	s_waitcnt vmcnt(0)
	v_cmp_le_f32_e32 vcc, s10, v1
	s_andn2_b64 s[36:37], s[36:37], exec
	s_and_b64 s[38:39], vcc, exec
	s_or_b64 s[36:37], s[36:37], s[38:39]
	s_cmp_lt_i32 s9, 1
	s_mov_b64 s[40:41], 0
	s_cbranch_scc0 .LBB97_171
.LBB97_176:
                                        ; implicit-def: $sgpr38_sgpr39
	s_mov_b64 s[42:43], 0
	s_cbranch_execnz .LBB97_180
	s_branch .LBB97_181
.LBB97_177:
	s_mov_b64 s[42:43], 0
                                        ; implicit-def: $sgpr38_sgpr39
	s_cbranch_execz .LBB97_179
; %bb.178:
	s_waitcnt vmcnt(0)
	v_cmp_lt_f32_e32 vcc, s10, v2
	s_andn2_b64 s[38:39], s[38:39], exec
	s_and_b64 s[44:45], vcc, exec
	s_or_b64 s[38:39], s[38:39], s[44:45]
.LBB97_179:
	s_branch .LBB97_181
.LBB97_180:
	s_cmp_lg_u32 s9, 0
	s_mov_b64 s[40:41], -1
	s_cselect_b64 s[42:43], -1, 0
.LBB97_181:
	s_andn2_b64 vcc, exec, s[42:43]
	s_cbranch_vccz .LBB97_187
; %bb.182:
	s_andn2_b64 vcc, exec, s[40:41]
	s_cbranch_vccz .LBB97_188
.LBB97_183:
	s_cmp_lt_i32 s9, 1
	s_mov_b64 s[42:43], 0
	s_cbranch_scc1 .LBB97_189
.LBB97_184:
	s_cmp_gt_i32 s9, 1
	s_cbranch_scc0 .LBB97_190
; %bb.185:
	s_cmp_eq_u32 s9, 2
	s_cbranch_scc0 .LBB97_264
; %bb.186:
	s_waitcnt vmcnt(0)
	v_cmp_ge_f32_e64 s[40:41], s10, v3
	s_mov_b64 s[44:45], 0
	s_branch .LBB97_192
.LBB97_187:
	s_waitcnt vmcnt(0)
	v_cmp_gt_f32_e32 vcc, s10, v2
	s_andn2_b64 s[38:39], s[38:39], exec
	s_and_b64 s[42:43], vcc, exec
	s_or_b64 s[38:39], s[38:39], s[42:43]
	s_cbranch_execnz .LBB97_183
.LBB97_188:
	s_waitcnt vmcnt(0)
	v_cmp_le_f32_e32 vcc, s10, v2
	s_andn2_b64 s[38:39], s[38:39], exec
	s_and_b64 s[40:41], vcc, exec
	s_or_b64 s[38:39], s[38:39], s[40:41]
	s_cmp_lt_i32 s9, 1
	s_mov_b64 s[42:43], 0
	s_cbranch_scc0 .LBB97_184
.LBB97_189:
                                        ; implicit-def: $sgpr40_sgpr41
	s_mov_b64 s[44:45], 0
	s_cbranch_execnz .LBB97_193
	s_branch .LBB97_194
.LBB97_190:
	s_mov_b64 s[44:45], 0
                                        ; implicit-def: $sgpr40_sgpr41
	s_cbranch_execz .LBB97_192
; %bb.191:
	s_waitcnt vmcnt(0)
	v_cmp_lt_f32_e32 vcc, s10, v3
	s_andn2_b64 s[40:41], s[40:41], exec
	s_and_b64 s[46:47], vcc, exec
	s_or_b64 s[40:41], s[40:41], s[46:47]
.LBB97_192:
	s_branch .LBB97_194
.LBB97_193:
	s_cmp_lg_u32 s9, 0
	s_mov_b64 s[42:43], -1
	s_cselect_b64 s[44:45], -1, 0
.LBB97_194:
	s_andn2_b64 vcc, exec, s[44:45]
	s_cbranch_vccz .LBB97_200
; %bb.195:
	s_andn2_b64 vcc, exec, s[42:43]
	s_cbranch_vccz .LBB97_201
.LBB97_196:
	s_cmp_lt_i32 s9, 1
	s_mov_b64 s[44:45], 0
	s_cbranch_scc1 .LBB97_202
.LBB97_197:
	s_cmp_gt_i32 s9, 1
	s_cbranch_scc0 .LBB97_203
; %bb.198:
	s_cmp_eq_u32 s9, 2
	s_cbranch_scc0 .LBB97_265
; %bb.199:
	s_waitcnt vmcnt(0)
	v_cmp_ge_f32_e64 s[42:43], s10, v4
	s_mov_b64 s[46:47], 0
	s_branch .LBB97_205
.LBB97_200:
	s_waitcnt vmcnt(0)
	v_cmp_gt_f32_e32 vcc, s10, v3
	s_andn2_b64 s[40:41], s[40:41], exec
	s_and_b64 s[44:45], vcc, exec
	s_or_b64 s[40:41], s[40:41], s[44:45]
	s_cbranch_execnz .LBB97_196
.LBB97_201:
	s_waitcnt vmcnt(0)
	v_cmp_le_f32_e32 vcc, s10, v3
	s_andn2_b64 s[40:41], s[40:41], exec
	s_and_b64 s[42:43], vcc, exec
	s_or_b64 s[40:41], s[40:41], s[42:43]
	s_cmp_lt_i32 s9, 1
	s_mov_b64 s[44:45], 0
	s_cbranch_scc0 .LBB97_197
.LBB97_202:
                                        ; implicit-def: $sgpr42_sgpr43
	s_mov_b64 s[46:47], 0
	s_cbranch_execnz .LBB97_206
	s_branch .LBB97_207
.LBB97_203:
	s_mov_b64 s[46:47], 0
                                        ; implicit-def: $sgpr42_sgpr43
	s_cbranch_execz .LBB97_205
; %bb.204:
	s_waitcnt vmcnt(0)
	v_cmp_lt_f32_e32 vcc, s10, v4
	s_andn2_b64 s[42:43], s[42:43], exec
	s_and_b64 s[48:49], vcc, exec
	s_or_b64 s[42:43], s[42:43], s[48:49]
.LBB97_205:
	s_branch .LBB97_207
.LBB97_206:
	s_cmp_lg_u32 s9, 0
	s_mov_b64 s[44:45], -1
	s_cselect_b64 s[46:47], -1, 0
.LBB97_207:
	s_andn2_b64 vcc, exec, s[46:47]
	s_cbranch_vccz .LBB97_243
; %bb.208:
	s_andn2_b64 vcc, exec, s[44:45]
	s_cbranch_vccnz .LBB97_210
.LBB97_209:
	s_waitcnt vmcnt(0)
	v_cmp_le_f32_e32 vcc, s10, v4
	s_andn2_b64 s[42:43], s[42:43], exec
	s_and_b64 s[44:45], vcc, exec
	s_or_b64 s[42:43], s[42:43], s[44:45]
.LBB97_210:
	s_waitcnt vmcnt(0)
	v_mov_b32_e32 v1, 0x100
	v_cndmask_b32_e64 v2, 0, v1, s[28:29]
	v_cndmask_b32_e64 v3, 0, 1, s[26:27]
	v_or_b32_e32 v2, v2, v3
	v_mov_b32_e32 v3, 0x10000
	v_mov_b32_e32 v5, 0x1000000
	v_cndmask_b32_e64 v4, 0, v3, s[30:31]
	v_cndmask_b32_e64 v6, 0, v5, s[34:35]
	v_or3_b32 v7, 0, 0, 0
	v_or3_b32 v2, v2, v4, v6
	v_cndmask_b32_e64 v4, 0, 1, s[36:37]
	v_cndmask_b32_e64 v6, 0, v1, s[38:39]
	v_or3_b32 v4, v7, v4, v6
	v_or3_b32 v6, v2, 0, 0
	v_cndmask_b32_e64 v2, 0, v1, s[4:5]
	v_cndmask_b32_e64 v9, 0, 1, s[0:1]
	v_or_b32_e32 v2, v2, v9
	v_cndmask_b32_e64 v9, 0, v3, s[6:7]
	v_cndmask_b32_e64 v10, 0, v5, s[16:17]
	v_or3_b32 v2, v2, v9, v10
	v_cndmask_b32_e64 v9, 0, 1, s[18:19]
	v_cndmask_b32_e64 v1, 0, v1, s[20:21]
	v_cndmask_b32_e64 v8, 0, v3, s[40:41]
	v_or3_b32 v1, v7, v9, v1
	v_or3_b32 v7, v2, 0, 0
	v_cndmask_b32_e64 v2, 0, v3, s[22:23]
	v_cndmask_b32_e64 v3, 0, v5, s[24:25]
	s_add_u32 s0, s12, s2
	v_or3_b32 v2, v1, v2, v3
	v_or3_b32 v1, v7, 0, 0
	v_cndmask_b32_e64 v3, 0, v5, s[42:43]
	s_addc_u32 s1, s13, s3
	v_lshlrev_b32_e32 v5, 3, v0
	v_or3_b32 v4, v4, v8, v3
	v_or3_b32 v3, v6, 0, 0
	global_store_dwordx2 v5, v[1:2], s[0:1]
	global_store_dwordx2 v5, v[3:4], s[0:1] offset:2048
	s_mov_b64 s[0:1], 0
.LBB97_211:
	s_and_b64 vcc, exec, s[0:1]
	s_cbranch_vccz .LBB97_519
; %bb.212:
	v_cmp_gt_i32_e64 s[0:1], s8, v0
	v_mov_b32_e32 v9, 0
	v_or_b32_e32 v1, s2, v0
	v_mov_b32_e32 v5, 0
	v_mov_b32_e32 v3, v0
	s_and_saveexec_b64 s[4:5], s[0:1]
	s_cbranch_execz .LBB97_214
; %bb.213:
	v_mov_b32_e32 v2, 0
	v_lshlrev_b64 v[2:3], 2, v[1:2]
	v_mov_b32_e32 v4, s15
	v_add_co_u32_e32 v2, vcc, s14, v2
	v_addc_co_u32_e32 v3, vcc, v4, v3, vcc
	global_load_dword v5, v[2:3], off
	v_or_b32_e32 v3, 0x100, v0
.LBB97_214:
	s_or_b64 exec, exec, s[4:5]
	v_cmp_gt_i32_e32 vcc, s8, v3
	s_and_saveexec_b64 s[4:5], vcc
	s_cbranch_execz .LBB97_216
; %bb.215:
	v_add_u32_e32 v6, s2, v3
	v_mov_b32_e32 v7, 0
	v_lshlrev_b64 v[6:7], 2, v[6:7]
	v_mov_b32_e32 v2, s15
	v_add_co_u32_e32 v6, vcc, s14, v6
	v_addc_co_u32_e32 v7, vcc, v2, v7, vcc
	global_load_dword v9, v[6:7], off
	v_add_u32_e32 v3, 0x100, v3
.LBB97_216:
	s_or_b64 exec, exec, s[4:5]
	v_cmp_gt_i32_e32 vcc, s8, v3
	v_mov_b32_e32 v13, 0
	v_mov_b32_e32 v11, 0
	s_and_saveexec_b64 s[4:5], vcc
	s_cbranch_execz .LBB97_218
; %bb.217:
	v_add_u32_e32 v6, s2, v3
	v_mov_b32_e32 v7, 0
	v_lshlrev_b64 v[6:7], 2, v[6:7]
	v_mov_b32_e32 v2, s15
	v_add_co_u32_e32 v6, vcc, s14, v6
	v_addc_co_u32_e32 v7, vcc, v2, v7, vcc
	global_load_dword v11, v[6:7], off
	v_add_u32_e32 v3, 0x100, v3
.LBB97_218:
	s_or_b64 exec, exec, s[4:5]
	v_cmp_gt_i32_e32 vcc, s8, v3
	s_and_saveexec_b64 s[4:5], vcc
	s_cbranch_execz .LBB97_220
; %bb.219:
	v_add_u32_e32 v6, s2, v3
	v_mov_b32_e32 v7, 0
	v_lshlrev_b64 v[6:7], 2, v[6:7]
	v_mov_b32_e32 v2, s15
	v_add_co_u32_e32 v6, vcc, s14, v6
	v_addc_co_u32_e32 v7, vcc, v2, v7, vcc
	global_load_dword v13, v[6:7], off
	v_add_u32_e32 v3, 0x100, v3
.LBB97_220:
	s_or_b64 exec, exec, s[4:5]
	v_cmp_gt_i32_e32 vcc, s8, v3
	v_mov_b32_e32 v18, 0
	v_mov_b32_e32 v15, 0
	s_and_saveexec_b64 s[4:5], vcc
	s_cbranch_execz .LBB97_222
; %bb.221:
	v_add_u32_e32 v6, s2, v3
	v_mov_b32_e32 v7, 0
	v_lshlrev_b64 v[6:7], 2, v[6:7]
	v_mov_b32_e32 v2, s15
	v_add_co_u32_e32 v6, vcc, s14, v6
	v_addc_co_u32_e32 v7, vcc, v2, v7, vcc
	global_load_dword v15, v[6:7], off
	v_add_u32_e32 v3, 0x100, v3
.LBB97_222:
	;; [unrolled: 30-line block ×6, first 2 shown]
	s_or_b64 exec, exec, s[4:5]
	v_cmp_gt_i32_e32 vcc, s8, v3
	s_and_saveexec_b64 s[4:5], vcc
	s_cbranch_execz .LBB97_240
; %bb.239:
	v_add_u32_e32 v6, s2, v3
	v_mov_b32_e32 v7, 0
	v_lshlrev_b64 v[6:7], 2, v[6:7]
	v_mov_b32_e32 v2, s15
	v_add_co_u32_e32 v6, vcc, s14, v6
	v_addc_co_u32_e32 v7, vcc, v2, v7, vcc
	global_load_dword v6, v[6:7], off
	v_add_u32_e32 v3, 0x100, v3
.LBB97_240:
	s_or_b64 exec, exec, s[4:5]
	v_cmp_gt_i32_e32 vcc, s8, v3
	v_mov_b32_e32 v2, 0
	v_mov_b32_e32 v4, 0
	s_and_saveexec_b64 s[4:5], vcc
	s_cbranch_execnz .LBB97_244
; %bb.241:
	s_or_b64 exec, exec, s[4:5]
	v_cmp_gt_i32_e32 vcc, s8, v3
	s_and_saveexec_b64 s[4:5], vcc
	s_cbranch_execnz .LBB97_245
.LBB97_242:
	s_or_b64 exec, exec, s[4:5]
                                        ; implicit-def: $vgpr3
	s_and_saveexec_b64 s[4:5], s[0:1]
	s_cbranch_execnz .LBB97_246
	s_branch .LBB97_276
.LBB97_243:
	s_waitcnt vmcnt(0)
	v_cmp_gt_f32_e32 vcc, s10, v4
	s_andn2_b64 s[42:43], s[42:43], exec
	s_and_b64 s[46:47], vcc, exec
	s_or_b64 s[42:43], s[42:43], s[46:47]
	s_cbranch_execz .LBB97_209
	s_branch .LBB97_210
.LBB97_244:
	v_add_u32_e32 v20, s2, v3
	v_mov_b32_e32 v21, 0
	v_lshlrev_b64 v[20:21], 2, v[20:21]
	v_mov_b32_e32 v4, s15
	v_add_co_u32_e32 v20, vcc, s14, v20
	v_addc_co_u32_e32 v21, vcc, v4, v21, vcc
	global_load_dword v4, v[20:21], off
	v_add_u32_e32 v3, 0x100, v3
	s_or_b64 exec, exec, s[4:5]
	v_cmp_gt_i32_e32 vcc, s8, v3
	s_and_saveexec_b64 s[4:5], vcc
	s_cbranch_execz .LBB97_242
.LBB97_245:
	v_add_u32_e32 v2, s2, v3
	v_mov_b32_e32 v3, 0
	v_lshlrev_b64 v[2:3], 2, v[2:3]
	v_mov_b32_e32 v7, s15
	v_add_co_u32_e32 v2, vcc, s14, v2
	v_addc_co_u32_e32 v3, vcc, v7, v3, vcc
	global_load_dword v2, v[2:3], off
	s_or_b64 exec, exec, s[4:5]
                                        ; implicit-def: $vgpr3
	s_and_saveexec_b64 s[4:5], s[0:1]
	s_cbranch_execz .LBB97_276
.LBB97_246:
	s_cmp_lt_i32 s9, 1
	s_mov_b64 s[6:7], 0
	s_cbranch_scc1 .LBB97_250
; %bb.247:
	s_cmp_gt_i32 s9, 1
	s_cbranch_scc0 .LBB97_266
; %bb.248:
	s_cmp_eq_u32 s9, 2
	s_cbranch_scc0 .LBB97_267
; %bb.249:
	s_waitcnt vmcnt(0)
	v_cmp_ge_f32_e64 s[14:15], s10, v5
	s_mov_b64 s[16:17], 0
	s_branch .LBB97_268
.LBB97_250:
                                        ; implicit-def: $sgpr14_sgpr15
	s_mov_b64 s[16:17], 0
	s_cbranch_execnz .LBB97_271
	s_branch .LBB97_272
.LBB97_251:
	s_mov_b64 s[16:17], -1
                                        ; implicit-def: $sgpr4_sgpr5
	s_branch .LBB97_23
.LBB97_252:
	s_mov_b64 s[18:19], -1
                                        ; implicit-def: $sgpr6_sgpr7
	s_branch .LBB97_36
.LBB97_253:
	s_mov_b64 s[20:21], -1
                                        ; implicit-def: $sgpr16_sgpr17
	s_branch .LBB97_49
.LBB97_254:
	s_mov_b64 s[22:23], -1
                                        ; implicit-def: $sgpr18_sgpr19
	s_branch .LBB97_62
.LBB97_255:
	s_mov_b64 s[24:25], -1
                                        ; implicit-def: $sgpr20_sgpr21
	s_branch .LBB97_75
.LBB97_256:
	s_mov_b64 s[26:27], -1
                                        ; implicit-def: $sgpr22_sgpr23
	s_branch .LBB97_88
.LBB97_257:
	s_mov_b64 s[28:29], -1
                                        ; implicit-def: $sgpr24_sgpr25
	s_branch .LBB97_101
.LBB97_258:
	s_mov_b64 s[30:31], -1
                                        ; implicit-def: $sgpr26_sgpr27
	s_branch .LBB97_114
.LBB97_259:
	s_mov_b64 s[34:35], -1
                                        ; implicit-def: $sgpr28_sgpr29
	s_branch .LBB97_127
.LBB97_260:
	s_mov_b64 s[36:37], -1
                                        ; implicit-def: $sgpr30_sgpr31
	s_branch .LBB97_140
.LBB97_261:
	s_mov_b64 s[38:39], -1
                                        ; implicit-def: $sgpr34_sgpr35
	s_branch .LBB97_153
.LBB97_262:
	s_mov_b64 s[40:41], -1
                                        ; implicit-def: $sgpr36_sgpr37
	s_branch .LBB97_166
.LBB97_263:
	s_mov_b64 s[42:43], -1
                                        ; implicit-def: $sgpr38_sgpr39
	s_branch .LBB97_179
.LBB97_264:
	s_mov_b64 s[44:45], -1
                                        ; implicit-def: $sgpr40_sgpr41
	s_branch .LBB97_192
.LBB97_265:
	s_mov_b64 s[46:47], -1
                                        ; implicit-def: $sgpr42_sgpr43
	s_branch .LBB97_205
.LBB97_266:
	s_mov_b64 s[16:17], 0
                                        ; implicit-def: $sgpr14_sgpr15
	s_cbranch_execnz .LBB97_269
	s_branch .LBB97_270
.LBB97_267:
	s_mov_b64 s[16:17], -1
                                        ; implicit-def: $sgpr14_sgpr15
.LBB97_268:
	s_branch .LBB97_270
.LBB97_269:
	s_waitcnt vmcnt(0)
	v_cmp_lt_f32_e32 vcc, s10, v5
	s_andn2_b64 s[14:15], s[14:15], exec
	s_and_b64 s[18:19], vcc, exec
	s_or_b64 s[14:15], s[14:15], s[18:19]
.LBB97_270:
	s_branch .LBB97_272
.LBB97_271:
	s_cmp_lg_u32 s9, 0
	s_mov_b64 s[6:7], -1
	s_cselect_b64 s[16:17], -1, 0
.LBB97_272:
	s_andn2_b64 vcc, exec, s[16:17]
	s_cbranch_vccz .LBB97_281
; %bb.273:
	s_andn2_b64 vcc, exec, s[6:7]
	s_cbranch_vccnz .LBB97_275
.LBB97_274:
	s_waitcnt vmcnt(0)
	v_cmp_le_f32_e32 vcc, s10, v5
	s_andn2_b64 s[6:7], s[14:15], exec
	s_and_b64 s[14:15], vcc, exec
	s_or_b64 s[14:15], s[6:7], s[14:15]
.LBB97_275:
	v_cndmask_b32_e64 v3, 0, 1, s[14:15]
.LBB97_276:
	s_or_b64 exec, exec, s[4:5]
	s_waitcnt vmcnt(0)
	v_or_b32_e32 v5, 0x100, v0
	v_cmp_gt_i32_e32 vcc, s8, v5
                                        ; implicit-def: $vgpr7
	s_and_saveexec_b64 s[4:5], vcc
	s_cbranch_execz .LBB97_291
; %bb.277:
	s_cmp_lt_i32 s9, 1
	s_mov_b64 s[6:7], 0
	s_cbranch_scc1 .LBB97_282
; %bb.278:
	s_cmp_gt_i32 s9, 1
	s_cbranch_scc0 .LBB97_283
; %bb.279:
	s_cmp_eq_u32 s9, 2
	s_cbranch_scc0 .LBB97_535
; %bb.280:
	v_cmp_ge_f32_e64 s[14:15], s10, v9
	s_mov_b64 s[16:17], 0
	s_branch .LBB97_285
.LBB97_281:
	s_waitcnt vmcnt(0)
	v_cmp_gt_f32_e32 vcc, s10, v5
	s_andn2_b64 s[14:15], s[14:15], exec
	s_and_b64 s[16:17], vcc, exec
	s_or_b64 s[14:15], s[14:15], s[16:17]
	s_cbranch_execz .LBB97_274
	s_branch .LBB97_275
.LBB97_282:
                                        ; implicit-def: $sgpr14_sgpr15
	s_mov_b64 s[16:17], 0
	s_cbranch_execnz .LBB97_286
	s_branch .LBB97_287
.LBB97_283:
	s_mov_b64 s[16:17], 0
                                        ; implicit-def: $sgpr14_sgpr15
	s_cbranch_execz .LBB97_285
; %bb.284:
	v_cmp_lt_f32_e32 vcc, s10, v9
	s_andn2_b64 s[14:15], s[14:15], exec
	s_and_b64 s[18:19], vcc, exec
	s_or_b64 s[14:15], s[14:15], s[18:19]
.LBB97_285:
	s_branch .LBB97_287
.LBB97_286:
	s_cmp_lg_u32 s9, 0
	s_mov_b64 s[6:7], -1
	s_cselect_b64 s[16:17], -1, 0
.LBB97_287:
	s_andn2_b64 vcc, exec, s[16:17]
	s_cbranch_vccz .LBB97_296
; %bb.288:
	s_andn2_b64 vcc, exec, s[6:7]
	s_cbranch_vccnz .LBB97_290
.LBB97_289:
	v_cmp_le_f32_e32 vcc, s10, v9
	s_andn2_b64 s[6:7], s[14:15], exec
	s_and_b64 s[14:15], vcc, exec
	s_or_b64 s[14:15], s[6:7], s[14:15]
.LBB97_290:
	v_cndmask_b32_e64 v7, 0, 1, s[14:15]
.LBB97_291:
	s_or_b64 exec, exec, s[4:5]
	v_or_b32_e32 v9, 0x200, v0
	v_cmp_gt_i32_e32 vcc, s8, v9
                                        ; implicit-def: $vgpr9
	s_and_saveexec_b64 s[4:5], vcc
	s_cbranch_execz .LBB97_306
; %bb.292:
	s_cmp_lt_i32 s9, 1
	s_mov_b64 s[6:7], 0
	s_cbranch_scc1 .LBB97_297
; %bb.293:
	s_cmp_gt_i32 s9, 1
	s_cbranch_scc0 .LBB97_298
; %bb.294:
	s_cmp_eq_u32 s9, 2
	s_cbranch_scc0 .LBB97_536
; %bb.295:
	v_cmp_ge_f32_e64 s[14:15], s10, v11
	s_mov_b64 s[16:17], 0
	s_branch .LBB97_300
.LBB97_296:
	v_cmp_gt_f32_e32 vcc, s10, v9
	s_andn2_b64 s[14:15], s[14:15], exec
	s_and_b64 s[16:17], vcc, exec
	s_or_b64 s[14:15], s[14:15], s[16:17]
	s_cbranch_execz .LBB97_289
	s_branch .LBB97_290
.LBB97_297:
                                        ; implicit-def: $sgpr14_sgpr15
	s_mov_b64 s[16:17], 0
	s_cbranch_execnz .LBB97_301
	s_branch .LBB97_302
.LBB97_298:
	s_mov_b64 s[16:17], 0
                                        ; implicit-def: $sgpr14_sgpr15
	s_cbranch_execz .LBB97_300
; %bb.299:
	v_cmp_lt_f32_e32 vcc, s10, v11
	s_andn2_b64 s[14:15], s[14:15], exec
	s_and_b64 s[18:19], vcc, exec
	s_or_b64 s[14:15], s[14:15], s[18:19]
.LBB97_300:
	s_branch .LBB97_302
.LBB97_301:
	s_cmp_lg_u32 s9, 0
	s_mov_b64 s[6:7], -1
	s_cselect_b64 s[16:17], -1, 0
.LBB97_302:
	s_andn2_b64 vcc, exec, s[16:17]
	s_cbranch_vccz .LBB97_311
; %bb.303:
	s_andn2_b64 vcc, exec, s[6:7]
	s_cbranch_vccnz .LBB97_305
.LBB97_304:
	v_cmp_le_f32_e32 vcc, s10, v11
	s_andn2_b64 s[6:7], s[14:15], exec
	s_and_b64 s[14:15], vcc, exec
	s_or_b64 s[14:15], s[6:7], s[14:15]
.LBB97_305:
	v_cndmask_b32_e64 v9, 0, 1, s[14:15]
.LBB97_306:
	s_or_b64 exec, exec, s[4:5]
	v_or_b32_e32 v11, 0x300, v0
	v_cmp_gt_i32_e32 vcc, s8, v11
                                        ; implicit-def: $vgpr11
	s_and_saveexec_b64 s[4:5], vcc
	s_cbranch_execz .LBB97_321
; %bb.307:
	s_cmp_lt_i32 s9, 1
	s_mov_b64 s[6:7], 0
	s_cbranch_scc1 .LBB97_312
; %bb.308:
	s_cmp_gt_i32 s9, 1
	s_cbranch_scc0 .LBB97_313
; %bb.309:
	s_cmp_eq_u32 s9, 2
	s_cbranch_scc0 .LBB97_537
; %bb.310:
	v_cmp_ge_f32_e64 s[14:15], s10, v13
	s_mov_b64 s[16:17], 0
	s_branch .LBB97_315
.LBB97_311:
	v_cmp_gt_f32_e32 vcc, s10, v11
	s_andn2_b64 s[14:15], s[14:15], exec
	s_and_b64 s[16:17], vcc, exec
	s_or_b64 s[14:15], s[14:15], s[16:17]
	s_cbranch_execz .LBB97_304
	s_branch .LBB97_305
.LBB97_312:
                                        ; implicit-def: $sgpr14_sgpr15
	s_mov_b64 s[16:17], 0
	s_cbranch_execnz .LBB97_316
	s_branch .LBB97_317
.LBB97_313:
	s_mov_b64 s[16:17], 0
                                        ; implicit-def: $sgpr14_sgpr15
	s_cbranch_execz .LBB97_315
; %bb.314:
	v_cmp_lt_f32_e32 vcc, s10, v13
	s_andn2_b64 s[14:15], s[14:15], exec
	s_and_b64 s[18:19], vcc, exec
	s_or_b64 s[14:15], s[14:15], s[18:19]
.LBB97_315:
	s_branch .LBB97_317
.LBB97_316:
	s_cmp_lg_u32 s9, 0
	s_mov_b64 s[6:7], -1
	s_cselect_b64 s[16:17], -1, 0
.LBB97_317:
	s_andn2_b64 vcc, exec, s[16:17]
	s_cbranch_vccz .LBB97_326
; %bb.318:
	s_andn2_b64 vcc, exec, s[6:7]
	s_cbranch_vccnz .LBB97_320
.LBB97_319:
	v_cmp_le_f32_e32 vcc, s10, v13
	s_andn2_b64 s[6:7], s[14:15], exec
	s_and_b64 s[14:15], vcc, exec
	s_or_b64 s[14:15], s[6:7], s[14:15]
.LBB97_320:
	v_cndmask_b32_e64 v11, 0, 1, s[14:15]
.LBB97_321:
	s_or_b64 exec, exec, s[4:5]
	v_or_b32_e32 v13, 0x400, v0
	v_cmp_gt_i32_e32 vcc, s8, v13
                                        ; implicit-def: $vgpr13
	s_and_saveexec_b64 s[4:5], vcc
	s_cbranch_execz .LBB97_336
; %bb.322:
	s_cmp_lt_i32 s9, 1
	s_mov_b64 s[6:7], 0
	s_cbranch_scc1 .LBB97_327
; %bb.323:
	s_cmp_gt_i32 s9, 1
	s_cbranch_scc0 .LBB97_328
; %bb.324:
	s_cmp_eq_u32 s9, 2
	s_cbranch_scc0 .LBB97_538
; %bb.325:
	v_cmp_ge_f32_e64 s[14:15], s10, v15
	s_mov_b64 s[16:17], 0
	s_branch .LBB97_330
.LBB97_326:
	v_cmp_gt_f32_e32 vcc, s10, v13
	s_andn2_b64 s[14:15], s[14:15], exec
	s_and_b64 s[16:17], vcc, exec
	s_or_b64 s[14:15], s[14:15], s[16:17]
	s_cbranch_execz .LBB97_319
	s_branch .LBB97_320
.LBB97_327:
                                        ; implicit-def: $sgpr14_sgpr15
	s_mov_b64 s[16:17], 0
	s_cbranch_execnz .LBB97_331
	s_branch .LBB97_332
.LBB97_328:
	s_mov_b64 s[16:17], 0
                                        ; implicit-def: $sgpr14_sgpr15
	s_cbranch_execz .LBB97_330
; %bb.329:
	v_cmp_lt_f32_e32 vcc, s10, v15
	s_andn2_b64 s[14:15], s[14:15], exec
	s_and_b64 s[18:19], vcc, exec
	s_or_b64 s[14:15], s[14:15], s[18:19]
.LBB97_330:
	s_branch .LBB97_332
.LBB97_331:
	s_cmp_lg_u32 s9, 0
	s_mov_b64 s[6:7], -1
	s_cselect_b64 s[16:17], -1, 0
.LBB97_332:
	s_andn2_b64 vcc, exec, s[16:17]
	s_cbranch_vccz .LBB97_341
; %bb.333:
	s_andn2_b64 vcc, exec, s[6:7]
	s_cbranch_vccnz .LBB97_335
.LBB97_334:
	v_cmp_le_f32_e32 vcc, s10, v15
	s_andn2_b64 s[6:7], s[14:15], exec
	s_and_b64 s[14:15], vcc, exec
	s_or_b64 s[14:15], s[6:7], s[14:15]
.LBB97_335:
	v_cndmask_b32_e64 v13, 0, 1, s[14:15]
.LBB97_336:
	s_or_b64 exec, exec, s[4:5]
	v_or_b32_e32 v15, 0x500, v0
	v_cmp_gt_i32_e32 vcc, s8, v15
                                        ; implicit-def: $vgpr15
	s_and_saveexec_b64 s[4:5], vcc
	s_cbranch_execz .LBB97_351
; %bb.337:
	s_cmp_lt_i32 s9, 1
	s_mov_b64 s[6:7], 0
	s_cbranch_scc1 .LBB97_342
; %bb.338:
	s_cmp_gt_i32 s9, 1
	s_cbranch_scc0 .LBB97_343
; %bb.339:
	s_cmp_eq_u32 s9, 2
	s_cbranch_scc0 .LBB97_539
; %bb.340:
	v_cmp_ge_f32_e64 s[14:15], s10, v18
	s_mov_b64 s[16:17], 0
	s_branch .LBB97_345
.LBB97_341:
	v_cmp_gt_f32_e32 vcc, s10, v15
	s_andn2_b64 s[14:15], s[14:15], exec
	s_and_b64 s[16:17], vcc, exec
	s_or_b64 s[14:15], s[14:15], s[16:17]
	s_cbranch_execz .LBB97_334
	s_branch .LBB97_335
.LBB97_342:
                                        ; implicit-def: $sgpr14_sgpr15
	s_mov_b64 s[16:17], 0
	s_cbranch_execnz .LBB97_346
	s_branch .LBB97_347
.LBB97_343:
	s_mov_b64 s[16:17], 0
                                        ; implicit-def: $sgpr14_sgpr15
	s_cbranch_execz .LBB97_345
; %bb.344:
	v_cmp_lt_f32_e32 vcc, s10, v18
	s_andn2_b64 s[14:15], s[14:15], exec
	s_and_b64 s[18:19], vcc, exec
	s_or_b64 s[14:15], s[14:15], s[18:19]
.LBB97_345:
	s_branch .LBB97_347
.LBB97_346:
	s_cmp_lg_u32 s9, 0
	s_mov_b64 s[6:7], -1
	s_cselect_b64 s[16:17], -1, 0
.LBB97_347:
	s_andn2_b64 vcc, exec, s[16:17]
	s_cbranch_vccz .LBB97_356
; %bb.348:
	s_andn2_b64 vcc, exec, s[6:7]
	s_cbranch_vccnz .LBB97_350
.LBB97_349:
	v_cmp_le_f32_e32 vcc, s10, v18
	s_andn2_b64 s[6:7], s[14:15], exec
	s_and_b64 s[14:15], vcc, exec
	s_or_b64 s[14:15], s[6:7], s[14:15]
.LBB97_350:
	v_cndmask_b32_e64 v15, 0, 1, s[14:15]
.LBB97_351:
	s_or_b64 exec, exec, s[4:5]
	v_or_b32_e32 v18, 0x600, v0
	v_cmp_gt_i32_e32 vcc, s8, v18
                                        ; implicit-def: $vgpr18
	s_and_saveexec_b64 s[4:5], vcc
	s_cbranch_execz .LBB97_366
; %bb.352:
	s_cmp_lt_i32 s9, 1
	s_mov_b64 s[6:7], 0
	s_cbranch_scc1 .LBB97_357
; %bb.353:
	s_cmp_gt_i32 s9, 1
	s_cbranch_scc0 .LBB97_358
; %bb.354:
	s_cmp_eq_u32 s9, 2
	s_cbranch_scc0 .LBB97_540
; %bb.355:
	v_cmp_ge_f32_e64 s[14:15], s10, v19
	s_mov_b64 s[16:17], 0
	s_branch .LBB97_360
.LBB97_356:
	v_cmp_gt_f32_e32 vcc, s10, v18
	s_andn2_b64 s[14:15], s[14:15], exec
	s_and_b64 s[16:17], vcc, exec
	s_or_b64 s[14:15], s[14:15], s[16:17]
	s_cbranch_execz .LBB97_349
	s_branch .LBB97_350
.LBB97_357:
                                        ; implicit-def: $sgpr14_sgpr15
	s_mov_b64 s[16:17], 0
	s_cbranch_execnz .LBB97_361
	s_branch .LBB97_362
.LBB97_358:
	s_mov_b64 s[16:17], 0
                                        ; implicit-def: $sgpr14_sgpr15
	s_cbranch_execz .LBB97_360
; %bb.359:
	v_cmp_lt_f32_e32 vcc, s10, v19
	s_andn2_b64 s[14:15], s[14:15], exec
	s_and_b64 s[18:19], vcc, exec
	s_or_b64 s[14:15], s[14:15], s[18:19]
.LBB97_360:
	s_branch .LBB97_362
.LBB97_361:
	s_cmp_lg_u32 s9, 0
	s_mov_b64 s[6:7], -1
	s_cselect_b64 s[16:17], -1, 0
.LBB97_362:
	s_andn2_b64 vcc, exec, s[16:17]
	s_cbranch_vccz .LBB97_371
; %bb.363:
	s_andn2_b64 vcc, exec, s[6:7]
	s_cbranch_vccnz .LBB97_365
.LBB97_364:
	v_cmp_le_f32_e32 vcc, s10, v19
	s_andn2_b64 s[6:7], s[14:15], exec
	s_and_b64 s[14:15], vcc, exec
	s_or_b64 s[14:15], s[6:7], s[14:15]
.LBB97_365:
	v_cndmask_b32_e64 v18, 0, 1, s[14:15]
.LBB97_366:
	s_or_b64 exec, exec, s[4:5]
	v_or_b32_e32 v19, 0x700, v0
	v_cmp_gt_i32_e32 vcc, s8, v19
                                        ; implicit-def: $vgpr19
	s_and_saveexec_b64 s[4:5], vcc
	s_cbranch_execz .LBB97_381
; %bb.367:
	s_cmp_lt_i32 s9, 1
	s_mov_b64 s[6:7], 0
	s_cbranch_scc1 .LBB97_372
; %bb.368:
	s_cmp_gt_i32 s9, 1
	s_cbranch_scc0 .LBB97_373
; %bb.369:
	s_cmp_eq_u32 s9, 2
	s_cbranch_scc0 .LBB97_541
; %bb.370:
	v_cmp_ge_f32_e64 s[14:15], s10, v17
	s_mov_b64 s[16:17], 0
	s_branch .LBB97_375
.LBB97_371:
	v_cmp_gt_f32_e32 vcc, s10, v19
	s_andn2_b64 s[14:15], s[14:15], exec
	s_and_b64 s[16:17], vcc, exec
	s_or_b64 s[14:15], s[14:15], s[16:17]
	s_cbranch_execz .LBB97_364
	s_branch .LBB97_365
.LBB97_372:
                                        ; implicit-def: $sgpr14_sgpr15
	s_mov_b64 s[16:17], 0
	s_cbranch_execnz .LBB97_376
	s_branch .LBB97_377
.LBB97_373:
	s_mov_b64 s[16:17], 0
                                        ; implicit-def: $sgpr14_sgpr15
	s_cbranch_execz .LBB97_375
; %bb.374:
	v_cmp_lt_f32_e32 vcc, s10, v17
	s_andn2_b64 s[14:15], s[14:15], exec
	s_and_b64 s[18:19], vcc, exec
	s_or_b64 s[14:15], s[14:15], s[18:19]
.LBB97_375:
	s_branch .LBB97_377
.LBB97_376:
	s_cmp_lg_u32 s9, 0
	s_mov_b64 s[6:7], -1
	s_cselect_b64 s[16:17], -1, 0
.LBB97_377:
	s_andn2_b64 vcc, exec, s[16:17]
	s_cbranch_vccz .LBB97_386
; %bb.378:
	s_andn2_b64 vcc, exec, s[6:7]
	s_cbranch_vccnz .LBB97_380
.LBB97_379:
	v_cmp_le_f32_e32 vcc, s10, v17
	s_andn2_b64 s[6:7], s[14:15], exec
	s_and_b64 s[14:15], vcc, exec
	s_or_b64 s[14:15], s[6:7], s[14:15]
.LBB97_380:
	v_cndmask_b32_e64 v19, 0, 1, s[14:15]
.LBB97_381:
	s_or_b64 exec, exec, s[4:5]
	v_or_b32_e32 v17, 0x800, v0
	v_cmp_gt_i32_e32 vcc, s8, v17
                                        ; implicit-def: $vgpr17
	s_and_saveexec_b64 s[4:5], vcc
	s_cbranch_execz .LBB97_396
; %bb.382:
	s_cmp_lt_i32 s9, 1
	s_mov_b64 s[6:7], 0
	s_cbranch_scc1 .LBB97_387
; %bb.383:
	s_cmp_gt_i32 s9, 1
	s_cbranch_scc0 .LBB97_388
; %bb.384:
	s_cmp_eq_u32 s9, 2
	s_cbranch_scc0 .LBB97_542
; %bb.385:
	v_cmp_ge_f32_e64 s[14:15], s10, v16
	s_mov_b64 s[16:17], 0
	s_branch .LBB97_390
.LBB97_386:
	v_cmp_gt_f32_e32 vcc, s10, v17
	s_andn2_b64 s[14:15], s[14:15], exec
	s_and_b64 s[16:17], vcc, exec
	s_or_b64 s[14:15], s[14:15], s[16:17]
	s_cbranch_execz .LBB97_379
	s_branch .LBB97_380
.LBB97_387:
                                        ; implicit-def: $sgpr14_sgpr15
	s_mov_b64 s[16:17], 0
	s_cbranch_execnz .LBB97_391
	s_branch .LBB97_392
.LBB97_388:
	s_mov_b64 s[16:17], 0
                                        ; implicit-def: $sgpr14_sgpr15
	s_cbranch_execz .LBB97_390
; %bb.389:
	v_cmp_lt_f32_e32 vcc, s10, v16
	s_andn2_b64 s[14:15], s[14:15], exec
	s_and_b64 s[18:19], vcc, exec
	s_or_b64 s[14:15], s[14:15], s[18:19]
.LBB97_390:
	s_branch .LBB97_392
.LBB97_391:
	s_cmp_lg_u32 s9, 0
	s_mov_b64 s[6:7], -1
	s_cselect_b64 s[16:17], -1, 0
.LBB97_392:
	s_andn2_b64 vcc, exec, s[16:17]
	s_cbranch_vccz .LBB97_401
; %bb.393:
	s_andn2_b64 vcc, exec, s[6:7]
	s_cbranch_vccnz .LBB97_395
.LBB97_394:
	v_cmp_le_f32_e32 vcc, s10, v16
	s_andn2_b64 s[6:7], s[14:15], exec
	s_and_b64 s[14:15], vcc, exec
	s_or_b64 s[14:15], s[6:7], s[14:15]
.LBB97_395:
	v_cndmask_b32_e64 v17, 0, 1, s[14:15]
.LBB97_396:
	s_or_b64 exec, exec, s[4:5]
	v_or_b32_e32 v16, 0x900, v0
	v_cmp_gt_i32_e32 vcc, s8, v16
                                        ; implicit-def: $vgpr16
	s_and_saveexec_b64 s[4:5], vcc
	s_cbranch_execz .LBB97_411
; %bb.397:
	s_cmp_lt_i32 s9, 1
	s_mov_b64 s[6:7], 0
	s_cbranch_scc1 .LBB97_402
; %bb.398:
	s_cmp_gt_i32 s9, 1
	s_cbranch_scc0 .LBB97_403
; %bb.399:
	s_cmp_eq_u32 s9, 2
	s_cbranch_scc0 .LBB97_543
; %bb.400:
	v_cmp_ge_f32_e64 s[14:15], s10, v14
	s_mov_b64 s[16:17], 0
	s_branch .LBB97_405
.LBB97_401:
	v_cmp_gt_f32_e32 vcc, s10, v16
	s_andn2_b64 s[14:15], s[14:15], exec
	s_and_b64 s[16:17], vcc, exec
	s_or_b64 s[14:15], s[14:15], s[16:17]
	s_cbranch_execz .LBB97_394
	s_branch .LBB97_395
.LBB97_402:
                                        ; implicit-def: $sgpr14_sgpr15
	s_mov_b64 s[16:17], 0
	s_cbranch_execnz .LBB97_406
	s_branch .LBB97_407
.LBB97_403:
	s_mov_b64 s[16:17], 0
                                        ; implicit-def: $sgpr14_sgpr15
	s_cbranch_execz .LBB97_405
; %bb.404:
	v_cmp_lt_f32_e32 vcc, s10, v14
	s_andn2_b64 s[14:15], s[14:15], exec
	s_and_b64 s[18:19], vcc, exec
	s_or_b64 s[14:15], s[14:15], s[18:19]
.LBB97_405:
	s_branch .LBB97_407
.LBB97_406:
	s_cmp_lg_u32 s9, 0
	s_mov_b64 s[6:7], -1
	s_cselect_b64 s[16:17], -1, 0
.LBB97_407:
	s_andn2_b64 vcc, exec, s[16:17]
	s_cbranch_vccz .LBB97_416
; %bb.408:
	s_andn2_b64 vcc, exec, s[6:7]
	s_cbranch_vccnz .LBB97_410
.LBB97_409:
	v_cmp_le_f32_e32 vcc, s10, v14
	s_andn2_b64 s[6:7], s[14:15], exec
	s_and_b64 s[14:15], vcc, exec
	s_or_b64 s[14:15], s[6:7], s[14:15]
.LBB97_410:
	v_cndmask_b32_e64 v16, 0, 1, s[14:15]
.LBB97_411:
	s_or_b64 exec, exec, s[4:5]
	v_or_b32_e32 v14, 0xa00, v0
	v_cmp_gt_i32_e32 vcc, s8, v14
                                        ; implicit-def: $vgpr14
	s_and_saveexec_b64 s[4:5], vcc
	s_cbranch_execz .LBB97_426
; %bb.412:
	s_cmp_lt_i32 s9, 1
	s_mov_b64 s[6:7], 0
	s_cbranch_scc1 .LBB97_417
; %bb.413:
	s_cmp_gt_i32 s9, 1
	s_cbranch_scc0 .LBB97_418
; %bb.414:
	s_cmp_eq_u32 s9, 2
	s_cbranch_scc0 .LBB97_544
; %bb.415:
	v_cmp_ge_f32_e64 s[14:15], s10, v12
	s_mov_b64 s[16:17], 0
	s_branch .LBB97_420
.LBB97_416:
	v_cmp_gt_f32_e32 vcc, s10, v14
	s_andn2_b64 s[14:15], s[14:15], exec
	s_and_b64 s[16:17], vcc, exec
	s_or_b64 s[14:15], s[14:15], s[16:17]
	s_cbranch_execz .LBB97_409
	s_branch .LBB97_410
.LBB97_417:
                                        ; implicit-def: $sgpr14_sgpr15
	s_mov_b64 s[16:17], 0
	s_cbranch_execnz .LBB97_421
	s_branch .LBB97_422
.LBB97_418:
	s_mov_b64 s[16:17], 0
                                        ; implicit-def: $sgpr14_sgpr15
	s_cbranch_execz .LBB97_420
; %bb.419:
	v_cmp_lt_f32_e32 vcc, s10, v12
	s_andn2_b64 s[14:15], s[14:15], exec
	s_and_b64 s[18:19], vcc, exec
	s_or_b64 s[14:15], s[14:15], s[18:19]
.LBB97_420:
	s_branch .LBB97_422
.LBB97_421:
	s_cmp_lg_u32 s9, 0
	s_mov_b64 s[6:7], -1
	s_cselect_b64 s[16:17], -1, 0
.LBB97_422:
	s_andn2_b64 vcc, exec, s[16:17]
	s_cbranch_vccz .LBB97_431
; %bb.423:
	s_andn2_b64 vcc, exec, s[6:7]
	s_cbranch_vccnz .LBB97_425
.LBB97_424:
	v_cmp_le_f32_e32 vcc, s10, v12
	s_andn2_b64 s[6:7], s[14:15], exec
	s_and_b64 s[14:15], vcc, exec
	s_or_b64 s[14:15], s[6:7], s[14:15]
.LBB97_425:
	v_cndmask_b32_e64 v14, 0, 1, s[14:15]
.LBB97_426:
	s_or_b64 exec, exec, s[4:5]
	v_or_b32_e32 v12, 0xb00, v0
	v_cmp_gt_i32_e32 vcc, s8, v12
                                        ; implicit-def: $vgpr12
	s_and_saveexec_b64 s[4:5], vcc
	s_cbranch_execz .LBB97_441
; %bb.427:
	s_cmp_lt_i32 s9, 1
	s_mov_b64 s[6:7], 0
	s_cbranch_scc1 .LBB97_432
; %bb.428:
	s_cmp_gt_i32 s9, 1
	s_cbranch_scc0 .LBB97_433
; %bb.429:
	s_cmp_eq_u32 s9, 2
	s_cbranch_scc0 .LBB97_545
; %bb.430:
	v_cmp_ge_f32_e64 s[14:15], s10, v10
	s_mov_b64 s[16:17], 0
	s_branch .LBB97_435
.LBB97_431:
	v_cmp_gt_f32_e32 vcc, s10, v12
	s_andn2_b64 s[14:15], s[14:15], exec
	s_and_b64 s[16:17], vcc, exec
	s_or_b64 s[14:15], s[14:15], s[16:17]
	s_cbranch_execz .LBB97_424
	s_branch .LBB97_425
.LBB97_432:
                                        ; implicit-def: $sgpr14_sgpr15
	s_mov_b64 s[16:17], 0
	s_cbranch_execnz .LBB97_436
	s_branch .LBB97_437
.LBB97_433:
	s_mov_b64 s[16:17], 0
                                        ; implicit-def: $sgpr14_sgpr15
	s_cbranch_execz .LBB97_435
; %bb.434:
	v_cmp_lt_f32_e32 vcc, s10, v10
	s_andn2_b64 s[14:15], s[14:15], exec
	s_and_b64 s[18:19], vcc, exec
	s_or_b64 s[14:15], s[14:15], s[18:19]
.LBB97_435:
	s_branch .LBB97_437
.LBB97_436:
	s_cmp_lg_u32 s9, 0
	s_mov_b64 s[6:7], -1
	s_cselect_b64 s[16:17], -1, 0
.LBB97_437:
	s_andn2_b64 vcc, exec, s[16:17]
	s_cbranch_vccz .LBB97_446
; %bb.438:
	s_andn2_b64 vcc, exec, s[6:7]
	s_cbranch_vccnz .LBB97_440
.LBB97_439:
	v_cmp_le_f32_e32 vcc, s10, v10
	s_andn2_b64 s[6:7], s[14:15], exec
	s_and_b64 s[14:15], vcc, exec
	s_or_b64 s[14:15], s[6:7], s[14:15]
.LBB97_440:
	v_cndmask_b32_e64 v12, 0, 1, s[14:15]
.LBB97_441:
	s_or_b64 exec, exec, s[4:5]
	v_or_b32_e32 v10, 0xc00, v0
	v_cmp_gt_i32_e32 vcc, s8, v10
                                        ; implicit-def: $vgpr10
	s_and_saveexec_b64 s[4:5], vcc
	s_cbranch_execz .LBB97_456
; %bb.442:
	s_cmp_lt_i32 s9, 1
	s_mov_b64 s[6:7], 0
	s_cbranch_scc1 .LBB97_447
; %bb.443:
	s_cmp_gt_i32 s9, 1
	s_cbranch_scc0 .LBB97_448
; %bb.444:
	s_cmp_eq_u32 s9, 2
	s_cbranch_scc0 .LBB97_546
; %bb.445:
	v_cmp_ge_f32_e64 s[14:15], s10, v8
	s_mov_b64 s[16:17], 0
	s_branch .LBB97_450
.LBB97_446:
	v_cmp_gt_f32_e32 vcc, s10, v10
	s_andn2_b64 s[14:15], s[14:15], exec
	s_and_b64 s[16:17], vcc, exec
	s_or_b64 s[14:15], s[14:15], s[16:17]
	s_cbranch_execz .LBB97_439
	s_branch .LBB97_440
.LBB97_447:
                                        ; implicit-def: $sgpr14_sgpr15
	s_mov_b64 s[16:17], 0
	s_cbranch_execnz .LBB97_451
	s_branch .LBB97_452
.LBB97_448:
	s_mov_b64 s[16:17], 0
                                        ; implicit-def: $sgpr14_sgpr15
	s_cbranch_execz .LBB97_450
; %bb.449:
	v_cmp_lt_f32_e32 vcc, s10, v8
	s_andn2_b64 s[14:15], s[14:15], exec
	s_and_b64 s[18:19], vcc, exec
	s_or_b64 s[14:15], s[14:15], s[18:19]
.LBB97_450:
	s_branch .LBB97_452
.LBB97_451:
	s_cmp_lg_u32 s9, 0
	s_mov_b64 s[6:7], -1
	s_cselect_b64 s[16:17], -1, 0
.LBB97_452:
	s_andn2_b64 vcc, exec, s[16:17]
	s_cbranch_vccz .LBB97_461
; %bb.453:
	s_andn2_b64 vcc, exec, s[6:7]
	s_cbranch_vccnz .LBB97_455
.LBB97_454:
	v_cmp_le_f32_e32 vcc, s10, v8
	s_andn2_b64 s[6:7], s[14:15], exec
	s_and_b64 s[14:15], vcc, exec
	s_or_b64 s[14:15], s[6:7], s[14:15]
.LBB97_455:
	v_cndmask_b32_e64 v10, 0, 1, s[14:15]
.LBB97_456:
	s_or_b64 exec, exec, s[4:5]
	v_or_b32_e32 v8, 0xd00, v0
	v_cmp_gt_i32_e32 vcc, s8, v8
                                        ; implicit-def: $vgpr8
	s_and_saveexec_b64 s[4:5], vcc
	s_cbranch_execz .LBB97_471
; %bb.457:
	s_cmp_lt_i32 s9, 1
	s_mov_b64 s[6:7], 0
	s_cbranch_scc1 .LBB97_462
; %bb.458:
	s_cmp_gt_i32 s9, 1
	s_cbranch_scc0 .LBB97_463
; %bb.459:
	s_cmp_eq_u32 s9, 2
	s_cbranch_scc0 .LBB97_547
; %bb.460:
	v_cmp_ge_f32_e64 s[14:15], s10, v6
	s_mov_b64 s[16:17], 0
	s_branch .LBB97_465
.LBB97_461:
	v_cmp_gt_f32_e32 vcc, s10, v8
	s_andn2_b64 s[14:15], s[14:15], exec
	s_and_b64 s[16:17], vcc, exec
	s_or_b64 s[14:15], s[14:15], s[16:17]
	s_cbranch_execz .LBB97_454
	s_branch .LBB97_455
.LBB97_462:
                                        ; implicit-def: $sgpr14_sgpr15
	s_mov_b64 s[16:17], 0
	s_cbranch_execnz .LBB97_466
	s_branch .LBB97_467
.LBB97_463:
	s_mov_b64 s[16:17], 0
                                        ; implicit-def: $sgpr14_sgpr15
	s_cbranch_execz .LBB97_465
; %bb.464:
	v_cmp_lt_f32_e32 vcc, s10, v6
	s_andn2_b64 s[14:15], s[14:15], exec
	s_and_b64 s[18:19], vcc, exec
	s_or_b64 s[14:15], s[14:15], s[18:19]
.LBB97_465:
	s_branch .LBB97_467
.LBB97_466:
	s_cmp_lg_u32 s9, 0
	s_mov_b64 s[6:7], -1
	s_cselect_b64 s[16:17], -1, 0
.LBB97_467:
	s_andn2_b64 vcc, exec, s[16:17]
	s_cbranch_vccz .LBB97_476
; %bb.468:
	s_andn2_b64 vcc, exec, s[6:7]
	s_cbranch_vccnz .LBB97_470
.LBB97_469:
	v_cmp_le_f32_e32 vcc, s10, v6
	s_andn2_b64 s[6:7], s[14:15], exec
	s_and_b64 s[14:15], vcc, exec
	s_or_b64 s[14:15], s[6:7], s[14:15]
.LBB97_470:
	v_cndmask_b32_e64 v8, 0, 1, s[14:15]
.LBB97_471:
	s_or_b64 exec, exec, s[4:5]
	v_or_b32_e32 v6, 0xe00, v0
	v_cmp_gt_i32_e32 vcc, s8, v6
                                        ; implicit-def: $vgpr6
	s_and_saveexec_b64 s[4:5], vcc
	s_cbranch_execz .LBB97_486
; %bb.472:
	s_cmp_lt_i32 s9, 1
	s_mov_b64 s[6:7], 0
	s_cbranch_scc1 .LBB97_477
; %bb.473:
	s_cmp_gt_i32 s9, 1
	s_cbranch_scc0 .LBB97_478
; %bb.474:
	s_cmp_eq_u32 s9, 2
	s_cbranch_scc0 .LBB97_548
; %bb.475:
	v_cmp_ge_f32_e64 s[14:15], s10, v4
	s_mov_b64 s[16:17], 0
	s_branch .LBB97_480
.LBB97_476:
	v_cmp_gt_f32_e32 vcc, s10, v6
	s_andn2_b64 s[14:15], s[14:15], exec
	s_and_b64 s[16:17], vcc, exec
	s_or_b64 s[14:15], s[14:15], s[16:17]
	s_cbranch_execz .LBB97_469
	s_branch .LBB97_470
.LBB97_477:
                                        ; implicit-def: $sgpr14_sgpr15
	s_mov_b64 s[16:17], 0
	s_cbranch_execnz .LBB97_481
	s_branch .LBB97_482
.LBB97_478:
	s_mov_b64 s[16:17], 0
                                        ; implicit-def: $sgpr14_sgpr15
	s_cbranch_execz .LBB97_480
; %bb.479:
	v_cmp_lt_f32_e32 vcc, s10, v4
	s_andn2_b64 s[14:15], s[14:15], exec
	s_and_b64 s[18:19], vcc, exec
	s_or_b64 s[14:15], s[14:15], s[18:19]
.LBB97_480:
	s_branch .LBB97_482
.LBB97_481:
	s_cmp_lg_u32 s9, 0
	s_mov_b64 s[6:7], -1
	s_cselect_b64 s[16:17], -1, 0
.LBB97_482:
	s_andn2_b64 vcc, exec, s[16:17]
	s_cbranch_vccz .LBB97_491
; %bb.483:
	s_andn2_b64 vcc, exec, s[6:7]
	s_cbranch_vccnz .LBB97_485
.LBB97_484:
	v_cmp_le_f32_e32 vcc, s10, v4
	s_andn2_b64 s[6:7], s[14:15], exec
	s_and_b64 s[14:15], vcc, exec
	s_or_b64 s[14:15], s[6:7], s[14:15]
.LBB97_485:
	v_cndmask_b32_e64 v6, 0, 1, s[14:15]
.LBB97_486:
	s_or_b64 exec, exec, s[4:5]
	v_or_b32_e32 v4, 0xf00, v0
	v_cmp_gt_i32_e32 vcc, s8, v4
                                        ; implicit-def: $vgpr4
	s_and_saveexec_b64 s[4:5], vcc
	s_cbranch_execz .LBB97_501
; %bb.487:
	s_cmp_lt_i32 s9, 1
	s_mov_b64 s[6:7], 0
	s_cbranch_scc1 .LBB97_492
; %bb.488:
	s_cmp_gt_i32 s9, 1
	s_cbranch_scc0 .LBB97_493
; %bb.489:
	s_cmp_eq_u32 s9, 2
	s_cbranch_scc0 .LBB97_549
; %bb.490:
	v_cmp_ge_f32_e64 s[14:15], s10, v2
	s_mov_b64 s[16:17], 0
	s_branch .LBB97_495
.LBB97_491:
	v_cmp_gt_f32_e32 vcc, s10, v4
	s_andn2_b64 s[14:15], s[14:15], exec
	s_and_b64 s[16:17], vcc, exec
	s_or_b64 s[14:15], s[14:15], s[16:17]
	s_cbranch_execz .LBB97_484
	s_branch .LBB97_485
.LBB97_492:
                                        ; implicit-def: $sgpr14_sgpr15
	s_mov_b64 s[16:17], 0
	s_cbranch_execnz .LBB97_496
	s_branch .LBB97_497
.LBB97_493:
	s_mov_b64 s[16:17], 0
                                        ; implicit-def: $sgpr14_sgpr15
	s_cbranch_execz .LBB97_495
; %bb.494:
	v_cmp_lt_f32_e32 vcc, s10, v2
	s_andn2_b64 s[14:15], s[14:15], exec
	s_and_b64 s[18:19], vcc, exec
	s_or_b64 s[14:15], s[14:15], s[18:19]
.LBB97_495:
	s_branch .LBB97_497
.LBB97_496:
	s_cmp_lg_u32 s9, 0
	s_mov_b64 s[6:7], -1
	s_cselect_b64 s[16:17], -1, 0
.LBB97_497:
	s_andn2_b64 vcc, exec, s[16:17]
	s_cbranch_vccz .LBB97_534
; %bb.498:
	s_andn2_b64 vcc, exec, s[6:7]
	s_cbranch_vccnz .LBB97_500
.LBB97_499:
	v_cmp_le_f32_e32 vcc, s10, v2
	s_andn2_b64 s[6:7], s[14:15], exec
	s_and_b64 s[10:11], vcc, exec
	s_or_b64 s[14:15], s[6:7], s[10:11]
.LBB97_500:
	v_cndmask_b32_e64 v4, 0, 1, s[14:15]
.LBB97_501:
	s_or_b64 exec, exec, s[4:5]
	s_and_saveexec_b64 s[4:5], s[0:1]
	s_xor_b64 s[0:1], exec, s[4:5]
	s_cbranch_execz .LBB97_503
; %bb.502:
	v_mov_b32_e32 v0, v5
	global_store_byte v1, v3, s[12:13]
.LBB97_503:
	s_or_b64 exec, exec, s[0:1]
	v_cmp_gt_i32_e32 vcc, s8, v0
	s_and_saveexec_b64 s[0:1], vcc
	s_cbranch_execnz .LBB97_520
; %bb.504:
	s_or_b64 exec, exec, s[0:1]
	v_cmp_gt_i32_e32 vcc, s8, v0
	s_and_saveexec_b64 s[0:1], vcc
	s_cbranch_execnz .LBB97_521
.LBB97_505:
	s_or_b64 exec, exec, s[0:1]
	v_cmp_gt_i32_e32 vcc, s8, v0
	s_and_saveexec_b64 s[0:1], vcc
	s_cbranch_execnz .LBB97_522
.LBB97_506:
	s_or_b64 exec, exec, s[0:1]
	v_cmp_gt_i32_e32 vcc, s8, v0
	s_and_saveexec_b64 s[0:1], vcc
	s_cbranch_execnz .LBB97_523
.LBB97_507:
	s_or_b64 exec, exec, s[0:1]
	v_cmp_gt_i32_e32 vcc, s8, v0
	s_and_saveexec_b64 s[0:1], vcc
	s_cbranch_execnz .LBB97_524
.LBB97_508:
	s_or_b64 exec, exec, s[0:1]
	v_cmp_gt_i32_e32 vcc, s8, v0
	s_and_saveexec_b64 s[0:1], vcc
	s_cbranch_execnz .LBB97_525
.LBB97_509:
	s_or_b64 exec, exec, s[0:1]
	v_cmp_gt_i32_e32 vcc, s8, v0
	s_and_saveexec_b64 s[0:1], vcc
	s_cbranch_execnz .LBB97_526
.LBB97_510:
	s_or_b64 exec, exec, s[0:1]
	v_cmp_gt_i32_e32 vcc, s8, v0
	s_and_saveexec_b64 s[0:1], vcc
	s_cbranch_execnz .LBB97_527
.LBB97_511:
	s_or_b64 exec, exec, s[0:1]
	v_cmp_gt_i32_e32 vcc, s8, v0
	s_and_saveexec_b64 s[0:1], vcc
	s_cbranch_execnz .LBB97_528
.LBB97_512:
	s_or_b64 exec, exec, s[0:1]
	v_cmp_gt_i32_e32 vcc, s8, v0
	s_and_saveexec_b64 s[0:1], vcc
	s_cbranch_execnz .LBB97_529
.LBB97_513:
	s_or_b64 exec, exec, s[0:1]
	v_cmp_gt_i32_e32 vcc, s8, v0
	s_and_saveexec_b64 s[0:1], vcc
	s_cbranch_execnz .LBB97_530
.LBB97_514:
	s_or_b64 exec, exec, s[0:1]
	v_cmp_gt_i32_e32 vcc, s8, v0
	s_and_saveexec_b64 s[0:1], vcc
	s_cbranch_execnz .LBB97_531
.LBB97_515:
	s_or_b64 exec, exec, s[0:1]
	v_cmp_gt_i32_e32 vcc, s8, v0
	s_and_saveexec_b64 s[0:1], vcc
	s_cbranch_execnz .LBB97_532
.LBB97_516:
	s_or_b64 exec, exec, s[0:1]
	v_cmp_gt_i32_e32 vcc, s8, v0
	s_and_saveexec_b64 s[0:1], vcc
	s_cbranch_execnz .LBB97_533
.LBB97_517:
	s_or_b64 exec, exec, s[0:1]
	v_cmp_gt_i32_e32 vcc, s8, v0
	s_and_saveexec_b64 s[0:1], vcc
	s_cbranch_execz .LBB97_519
.LBB97_518:
	v_add_u32_e32 v0, s2, v0
	global_store_byte v0, v4, s[12:13]
.LBB97_519:
	s_endpgm
.LBB97_520:
	v_add_u32_e32 v1, s2, v0
	v_add_u32_e32 v0, 0x100, v0
	global_store_byte v1, v7, s[12:13]
	s_or_b64 exec, exec, s[0:1]
	v_cmp_gt_i32_e32 vcc, s8, v0
	s_and_saveexec_b64 s[0:1], vcc
	s_cbranch_execz .LBB97_505
.LBB97_521:
	v_add_u32_e32 v1, s2, v0
	v_add_u32_e32 v0, 0x100, v0
	global_store_byte v1, v9, s[12:13]
	s_or_b64 exec, exec, s[0:1]
	v_cmp_gt_i32_e32 vcc, s8, v0
	s_and_saveexec_b64 s[0:1], vcc
	s_cbranch_execz .LBB97_506
.LBB97_522:
	v_add_u32_e32 v1, s2, v0
	v_add_u32_e32 v0, 0x100, v0
	global_store_byte v1, v11, s[12:13]
	s_or_b64 exec, exec, s[0:1]
	v_cmp_gt_i32_e32 vcc, s8, v0
	s_and_saveexec_b64 s[0:1], vcc
	s_cbranch_execz .LBB97_507
.LBB97_523:
	v_add_u32_e32 v1, s2, v0
	v_add_u32_e32 v0, 0x100, v0
	global_store_byte v1, v13, s[12:13]
	s_or_b64 exec, exec, s[0:1]
	v_cmp_gt_i32_e32 vcc, s8, v0
	s_and_saveexec_b64 s[0:1], vcc
	s_cbranch_execz .LBB97_508
.LBB97_524:
	v_add_u32_e32 v1, s2, v0
	v_add_u32_e32 v0, 0x100, v0
	global_store_byte v1, v15, s[12:13]
	s_or_b64 exec, exec, s[0:1]
	v_cmp_gt_i32_e32 vcc, s8, v0
	s_and_saveexec_b64 s[0:1], vcc
	s_cbranch_execz .LBB97_509
.LBB97_525:
	v_add_u32_e32 v1, s2, v0
	v_add_u32_e32 v0, 0x100, v0
	global_store_byte v1, v18, s[12:13]
	s_or_b64 exec, exec, s[0:1]
	v_cmp_gt_i32_e32 vcc, s8, v0
	s_and_saveexec_b64 s[0:1], vcc
	s_cbranch_execz .LBB97_510
.LBB97_526:
	v_add_u32_e32 v1, s2, v0
	v_add_u32_e32 v0, 0x100, v0
	global_store_byte v1, v19, s[12:13]
	s_or_b64 exec, exec, s[0:1]
	v_cmp_gt_i32_e32 vcc, s8, v0
	s_and_saveexec_b64 s[0:1], vcc
	s_cbranch_execz .LBB97_511
.LBB97_527:
	v_add_u32_e32 v1, s2, v0
	v_add_u32_e32 v0, 0x100, v0
	global_store_byte v1, v17, s[12:13]
	s_or_b64 exec, exec, s[0:1]
	v_cmp_gt_i32_e32 vcc, s8, v0
	s_and_saveexec_b64 s[0:1], vcc
	s_cbranch_execz .LBB97_512
.LBB97_528:
	v_add_u32_e32 v1, s2, v0
	v_add_u32_e32 v0, 0x100, v0
	global_store_byte v1, v16, s[12:13]
	s_or_b64 exec, exec, s[0:1]
	v_cmp_gt_i32_e32 vcc, s8, v0
	s_and_saveexec_b64 s[0:1], vcc
	s_cbranch_execz .LBB97_513
.LBB97_529:
	v_add_u32_e32 v1, s2, v0
	v_add_u32_e32 v0, 0x100, v0
	global_store_byte v1, v14, s[12:13]
	s_or_b64 exec, exec, s[0:1]
	v_cmp_gt_i32_e32 vcc, s8, v0
	s_and_saveexec_b64 s[0:1], vcc
	s_cbranch_execz .LBB97_514
.LBB97_530:
	v_add_u32_e32 v1, s2, v0
	v_add_u32_e32 v0, 0x100, v0
	global_store_byte v1, v12, s[12:13]
	s_or_b64 exec, exec, s[0:1]
	v_cmp_gt_i32_e32 vcc, s8, v0
	s_and_saveexec_b64 s[0:1], vcc
	s_cbranch_execz .LBB97_515
.LBB97_531:
	v_add_u32_e32 v1, s2, v0
	v_add_u32_e32 v0, 0x100, v0
	global_store_byte v1, v10, s[12:13]
	s_or_b64 exec, exec, s[0:1]
	v_cmp_gt_i32_e32 vcc, s8, v0
	s_and_saveexec_b64 s[0:1], vcc
	s_cbranch_execz .LBB97_516
.LBB97_532:
	v_add_u32_e32 v1, s2, v0
	v_add_u32_e32 v0, 0x100, v0
	global_store_byte v1, v8, s[12:13]
	s_or_b64 exec, exec, s[0:1]
	v_cmp_gt_i32_e32 vcc, s8, v0
	s_and_saveexec_b64 s[0:1], vcc
	s_cbranch_execz .LBB97_517
.LBB97_533:
	v_add_u32_e32 v1, s2, v0
	v_add_u32_e32 v0, 0x100, v0
	global_store_byte v1, v6, s[12:13]
	s_or_b64 exec, exec, s[0:1]
	v_cmp_gt_i32_e32 vcc, s8, v0
	s_and_saveexec_b64 s[0:1], vcc
	s_cbranch_execnz .LBB97_518
	s_branch .LBB97_519
.LBB97_534:
	v_cmp_gt_f32_e32 vcc, s10, v2
	s_andn2_b64 s[14:15], s[14:15], exec
	s_and_b64 s[16:17], vcc, exec
	s_or_b64 s[14:15], s[14:15], s[16:17]
	s_cbranch_execz .LBB97_499
	s_branch .LBB97_500
.LBB97_535:
	s_mov_b64 s[16:17], -1
                                        ; implicit-def: $sgpr14_sgpr15
	s_branch .LBB97_285
.LBB97_536:
	s_mov_b64 s[16:17], -1
                                        ; implicit-def: $sgpr14_sgpr15
	s_branch .LBB97_300
.LBB97_537:
	s_mov_b64 s[16:17], -1
                                        ; implicit-def: $sgpr14_sgpr15
	s_branch .LBB97_315
.LBB97_538:
	s_mov_b64 s[16:17], -1
                                        ; implicit-def: $sgpr14_sgpr15
	s_branch .LBB97_330
.LBB97_539:
	s_mov_b64 s[16:17], -1
                                        ; implicit-def: $sgpr14_sgpr15
	s_branch .LBB97_345
.LBB97_540:
	s_mov_b64 s[16:17], -1
                                        ; implicit-def: $sgpr14_sgpr15
	s_branch .LBB97_360
.LBB97_541:
	s_mov_b64 s[16:17], -1
                                        ; implicit-def: $sgpr14_sgpr15
	s_branch .LBB97_375
.LBB97_542:
	s_mov_b64 s[16:17], -1
                                        ; implicit-def: $sgpr14_sgpr15
	s_branch .LBB97_390
.LBB97_543:
	s_mov_b64 s[16:17], -1
                                        ; implicit-def: $sgpr14_sgpr15
	s_branch .LBB97_405
.LBB97_544:
	s_mov_b64 s[16:17], -1
                                        ; implicit-def: $sgpr14_sgpr15
	s_branch .LBB97_420
.LBB97_545:
	s_mov_b64 s[16:17], -1
                                        ; implicit-def: $sgpr14_sgpr15
	s_branch .LBB97_435
.LBB97_546:
	s_mov_b64 s[16:17], -1
                                        ; implicit-def: $sgpr14_sgpr15
	s_branch .LBB97_450
.LBB97_547:
	s_mov_b64 s[16:17], -1
                                        ; implicit-def: $sgpr14_sgpr15
	s_branch .LBB97_465
.LBB97_548:
	s_mov_b64 s[16:17], -1
                                        ; implicit-def: $sgpr14_sgpr15
	s_branch .LBB97_480
.LBB97_549:
	s_mov_b64 s[16:17], -1
                                        ; implicit-def: $sgpr14_sgpr15
	s_branch .LBB97_495
	.section	.rodata,"a",@progbits
	.p2align	6, 0x0
	.amdhsa_kernel _ZN2at6native29vectorized_elementwise_kernelILi8EZNS0_21compare_scalar_kernelIfEEvRNS_18TensorIteratorBaseENS0_12_GLOBAL__N_16OpTypeET_EUlfE_St5arrayIPcLm2EEEEviT0_T1_
		.amdhsa_group_segment_fixed_size 0
		.amdhsa_private_segment_fixed_size 0
		.amdhsa_kernarg_size 32
		.amdhsa_user_sgpr_count 6
		.amdhsa_user_sgpr_private_segment_buffer 1
		.amdhsa_user_sgpr_dispatch_ptr 0
		.amdhsa_user_sgpr_queue_ptr 0
		.amdhsa_user_sgpr_kernarg_segment_ptr 1
		.amdhsa_user_sgpr_dispatch_id 0
		.amdhsa_user_sgpr_flat_scratch_init 0
		.amdhsa_user_sgpr_private_segment_size 0
		.amdhsa_uses_dynamic_stack 0
		.amdhsa_system_sgpr_private_segment_wavefront_offset 0
		.amdhsa_system_sgpr_workgroup_id_x 1
		.amdhsa_system_sgpr_workgroup_id_y 0
		.amdhsa_system_sgpr_workgroup_id_z 0
		.amdhsa_system_sgpr_workgroup_info 0
		.amdhsa_system_vgpr_workitem_id 0
		.amdhsa_next_free_vgpr 22
		.amdhsa_next_free_sgpr 50
		.amdhsa_reserve_vcc 1
		.amdhsa_reserve_flat_scratch 0
		.amdhsa_float_round_mode_32 0
		.amdhsa_float_round_mode_16_64 0
		.amdhsa_float_denorm_mode_32 3
		.amdhsa_float_denorm_mode_16_64 3
		.amdhsa_dx10_clamp 1
		.amdhsa_ieee_mode 1
		.amdhsa_fp16_overflow 0
		.amdhsa_exception_fp_ieee_invalid_op 0
		.amdhsa_exception_fp_denorm_src 0
		.amdhsa_exception_fp_ieee_div_zero 0
		.amdhsa_exception_fp_ieee_overflow 0
		.amdhsa_exception_fp_ieee_underflow 0
		.amdhsa_exception_fp_ieee_inexact 0
		.amdhsa_exception_int_div_zero 0
	.end_amdhsa_kernel
	.section	.text._ZN2at6native29vectorized_elementwise_kernelILi8EZNS0_21compare_scalar_kernelIfEEvRNS_18TensorIteratorBaseENS0_12_GLOBAL__N_16OpTypeET_EUlfE_St5arrayIPcLm2EEEEviT0_T1_,"axG",@progbits,_ZN2at6native29vectorized_elementwise_kernelILi8EZNS0_21compare_scalar_kernelIfEEvRNS_18TensorIteratorBaseENS0_12_GLOBAL__N_16OpTypeET_EUlfE_St5arrayIPcLm2EEEEviT0_T1_,comdat
.Lfunc_end97:
	.size	_ZN2at6native29vectorized_elementwise_kernelILi8EZNS0_21compare_scalar_kernelIfEEvRNS_18TensorIteratorBaseENS0_12_GLOBAL__N_16OpTypeET_EUlfE_St5arrayIPcLm2EEEEviT0_T1_, .Lfunc_end97-_ZN2at6native29vectorized_elementwise_kernelILi8EZNS0_21compare_scalar_kernelIfEEvRNS_18TensorIteratorBaseENS0_12_GLOBAL__N_16OpTypeET_EUlfE_St5arrayIPcLm2EEEEviT0_T1_
                                        ; -- End function
	.set _ZN2at6native29vectorized_elementwise_kernelILi8EZNS0_21compare_scalar_kernelIfEEvRNS_18TensorIteratorBaseENS0_12_GLOBAL__N_16OpTypeET_EUlfE_St5arrayIPcLm2EEEEviT0_T1_.num_vgpr, 22
	.set _ZN2at6native29vectorized_elementwise_kernelILi8EZNS0_21compare_scalar_kernelIfEEvRNS_18TensorIteratorBaseENS0_12_GLOBAL__N_16OpTypeET_EUlfE_St5arrayIPcLm2EEEEviT0_T1_.num_agpr, 0
	.set _ZN2at6native29vectorized_elementwise_kernelILi8EZNS0_21compare_scalar_kernelIfEEvRNS_18TensorIteratorBaseENS0_12_GLOBAL__N_16OpTypeET_EUlfE_St5arrayIPcLm2EEEEviT0_T1_.numbered_sgpr, 50
	.set _ZN2at6native29vectorized_elementwise_kernelILi8EZNS0_21compare_scalar_kernelIfEEvRNS_18TensorIteratorBaseENS0_12_GLOBAL__N_16OpTypeET_EUlfE_St5arrayIPcLm2EEEEviT0_T1_.num_named_barrier, 0
	.set _ZN2at6native29vectorized_elementwise_kernelILi8EZNS0_21compare_scalar_kernelIfEEvRNS_18TensorIteratorBaseENS0_12_GLOBAL__N_16OpTypeET_EUlfE_St5arrayIPcLm2EEEEviT0_T1_.private_seg_size, 0
	.set _ZN2at6native29vectorized_elementwise_kernelILi8EZNS0_21compare_scalar_kernelIfEEvRNS_18TensorIteratorBaseENS0_12_GLOBAL__N_16OpTypeET_EUlfE_St5arrayIPcLm2EEEEviT0_T1_.uses_vcc, 1
	.set _ZN2at6native29vectorized_elementwise_kernelILi8EZNS0_21compare_scalar_kernelIfEEvRNS_18TensorIteratorBaseENS0_12_GLOBAL__N_16OpTypeET_EUlfE_St5arrayIPcLm2EEEEviT0_T1_.uses_flat_scratch, 0
	.set _ZN2at6native29vectorized_elementwise_kernelILi8EZNS0_21compare_scalar_kernelIfEEvRNS_18TensorIteratorBaseENS0_12_GLOBAL__N_16OpTypeET_EUlfE_St5arrayIPcLm2EEEEviT0_T1_.has_dyn_sized_stack, 0
	.set _ZN2at6native29vectorized_elementwise_kernelILi8EZNS0_21compare_scalar_kernelIfEEvRNS_18TensorIteratorBaseENS0_12_GLOBAL__N_16OpTypeET_EUlfE_St5arrayIPcLm2EEEEviT0_T1_.has_recursion, 0
	.set _ZN2at6native29vectorized_elementwise_kernelILi8EZNS0_21compare_scalar_kernelIfEEvRNS_18TensorIteratorBaseENS0_12_GLOBAL__N_16OpTypeET_EUlfE_St5arrayIPcLm2EEEEviT0_T1_.has_indirect_call, 0
	.section	.AMDGPU.csdata,"",@progbits
; Kernel info:
; codeLenInByte = 8280
; TotalNumSgprs: 54
; NumVgprs: 22
; ScratchSize: 0
; MemoryBound: 1
; FloatMode: 240
; IeeeMode: 1
; LDSByteSize: 0 bytes/workgroup (compile time only)
; SGPRBlocks: 6
; VGPRBlocks: 5
; NumSGPRsForWavesPerEU: 54
; NumVGPRsForWavesPerEU: 22
; Occupancy: 10
; WaveLimiterHint : 1
; COMPUTE_PGM_RSRC2:SCRATCH_EN: 0
; COMPUTE_PGM_RSRC2:USER_SGPR: 6
; COMPUTE_PGM_RSRC2:TRAP_HANDLER: 0
; COMPUTE_PGM_RSRC2:TGID_X_EN: 1
; COMPUTE_PGM_RSRC2:TGID_Y_EN: 0
; COMPUTE_PGM_RSRC2:TGID_Z_EN: 0
; COMPUTE_PGM_RSRC2:TIDIG_COMP_CNT: 0
	.section	.text._ZN2at6native29vectorized_elementwise_kernelILi4EZNS0_21compare_scalar_kernelIfEEvRNS_18TensorIteratorBaseENS0_12_GLOBAL__N_16OpTypeET_EUlfE_St5arrayIPcLm2EEEEviT0_T1_,"axG",@progbits,_ZN2at6native29vectorized_elementwise_kernelILi4EZNS0_21compare_scalar_kernelIfEEvRNS_18TensorIteratorBaseENS0_12_GLOBAL__N_16OpTypeET_EUlfE_St5arrayIPcLm2EEEEviT0_T1_,comdat
	.globl	_ZN2at6native29vectorized_elementwise_kernelILi4EZNS0_21compare_scalar_kernelIfEEvRNS_18TensorIteratorBaseENS0_12_GLOBAL__N_16OpTypeET_EUlfE_St5arrayIPcLm2EEEEviT0_T1_ ; -- Begin function _ZN2at6native29vectorized_elementwise_kernelILi4EZNS0_21compare_scalar_kernelIfEEvRNS_18TensorIteratorBaseENS0_12_GLOBAL__N_16OpTypeET_EUlfE_St5arrayIPcLm2EEEEviT0_T1_
	.p2align	8
	.type	_ZN2at6native29vectorized_elementwise_kernelILi4EZNS0_21compare_scalar_kernelIfEEvRNS_18TensorIteratorBaseENS0_12_GLOBAL__N_16OpTypeET_EUlfE_St5arrayIPcLm2EEEEviT0_T1_,@function
_ZN2at6native29vectorized_elementwise_kernelILi4EZNS0_21compare_scalar_kernelIfEEvRNS_18TensorIteratorBaseENS0_12_GLOBAL__N_16OpTypeET_EUlfE_St5arrayIPcLm2EEEEviT0_T1_: ; @_ZN2at6native29vectorized_elementwise_kernelILi4EZNS0_21compare_scalar_kernelIfEEvRNS_18TensorIteratorBaseENS0_12_GLOBAL__N_16OpTypeET_EUlfE_St5arrayIPcLm2EEEEviT0_T1_
; %bb.0:
	s_load_dwordx8 s[8:15], s[4:5], 0x0
	s_lshl_b32 s2, s6, 12
	s_mov_b64 s[0:1], -1
	s_waitcnt lgkmcnt(0)
	s_sub_i32 s8, s8, s2
	s_cmpk_gt_i32 s8, 0xfff
	s_cbranch_scc0 .LBB98_211
; %bb.1:
	s_ashr_i32 s3, s2, 31
	s_lshl_b64 s[0:1], s[2:3], 2
	s_add_u32 s0, s14, s0
	s_addc_u32 s1, s15, s1
	v_lshlrev_b32_e32 v3, 4, v0
	v_mov_b32_e32 v1, s1
	v_add_co_u32_e32 v4, vcc, s0, v3
	v_addc_co_u32_e32 v5, vcc, 0, v1, vcc
	v_add_co_u32_e32 v1, vcc, 0x1000, v4
	v_addc_co_u32_e32 v2, vcc, 0, v5, vcc
	;; [unrolled: 2-line block ×3, first 2 shown]
	v_add_co_u32_e32 v19, vcc, 0x3000, v4
	global_load_dwordx4 v[13:16], v3, s[0:1]
	global_load_dwordx4 v[9:12], v[1:2], off
	v_addc_co_u32_e32 v20, vcc, 0, v5, vcc
	global_load_dwordx4 v[5:8], v[17:18], off
	global_load_dwordx4 v[1:4], v[19:20], off
	s_cmp_lt_i32 s9, 1
	s_mov_b64 s[4:5], 0
	s_cbranch_scc1 .LBB98_5
; %bb.2:
	s_cmp_gt_i32 s9, 1
	s_cbranch_scc0 .LBB98_6
; %bb.3:
	s_cmp_eq_u32 s9, 2
	s_cbranch_scc0 .LBB98_7
; %bb.4:
	s_waitcnt vmcnt(3)
	v_cmp_ge_f32_e64 s[0:1], s10, v13
	s_mov_b64 s[6:7], 0
	s_branch .LBB98_8
.LBB98_5:
                                        ; implicit-def: $sgpr0_sgpr1
	s_mov_b64 s[6:7], 0
	s_cbranch_execnz .LBB98_11
	s_branch .LBB98_12
.LBB98_6:
	s_mov_b64 s[6:7], 0
                                        ; implicit-def: $sgpr0_sgpr1
	s_cbranch_execnz .LBB98_9
	s_branch .LBB98_10
.LBB98_7:
	s_mov_b64 s[6:7], -1
                                        ; implicit-def: $sgpr0_sgpr1
.LBB98_8:
	s_branch .LBB98_10
.LBB98_9:
	s_waitcnt vmcnt(3)
	v_cmp_lt_f32_e32 vcc, s10, v13
	s_andn2_b64 s[0:1], s[0:1], exec
	s_and_b64 s[16:17], vcc, exec
	s_or_b64 s[0:1], s[0:1], s[16:17]
.LBB98_10:
	s_branch .LBB98_12
.LBB98_11:
	s_cmp_lg_u32 s9, 0
	s_mov_b64 s[4:5], -1
	s_cselect_b64 s[6:7], -1, 0
.LBB98_12:
	s_andn2_b64 vcc, exec, s[6:7]
	s_cbranch_vccz .LBB98_18
; %bb.13:
	s_andn2_b64 vcc, exec, s[4:5]
	s_cbranch_vccz .LBB98_19
.LBB98_14:
	s_cmp_lt_i32 s9, 1
	s_mov_b64 s[6:7], 0
	s_cbranch_scc1 .LBB98_20
.LBB98_15:
	s_cmp_gt_i32 s9, 1
	s_cbranch_scc0 .LBB98_21
; %bb.16:
	s_cmp_eq_u32 s9, 2
	s_cbranch_scc0 .LBB98_251
; %bb.17:
	s_waitcnt vmcnt(3)
	v_cmp_ge_f32_e64 s[4:5], s10, v14
	s_mov_b64 s[16:17], 0
	s_branch .LBB98_23
.LBB98_18:
	s_waitcnt vmcnt(3)
	v_cmp_gt_f32_e32 vcc, s10, v13
	s_andn2_b64 s[0:1], s[0:1], exec
	s_and_b64 s[6:7], vcc, exec
	s_or_b64 s[0:1], s[0:1], s[6:7]
	s_cbranch_execnz .LBB98_14
.LBB98_19:
	s_waitcnt vmcnt(3)
	v_cmp_le_f32_e32 vcc, s10, v13
	s_andn2_b64 s[0:1], s[0:1], exec
	s_and_b64 s[4:5], vcc, exec
	s_or_b64 s[0:1], s[0:1], s[4:5]
	s_cmp_lt_i32 s9, 1
	s_mov_b64 s[6:7], 0
	s_cbranch_scc0 .LBB98_15
.LBB98_20:
                                        ; implicit-def: $sgpr4_sgpr5
	s_mov_b64 s[16:17], 0
	s_cbranch_execnz .LBB98_24
	s_branch .LBB98_25
.LBB98_21:
	s_mov_b64 s[16:17], 0
                                        ; implicit-def: $sgpr4_sgpr5
	s_cbranch_execz .LBB98_23
; %bb.22:
	s_waitcnt vmcnt(3)
	v_cmp_lt_f32_e32 vcc, s10, v14
	s_andn2_b64 s[4:5], s[4:5], exec
	s_and_b64 s[18:19], vcc, exec
	s_or_b64 s[4:5], s[4:5], s[18:19]
.LBB98_23:
	s_branch .LBB98_25
.LBB98_24:
	s_cmp_lg_u32 s9, 0
	s_mov_b64 s[6:7], -1
	s_cselect_b64 s[16:17], -1, 0
.LBB98_25:
	s_andn2_b64 vcc, exec, s[16:17]
	s_cbranch_vccz .LBB98_31
; %bb.26:
	s_andn2_b64 vcc, exec, s[6:7]
	s_cbranch_vccz .LBB98_32
.LBB98_27:
	s_cmp_lt_i32 s9, 1
	s_mov_b64 s[16:17], 0
	s_cbranch_scc1 .LBB98_33
.LBB98_28:
	s_cmp_gt_i32 s9, 1
	s_cbranch_scc0 .LBB98_34
; %bb.29:
	s_cmp_eq_u32 s9, 2
	s_cbranch_scc0 .LBB98_252
; %bb.30:
	s_waitcnt vmcnt(3)
	v_cmp_ge_f32_e64 s[6:7], s10, v15
	s_mov_b64 s[18:19], 0
	s_branch .LBB98_36
.LBB98_31:
	s_waitcnt vmcnt(3)
	v_cmp_gt_f32_e32 vcc, s10, v14
	s_andn2_b64 s[4:5], s[4:5], exec
	s_and_b64 s[16:17], vcc, exec
	s_or_b64 s[4:5], s[4:5], s[16:17]
	s_cbranch_execnz .LBB98_27
.LBB98_32:
	s_waitcnt vmcnt(3)
	v_cmp_le_f32_e32 vcc, s10, v14
	s_andn2_b64 s[4:5], s[4:5], exec
	s_and_b64 s[6:7], vcc, exec
	s_or_b64 s[4:5], s[4:5], s[6:7]
	s_cmp_lt_i32 s9, 1
	s_mov_b64 s[16:17], 0
	s_cbranch_scc0 .LBB98_28
.LBB98_33:
                                        ; implicit-def: $sgpr6_sgpr7
	s_mov_b64 s[18:19], 0
	s_cbranch_execnz .LBB98_37
	s_branch .LBB98_38
.LBB98_34:
	s_mov_b64 s[18:19], 0
                                        ; implicit-def: $sgpr6_sgpr7
	s_cbranch_execz .LBB98_36
; %bb.35:
	s_waitcnt vmcnt(3)
	v_cmp_lt_f32_e32 vcc, s10, v15
	s_andn2_b64 s[6:7], s[6:7], exec
	s_and_b64 s[20:21], vcc, exec
	s_or_b64 s[6:7], s[6:7], s[20:21]
.LBB98_36:
	s_branch .LBB98_38
.LBB98_37:
	s_cmp_lg_u32 s9, 0
	s_mov_b64 s[16:17], -1
	s_cselect_b64 s[18:19], -1, 0
.LBB98_38:
	s_andn2_b64 vcc, exec, s[18:19]
	s_cbranch_vccz .LBB98_44
; %bb.39:
	s_andn2_b64 vcc, exec, s[16:17]
	s_cbranch_vccz .LBB98_45
.LBB98_40:
	s_cmp_lt_i32 s9, 1
	s_mov_b64 s[18:19], 0
	s_cbranch_scc1 .LBB98_46
.LBB98_41:
	s_cmp_gt_i32 s9, 1
	s_cbranch_scc0 .LBB98_47
; %bb.42:
	s_cmp_eq_u32 s9, 2
	s_cbranch_scc0 .LBB98_253
; %bb.43:
	s_waitcnt vmcnt(3)
	v_cmp_ge_f32_e64 s[16:17], s10, v16
	s_mov_b64 s[20:21], 0
	s_branch .LBB98_49
.LBB98_44:
	s_waitcnt vmcnt(3)
	v_cmp_gt_f32_e32 vcc, s10, v15
	s_andn2_b64 s[6:7], s[6:7], exec
	s_and_b64 s[18:19], vcc, exec
	s_or_b64 s[6:7], s[6:7], s[18:19]
	s_cbranch_execnz .LBB98_40
.LBB98_45:
	s_waitcnt vmcnt(3)
	v_cmp_le_f32_e32 vcc, s10, v15
	s_andn2_b64 s[6:7], s[6:7], exec
	s_and_b64 s[16:17], vcc, exec
	s_or_b64 s[6:7], s[6:7], s[16:17]
	s_cmp_lt_i32 s9, 1
	s_mov_b64 s[18:19], 0
	s_cbranch_scc0 .LBB98_41
.LBB98_46:
                                        ; implicit-def: $sgpr16_sgpr17
	s_mov_b64 s[20:21], 0
	s_cbranch_execnz .LBB98_50
	s_branch .LBB98_51
.LBB98_47:
	s_mov_b64 s[20:21], 0
                                        ; implicit-def: $sgpr16_sgpr17
	s_cbranch_execz .LBB98_49
; %bb.48:
	s_waitcnt vmcnt(3)
	v_cmp_lt_f32_e32 vcc, s10, v16
	s_andn2_b64 s[16:17], s[16:17], exec
	s_and_b64 s[22:23], vcc, exec
	s_or_b64 s[16:17], s[16:17], s[22:23]
.LBB98_49:
	s_branch .LBB98_51
.LBB98_50:
	s_cmp_lg_u32 s9, 0
	s_mov_b64 s[18:19], -1
	s_cselect_b64 s[20:21], -1, 0
.LBB98_51:
	s_andn2_b64 vcc, exec, s[20:21]
	s_cbranch_vccz .LBB98_57
; %bb.52:
	s_andn2_b64 vcc, exec, s[18:19]
	s_cbranch_vccz .LBB98_58
.LBB98_53:
	s_cmp_lt_i32 s9, 1
	s_mov_b64 s[20:21], 0
	s_cbranch_scc1 .LBB98_59
.LBB98_54:
	s_cmp_gt_i32 s9, 1
	s_cbranch_scc0 .LBB98_60
; %bb.55:
	s_cmp_eq_u32 s9, 2
	s_cbranch_scc0 .LBB98_254
; %bb.56:
	s_waitcnt vmcnt(2)
	v_cmp_ge_f32_e64 s[18:19], s10, v9
	s_mov_b64 s[22:23], 0
	s_branch .LBB98_62
.LBB98_57:
	s_waitcnt vmcnt(3)
	v_cmp_gt_f32_e32 vcc, s10, v16
	s_andn2_b64 s[16:17], s[16:17], exec
	s_and_b64 s[20:21], vcc, exec
	s_or_b64 s[16:17], s[16:17], s[20:21]
	s_cbranch_execnz .LBB98_53
.LBB98_58:
	s_waitcnt vmcnt(3)
	v_cmp_le_f32_e32 vcc, s10, v16
	s_andn2_b64 s[16:17], s[16:17], exec
	s_and_b64 s[18:19], vcc, exec
	s_or_b64 s[16:17], s[16:17], s[18:19]
	s_cmp_lt_i32 s9, 1
	s_mov_b64 s[20:21], 0
	s_cbranch_scc0 .LBB98_54
.LBB98_59:
                                        ; implicit-def: $sgpr18_sgpr19
	s_mov_b64 s[22:23], 0
	s_cbranch_execnz .LBB98_63
	s_branch .LBB98_64
.LBB98_60:
	s_mov_b64 s[22:23], 0
                                        ; implicit-def: $sgpr18_sgpr19
	s_cbranch_execz .LBB98_62
; %bb.61:
	s_waitcnt vmcnt(2)
	v_cmp_lt_f32_e32 vcc, s10, v9
	s_andn2_b64 s[18:19], s[18:19], exec
	s_and_b64 s[24:25], vcc, exec
	s_or_b64 s[18:19], s[18:19], s[24:25]
.LBB98_62:
	s_branch .LBB98_64
.LBB98_63:
	s_cmp_lg_u32 s9, 0
	s_mov_b64 s[20:21], -1
	s_cselect_b64 s[22:23], -1, 0
.LBB98_64:
	s_andn2_b64 vcc, exec, s[22:23]
	s_cbranch_vccz .LBB98_70
; %bb.65:
	s_andn2_b64 vcc, exec, s[20:21]
	s_cbranch_vccz .LBB98_71
.LBB98_66:
	s_cmp_lt_i32 s9, 1
	s_mov_b64 s[22:23], 0
	s_cbranch_scc1 .LBB98_72
.LBB98_67:
	s_cmp_gt_i32 s9, 1
	s_cbranch_scc0 .LBB98_73
; %bb.68:
	s_cmp_eq_u32 s9, 2
	s_cbranch_scc0 .LBB98_255
; %bb.69:
	s_waitcnt vmcnt(2)
	v_cmp_ge_f32_e64 s[20:21], s10, v10
	s_mov_b64 s[24:25], 0
	s_branch .LBB98_75
.LBB98_70:
	s_waitcnt vmcnt(2)
	v_cmp_gt_f32_e32 vcc, s10, v9
	s_andn2_b64 s[18:19], s[18:19], exec
	s_and_b64 s[22:23], vcc, exec
	s_or_b64 s[18:19], s[18:19], s[22:23]
	s_cbranch_execnz .LBB98_66
.LBB98_71:
	s_waitcnt vmcnt(2)
	v_cmp_le_f32_e32 vcc, s10, v9
	s_andn2_b64 s[18:19], s[18:19], exec
	s_and_b64 s[20:21], vcc, exec
	s_or_b64 s[18:19], s[18:19], s[20:21]
	s_cmp_lt_i32 s9, 1
	s_mov_b64 s[22:23], 0
	s_cbranch_scc0 .LBB98_67
.LBB98_72:
                                        ; implicit-def: $sgpr20_sgpr21
	s_mov_b64 s[24:25], 0
	s_cbranch_execnz .LBB98_76
	s_branch .LBB98_77
.LBB98_73:
	s_mov_b64 s[24:25], 0
                                        ; implicit-def: $sgpr20_sgpr21
	s_cbranch_execz .LBB98_75
; %bb.74:
	s_waitcnt vmcnt(2)
	v_cmp_lt_f32_e32 vcc, s10, v10
	s_andn2_b64 s[20:21], s[20:21], exec
	s_and_b64 s[26:27], vcc, exec
	s_or_b64 s[20:21], s[20:21], s[26:27]
.LBB98_75:
	s_branch .LBB98_77
.LBB98_76:
	s_cmp_lg_u32 s9, 0
	s_mov_b64 s[22:23], -1
	s_cselect_b64 s[24:25], -1, 0
.LBB98_77:
	s_andn2_b64 vcc, exec, s[24:25]
	s_cbranch_vccz .LBB98_83
; %bb.78:
	s_andn2_b64 vcc, exec, s[22:23]
	s_cbranch_vccz .LBB98_84
.LBB98_79:
	s_cmp_lt_i32 s9, 1
	s_mov_b64 s[24:25], 0
	s_cbranch_scc1 .LBB98_85
.LBB98_80:
	s_cmp_gt_i32 s9, 1
	s_cbranch_scc0 .LBB98_86
; %bb.81:
	s_cmp_eq_u32 s9, 2
	s_cbranch_scc0 .LBB98_256
; %bb.82:
	s_waitcnt vmcnt(2)
	v_cmp_ge_f32_e64 s[22:23], s10, v11
	s_mov_b64 s[26:27], 0
	s_branch .LBB98_88
.LBB98_83:
	s_waitcnt vmcnt(2)
	v_cmp_gt_f32_e32 vcc, s10, v10
	s_andn2_b64 s[20:21], s[20:21], exec
	s_and_b64 s[24:25], vcc, exec
	s_or_b64 s[20:21], s[20:21], s[24:25]
	s_cbranch_execnz .LBB98_79
.LBB98_84:
	s_waitcnt vmcnt(2)
	v_cmp_le_f32_e32 vcc, s10, v10
	s_andn2_b64 s[20:21], s[20:21], exec
	s_and_b64 s[22:23], vcc, exec
	s_or_b64 s[20:21], s[20:21], s[22:23]
	s_cmp_lt_i32 s9, 1
	s_mov_b64 s[24:25], 0
	s_cbranch_scc0 .LBB98_80
.LBB98_85:
                                        ; implicit-def: $sgpr22_sgpr23
	s_mov_b64 s[26:27], 0
	s_cbranch_execnz .LBB98_89
	s_branch .LBB98_90
.LBB98_86:
	s_mov_b64 s[26:27], 0
                                        ; implicit-def: $sgpr22_sgpr23
	s_cbranch_execz .LBB98_88
; %bb.87:
	s_waitcnt vmcnt(2)
	v_cmp_lt_f32_e32 vcc, s10, v11
	s_andn2_b64 s[22:23], s[22:23], exec
	s_and_b64 s[28:29], vcc, exec
	s_or_b64 s[22:23], s[22:23], s[28:29]
.LBB98_88:
	s_branch .LBB98_90
.LBB98_89:
	s_cmp_lg_u32 s9, 0
	s_mov_b64 s[24:25], -1
	s_cselect_b64 s[26:27], -1, 0
.LBB98_90:
	s_andn2_b64 vcc, exec, s[26:27]
	s_cbranch_vccz .LBB98_96
; %bb.91:
	s_andn2_b64 vcc, exec, s[24:25]
	s_cbranch_vccz .LBB98_97
.LBB98_92:
	s_cmp_lt_i32 s9, 1
	s_mov_b64 s[26:27], 0
	s_cbranch_scc1 .LBB98_98
.LBB98_93:
	s_cmp_gt_i32 s9, 1
	s_cbranch_scc0 .LBB98_99
; %bb.94:
	s_cmp_eq_u32 s9, 2
	s_cbranch_scc0 .LBB98_257
; %bb.95:
	s_waitcnt vmcnt(2)
	v_cmp_ge_f32_e64 s[24:25], s10, v12
	s_mov_b64 s[28:29], 0
	s_branch .LBB98_101
.LBB98_96:
	s_waitcnt vmcnt(2)
	v_cmp_gt_f32_e32 vcc, s10, v11
	s_andn2_b64 s[22:23], s[22:23], exec
	s_and_b64 s[26:27], vcc, exec
	s_or_b64 s[22:23], s[22:23], s[26:27]
	s_cbranch_execnz .LBB98_92
.LBB98_97:
	s_waitcnt vmcnt(2)
	v_cmp_le_f32_e32 vcc, s10, v11
	s_andn2_b64 s[22:23], s[22:23], exec
	s_and_b64 s[24:25], vcc, exec
	s_or_b64 s[22:23], s[22:23], s[24:25]
	s_cmp_lt_i32 s9, 1
	s_mov_b64 s[26:27], 0
	s_cbranch_scc0 .LBB98_93
.LBB98_98:
                                        ; implicit-def: $sgpr24_sgpr25
	s_mov_b64 s[28:29], 0
	s_cbranch_execnz .LBB98_102
	s_branch .LBB98_103
.LBB98_99:
	s_mov_b64 s[28:29], 0
                                        ; implicit-def: $sgpr24_sgpr25
	s_cbranch_execz .LBB98_101
; %bb.100:
	s_waitcnt vmcnt(2)
	v_cmp_lt_f32_e32 vcc, s10, v12
	s_andn2_b64 s[24:25], s[24:25], exec
	s_and_b64 s[30:31], vcc, exec
	s_or_b64 s[24:25], s[24:25], s[30:31]
.LBB98_101:
	s_branch .LBB98_103
.LBB98_102:
	s_cmp_lg_u32 s9, 0
	s_mov_b64 s[26:27], -1
	s_cselect_b64 s[28:29], -1, 0
.LBB98_103:
	s_andn2_b64 vcc, exec, s[28:29]
	s_cbranch_vccz .LBB98_109
; %bb.104:
	s_andn2_b64 vcc, exec, s[26:27]
	s_cbranch_vccz .LBB98_110
.LBB98_105:
	s_cmp_lt_i32 s9, 1
	s_mov_b64 s[28:29], 0
	s_cbranch_scc1 .LBB98_111
.LBB98_106:
	s_cmp_gt_i32 s9, 1
	s_cbranch_scc0 .LBB98_112
; %bb.107:
	s_cmp_eq_u32 s9, 2
	s_cbranch_scc0 .LBB98_258
; %bb.108:
	s_waitcnt vmcnt(1)
	v_cmp_ge_f32_e64 s[26:27], s10, v5
	s_mov_b64 s[30:31], 0
	s_branch .LBB98_114
.LBB98_109:
	s_waitcnt vmcnt(2)
	v_cmp_gt_f32_e32 vcc, s10, v12
	s_andn2_b64 s[24:25], s[24:25], exec
	s_and_b64 s[28:29], vcc, exec
	s_or_b64 s[24:25], s[24:25], s[28:29]
	s_cbranch_execnz .LBB98_105
.LBB98_110:
	s_waitcnt vmcnt(2)
	v_cmp_le_f32_e32 vcc, s10, v12
	s_andn2_b64 s[24:25], s[24:25], exec
	s_and_b64 s[26:27], vcc, exec
	s_or_b64 s[24:25], s[24:25], s[26:27]
	s_cmp_lt_i32 s9, 1
	s_mov_b64 s[28:29], 0
	s_cbranch_scc0 .LBB98_106
.LBB98_111:
                                        ; implicit-def: $sgpr26_sgpr27
	s_mov_b64 s[30:31], 0
	s_cbranch_execnz .LBB98_115
	s_branch .LBB98_116
.LBB98_112:
	s_mov_b64 s[30:31], 0
                                        ; implicit-def: $sgpr26_sgpr27
	s_cbranch_execz .LBB98_114
; %bb.113:
	s_waitcnt vmcnt(1)
	v_cmp_lt_f32_e32 vcc, s10, v5
	s_andn2_b64 s[26:27], s[26:27], exec
	s_and_b64 s[34:35], vcc, exec
	s_or_b64 s[26:27], s[26:27], s[34:35]
.LBB98_114:
	s_branch .LBB98_116
.LBB98_115:
	s_cmp_lg_u32 s9, 0
	s_mov_b64 s[28:29], -1
	s_cselect_b64 s[30:31], -1, 0
.LBB98_116:
	s_andn2_b64 vcc, exec, s[30:31]
	s_cbranch_vccz .LBB98_122
; %bb.117:
	s_andn2_b64 vcc, exec, s[28:29]
	s_cbranch_vccz .LBB98_123
.LBB98_118:
	s_cmp_lt_i32 s9, 1
	s_mov_b64 s[30:31], 0
	s_cbranch_scc1 .LBB98_124
.LBB98_119:
	s_cmp_gt_i32 s9, 1
	s_cbranch_scc0 .LBB98_125
; %bb.120:
	s_cmp_eq_u32 s9, 2
	s_cbranch_scc0 .LBB98_259
; %bb.121:
	s_waitcnt vmcnt(1)
	v_cmp_ge_f32_e64 s[28:29], s10, v6
	s_mov_b64 s[34:35], 0
	s_branch .LBB98_127
.LBB98_122:
	s_waitcnt vmcnt(1)
	v_cmp_gt_f32_e32 vcc, s10, v5
	s_andn2_b64 s[26:27], s[26:27], exec
	s_and_b64 s[30:31], vcc, exec
	s_or_b64 s[26:27], s[26:27], s[30:31]
	s_cbranch_execnz .LBB98_118
.LBB98_123:
	s_waitcnt vmcnt(1)
	v_cmp_le_f32_e32 vcc, s10, v5
	s_andn2_b64 s[26:27], s[26:27], exec
	s_and_b64 s[28:29], vcc, exec
	s_or_b64 s[26:27], s[26:27], s[28:29]
	s_cmp_lt_i32 s9, 1
	s_mov_b64 s[30:31], 0
	s_cbranch_scc0 .LBB98_119
.LBB98_124:
                                        ; implicit-def: $sgpr28_sgpr29
	s_mov_b64 s[34:35], 0
	s_cbranch_execnz .LBB98_128
	s_branch .LBB98_129
.LBB98_125:
	s_mov_b64 s[34:35], 0
                                        ; implicit-def: $sgpr28_sgpr29
	s_cbranch_execz .LBB98_127
; %bb.126:
	s_waitcnt vmcnt(1)
	v_cmp_lt_f32_e32 vcc, s10, v6
	s_andn2_b64 s[28:29], s[28:29], exec
	s_and_b64 s[36:37], vcc, exec
	s_or_b64 s[28:29], s[28:29], s[36:37]
.LBB98_127:
	s_branch .LBB98_129
.LBB98_128:
	s_cmp_lg_u32 s9, 0
	s_mov_b64 s[30:31], -1
	s_cselect_b64 s[34:35], -1, 0
.LBB98_129:
	s_andn2_b64 vcc, exec, s[34:35]
	s_cbranch_vccz .LBB98_135
; %bb.130:
	s_andn2_b64 vcc, exec, s[30:31]
	s_cbranch_vccz .LBB98_136
.LBB98_131:
	s_cmp_lt_i32 s9, 1
	s_mov_b64 s[34:35], 0
	s_cbranch_scc1 .LBB98_137
.LBB98_132:
	s_cmp_gt_i32 s9, 1
	s_cbranch_scc0 .LBB98_138
; %bb.133:
	s_cmp_eq_u32 s9, 2
	s_cbranch_scc0 .LBB98_260
; %bb.134:
	s_waitcnt vmcnt(1)
	v_cmp_ge_f32_e64 s[30:31], s10, v7
	s_mov_b64 s[36:37], 0
	s_branch .LBB98_140
.LBB98_135:
	s_waitcnt vmcnt(1)
	v_cmp_gt_f32_e32 vcc, s10, v6
	s_andn2_b64 s[28:29], s[28:29], exec
	s_and_b64 s[34:35], vcc, exec
	s_or_b64 s[28:29], s[28:29], s[34:35]
	s_cbranch_execnz .LBB98_131
.LBB98_136:
	s_waitcnt vmcnt(1)
	v_cmp_le_f32_e32 vcc, s10, v6
	s_andn2_b64 s[28:29], s[28:29], exec
	s_and_b64 s[30:31], vcc, exec
	s_or_b64 s[28:29], s[28:29], s[30:31]
	s_cmp_lt_i32 s9, 1
	s_mov_b64 s[34:35], 0
	s_cbranch_scc0 .LBB98_132
.LBB98_137:
                                        ; implicit-def: $sgpr30_sgpr31
	s_mov_b64 s[36:37], 0
	s_cbranch_execnz .LBB98_141
	s_branch .LBB98_142
.LBB98_138:
	s_mov_b64 s[36:37], 0
                                        ; implicit-def: $sgpr30_sgpr31
	s_cbranch_execz .LBB98_140
; %bb.139:
	s_waitcnt vmcnt(1)
	v_cmp_lt_f32_e32 vcc, s10, v7
	s_andn2_b64 s[30:31], s[30:31], exec
	s_and_b64 s[38:39], vcc, exec
	s_or_b64 s[30:31], s[30:31], s[38:39]
.LBB98_140:
	s_branch .LBB98_142
.LBB98_141:
	s_cmp_lg_u32 s9, 0
	s_mov_b64 s[34:35], -1
	s_cselect_b64 s[36:37], -1, 0
.LBB98_142:
	s_andn2_b64 vcc, exec, s[36:37]
	s_cbranch_vccz .LBB98_148
; %bb.143:
	s_andn2_b64 vcc, exec, s[34:35]
	s_cbranch_vccz .LBB98_149
.LBB98_144:
	s_cmp_lt_i32 s9, 1
	s_mov_b64 s[36:37], 0
	s_cbranch_scc1 .LBB98_150
.LBB98_145:
	s_cmp_gt_i32 s9, 1
	s_cbranch_scc0 .LBB98_151
; %bb.146:
	s_cmp_eq_u32 s9, 2
	s_cbranch_scc0 .LBB98_261
; %bb.147:
	s_waitcnt vmcnt(1)
	v_cmp_ge_f32_e64 s[34:35], s10, v8
	s_mov_b64 s[38:39], 0
	s_branch .LBB98_153
.LBB98_148:
	s_waitcnt vmcnt(1)
	v_cmp_gt_f32_e32 vcc, s10, v7
	s_andn2_b64 s[30:31], s[30:31], exec
	s_and_b64 s[36:37], vcc, exec
	s_or_b64 s[30:31], s[30:31], s[36:37]
	s_cbranch_execnz .LBB98_144
.LBB98_149:
	s_waitcnt vmcnt(1)
	v_cmp_le_f32_e32 vcc, s10, v7
	s_andn2_b64 s[30:31], s[30:31], exec
	s_and_b64 s[34:35], vcc, exec
	s_or_b64 s[30:31], s[30:31], s[34:35]
	s_cmp_lt_i32 s9, 1
	s_mov_b64 s[36:37], 0
	s_cbranch_scc0 .LBB98_145
.LBB98_150:
                                        ; implicit-def: $sgpr34_sgpr35
	s_mov_b64 s[38:39], 0
	s_cbranch_execnz .LBB98_154
	s_branch .LBB98_155
.LBB98_151:
	s_mov_b64 s[38:39], 0
                                        ; implicit-def: $sgpr34_sgpr35
	s_cbranch_execz .LBB98_153
; %bb.152:
	s_waitcnt vmcnt(1)
	v_cmp_lt_f32_e32 vcc, s10, v8
	s_andn2_b64 s[34:35], s[34:35], exec
	s_and_b64 s[40:41], vcc, exec
	s_or_b64 s[34:35], s[34:35], s[40:41]
.LBB98_153:
	s_branch .LBB98_155
.LBB98_154:
	s_cmp_lg_u32 s9, 0
	s_mov_b64 s[36:37], -1
	s_cselect_b64 s[38:39], -1, 0
.LBB98_155:
	s_andn2_b64 vcc, exec, s[38:39]
	s_cbranch_vccz .LBB98_161
; %bb.156:
	s_andn2_b64 vcc, exec, s[36:37]
	s_cbranch_vccz .LBB98_162
.LBB98_157:
	s_cmp_lt_i32 s9, 1
	s_mov_b64 s[38:39], 0
	s_cbranch_scc1 .LBB98_163
.LBB98_158:
	s_cmp_gt_i32 s9, 1
	s_cbranch_scc0 .LBB98_164
; %bb.159:
	s_cmp_eq_u32 s9, 2
	s_cbranch_scc0 .LBB98_262
; %bb.160:
	s_waitcnt vmcnt(0)
	v_cmp_ge_f32_e64 s[36:37], s10, v1
	s_mov_b64 s[40:41], 0
	s_branch .LBB98_166
.LBB98_161:
	s_waitcnt vmcnt(1)
	v_cmp_gt_f32_e32 vcc, s10, v8
	s_andn2_b64 s[34:35], s[34:35], exec
	s_and_b64 s[38:39], vcc, exec
	s_or_b64 s[34:35], s[34:35], s[38:39]
	s_cbranch_execnz .LBB98_157
.LBB98_162:
	s_waitcnt vmcnt(1)
	v_cmp_le_f32_e32 vcc, s10, v8
	s_andn2_b64 s[34:35], s[34:35], exec
	s_and_b64 s[36:37], vcc, exec
	s_or_b64 s[34:35], s[34:35], s[36:37]
	s_cmp_lt_i32 s9, 1
	s_mov_b64 s[38:39], 0
	s_cbranch_scc0 .LBB98_158
.LBB98_163:
                                        ; implicit-def: $sgpr36_sgpr37
	s_mov_b64 s[40:41], 0
	s_cbranch_execnz .LBB98_167
	s_branch .LBB98_168
.LBB98_164:
	s_mov_b64 s[40:41], 0
                                        ; implicit-def: $sgpr36_sgpr37
	s_cbranch_execz .LBB98_166
; %bb.165:
	s_waitcnt vmcnt(0)
	v_cmp_lt_f32_e32 vcc, s10, v1
	s_andn2_b64 s[36:37], s[36:37], exec
	s_and_b64 s[42:43], vcc, exec
	s_or_b64 s[36:37], s[36:37], s[42:43]
.LBB98_166:
	s_branch .LBB98_168
.LBB98_167:
	s_cmp_lg_u32 s9, 0
	s_mov_b64 s[38:39], -1
	s_cselect_b64 s[40:41], -1, 0
.LBB98_168:
	s_andn2_b64 vcc, exec, s[40:41]
	s_cbranch_vccz .LBB98_174
; %bb.169:
	s_andn2_b64 vcc, exec, s[38:39]
	s_cbranch_vccz .LBB98_175
.LBB98_170:
	s_cmp_lt_i32 s9, 1
	s_mov_b64 s[40:41], 0
	s_cbranch_scc1 .LBB98_176
.LBB98_171:
	s_cmp_gt_i32 s9, 1
	s_cbranch_scc0 .LBB98_177
; %bb.172:
	s_cmp_eq_u32 s9, 2
	s_cbranch_scc0 .LBB98_263
; %bb.173:
	s_waitcnt vmcnt(0)
	v_cmp_ge_f32_e64 s[38:39], s10, v2
	s_mov_b64 s[42:43], 0
	s_branch .LBB98_179
.LBB98_174:
	s_waitcnt vmcnt(0)
	v_cmp_gt_f32_e32 vcc, s10, v1
	s_andn2_b64 s[36:37], s[36:37], exec
	s_and_b64 s[40:41], vcc, exec
	s_or_b64 s[36:37], s[36:37], s[40:41]
	s_cbranch_execnz .LBB98_170
.LBB98_175:
	s_waitcnt vmcnt(0)
	v_cmp_le_f32_e32 vcc, s10, v1
	s_andn2_b64 s[36:37], s[36:37], exec
	s_and_b64 s[38:39], vcc, exec
	s_or_b64 s[36:37], s[36:37], s[38:39]
	s_cmp_lt_i32 s9, 1
	s_mov_b64 s[40:41], 0
	s_cbranch_scc0 .LBB98_171
.LBB98_176:
                                        ; implicit-def: $sgpr38_sgpr39
	s_mov_b64 s[42:43], 0
	s_cbranch_execnz .LBB98_180
	s_branch .LBB98_181
.LBB98_177:
	s_mov_b64 s[42:43], 0
                                        ; implicit-def: $sgpr38_sgpr39
	s_cbranch_execz .LBB98_179
; %bb.178:
	s_waitcnt vmcnt(0)
	v_cmp_lt_f32_e32 vcc, s10, v2
	s_andn2_b64 s[38:39], s[38:39], exec
	s_and_b64 s[44:45], vcc, exec
	s_or_b64 s[38:39], s[38:39], s[44:45]
.LBB98_179:
	s_branch .LBB98_181
.LBB98_180:
	s_cmp_lg_u32 s9, 0
	s_mov_b64 s[40:41], -1
	s_cselect_b64 s[42:43], -1, 0
.LBB98_181:
	s_andn2_b64 vcc, exec, s[42:43]
	s_cbranch_vccz .LBB98_187
; %bb.182:
	s_andn2_b64 vcc, exec, s[40:41]
	s_cbranch_vccz .LBB98_188
.LBB98_183:
	s_cmp_lt_i32 s9, 1
	s_mov_b64 s[42:43], 0
	s_cbranch_scc1 .LBB98_189
.LBB98_184:
	s_cmp_gt_i32 s9, 1
	s_cbranch_scc0 .LBB98_190
; %bb.185:
	s_cmp_eq_u32 s9, 2
	s_cbranch_scc0 .LBB98_264
; %bb.186:
	s_waitcnt vmcnt(0)
	v_cmp_ge_f32_e64 s[40:41], s10, v3
	s_mov_b64 s[44:45], 0
	s_branch .LBB98_192
.LBB98_187:
	s_waitcnt vmcnt(0)
	v_cmp_gt_f32_e32 vcc, s10, v2
	s_andn2_b64 s[38:39], s[38:39], exec
	s_and_b64 s[42:43], vcc, exec
	s_or_b64 s[38:39], s[38:39], s[42:43]
	s_cbranch_execnz .LBB98_183
.LBB98_188:
	s_waitcnt vmcnt(0)
	v_cmp_le_f32_e32 vcc, s10, v2
	s_andn2_b64 s[38:39], s[38:39], exec
	s_and_b64 s[40:41], vcc, exec
	s_or_b64 s[38:39], s[38:39], s[40:41]
	s_cmp_lt_i32 s9, 1
	s_mov_b64 s[42:43], 0
	s_cbranch_scc0 .LBB98_184
.LBB98_189:
                                        ; implicit-def: $sgpr40_sgpr41
	s_mov_b64 s[44:45], 0
	s_cbranch_execnz .LBB98_193
	s_branch .LBB98_194
.LBB98_190:
	s_mov_b64 s[44:45], 0
                                        ; implicit-def: $sgpr40_sgpr41
	s_cbranch_execz .LBB98_192
; %bb.191:
	s_waitcnt vmcnt(0)
	v_cmp_lt_f32_e32 vcc, s10, v3
	s_andn2_b64 s[40:41], s[40:41], exec
	s_and_b64 s[46:47], vcc, exec
	s_or_b64 s[40:41], s[40:41], s[46:47]
.LBB98_192:
	s_branch .LBB98_194
.LBB98_193:
	s_cmp_lg_u32 s9, 0
	s_mov_b64 s[42:43], -1
	s_cselect_b64 s[44:45], -1, 0
.LBB98_194:
	s_andn2_b64 vcc, exec, s[44:45]
	s_cbranch_vccz .LBB98_200
; %bb.195:
	s_andn2_b64 vcc, exec, s[42:43]
	s_cbranch_vccz .LBB98_201
.LBB98_196:
	s_cmp_lt_i32 s9, 1
	s_mov_b64 s[44:45], 0
	s_cbranch_scc1 .LBB98_202
.LBB98_197:
	s_cmp_gt_i32 s9, 1
	s_cbranch_scc0 .LBB98_203
; %bb.198:
	s_cmp_eq_u32 s9, 2
	s_cbranch_scc0 .LBB98_265
; %bb.199:
	s_waitcnt vmcnt(0)
	v_cmp_ge_f32_e64 s[42:43], s10, v4
	s_mov_b64 s[46:47], 0
	s_branch .LBB98_205
.LBB98_200:
	s_waitcnt vmcnt(0)
	v_cmp_gt_f32_e32 vcc, s10, v3
	s_andn2_b64 s[40:41], s[40:41], exec
	s_and_b64 s[44:45], vcc, exec
	s_or_b64 s[40:41], s[40:41], s[44:45]
	s_cbranch_execnz .LBB98_196
.LBB98_201:
	s_waitcnt vmcnt(0)
	v_cmp_le_f32_e32 vcc, s10, v3
	s_andn2_b64 s[40:41], s[40:41], exec
	s_and_b64 s[42:43], vcc, exec
	s_or_b64 s[40:41], s[40:41], s[42:43]
	s_cmp_lt_i32 s9, 1
	s_mov_b64 s[44:45], 0
	s_cbranch_scc0 .LBB98_197
.LBB98_202:
                                        ; implicit-def: $sgpr42_sgpr43
	s_mov_b64 s[46:47], 0
	s_cbranch_execnz .LBB98_206
	s_branch .LBB98_207
.LBB98_203:
	s_mov_b64 s[46:47], 0
                                        ; implicit-def: $sgpr42_sgpr43
	s_cbranch_execz .LBB98_205
; %bb.204:
	s_waitcnt vmcnt(0)
	v_cmp_lt_f32_e32 vcc, s10, v4
	s_andn2_b64 s[42:43], s[42:43], exec
	s_and_b64 s[48:49], vcc, exec
	s_or_b64 s[42:43], s[42:43], s[48:49]
.LBB98_205:
	s_branch .LBB98_207
.LBB98_206:
	s_cmp_lg_u32 s9, 0
	s_mov_b64 s[44:45], -1
	s_cselect_b64 s[46:47], -1, 0
.LBB98_207:
	s_andn2_b64 vcc, exec, s[46:47]
	s_cbranch_vccz .LBB98_243
; %bb.208:
	s_andn2_b64 vcc, exec, s[44:45]
	s_cbranch_vccnz .LBB98_210
.LBB98_209:
	s_waitcnt vmcnt(0)
	v_cmp_le_f32_e32 vcc, s10, v4
	s_andn2_b64 s[42:43], s[42:43], exec
	s_and_b64 s[44:45], vcc, exec
	s_or_b64 s[42:43], s[42:43], s[44:45]
.LBB98_210:
	s_waitcnt vmcnt(0)
	v_mov_b32_e32 v1, 0x100
	v_cndmask_b32_e64 v2, 0, v1, s[38:39]
	v_cndmask_b32_e64 v3, 0, 1, s[36:37]
	v_or_b32_e32 v2, v2, v3
	v_mov_b32_e32 v3, 0x10000
	v_cndmask_b32_e64 v5, 0, v1, s[28:29]
	v_cndmask_b32_e64 v6, 0, 1, s[26:27]
	v_mov_b32_e32 v7, 0x1000000
	v_or_b32_e32 v5, v5, v6
	v_cndmask_b32_e64 v6, 0, v3, s[30:31]
	v_cndmask_b32_e64 v8, 0, v7, s[34:35]
	v_or3_b32 v5, v5, v6, v8
	v_cndmask_b32_e64 v6, 0, v1, s[20:21]
	v_cndmask_b32_e64 v8, 0, 1, s[18:19]
	v_or_b32_e32 v6, v6, v8
	v_cndmask_b32_e64 v8, 0, v3, s[22:23]
	v_cndmask_b32_e64 v9, 0, v7, s[24:25]
	v_or3_b32 v6, v6, v8, v9
	v_cndmask_b32_e64 v1, 0, v1, s[4:5]
	v_cndmask_b32_e64 v8, 0, 1, s[0:1]
	;; [unrolled: 1-line block ×3, first 2 shown]
	v_or_b32_e32 v1, v1, v8
	v_cndmask_b32_e64 v3, 0, v3, s[6:7]
	v_cndmask_b32_e64 v8, 0, v7, s[16:17]
	v_or3_b32 v1, v1, v3, v8
	v_cndmask_b32_e64 v3, 0, v7, s[42:43]
	s_add_u32 s0, s12, s2
	v_or3_b32 v2, v2, v4, v3
	s_addc_u32 s1, s13, s3
	v_lshlrev_b32_e32 v3, 2, v0
	global_store_dword v3, v1, s[0:1]
	global_store_dword v3, v6, s[0:1] offset:1024
	global_store_dword v3, v5, s[0:1] offset:2048
	;; [unrolled: 1-line block ×3, first 2 shown]
	s_mov_b64 s[0:1], 0
.LBB98_211:
	s_and_b64 vcc, exec, s[0:1]
	s_cbranch_vccz .LBB98_519
; %bb.212:
	v_cmp_gt_i32_e64 s[0:1], s8, v0
	v_mov_b32_e32 v9, 0
	v_or_b32_e32 v1, s2, v0
	v_mov_b32_e32 v5, 0
	v_mov_b32_e32 v3, v0
	s_and_saveexec_b64 s[4:5], s[0:1]
	s_cbranch_execz .LBB98_214
; %bb.213:
	v_mov_b32_e32 v2, 0
	v_lshlrev_b64 v[2:3], 2, v[1:2]
	v_mov_b32_e32 v4, s15
	v_add_co_u32_e32 v2, vcc, s14, v2
	v_addc_co_u32_e32 v3, vcc, v4, v3, vcc
	global_load_dword v5, v[2:3], off
	v_or_b32_e32 v3, 0x100, v0
.LBB98_214:
	s_or_b64 exec, exec, s[4:5]
	v_cmp_gt_i32_e32 vcc, s8, v3
	s_and_saveexec_b64 s[4:5], vcc
	s_cbranch_execz .LBB98_216
; %bb.215:
	v_add_u32_e32 v6, s2, v3
	v_mov_b32_e32 v7, 0
	v_lshlrev_b64 v[6:7], 2, v[6:7]
	v_mov_b32_e32 v2, s15
	v_add_co_u32_e32 v6, vcc, s14, v6
	v_addc_co_u32_e32 v7, vcc, v2, v7, vcc
	global_load_dword v9, v[6:7], off
	v_add_u32_e32 v3, 0x100, v3
.LBB98_216:
	s_or_b64 exec, exec, s[4:5]
	v_cmp_gt_i32_e32 vcc, s8, v3
	v_mov_b32_e32 v13, 0
	v_mov_b32_e32 v11, 0
	s_and_saveexec_b64 s[4:5], vcc
	s_cbranch_execz .LBB98_218
; %bb.217:
	v_add_u32_e32 v6, s2, v3
	v_mov_b32_e32 v7, 0
	v_lshlrev_b64 v[6:7], 2, v[6:7]
	v_mov_b32_e32 v2, s15
	v_add_co_u32_e32 v6, vcc, s14, v6
	v_addc_co_u32_e32 v7, vcc, v2, v7, vcc
	global_load_dword v11, v[6:7], off
	v_add_u32_e32 v3, 0x100, v3
.LBB98_218:
	s_or_b64 exec, exec, s[4:5]
	v_cmp_gt_i32_e32 vcc, s8, v3
	s_and_saveexec_b64 s[4:5], vcc
	s_cbranch_execz .LBB98_220
; %bb.219:
	v_add_u32_e32 v6, s2, v3
	v_mov_b32_e32 v7, 0
	v_lshlrev_b64 v[6:7], 2, v[6:7]
	v_mov_b32_e32 v2, s15
	v_add_co_u32_e32 v6, vcc, s14, v6
	v_addc_co_u32_e32 v7, vcc, v2, v7, vcc
	global_load_dword v13, v[6:7], off
	v_add_u32_e32 v3, 0x100, v3
.LBB98_220:
	s_or_b64 exec, exec, s[4:5]
	v_cmp_gt_i32_e32 vcc, s8, v3
	v_mov_b32_e32 v18, 0
	v_mov_b32_e32 v15, 0
	s_and_saveexec_b64 s[4:5], vcc
	s_cbranch_execz .LBB98_222
; %bb.221:
	v_add_u32_e32 v6, s2, v3
	v_mov_b32_e32 v7, 0
	v_lshlrev_b64 v[6:7], 2, v[6:7]
	v_mov_b32_e32 v2, s15
	v_add_co_u32_e32 v6, vcc, s14, v6
	v_addc_co_u32_e32 v7, vcc, v2, v7, vcc
	global_load_dword v15, v[6:7], off
	v_add_u32_e32 v3, 0x100, v3
.LBB98_222:
	;; [unrolled: 30-line block ×6, first 2 shown]
	s_or_b64 exec, exec, s[4:5]
	v_cmp_gt_i32_e32 vcc, s8, v3
	s_and_saveexec_b64 s[4:5], vcc
	s_cbranch_execz .LBB98_240
; %bb.239:
	v_add_u32_e32 v6, s2, v3
	v_mov_b32_e32 v7, 0
	v_lshlrev_b64 v[6:7], 2, v[6:7]
	v_mov_b32_e32 v2, s15
	v_add_co_u32_e32 v6, vcc, s14, v6
	v_addc_co_u32_e32 v7, vcc, v2, v7, vcc
	global_load_dword v6, v[6:7], off
	v_add_u32_e32 v3, 0x100, v3
.LBB98_240:
	s_or_b64 exec, exec, s[4:5]
	v_cmp_gt_i32_e32 vcc, s8, v3
	v_mov_b32_e32 v2, 0
	v_mov_b32_e32 v4, 0
	s_and_saveexec_b64 s[4:5], vcc
	s_cbranch_execnz .LBB98_244
; %bb.241:
	s_or_b64 exec, exec, s[4:5]
	v_cmp_gt_i32_e32 vcc, s8, v3
	s_and_saveexec_b64 s[4:5], vcc
	s_cbranch_execnz .LBB98_245
.LBB98_242:
	s_or_b64 exec, exec, s[4:5]
                                        ; implicit-def: $vgpr3
	s_and_saveexec_b64 s[4:5], s[0:1]
	s_cbranch_execnz .LBB98_246
	s_branch .LBB98_276
.LBB98_243:
	s_waitcnt vmcnt(0)
	v_cmp_gt_f32_e32 vcc, s10, v4
	s_andn2_b64 s[42:43], s[42:43], exec
	s_and_b64 s[46:47], vcc, exec
	s_or_b64 s[42:43], s[42:43], s[46:47]
	s_cbranch_execz .LBB98_209
	s_branch .LBB98_210
.LBB98_244:
	v_add_u32_e32 v20, s2, v3
	v_mov_b32_e32 v21, 0
	v_lshlrev_b64 v[20:21], 2, v[20:21]
	v_mov_b32_e32 v4, s15
	v_add_co_u32_e32 v20, vcc, s14, v20
	v_addc_co_u32_e32 v21, vcc, v4, v21, vcc
	global_load_dword v4, v[20:21], off
	v_add_u32_e32 v3, 0x100, v3
	s_or_b64 exec, exec, s[4:5]
	v_cmp_gt_i32_e32 vcc, s8, v3
	s_and_saveexec_b64 s[4:5], vcc
	s_cbranch_execz .LBB98_242
.LBB98_245:
	v_add_u32_e32 v2, s2, v3
	v_mov_b32_e32 v3, 0
	v_lshlrev_b64 v[2:3], 2, v[2:3]
	v_mov_b32_e32 v7, s15
	v_add_co_u32_e32 v2, vcc, s14, v2
	v_addc_co_u32_e32 v3, vcc, v7, v3, vcc
	global_load_dword v2, v[2:3], off
	s_or_b64 exec, exec, s[4:5]
                                        ; implicit-def: $vgpr3
	s_and_saveexec_b64 s[4:5], s[0:1]
	s_cbranch_execz .LBB98_276
.LBB98_246:
	s_cmp_lt_i32 s9, 1
	s_mov_b64 s[6:7], 0
	s_cbranch_scc1 .LBB98_250
; %bb.247:
	s_cmp_gt_i32 s9, 1
	s_cbranch_scc0 .LBB98_266
; %bb.248:
	s_cmp_eq_u32 s9, 2
	s_cbranch_scc0 .LBB98_267
; %bb.249:
	s_waitcnt vmcnt(0)
	v_cmp_ge_f32_e64 s[14:15], s10, v5
	s_mov_b64 s[16:17], 0
	s_branch .LBB98_268
.LBB98_250:
                                        ; implicit-def: $sgpr14_sgpr15
	s_mov_b64 s[16:17], 0
	s_cbranch_execnz .LBB98_271
	s_branch .LBB98_272
.LBB98_251:
	s_mov_b64 s[16:17], -1
                                        ; implicit-def: $sgpr4_sgpr5
	s_branch .LBB98_23
.LBB98_252:
	s_mov_b64 s[18:19], -1
                                        ; implicit-def: $sgpr6_sgpr7
	s_branch .LBB98_36
.LBB98_253:
	s_mov_b64 s[20:21], -1
                                        ; implicit-def: $sgpr16_sgpr17
	s_branch .LBB98_49
.LBB98_254:
	s_mov_b64 s[22:23], -1
                                        ; implicit-def: $sgpr18_sgpr19
	s_branch .LBB98_62
.LBB98_255:
	s_mov_b64 s[24:25], -1
                                        ; implicit-def: $sgpr20_sgpr21
	s_branch .LBB98_75
.LBB98_256:
	s_mov_b64 s[26:27], -1
                                        ; implicit-def: $sgpr22_sgpr23
	s_branch .LBB98_88
.LBB98_257:
	s_mov_b64 s[28:29], -1
                                        ; implicit-def: $sgpr24_sgpr25
	s_branch .LBB98_101
.LBB98_258:
	s_mov_b64 s[30:31], -1
                                        ; implicit-def: $sgpr26_sgpr27
	s_branch .LBB98_114
.LBB98_259:
	s_mov_b64 s[34:35], -1
                                        ; implicit-def: $sgpr28_sgpr29
	s_branch .LBB98_127
.LBB98_260:
	s_mov_b64 s[36:37], -1
                                        ; implicit-def: $sgpr30_sgpr31
	s_branch .LBB98_140
.LBB98_261:
	s_mov_b64 s[38:39], -1
                                        ; implicit-def: $sgpr34_sgpr35
	s_branch .LBB98_153
.LBB98_262:
	s_mov_b64 s[40:41], -1
                                        ; implicit-def: $sgpr36_sgpr37
	s_branch .LBB98_166
.LBB98_263:
	s_mov_b64 s[42:43], -1
                                        ; implicit-def: $sgpr38_sgpr39
	s_branch .LBB98_179
.LBB98_264:
	s_mov_b64 s[44:45], -1
                                        ; implicit-def: $sgpr40_sgpr41
	s_branch .LBB98_192
.LBB98_265:
	s_mov_b64 s[46:47], -1
                                        ; implicit-def: $sgpr42_sgpr43
	s_branch .LBB98_205
.LBB98_266:
	s_mov_b64 s[16:17], 0
                                        ; implicit-def: $sgpr14_sgpr15
	s_cbranch_execnz .LBB98_269
	s_branch .LBB98_270
.LBB98_267:
	s_mov_b64 s[16:17], -1
                                        ; implicit-def: $sgpr14_sgpr15
.LBB98_268:
	s_branch .LBB98_270
.LBB98_269:
	s_waitcnt vmcnt(0)
	v_cmp_lt_f32_e32 vcc, s10, v5
	s_andn2_b64 s[14:15], s[14:15], exec
	s_and_b64 s[18:19], vcc, exec
	s_or_b64 s[14:15], s[14:15], s[18:19]
.LBB98_270:
	s_branch .LBB98_272
.LBB98_271:
	s_cmp_lg_u32 s9, 0
	s_mov_b64 s[6:7], -1
	s_cselect_b64 s[16:17], -1, 0
.LBB98_272:
	s_andn2_b64 vcc, exec, s[16:17]
	s_cbranch_vccz .LBB98_281
; %bb.273:
	s_andn2_b64 vcc, exec, s[6:7]
	s_cbranch_vccnz .LBB98_275
.LBB98_274:
	s_waitcnt vmcnt(0)
	v_cmp_le_f32_e32 vcc, s10, v5
	s_andn2_b64 s[6:7], s[14:15], exec
	s_and_b64 s[14:15], vcc, exec
	s_or_b64 s[14:15], s[6:7], s[14:15]
.LBB98_275:
	v_cndmask_b32_e64 v3, 0, 1, s[14:15]
.LBB98_276:
	s_or_b64 exec, exec, s[4:5]
	s_waitcnt vmcnt(0)
	v_or_b32_e32 v5, 0x100, v0
	v_cmp_gt_i32_e32 vcc, s8, v5
                                        ; implicit-def: $vgpr7
	s_and_saveexec_b64 s[4:5], vcc
	s_cbranch_execz .LBB98_291
; %bb.277:
	s_cmp_lt_i32 s9, 1
	s_mov_b64 s[6:7], 0
	s_cbranch_scc1 .LBB98_282
; %bb.278:
	s_cmp_gt_i32 s9, 1
	s_cbranch_scc0 .LBB98_283
; %bb.279:
	s_cmp_eq_u32 s9, 2
	s_cbranch_scc0 .LBB98_535
; %bb.280:
	v_cmp_ge_f32_e64 s[14:15], s10, v9
	s_mov_b64 s[16:17], 0
	s_branch .LBB98_285
.LBB98_281:
	s_waitcnt vmcnt(0)
	v_cmp_gt_f32_e32 vcc, s10, v5
	s_andn2_b64 s[14:15], s[14:15], exec
	s_and_b64 s[16:17], vcc, exec
	s_or_b64 s[14:15], s[14:15], s[16:17]
	s_cbranch_execz .LBB98_274
	s_branch .LBB98_275
.LBB98_282:
                                        ; implicit-def: $sgpr14_sgpr15
	s_mov_b64 s[16:17], 0
	s_cbranch_execnz .LBB98_286
	s_branch .LBB98_287
.LBB98_283:
	s_mov_b64 s[16:17], 0
                                        ; implicit-def: $sgpr14_sgpr15
	s_cbranch_execz .LBB98_285
; %bb.284:
	v_cmp_lt_f32_e32 vcc, s10, v9
	s_andn2_b64 s[14:15], s[14:15], exec
	s_and_b64 s[18:19], vcc, exec
	s_or_b64 s[14:15], s[14:15], s[18:19]
.LBB98_285:
	s_branch .LBB98_287
.LBB98_286:
	s_cmp_lg_u32 s9, 0
	s_mov_b64 s[6:7], -1
	s_cselect_b64 s[16:17], -1, 0
.LBB98_287:
	s_andn2_b64 vcc, exec, s[16:17]
	s_cbranch_vccz .LBB98_296
; %bb.288:
	s_andn2_b64 vcc, exec, s[6:7]
	s_cbranch_vccnz .LBB98_290
.LBB98_289:
	v_cmp_le_f32_e32 vcc, s10, v9
	s_andn2_b64 s[6:7], s[14:15], exec
	s_and_b64 s[14:15], vcc, exec
	s_or_b64 s[14:15], s[6:7], s[14:15]
.LBB98_290:
	v_cndmask_b32_e64 v7, 0, 1, s[14:15]
.LBB98_291:
	s_or_b64 exec, exec, s[4:5]
	v_or_b32_e32 v9, 0x200, v0
	v_cmp_gt_i32_e32 vcc, s8, v9
                                        ; implicit-def: $vgpr9
	s_and_saveexec_b64 s[4:5], vcc
	s_cbranch_execz .LBB98_306
; %bb.292:
	s_cmp_lt_i32 s9, 1
	s_mov_b64 s[6:7], 0
	s_cbranch_scc1 .LBB98_297
; %bb.293:
	s_cmp_gt_i32 s9, 1
	s_cbranch_scc0 .LBB98_298
; %bb.294:
	s_cmp_eq_u32 s9, 2
	s_cbranch_scc0 .LBB98_536
; %bb.295:
	v_cmp_ge_f32_e64 s[14:15], s10, v11
	s_mov_b64 s[16:17], 0
	s_branch .LBB98_300
.LBB98_296:
	v_cmp_gt_f32_e32 vcc, s10, v9
	s_andn2_b64 s[14:15], s[14:15], exec
	s_and_b64 s[16:17], vcc, exec
	s_or_b64 s[14:15], s[14:15], s[16:17]
	s_cbranch_execz .LBB98_289
	s_branch .LBB98_290
.LBB98_297:
                                        ; implicit-def: $sgpr14_sgpr15
	s_mov_b64 s[16:17], 0
	s_cbranch_execnz .LBB98_301
	s_branch .LBB98_302
.LBB98_298:
	s_mov_b64 s[16:17], 0
                                        ; implicit-def: $sgpr14_sgpr15
	s_cbranch_execz .LBB98_300
; %bb.299:
	v_cmp_lt_f32_e32 vcc, s10, v11
	s_andn2_b64 s[14:15], s[14:15], exec
	s_and_b64 s[18:19], vcc, exec
	s_or_b64 s[14:15], s[14:15], s[18:19]
.LBB98_300:
	s_branch .LBB98_302
.LBB98_301:
	s_cmp_lg_u32 s9, 0
	s_mov_b64 s[6:7], -1
	s_cselect_b64 s[16:17], -1, 0
.LBB98_302:
	s_andn2_b64 vcc, exec, s[16:17]
	s_cbranch_vccz .LBB98_311
; %bb.303:
	s_andn2_b64 vcc, exec, s[6:7]
	s_cbranch_vccnz .LBB98_305
.LBB98_304:
	v_cmp_le_f32_e32 vcc, s10, v11
	s_andn2_b64 s[6:7], s[14:15], exec
	s_and_b64 s[14:15], vcc, exec
	s_or_b64 s[14:15], s[6:7], s[14:15]
.LBB98_305:
	v_cndmask_b32_e64 v9, 0, 1, s[14:15]
.LBB98_306:
	s_or_b64 exec, exec, s[4:5]
	v_or_b32_e32 v11, 0x300, v0
	v_cmp_gt_i32_e32 vcc, s8, v11
                                        ; implicit-def: $vgpr11
	s_and_saveexec_b64 s[4:5], vcc
	s_cbranch_execz .LBB98_321
; %bb.307:
	s_cmp_lt_i32 s9, 1
	s_mov_b64 s[6:7], 0
	s_cbranch_scc1 .LBB98_312
; %bb.308:
	s_cmp_gt_i32 s9, 1
	s_cbranch_scc0 .LBB98_313
; %bb.309:
	s_cmp_eq_u32 s9, 2
	s_cbranch_scc0 .LBB98_537
; %bb.310:
	v_cmp_ge_f32_e64 s[14:15], s10, v13
	s_mov_b64 s[16:17], 0
	s_branch .LBB98_315
.LBB98_311:
	v_cmp_gt_f32_e32 vcc, s10, v11
	s_andn2_b64 s[14:15], s[14:15], exec
	s_and_b64 s[16:17], vcc, exec
	s_or_b64 s[14:15], s[14:15], s[16:17]
	s_cbranch_execz .LBB98_304
	s_branch .LBB98_305
.LBB98_312:
                                        ; implicit-def: $sgpr14_sgpr15
	s_mov_b64 s[16:17], 0
	s_cbranch_execnz .LBB98_316
	s_branch .LBB98_317
.LBB98_313:
	s_mov_b64 s[16:17], 0
                                        ; implicit-def: $sgpr14_sgpr15
	s_cbranch_execz .LBB98_315
; %bb.314:
	v_cmp_lt_f32_e32 vcc, s10, v13
	s_andn2_b64 s[14:15], s[14:15], exec
	s_and_b64 s[18:19], vcc, exec
	s_or_b64 s[14:15], s[14:15], s[18:19]
.LBB98_315:
	s_branch .LBB98_317
.LBB98_316:
	s_cmp_lg_u32 s9, 0
	s_mov_b64 s[6:7], -1
	s_cselect_b64 s[16:17], -1, 0
.LBB98_317:
	s_andn2_b64 vcc, exec, s[16:17]
	s_cbranch_vccz .LBB98_326
; %bb.318:
	s_andn2_b64 vcc, exec, s[6:7]
	s_cbranch_vccnz .LBB98_320
.LBB98_319:
	v_cmp_le_f32_e32 vcc, s10, v13
	s_andn2_b64 s[6:7], s[14:15], exec
	s_and_b64 s[14:15], vcc, exec
	s_or_b64 s[14:15], s[6:7], s[14:15]
.LBB98_320:
	v_cndmask_b32_e64 v11, 0, 1, s[14:15]
.LBB98_321:
	s_or_b64 exec, exec, s[4:5]
	v_or_b32_e32 v13, 0x400, v0
	v_cmp_gt_i32_e32 vcc, s8, v13
                                        ; implicit-def: $vgpr13
	s_and_saveexec_b64 s[4:5], vcc
	s_cbranch_execz .LBB98_336
; %bb.322:
	s_cmp_lt_i32 s9, 1
	s_mov_b64 s[6:7], 0
	s_cbranch_scc1 .LBB98_327
; %bb.323:
	s_cmp_gt_i32 s9, 1
	s_cbranch_scc0 .LBB98_328
; %bb.324:
	s_cmp_eq_u32 s9, 2
	s_cbranch_scc0 .LBB98_538
; %bb.325:
	v_cmp_ge_f32_e64 s[14:15], s10, v15
	s_mov_b64 s[16:17], 0
	s_branch .LBB98_330
.LBB98_326:
	v_cmp_gt_f32_e32 vcc, s10, v13
	s_andn2_b64 s[14:15], s[14:15], exec
	s_and_b64 s[16:17], vcc, exec
	s_or_b64 s[14:15], s[14:15], s[16:17]
	s_cbranch_execz .LBB98_319
	s_branch .LBB98_320
.LBB98_327:
                                        ; implicit-def: $sgpr14_sgpr15
	s_mov_b64 s[16:17], 0
	s_cbranch_execnz .LBB98_331
	s_branch .LBB98_332
.LBB98_328:
	s_mov_b64 s[16:17], 0
                                        ; implicit-def: $sgpr14_sgpr15
	s_cbranch_execz .LBB98_330
; %bb.329:
	v_cmp_lt_f32_e32 vcc, s10, v15
	s_andn2_b64 s[14:15], s[14:15], exec
	s_and_b64 s[18:19], vcc, exec
	s_or_b64 s[14:15], s[14:15], s[18:19]
.LBB98_330:
	s_branch .LBB98_332
.LBB98_331:
	s_cmp_lg_u32 s9, 0
	s_mov_b64 s[6:7], -1
	s_cselect_b64 s[16:17], -1, 0
.LBB98_332:
	s_andn2_b64 vcc, exec, s[16:17]
	s_cbranch_vccz .LBB98_341
; %bb.333:
	s_andn2_b64 vcc, exec, s[6:7]
	s_cbranch_vccnz .LBB98_335
.LBB98_334:
	v_cmp_le_f32_e32 vcc, s10, v15
	s_andn2_b64 s[6:7], s[14:15], exec
	s_and_b64 s[14:15], vcc, exec
	s_or_b64 s[14:15], s[6:7], s[14:15]
.LBB98_335:
	v_cndmask_b32_e64 v13, 0, 1, s[14:15]
.LBB98_336:
	s_or_b64 exec, exec, s[4:5]
	v_or_b32_e32 v15, 0x500, v0
	v_cmp_gt_i32_e32 vcc, s8, v15
                                        ; implicit-def: $vgpr15
	s_and_saveexec_b64 s[4:5], vcc
	s_cbranch_execz .LBB98_351
; %bb.337:
	s_cmp_lt_i32 s9, 1
	s_mov_b64 s[6:7], 0
	s_cbranch_scc1 .LBB98_342
; %bb.338:
	s_cmp_gt_i32 s9, 1
	s_cbranch_scc0 .LBB98_343
; %bb.339:
	s_cmp_eq_u32 s9, 2
	s_cbranch_scc0 .LBB98_539
; %bb.340:
	v_cmp_ge_f32_e64 s[14:15], s10, v18
	s_mov_b64 s[16:17], 0
	s_branch .LBB98_345
.LBB98_341:
	v_cmp_gt_f32_e32 vcc, s10, v15
	s_andn2_b64 s[14:15], s[14:15], exec
	s_and_b64 s[16:17], vcc, exec
	s_or_b64 s[14:15], s[14:15], s[16:17]
	s_cbranch_execz .LBB98_334
	s_branch .LBB98_335
.LBB98_342:
                                        ; implicit-def: $sgpr14_sgpr15
	s_mov_b64 s[16:17], 0
	s_cbranch_execnz .LBB98_346
	s_branch .LBB98_347
.LBB98_343:
	s_mov_b64 s[16:17], 0
                                        ; implicit-def: $sgpr14_sgpr15
	s_cbranch_execz .LBB98_345
; %bb.344:
	v_cmp_lt_f32_e32 vcc, s10, v18
	s_andn2_b64 s[14:15], s[14:15], exec
	s_and_b64 s[18:19], vcc, exec
	s_or_b64 s[14:15], s[14:15], s[18:19]
.LBB98_345:
	s_branch .LBB98_347
.LBB98_346:
	s_cmp_lg_u32 s9, 0
	s_mov_b64 s[6:7], -1
	s_cselect_b64 s[16:17], -1, 0
.LBB98_347:
	s_andn2_b64 vcc, exec, s[16:17]
	s_cbranch_vccz .LBB98_356
; %bb.348:
	s_andn2_b64 vcc, exec, s[6:7]
	s_cbranch_vccnz .LBB98_350
.LBB98_349:
	v_cmp_le_f32_e32 vcc, s10, v18
	s_andn2_b64 s[6:7], s[14:15], exec
	s_and_b64 s[14:15], vcc, exec
	s_or_b64 s[14:15], s[6:7], s[14:15]
.LBB98_350:
	v_cndmask_b32_e64 v15, 0, 1, s[14:15]
.LBB98_351:
	s_or_b64 exec, exec, s[4:5]
	v_or_b32_e32 v18, 0x600, v0
	v_cmp_gt_i32_e32 vcc, s8, v18
                                        ; implicit-def: $vgpr18
	s_and_saveexec_b64 s[4:5], vcc
	s_cbranch_execz .LBB98_366
; %bb.352:
	s_cmp_lt_i32 s9, 1
	s_mov_b64 s[6:7], 0
	s_cbranch_scc1 .LBB98_357
; %bb.353:
	s_cmp_gt_i32 s9, 1
	s_cbranch_scc0 .LBB98_358
; %bb.354:
	s_cmp_eq_u32 s9, 2
	s_cbranch_scc0 .LBB98_540
; %bb.355:
	v_cmp_ge_f32_e64 s[14:15], s10, v19
	s_mov_b64 s[16:17], 0
	s_branch .LBB98_360
.LBB98_356:
	v_cmp_gt_f32_e32 vcc, s10, v18
	s_andn2_b64 s[14:15], s[14:15], exec
	s_and_b64 s[16:17], vcc, exec
	s_or_b64 s[14:15], s[14:15], s[16:17]
	s_cbranch_execz .LBB98_349
	s_branch .LBB98_350
.LBB98_357:
                                        ; implicit-def: $sgpr14_sgpr15
	s_mov_b64 s[16:17], 0
	s_cbranch_execnz .LBB98_361
	s_branch .LBB98_362
.LBB98_358:
	s_mov_b64 s[16:17], 0
                                        ; implicit-def: $sgpr14_sgpr15
	s_cbranch_execz .LBB98_360
; %bb.359:
	v_cmp_lt_f32_e32 vcc, s10, v19
	s_andn2_b64 s[14:15], s[14:15], exec
	s_and_b64 s[18:19], vcc, exec
	s_or_b64 s[14:15], s[14:15], s[18:19]
.LBB98_360:
	s_branch .LBB98_362
.LBB98_361:
	s_cmp_lg_u32 s9, 0
	s_mov_b64 s[6:7], -1
	s_cselect_b64 s[16:17], -1, 0
.LBB98_362:
	s_andn2_b64 vcc, exec, s[16:17]
	s_cbranch_vccz .LBB98_371
; %bb.363:
	s_andn2_b64 vcc, exec, s[6:7]
	s_cbranch_vccnz .LBB98_365
.LBB98_364:
	v_cmp_le_f32_e32 vcc, s10, v19
	s_andn2_b64 s[6:7], s[14:15], exec
	s_and_b64 s[14:15], vcc, exec
	s_or_b64 s[14:15], s[6:7], s[14:15]
.LBB98_365:
	v_cndmask_b32_e64 v18, 0, 1, s[14:15]
.LBB98_366:
	s_or_b64 exec, exec, s[4:5]
	v_or_b32_e32 v19, 0x700, v0
	v_cmp_gt_i32_e32 vcc, s8, v19
                                        ; implicit-def: $vgpr19
	s_and_saveexec_b64 s[4:5], vcc
	s_cbranch_execz .LBB98_381
; %bb.367:
	s_cmp_lt_i32 s9, 1
	s_mov_b64 s[6:7], 0
	s_cbranch_scc1 .LBB98_372
; %bb.368:
	s_cmp_gt_i32 s9, 1
	s_cbranch_scc0 .LBB98_373
; %bb.369:
	s_cmp_eq_u32 s9, 2
	s_cbranch_scc0 .LBB98_541
; %bb.370:
	v_cmp_ge_f32_e64 s[14:15], s10, v17
	s_mov_b64 s[16:17], 0
	s_branch .LBB98_375
.LBB98_371:
	v_cmp_gt_f32_e32 vcc, s10, v19
	s_andn2_b64 s[14:15], s[14:15], exec
	s_and_b64 s[16:17], vcc, exec
	s_or_b64 s[14:15], s[14:15], s[16:17]
	s_cbranch_execz .LBB98_364
	s_branch .LBB98_365
.LBB98_372:
                                        ; implicit-def: $sgpr14_sgpr15
	s_mov_b64 s[16:17], 0
	s_cbranch_execnz .LBB98_376
	s_branch .LBB98_377
.LBB98_373:
	s_mov_b64 s[16:17], 0
                                        ; implicit-def: $sgpr14_sgpr15
	s_cbranch_execz .LBB98_375
; %bb.374:
	v_cmp_lt_f32_e32 vcc, s10, v17
	s_andn2_b64 s[14:15], s[14:15], exec
	s_and_b64 s[18:19], vcc, exec
	s_or_b64 s[14:15], s[14:15], s[18:19]
.LBB98_375:
	s_branch .LBB98_377
.LBB98_376:
	s_cmp_lg_u32 s9, 0
	s_mov_b64 s[6:7], -1
	s_cselect_b64 s[16:17], -1, 0
.LBB98_377:
	s_andn2_b64 vcc, exec, s[16:17]
	s_cbranch_vccz .LBB98_386
; %bb.378:
	s_andn2_b64 vcc, exec, s[6:7]
	s_cbranch_vccnz .LBB98_380
.LBB98_379:
	v_cmp_le_f32_e32 vcc, s10, v17
	s_andn2_b64 s[6:7], s[14:15], exec
	s_and_b64 s[14:15], vcc, exec
	s_or_b64 s[14:15], s[6:7], s[14:15]
.LBB98_380:
	v_cndmask_b32_e64 v19, 0, 1, s[14:15]
.LBB98_381:
	s_or_b64 exec, exec, s[4:5]
	v_or_b32_e32 v17, 0x800, v0
	v_cmp_gt_i32_e32 vcc, s8, v17
                                        ; implicit-def: $vgpr17
	s_and_saveexec_b64 s[4:5], vcc
	s_cbranch_execz .LBB98_396
; %bb.382:
	s_cmp_lt_i32 s9, 1
	s_mov_b64 s[6:7], 0
	s_cbranch_scc1 .LBB98_387
; %bb.383:
	s_cmp_gt_i32 s9, 1
	s_cbranch_scc0 .LBB98_388
; %bb.384:
	s_cmp_eq_u32 s9, 2
	s_cbranch_scc0 .LBB98_542
; %bb.385:
	v_cmp_ge_f32_e64 s[14:15], s10, v16
	s_mov_b64 s[16:17], 0
	s_branch .LBB98_390
.LBB98_386:
	v_cmp_gt_f32_e32 vcc, s10, v17
	s_andn2_b64 s[14:15], s[14:15], exec
	s_and_b64 s[16:17], vcc, exec
	s_or_b64 s[14:15], s[14:15], s[16:17]
	s_cbranch_execz .LBB98_379
	s_branch .LBB98_380
.LBB98_387:
                                        ; implicit-def: $sgpr14_sgpr15
	s_mov_b64 s[16:17], 0
	s_cbranch_execnz .LBB98_391
	s_branch .LBB98_392
.LBB98_388:
	s_mov_b64 s[16:17], 0
                                        ; implicit-def: $sgpr14_sgpr15
	s_cbranch_execz .LBB98_390
; %bb.389:
	v_cmp_lt_f32_e32 vcc, s10, v16
	s_andn2_b64 s[14:15], s[14:15], exec
	s_and_b64 s[18:19], vcc, exec
	s_or_b64 s[14:15], s[14:15], s[18:19]
.LBB98_390:
	s_branch .LBB98_392
.LBB98_391:
	s_cmp_lg_u32 s9, 0
	s_mov_b64 s[6:7], -1
	s_cselect_b64 s[16:17], -1, 0
.LBB98_392:
	s_andn2_b64 vcc, exec, s[16:17]
	s_cbranch_vccz .LBB98_401
; %bb.393:
	s_andn2_b64 vcc, exec, s[6:7]
	s_cbranch_vccnz .LBB98_395
.LBB98_394:
	v_cmp_le_f32_e32 vcc, s10, v16
	s_andn2_b64 s[6:7], s[14:15], exec
	s_and_b64 s[14:15], vcc, exec
	s_or_b64 s[14:15], s[6:7], s[14:15]
.LBB98_395:
	v_cndmask_b32_e64 v17, 0, 1, s[14:15]
.LBB98_396:
	s_or_b64 exec, exec, s[4:5]
	v_or_b32_e32 v16, 0x900, v0
	v_cmp_gt_i32_e32 vcc, s8, v16
                                        ; implicit-def: $vgpr16
	s_and_saveexec_b64 s[4:5], vcc
	s_cbranch_execz .LBB98_411
; %bb.397:
	s_cmp_lt_i32 s9, 1
	s_mov_b64 s[6:7], 0
	s_cbranch_scc1 .LBB98_402
; %bb.398:
	s_cmp_gt_i32 s9, 1
	s_cbranch_scc0 .LBB98_403
; %bb.399:
	s_cmp_eq_u32 s9, 2
	s_cbranch_scc0 .LBB98_543
; %bb.400:
	v_cmp_ge_f32_e64 s[14:15], s10, v14
	s_mov_b64 s[16:17], 0
	s_branch .LBB98_405
.LBB98_401:
	v_cmp_gt_f32_e32 vcc, s10, v16
	s_andn2_b64 s[14:15], s[14:15], exec
	s_and_b64 s[16:17], vcc, exec
	s_or_b64 s[14:15], s[14:15], s[16:17]
	s_cbranch_execz .LBB98_394
	s_branch .LBB98_395
.LBB98_402:
                                        ; implicit-def: $sgpr14_sgpr15
	s_mov_b64 s[16:17], 0
	s_cbranch_execnz .LBB98_406
	s_branch .LBB98_407
.LBB98_403:
	s_mov_b64 s[16:17], 0
                                        ; implicit-def: $sgpr14_sgpr15
	s_cbranch_execz .LBB98_405
; %bb.404:
	v_cmp_lt_f32_e32 vcc, s10, v14
	s_andn2_b64 s[14:15], s[14:15], exec
	s_and_b64 s[18:19], vcc, exec
	s_or_b64 s[14:15], s[14:15], s[18:19]
.LBB98_405:
	s_branch .LBB98_407
.LBB98_406:
	s_cmp_lg_u32 s9, 0
	s_mov_b64 s[6:7], -1
	s_cselect_b64 s[16:17], -1, 0
.LBB98_407:
	s_andn2_b64 vcc, exec, s[16:17]
	s_cbranch_vccz .LBB98_416
; %bb.408:
	s_andn2_b64 vcc, exec, s[6:7]
	s_cbranch_vccnz .LBB98_410
.LBB98_409:
	v_cmp_le_f32_e32 vcc, s10, v14
	s_andn2_b64 s[6:7], s[14:15], exec
	s_and_b64 s[14:15], vcc, exec
	s_or_b64 s[14:15], s[6:7], s[14:15]
.LBB98_410:
	v_cndmask_b32_e64 v16, 0, 1, s[14:15]
.LBB98_411:
	s_or_b64 exec, exec, s[4:5]
	v_or_b32_e32 v14, 0xa00, v0
	v_cmp_gt_i32_e32 vcc, s8, v14
                                        ; implicit-def: $vgpr14
	s_and_saveexec_b64 s[4:5], vcc
	s_cbranch_execz .LBB98_426
; %bb.412:
	s_cmp_lt_i32 s9, 1
	s_mov_b64 s[6:7], 0
	s_cbranch_scc1 .LBB98_417
; %bb.413:
	s_cmp_gt_i32 s9, 1
	s_cbranch_scc0 .LBB98_418
; %bb.414:
	s_cmp_eq_u32 s9, 2
	s_cbranch_scc0 .LBB98_544
; %bb.415:
	v_cmp_ge_f32_e64 s[14:15], s10, v12
	s_mov_b64 s[16:17], 0
	s_branch .LBB98_420
.LBB98_416:
	v_cmp_gt_f32_e32 vcc, s10, v14
	s_andn2_b64 s[14:15], s[14:15], exec
	s_and_b64 s[16:17], vcc, exec
	s_or_b64 s[14:15], s[14:15], s[16:17]
	s_cbranch_execz .LBB98_409
	s_branch .LBB98_410
.LBB98_417:
                                        ; implicit-def: $sgpr14_sgpr15
	s_mov_b64 s[16:17], 0
	s_cbranch_execnz .LBB98_421
	s_branch .LBB98_422
.LBB98_418:
	s_mov_b64 s[16:17], 0
                                        ; implicit-def: $sgpr14_sgpr15
	s_cbranch_execz .LBB98_420
; %bb.419:
	v_cmp_lt_f32_e32 vcc, s10, v12
	s_andn2_b64 s[14:15], s[14:15], exec
	s_and_b64 s[18:19], vcc, exec
	s_or_b64 s[14:15], s[14:15], s[18:19]
.LBB98_420:
	s_branch .LBB98_422
.LBB98_421:
	s_cmp_lg_u32 s9, 0
	s_mov_b64 s[6:7], -1
	s_cselect_b64 s[16:17], -1, 0
.LBB98_422:
	s_andn2_b64 vcc, exec, s[16:17]
	s_cbranch_vccz .LBB98_431
; %bb.423:
	s_andn2_b64 vcc, exec, s[6:7]
	s_cbranch_vccnz .LBB98_425
.LBB98_424:
	v_cmp_le_f32_e32 vcc, s10, v12
	s_andn2_b64 s[6:7], s[14:15], exec
	s_and_b64 s[14:15], vcc, exec
	s_or_b64 s[14:15], s[6:7], s[14:15]
.LBB98_425:
	v_cndmask_b32_e64 v14, 0, 1, s[14:15]
.LBB98_426:
	s_or_b64 exec, exec, s[4:5]
	v_or_b32_e32 v12, 0xb00, v0
	v_cmp_gt_i32_e32 vcc, s8, v12
                                        ; implicit-def: $vgpr12
	s_and_saveexec_b64 s[4:5], vcc
	s_cbranch_execz .LBB98_441
; %bb.427:
	s_cmp_lt_i32 s9, 1
	s_mov_b64 s[6:7], 0
	s_cbranch_scc1 .LBB98_432
; %bb.428:
	s_cmp_gt_i32 s9, 1
	s_cbranch_scc0 .LBB98_433
; %bb.429:
	s_cmp_eq_u32 s9, 2
	s_cbranch_scc0 .LBB98_545
; %bb.430:
	v_cmp_ge_f32_e64 s[14:15], s10, v10
	s_mov_b64 s[16:17], 0
	s_branch .LBB98_435
.LBB98_431:
	v_cmp_gt_f32_e32 vcc, s10, v12
	s_andn2_b64 s[14:15], s[14:15], exec
	s_and_b64 s[16:17], vcc, exec
	s_or_b64 s[14:15], s[14:15], s[16:17]
	s_cbranch_execz .LBB98_424
	s_branch .LBB98_425
.LBB98_432:
                                        ; implicit-def: $sgpr14_sgpr15
	s_mov_b64 s[16:17], 0
	s_cbranch_execnz .LBB98_436
	s_branch .LBB98_437
.LBB98_433:
	s_mov_b64 s[16:17], 0
                                        ; implicit-def: $sgpr14_sgpr15
	s_cbranch_execz .LBB98_435
; %bb.434:
	v_cmp_lt_f32_e32 vcc, s10, v10
	s_andn2_b64 s[14:15], s[14:15], exec
	s_and_b64 s[18:19], vcc, exec
	s_or_b64 s[14:15], s[14:15], s[18:19]
.LBB98_435:
	s_branch .LBB98_437
.LBB98_436:
	s_cmp_lg_u32 s9, 0
	s_mov_b64 s[6:7], -1
	s_cselect_b64 s[16:17], -1, 0
.LBB98_437:
	s_andn2_b64 vcc, exec, s[16:17]
	s_cbranch_vccz .LBB98_446
; %bb.438:
	s_andn2_b64 vcc, exec, s[6:7]
	s_cbranch_vccnz .LBB98_440
.LBB98_439:
	v_cmp_le_f32_e32 vcc, s10, v10
	s_andn2_b64 s[6:7], s[14:15], exec
	s_and_b64 s[14:15], vcc, exec
	s_or_b64 s[14:15], s[6:7], s[14:15]
.LBB98_440:
	v_cndmask_b32_e64 v12, 0, 1, s[14:15]
.LBB98_441:
	s_or_b64 exec, exec, s[4:5]
	v_or_b32_e32 v10, 0xc00, v0
	v_cmp_gt_i32_e32 vcc, s8, v10
                                        ; implicit-def: $vgpr10
	s_and_saveexec_b64 s[4:5], vcc
	s_cbranch_execz .LBB98_456
; %bb.442:
	s_cmp_lt_i32 s9, 1
	s_mov_b64 s[6:7], 0
	s_cbranch_scc1 .LBB98_447
; %bb.443:
	s_cmp_gt_i32 s9, 1
	s_cbranch_scc0 .LBB98_448
; %bb.444:
	s_cmp_eq_u32 s9, 2
	s_cbranch_scc0 .LBB98_546
; %bb.445:
	v_cmp_ge_f32_e64 s[14:15], s10, v8
	s_mov_b64 s[16:17], 0
	s_branch .LBB98_450
.LBB98_446:
	v_cmp_gt_f32_e32 vcc, s10, v10
	s_andn2_b64 s[14:15], s[14:15], exec
	s_and_b64 s[16:17], vcc, exec
	s_or_b64 s[14:15], s[14:15], s[16:17]
	s_cbranch_execz .LBB98_439
	s_branch .LBB98_440
.LBB98_447:
                                        ; implicit-def: $sgpr14_sgpr15
	s_mov_b64 s[16:17], 0
	s_cbranch_execnz .LBB98_451
	s_branch .LBB98_452
.LBB98_448:
	s_mov_b64 s[16:17], 0
                                        ; implicit-def: $sgpr14_sgpr15
	s_cbranch_execz .LBB98_450
; %bb.449:
	v_cmp_lt_f32_e32 vcc, s10, v8
	s_andn2_b64 s[14:15], s[14:15], exec
	s_and_b64 s[18:19], vcc, exec
	s_or_b64 s[14:15], s[14:15], s[18:19]
.LBB98_450:
	s_branch .LBB98_452
.LBB98_451:
	s_cmp_lg_u32 s9, 0
	s_mov_b64 s[6:7], -1
	s_cselect_b64 s[16:17], -1, 0
.LBB98_452:
	s_andn2_b64 vcc, exec, s[16:17]
	s_cbranch_vccz .LBB98_461
; %bb.453:
	s_andn2_b64 vcc, exec, s[6:7]
	s_cbranch_vccnz .LBB98_455
.LBB98_454:
	v_cmp_le_f32_e32 vcc, s10, v8
	s_andn2_b64 s[6:7], s[14:15], exec
	s_and_b64 s[14:15], vcc, exec
	s_or_b64 s[14:15], s[6:7], s[14:15]
.LBB98_455:
	v_cndmask_b32_e64 v10, 0, 1, s[14:15]
.LBB98_456:
	s_or_b64 exec, exec, s[4:5]
	v_or_b32_e32 v8, 0xd00, v0
	v_cmp_gt_i32_e32 vcc, s8, v8
                                        ; implicit-def: $vgpr8
	s_and_saveexec_b64 s[4:5], vcc
	s_cbranch_execz .LBB98_471
; %bb.457:
	s_cmp_lt_i32 s9, 1
	s_mov_b64 s[6:7], 0
	s_cbranch_scc1 .LBB98_462
; %bb.458:
	s_cmp_gt_i32 s9, 1
	s_cbranch_scc0 .LBB98_463
; %bb.459:
	s_cmp_eq_u32 s9, 2
	s_cbranch_scc0 .LBB98_547
; %bb.460:
	v_cmp_ge_f32_e64 s[14:15], s10, v6
	s_mov_b64 s[16:17], 0
	s_branch .LBB98_465
.LBB98_461:
	v_cmp_gt_f32_e32 vcc, s10, v8
	s_andn2_b64 s[14:15], s[14:15], exec
	s_and_b64 s[16:17], vcc, exec
	s_or_b64 s[14:15], s[14:15], s[16:17]
	s_cbranch_execz .LBB98_454
	s_branch .LBB98_455
.LBB98_462:
                                        ; implicit-def: $sgpr14_sgpr15
	s_mov_b64 s[16:17], 0
	s_cbranch_execnz .LBB98_466
	s_branch .LBB98_467
.LBB98_463:
	s_mov_b64 s[16:17], 0
                                        ; implicit-def: $sgpr14_sgpr15
	s_cbranch_execz .LBB98_465
; %bb.464:
	v_cmp_lt_f32_e32 vcc, s10, v6
	s_andn2_b64 s[14:15], s[14:15], exec
	s_and_b64 s[18:19], vcc, exec
	s_or_b64 s[14:15], s[14:15], s[18:19]
.LBB98_465:
	s_branch .LBB98_467
.LBB98_466:
	s_cmp_lg_u32 s9, 0
	s_mov_b64 s[6:7], -1
	s_cselect_b64 s[16:17], -1, 0
.LBB98_467:
	s_andn2_b64 vcc, exec, s[16:17]
	s_cbranch_vccz .LBB98_476
; %bb.468:
	s_andn2_b64 vcc, exec, s[6:7]
	s_cbranch_vccnz .LBB98_470
.LBB98_469:
	v_cmp_le_f32_e32 vcc, s10, v6
	s_andn2_b64 s[6:7], s[14:15], exec
	s_and_b64 s[14:15], vcc, exec
	s_or_b64 s[14:15], s[6:7], s[14:15]
.LBB98_470:
	v_cndmask_b32_e64 v8, 0, 1, s[14:15]
.LBB98_471:
	s_or_b64 exec, exec, s[4:5]
	v_or_b32_e32 v6, 0xe00, v0
	v_cmp_gt_i32_e32 vcc, s8, v6
                                        ; implicit-def: $vgpr6
	s_and_saveexec_b64 s[4:5], vcc
	s_cbranch_execz .LBB98_486
; %bb.472:
	s_cmp_lt_i32 s9, 1
	s_mov_b64 s[6:7], 0
	s_cbranch_scc1 .LBB98_477
; %bb.473:
	s_cmp_gt_i32 s9, 1
	s_cbranch_scc0 .LBB98_478
; %bb.474:
	s_cmp_eq_u32 s9, 2
	s_cbranch_scc0 .LBB98_548
; %bb.475:
	v_cmp_ge_f32_e64 s[14:15], s10, v4
	s_mov_b64 s[16:17], 0
	s_branch .LBB98_480
.LBB98_476:
	v_cmp_gt_f32_e32 vcc, s10, v6
	s_andn2_b64 s[14:15], s[14:15], exec
	s_and_b64 s[16:17], vcc, exec
	s_or_b64 s[14:15], s[14:15], s[16:17]
	s_cbranch_execz .LBB98_469
	s_branch .LBB98_470
.LBB98_477:
                                        ; implicit-def: $sgpr14_sgpr15
	s_mov_b64 s[16:17], 0
	s_cbranch_execnz .LBB98_481
	s_branch .LBB98_482
.LBB98_478:
	s_mov_b64 s[16:17], 0
                                        ; implicit-def: $sgpr14_sgpr15
	s_cbranch_execz .LBB98_480
; %bb.479:
	v_cmp_lt_f32_e32 vcc, s10, v4
	s_andn2_b64 s[14:15], s[14:15], exec
	s_and_b64 s[18:19], vcc, exec
	s_or_b64 s[14:15], s[14:15], s[18:19]
.LBB98_480:
	s_branch .LBB98_482
.LBB98_481:
	s_cmp_lg_u32 s9, 0
	s_mov_b64 s[6:7], -1
	s_cselect_b64 s[16:17], -1, 0
.LBB98_482:
	s_andn2_b64 vcc, exec, s[16:17]
	s_cbranch_vccz .LBB98_491
; %bb.483:
	s_andn2_b64 vcc, exec, s[6:7]
	s_cbranch_vccnz .LBB98_485
.LBB98_484:
	v_cmp_le_f32_e32 vcc, s10, v4
	s_andn2_b64 s[6:7], s[14:15], exec
	s_and_b64 s[14:15], vcc, exec
	s_or_b64 s[14:15], s[6:7], s[14:15]
.LBB98_485:
	v_cndmask_b32_e64 v6, 0, 1, s[14:15]
.LBB98_486:
	s_or_b64 exec, exec, s[4:5]
	v_or_b32_e32 v4, 0xf00, v0
	v_cmp_gt_i32_e32 vcc, s8, v4
                                        ; implicit-def: $vgpr4
	s_and_saveexec_b64 s[4:5], vcc
	s_cbranch_execz .LBB98_501
; %bb.487:
	s_cmp_lt_i32 s9, 1
	s_mov_b64 s[6:7], 0
	s_cbranch_scc1 .LBB98_492
; %bb.488:
	s_cmp_gt_i32 s9, 1
	s_cbranch_scc0 .LBB98_493
; %bb.489:
	s_cmp_eq_u32 s9, 2
	s_cbranch_scc0 .LBB98_549
; %bb.490:
	v_cmp_ge_f32_e64 s[14:15], s10, v2
	s_mov_b64 s[16:17], 0
	s_branch .LBB98_495
.LBB98_491:
	v_cmp_gt_f32_e32 vcc, s10, v4
	s_andn2_b64 s[14:15], s[14:15], exec
	s_and_b64 s[16:17], vcc, exec
	s_or_b64 s[14:15], s[14:15], s[16:17]
	s_cbranch_execz .LBB98_484
	s_branch .LBB98_485
.LBB98_492:
                                        ; implicit-def: $sgpr14_sgpr15
	s_mov_b64 s[16:17], 0
	s_cbranch_execnz .LBB98_496
	s_branch .LBB98_497
.LBB98_493:
	s_mov_b64 s[16:17], 0
                                        ; implicit-def: $sgpr14_sgpr15
	s_cbranch_execz .LBB98_495
; %bb.494:
	v_cmp_lt_f32_e32 vcc, s10, v2
	s_andn2_b64 s[14:15], s[14:15], exec
	s_and_b64 s[18:19], vcc, exec
	s_or_b64 s[14:15], s[14:15], s[18:19]
.LBB98_495:
	s_branch .LBB98_497
.LBB98_496:
	s_cmp_lg_u32 s9, 0
	s_mov_b64 s[6:7], -1
	s_cselect_b64 s[16:17], -1, 0
.LBB98_497:
	s_andn2_b64 vcc, exec, s[16:17]
	s_cbranch_vccz .LBB98_534
; %bb.498:
	s_andn2_b64 vcc, exec, s[6:7]
	s_cbranch_vccnz .LBB98_500
.LBB98_499:
	v_cmp_le_f32_e32 vcc, s10, v2
	s_andn2_b64 s[6:7], s[14:15], exec
	s_and_b64 s[10:11], vcc, exec
	s_or_b64 s[14:15], s[6:7], s[10:11]
.LBB98_500:
	v_cndmask_b32_e64 v4, 0, 1, s[14:15]
.LBB98_501:
	s_or_b64 exec, exec, s[4:5]
	s_and_saveexec_b64 s[4:5], s[0:1]
	s_xor_b64 s[0:1], exec, s[4:5]
	s_cbranch_execz .LBB98_503
; %bb.502:
	v_mov_b32_e32 v0, v5
	global_store_byte v1, v3, s[12:13]
.LBB98_503:
	s_or_b64 exec, exec, s[0:1]
	v_cmp_gt_i32_e32 vcc, s8, v0
	s_and_saveexec_b64 s[0:1], vcc
	s_cbranch_execnz .LBB98_520
; %bb.504:
	s_or_b64 exec, exec, s[0:1]
	v_cmp_gt_i32_e32 vcc, s8, v0
	s_and_saveexec_b64 s[0:1], vcc
	s_cbranch_execnz .LBB98_521
.LBB98_505:
	s_or_b64 exec, exec, s[0:1]
	v_cmp_gt_i32_e32 vcc, s8, v0
	s_and_saveexec_b64 s[0:1], vcc
	s_cbranch_execnz .LBB98_522
.LBB98_506:
	s_or_b64 exec, exec, s[0:1]
	v_cmp_gt_i32_e32 vcc, s8, v0
	s_and_saveexec_b64 s[0:1], vcc
	s_cbranch_execnz .LBB98_523
.LBB98_507:
	s_or_b64 exec, exec, s[0:1]
	v_cmp_gt_i32_e32 vcc, s8, v0
	s_and_saveexec_b64 s[0:1], vcc
	s_cbranch_execnz .LBB98_524
.LBB98_508:
	s_or_b64 exec, exec, s[0:1]
	v_cmp_gt_i32_e32 vcc, s8, v0
	s_and_saveexec_b64 s[0:1], vcc
	s_cbranch_execnz .LBB98_525
.LBB98_509:
	s_or_b64 exec, exec, s[0:1]
	v_cmp_gt_i32_e32 vcc, s8, v0
	s_and_saveexec_b64 s[0:1], vcc
	s_cbranch_execnz .LBB98_526
.LBB98_510:
	s_or_b64 exec, exec, s[0:1]
	v_cmp_gt_i32_e32 vcc, s8, v0
	s_and_saveexec_b64 s[0:1], vcc
	s_cbranch_execnz .LBB98_527
.LBB98_511:
	s_or_b64 exec, exec, s[0:1]
	v_cmp_gt_i32_e32 vcc, s8, v0
	s_and_saveexec_b64 s[0:1], vcc
	s_cbranch_execnz .LBB98_528
.LBB98_512:
	s_or_b64 exec, exec, s[0:1]
	v_cmp_gt_i32_e32 vcc, s8, v0
	s_and_saveexec_b64 s[0:1], vcc
	s_cbranch_execnz .LBB98_529
.LBB98_513:
	s_or_b64 exec, exec, s[0:1]
	v_cmp_gt_i32_e32 vcc, s8, v0
	s_and_saveexec_b64 s[0:1], vcc
	s_cbranch_execnz .LBB98_530
.LBB98_514:
	s_or_b64 exec, exec, s[0:1]
	v_cmp_gt_i32_e32 vcc, s8, v0
	s_and_saveexec_b64 s[0:1], vcc
	s_cbranch_execnz .LBB98_531
.LBB98_515:
	s_or_b64 exec, exec, s[0:1]
	v_cmp_gt_i32_e32 vcc, s8, v0
	s_and_saveexec_b64 s[0:1], vcc
	s_cbranch_execnz .LBB98_532
.LBB98_516:
	s_or_b64 exec, exec, s[0:1]
	v_cmp_gt_i32_e32 vcc, s8, v0
	s_and_saveexec_b64 s[0:1], vcc
	s_cbranch_execnz .LBB98_533
.LBB98_517:
	s_or_b64 exec, exec, s[0:1]
	v_cmp_gt_i32_e32 vcc, s8, v0
	s_and_saveexec_b64 s[0:1], vcc
	s_cbranch_execz .LBB98_519
.LBB98_518:
	v_add_u32_e32 v0, s2, v0
	global_store_byte v0, v4, s[12:13]
.LBB98_519:
	s_endpgm
.LBB98_520:
	v_add_u32_e32 v1, s2, v0
	v_add_u32_e32 v0, 0x100, v0
	global_store_byte v1, v7, s[12:13]
	s_or_b64 exec, exec, s[0:1]
	v_cmp_gt_i32_e32 vcc, s8, v0
	s_and_saveexec_b64 s[0:1], vcc
	s_cbranch_execz .LBB98_505
.LBB98_521:
	v_add_u32_e32 v1, s2, v0
	v_add_u32_e32 v0, 0x100, v0
	global_store_byte v1, v9, s[12:13]
	s_or_b64 exec, exec, s[0:1]
	v_cmp_gt_i32_e32 vcc, s8, v0
	s_and_saveexec_b64 s[0:1], vcc
	s_cbranch_execz .LBB98_506
.LBB98_522:
	v_add_u32_e32 v1, s2, v0
	v_add_u32_e32 v0, 0x100, v0
	global_store_byte v1, v11, s[12:13]
	s_or_b64 exec, exec, s[0:1]
	v_cmp_gt_i32_e32 vcc, s8, v0
	s_and_saveexec_b64 s[0:1], vcc
	s_cbranch_execz .LBB98_507
.LBB98_523:
	v_add_u32_e32 v1, s2, v0
	v_add_u32_e32 v0, 0x100, v0
	global_store_byte v1, v13, s[12:13]
	s_or_b64 exec, exec, s[0:1]
	v_cmp_gt_i32_e32 vcc, s8, v0
	s_and_saveexec_b64 s[0:1], vcc
	s_cbranch_execz .LBB98_508
.LBB98_524:
	v_add_u32_e32 v1, s2, v0
	v_add_u32_e32 v0, 0x100, v0
	global_store_byte v1, v15, s[12:13]
	s_or_b64 exec, exec, s[0:1]
	v_cmp_gt_i32_e32 vcc, s8, v0
	s_and_saveexec_b64 s[0:1], vcc
	s_cbranch_execz .LBB98_509
.LBB98_525:
	v_add_u32_e32 v1, s2, v0
	v_add_u32_e32 v0, 0x100, v0
	global_store_byte v1, v18, s[12:13]
	s_or_b64 exec, exec, s[0:1]
	v_cmp_gt_i32_e32 vcc, s8, v0
	s_and_saveexec_b64 s[0:1], vcc
	s_cbranch_execz .LBB98_510
.LBB98_526:
	v_add_u32_e32 v1, s2, v0
	v_add_u32_e32 v0, 0x100, v0
	global_store_byte v1, v19, s[12:13]
	s_or_b64 exec, exec, s[0:1]
	v_cmp_gt_i32_e32 vcc, s8, v0
	s_and_saveexec_b64 s[0:1], vcc
	s_cbranch_execz .LBB98_511
.LBB98_527:
	v_add_u32_e32 v1, s2, v0
	v_add_u32_e32 v0, 0x100, v0
	global_store_byte v1, v17, s[12:13]
	s_or_b64 exec, exec, s[0:1]
	v_cmp_gt_i32_e32 vcc, s8, v0
	s_and_saveexec_b64 s[0:1], vcc
	s_cbranch_execz .LBB98_512
.LBB98_528:
	v_add_u32_e32 v1, s2, v0
	v_add_u32_e32 v0, 0x100, v0
	global_store_byte v1, v16, s[12:13]
	s_or_b64 exec, exec, s[0:1]
	v_cmp_gt_i32_e32 vcc, s8, v0
	s_and_saveexec_b64 s[0:1], vcc
	s_cbranch_execz .LBB98_513
.LBB98_529:
	v_add_u32_e32 v1, s2, v0
	v_add_u32_e32 v0, 0x100, v0
	global_store_byte v1, v14, s[12:13]
	s_or_b64 exec, exec, s[0:1]
	v_cmp_gt_i32_e32 vcc, s8, v0
	s_and_saveexec_b64 s[0:1], vcc
	s_cbranch_execz .LBB98_514
.LBB98_530:
	v_add_u32_e32 v1, s2, v0
	v_add_u32_e32 v0, 0x100, v0
	global_store_byte v1, v12, s[12:13]
	s_or_b64 exec, exec, s[0:1]
	v_cmp_gt_i32_e32 vcc, s8, v0
	s_and_saveexec_b64 s[0:1], vcc
	s_cbranch_execz .LBB98_515
.LBB98_531:
	v_add_u32_e32 v1, s2, v0
	v_add_u32_e32 v0, 0x100, v0
	global_store_byte v1, v10, s[12:13]
	s_or_b64 exec, exec, s[0:1]
	v_cmp_gt_i32_e32 vcc, s8, v0
	s_and_saveexec_b64 s[0:1], vcc
	s_cbranch_execz .LBB98_516
.LBB98_532:
	v_add_u32_e32 v1, s2, v0
	v_add_u32_e32 v0, 0x100, v0
	global_store_byte v1, v8, s[12:13]
	s_or_b64 exec, exec, s[0:1]
	v_cmp_gt_i32_e32 vcc, s8, v0
	s_and_saveexec_b64 s[0:1], vcc
	s_cbranch_execz .LBB98_517
.LBB98_533:
	v_add_u32_e32 v1, s2, v0
	v_add_u32_e32 v0, 0x100, v0
	global_store_byte v1, v6, s[12:13]
	s_or_b64 exec, exec, s[0:1]
	v_cmp_gt_i32_e32 vcc, s8, v0
	s_and_saveexec_b64 s[0:1], vcc
	s_cbranch_execnz .LBB98_518
	s_branch .LBB98_519
.LBB98_534:
	v_cmp_gt_f32_e32 vcc, s10, v2
	s_andn2_b64 s[14:15], s[14:15], exec
	s_and_b64 s[16:17], vcc, exec
	s_or_b64 s[14:15], s[14:15], s[16:17]
	s_cbranch_execz .LBB98_499
	s_branch .LBB98_500
.LBB98_535:
	s_mov_b64 s[16:17], -1
                                        ; implicit-def: $sgpr14_sgpr15
	s_branch .LBB98_285
.LBB98_536:
	s_mov_b64 s[16:17], -1
                                        ; implicit-def: $sgpr14_sgpr15
	s_branch .LBB98_300
.LBB98_537:
	s_mov_b64 s[16:17], -1
                                        ; implicit-def: $sgpr14_sgpr15
	s_branch .LBB98_315
.LBB98_538:
	s_mov_b64 s[16:17], -1
                                        ; implicit-def: $sgpr14_sgpr15
	s_branch .LBB98_330
.LBB98_539:
	s_mov_b64 s[16:17], -1
                                        ; implicit-def: $sgpr14_sgpr15
	s_branch .LBB98_345
.LBB98_540:
	s_mov_b64 s[16:17], -1
                                        ; implicit-def: $sgpr14_sgpr15
	s_branch .LBB98_360
.LBB98_541:
	s_mov_b64 s[16:17], -1
                                        ; implicit-def: $sgpr14_sgpr15
	s_branch .LBB98_375
.LBB98_542:
	s_mov_b64 s[16:17], -1
                                        ; implicit-def: $sgpr14_sgpr15
	s_branch .LBB98_390
.LBB98_543:
	s_mov_b64 s[16:17], -1
                                        ; implicit-def: $sgpr14_sgpr15
	s_branch .LBB98_405
.LBB98_544:
	s_mov_b64 s[16:17], -1
                                        ; implicit-def: $sgpr14_sgpr15
	s_branch .LBB98_420
.LBB98_545:
	s_mov_b64 s[16:17], -1
                                        ; implicit-def: $sgpr14_sgpr15
	s_branch .LBB98_435
.LBB98_546:
	s_mov_b64 s[16:17], -1
                                        ; implicit-def: $sgpr14_sgpr15
	s_branch .LBB98_450
.LBB98_547:
	s_mov_b64 s[16:17], -1
                                        ; implicit-def: $sgpr14_sgpr15
	s_branch .LBB98_465
.LBB98_548:
	s_mov_b64 s[16:17], -1
                                        ; implicit-def: $sgpr14_sgpr15
	s_branch .LBB98_480
.LBB98_549:
	s_mov_b64 s[16:17], -1
                                        ; implicit-def: $sgpr14_sgpr15
	s_branch .LBB98_495
	.section	.rodata,"a",@progbits
	.p2align	6, 0x0
	.amdhsa_kernel _ZN2at6native29vectorized_elementwise_kernelILi4EZNS0_21compare_scalar_kernelIfEEvRNS_18TensorIteratorBaseENS0_12_GLOBAL__N_16OpTypeET_EUlfE_St5arrayIPcLm2EEEEviT0_T1_
		.amdhsa_group_segment_fixed_size 0
		.amdhsa_private_segment_fixed_size 0
		.amdhsa_kernarg_size 32
		.amdhsa_user_sgpr_count 6
		.amdhsa_user_sgpr_private_segment_buffer 1
		.amdhsa_user_sgpr_dispatch_ptr 0
		.amdhsa_user_sgpr_queue_ptr 0
		.amdhsa_user_sgpr_kernarg_segment_ptr 1
		.amdhsa_user_sgpr_dispatch_id 0
		.amdhsa_user_sgpr_flat_scratch_init 0
		.amdhsa_user_sgpr_private_segment_size 0
		.amdhsa_uses_dynamic_stack 0
		.amdhsa_system_sgpr_private_segment_wavefront_offset 0
		.amdhsa_system_sgpr_workgroup_id_x 1
		.amdhsa_system_sgpr_workgroup_id_y 0
		.amdhsa_system_sgpr_workgroup_id_z 0
		.amdhsa_system_sgpr_workgroup_info 0
		.amdhsa_system_vgpr_workitem_id 0
		.amdhsa_next_free_vgpr 22
		.amdhsa_next_free_sgpr 50
		.amdhsa_reserve_vcc 1
		.amdhsa_reserve_flat_scratch 0
		.amdhsa_float_round_mode_32 0
		.amdhsa_float_round_mode_16_64 0
		.amdhsa_float_denorm_mode_32 3
		.amdhsa_float_denorm_mode_16_64 3
		.amdhsa_dx10_clamp 1
		.amdhsa_ieee_mode 1
		.amdhsa_fp16_overflow 0
		.amdhsa_exception_fp_ieee_invalid_op 0
		.amdhsa_exception_fp_denorm_src 0
		.amdhsa_exception_fp_ieee_div_zero 0
		.amdhsa_exception_fp_ieee_overflow 0
		.amdhsa_exception_fp_ieee_underflow 0
		.amdhsa_exception_fp_ieee_inexact 0
		.amdhsa_exception_int_div_zero 0
	.end_amdhsa_kernel
	.section	.text._ZN2at6native29vectorized_elementwise_kernelILi4EZNS0_21compare_scalar_kernelIfEEvRNS_18TensorIteratorBaseENS0_12_GLOBAL__N_16OpTypeET_EUlfE_St5arrayIPcLm2EEEEviT0_T1_,"axG",@progbits,_ZN2at6native29vectorized_elementwise_kernelILi4EZNS0_21compare_scalar_kernelIfEEvRNS_18TensorIteratorBaseENS0_12_GLOBAL__N_16OpTypeET_EUlfE_St5arrayIPcLm2EEEEviT0_T1_,comdat
.Lfunc_end98:
	.size	_ZN2at6native29vectorized_elementwise_kernelILi4EZNS0_21compare_scalar_kernelIfEEvRNS_18TensorIteratorBaseENS0_12_GLOBAL__N_16OpTypeET_EUlfE_St5arrayIPcLm2EEEEviT0_T1_, .Lfunc_end98-_ZN2at6native29vectorized_elementwise_kernelILi4EZNS0_21compare_scalar_kernelIfEEvRNS_18TensorIteratorBaseENS0_12_GLOBAL__N_16OpTypeET_EUlfE_St5arrayIPcLm2EEEEviT0_T1_
                                        ; -- End function
	.set _ZN2at6native29vectorized_elementwise_kernelILi4EZNS0_21compare_scalar_kernelIfEEvRNS_18TensorIteratorBaseENS0_12_GLOBAL__N_16OpTypeET_EUlfE_St5arrayIPcLm2EEEEviT0_T1_.num_vgpr, 22
	.set _ZN2at6native29vectorized_elementwise_kernelILi4EZNS0_21compare_scalar_kernelIfEEvRNS_18TensorIteratorBaseENS0_12_GLOBAL__N_16OpTypeET_EUlfE_St5arrayIPcLm2EEEEviT0_T1_.num_agpr, 0
	.set _ZN2at6native29vectorized_elementwise_kernelILi4EZNS0_21compare_scalar_kernelIfEEvRNS_18TensorIteratorBaseENS0_12_GLOBAL__N_16OpTypeET_EUlfE_St5arrayIPcLm2EEEEviT0_T1_.numbered_sgpr, 50
	.set _ZN2at6native29vectorized_elementwise_kernelILi4EZNS0_21compare_scalar_kernelIfEEvRNS_18TensorIteratorBaseENS0_12_GLOBAL__N_16OpTypeET_EUlfE_St5arrayIPcLm2EEEEviT0_T1_.num_named_barrier, 0
	.set _ZN2at6native29vectorized_elementwise_kernelILi4EZNS0_21compare_scalar_kernelIfEEvRNS_18TensorIteratorBaseENS0_12_GLOBAL__N_16OpTypeET_EUlfE_St5arrayIPcLm2EEEEviT0_T1_.private_seg_size, 0
	.set _ZN2at6native29vectorized_elementwise_kernelILi4EZNS0_21compare_scalar_kernelIfEEvRNS_18TensorIteratorBaseENS0_12_GLOBAL__N_16OpTypeET_EUlfE_St5arrayIPcLm2EEEEviT0_T1_.uses_vcc, 1
	.set _ZN2at6native29vectorized_elementwise_kernelILi4EZNS0_21compare_scalar_kernelIfEEvRNS_18TensorIteratorBaseENS0_12_GLOBAL__N_16OpTypeET_EUlfE_St5arrayIPcLm2EEEEviT0_T1_.uses_flat_scratch, 0
	.set _ZN2at6native29vectorized_elementwise_kernelILi4EZNS0_21compare_scalar_kernelIfEEvRNS_18TensorIteratorBaseENS0_12_GLOBAL__N_16OpTypeET_EUlfE_St5arrayIPcLm2EEEEviT0_T1_.has_dyn_sized_stack, 0
	.set _ZN2at6native29vectorized_elementwise_kernelILi4EZNS0_21compare_scalar_kernelIfEEvRNS_18TensorIteratorBaseENS0_12_GLOBAL__N_16OpTypeET_EUlfE_St5arrayIPcLm2EEEEviT0_T1_.has_recursion, 0
	.set _ZN2at6native29vectorized_elementwise_kernelILi4EZNS0_21compare_scalar_kernelIfEEvRNS_18TensorIteratorBaseENS0_12_GLOBAL__N_16OpTypeET_EUlfE_St5arrayIPcLm2EEEEviT0_T1_.has_indirect_call, 0
	.section	.AMDGPU.csdata,"",@progbits
; Kernel info:
; codeLenInByte = 8260
; TotalNumSgprs: 54
; NumVgprs: 22
; ScratchSize: 0
; MemoryBound: 0
; FloatMode: 240
; IeeeMode: 1
; LDSByteSize: 0 bytes/workgroup (compile time only)
; SGPRBlocks: 6
; VGPRBlocks: 5
; NumSGPRsForWavesPerEU: 54
; NumVGPRsForWavesPerEU: 22
; Occupancy: 10
; WaveLimiterHint : 1
; COMPUTE_PGM_RSRC2:SCRATCH_EN: 0
; COMPUTE_PGM_RSRC2:USER_SGPR: 6
; COMPUTE_PGM_RSRC2:TRAP_HANDLER: 0
; COMPUTE_PGM_RSRC2:TGID_X_EN: 1
; COMPUTE_PGM_RSRC2:TGID_Y_EN: 0
; COMPUTE_PGM_RSRC2:TGID_Z_EN: 0
; COMPUTE_PGM_RSRC2:TIDIG_COMP_CNT: 0
	.section	.text._ZN2at6native29vectorized_elementwise_kernelILi2EZNS0_21compare_scalar_kernelIfEEvRNS_18TensorIteratorBaseENS0_12_GLOBAL__N_16OpTypeET_EUlfE_St5arrayIPcLm2EEEEviT0_T1_,"axG",@progbits,_ZN2at6native29vectorized_elementwise_kernelILi2EZNS0_21compare_scalar_kernelIfEEvRNS_18TensorIteratorBaseENS0_12_GLOBAL__N_16OpTypeET_EUlfE_St5arrayIPcLm2EEEEviT0_T1_,comdat
	.globl	_ZN2at6native29vectorized_elementwise_kernelILi2EZNS0_21compare_scalar_kernelIfEEvRNS_18TensorIteratorBaseENS0_12_GLOBAL__N_16OpTypeET_EUlfE_St5arrayIPcLm2EEEEviT0_T1_ ; -- Begin function _ZN2at6native29vectorized_elementwise_kernelILi2EZNS0_21compare_scalar_kernelIfEEvRNS_18TensorIteratorBaseENS0_12_GLOBAL__N_16OpTypeET_EUlfE_St5arrayIPcLm2EEEEviT0_T1_
	.p2align	8
	.type	_ZN2at6native29vectorized_elementwise_kernelILi2EZNS0_21compare_scalar_kernelIfEEvRNS_18TensorIteratorBaseENS0_12_GLOBAL__N_16OpTypeET_EUlfE_St5arrayIPcLm2EEEEviT0_T1_,@function
_ZN2at6native29vectorized_elementwise_kernelILi2EZNS0_21compare_scalar_kernelIfEEvRNS_18TensorIteratorBaseENS0_12_GLOBAL__N_16OpTypeET_EUlfE_St5arrayIPcLm2EEEEviT0_T1_: ; @_ZN2at6native29vectorized_elementwise_kernelILi2EZNS0_21compare_scalar_kernelIfEEvRNS_18TensorIteratorBaseENS0_12_GLOBAL__N_16OpTypeET_EUlfE_St5arrayIPcLm2EEEEviT0_T1_
; %bb.0:
	s_load_dwordx8 s[8:15], s[4:5], 0x0
	s_lshl_b32 s2, s6, 12
	s_mov_b64 s[0:1], -1
	s_waitcnt lgkmcnt(0)
	s_sub_i32 s8, s8, s2
	s_cmpk_gt_i32 s8, 0xfff
	s_cbranch_scc0 .LBB99_211
; %bb.1:
	s_ashr_i32 s3, s2, 31
	s_lshl_b64 s[0:1], s[2:3], 2
	s_add_u32 s0, s14, s0
	s_addc_u32 s1, s15, s1
	v_lshlrev_b32_e32 v3, 3, v0
	v_mov_b32_e32 v1, s1
	v_add_co_u32_e32 v4, vcc, s0, v3
	v_addc_co_u32_e32 v5, vcc, 0, v1, vcc
	v_add_co_u32_e32 v1, vcc, 0x1000, v4
	v_addc_co_u32_e32 v2, vcc, 0, v5, vcc
	;; [unrolled: 2-line block ×3, first 2 shown]
	v_add_co_u32_e32 v19, vcc, 0x3000, v4
	global_load_dwordx2 v[15:16], v3, s[0:1]
	global_load_dwordx2 v[13:14], v3, s[0:1] offset:2048
	global_load_dwordx2 v[11:12], v[1:2], off
	global_load_dwordx2 v[9:10], v[1:2], off offset:2048
	v_addc_co_u32_e32 v20, vcc, 0, v5, vcc
	global_load_dwordx2 v[7:8], v[17:18], off
	global_load_dwordx2 v[5:6], v[17:18], off offset:2048
	global_load_dwordx2 v[3:4], v[19:20], off
	global_load_dwordx2 v[1:2], v[19:20], off offset:2048
	s_cmp_lt_i32 s9, 1
	s_mov_b64 s[4:5], 0
	s_cbranch_scc1 .LBB99_5
; %bb.2:
	s_cmp_gt_i32 s9, 1
	s_cbranch_scc0 .LBB99_6
; %bb.3:
	s_cmp_eq_u32 s9, 2
	s_cbranch_scc0 .LBB99_7
; %bb.4:
	s_waitcnt vmcnt(7)
	v_cmp_ge_f32_e64 s[0:1], s10, v15
	s_mov_b64 s[6:7], 0
	s_branch .LBB99_8
.LBB99_5:
                                        ; implicit-def: $sgpr0_sgpr1
	s_mov_b64 s[6:7], 0
	s_cbranch_execnz .LBB99_11
	s_branch .LBB99_12
.LBB99_6:
	s_mov_b64 s[6:7], 0
                                        ; implicit-def: $sgpr0_sgpr1
	s_cbranch_execnz .LBB99_9
	s_branch .LBB99_10
.LBB99_7:
	s_mov_b64 s[6:7], -1
                                        ; implicit-def: $sgpr0_sgpr1
.LBB99_8:
	s_branch .LBB99_10
.LBB99_9:
	s_waitcnt vmcnt(7)
	v_cmp_lt_f32_e32 vcc, s10, v15
	s_andn2_b64 s[0:1], s[0:1], exec
	s_and_b64 s[16:17], vcc, exec
	s_or_b64 s[0:1], s[0:1], s[16:17]
.LBB99_10:
	s_branch .LBB99_12
.LBB99_11:
	s_cmp_lg_u32 s9, 0
	s_mov_b64 s[4:5], -1
	s_cselect_b64 s[6:7], -1, 0
.LBB99_12:
	s_andn2_b64 vcc, exec, s[6:7]
	s_cbranch_vccz .LBB99_18
; %bb.13:
	s_andn2_b64 vcc, exec, s[4:5]
	s_cbranch_vccz .LBB99_19
.LBB99_14:
	s_cmp_lt_i32 s9, 1
	s_mov_b64 s[6:7], 0
	s_cbranch_scc1 .LBB99_20
.LBB99_15:
	s_cmp_gt_i32 s9, 1
	s_cbranch_scc0 .LBB99_21
; %bb.16:
	s_cmp_eq_u32 s9, 2
	s_cbranch_scc0 .LBB99_251
; %bb.17:
	s_waitcnt vmcnt(7)
	v_cmp_ge_f32_e64 s[4:5], s10, v16
	s_mov_b64 s[16:17], 0
	s_branch .LBB99_23
.LBB99_18:
	s_waitcnt vmcnt(7)
	v_cmp_gt_f32_e32 vcc, s10, v15
	s_andn2_b64 s[0:1], s[0:1], exec
	s_and_b64 s[6:7], vcc, exec
	s_or_b64 s[0:1], s[0:1], s[6:7]
	s_cbranch_execnz .LBB99_14
.LBB99_19:
	s_waitcnt vmcnt(7)
	v_cmp_le_f32_e32 vcc, s10, v15
	s_andn2_b64 s[0:1], s[0:1], exec
	s_and_b64 s[4:5], vcc, exec
	s_or_b64 s[0:1], s[0:1], s[4:5]
	s_cmp_lt_i32 s9, 1
	s_mov_b64 s[6:7], 0
	s_cbranch_scc0 .LBB99_15
.LBB99_20:
                                        ; implicit-def: $sgpr4_sgpr5
	s_mov_b64 s[16:17], 0
	s_cbranch_execnz .LBB99_24
	s_branch .LBB99_25
.LBB99_21:
	s_mov_b64 s[16:17], 0
                                        ; implicit-def: $sgpr4_sgpr5
	s_cbranch_execz .LBB99_23
; %bb.22:
	s_waitcnt vmcnt(7)
	v_cmp_lt_f32_e32 vcc, s10, v16
	s_andn2_b64 s[4:5], s[4:5], exec
	s_and_b64 s[18:19], vcc, exec
	s_or_b64 s[4:5], s[4:5], s[18:19]
.LBB99_23:
	s_branch .LBB99_25
.LBB99_24:
	s_cmp_lg_u32 s9, 0
	s_mov_b64 s[6:7], -1
	s_cselect_b64 s[16:17], -1, 0
.LBB99_25:
	s_andn2_b64 vcc, exec, s[16:17]
	s_cbranch_vccz .LBB99_31
; %bb.26:
	s_andn2_b64 vcc, exec, s[6:7]
	s_cbranch_vccz .LBB99_32
.LBB99_27:
	s_cmp_lt_i32 s9, 1
	s_mov_b64 s[16:17], 0
	s_cbranch_scc1 .LBB99_33
.LBB99_28:
	s_cmp_gt_i32 s9, 1
	s_cbranch_scc0 .LBB99_34
; %bb.29:
	s_cmp_eq_u32 s9, 2
	s_cbranch_scc0 .LBB99_252
; %bb.30:
	s_waitcnt vmcnt(6)
	v_cmp_ge_f32_e64 s[6:7], s10, v13
	s_mov_b64 s[18:19], 0
	s_branch .LBB99_36
.LBB99_31:
	s_waitcnt vmcnt(7)
	v_cmp_gt_f32_e32 vcc, s10, v16
	s_andn2_b64 s[4:5], s[4:5], exec
	s_and_b64 s[16:17], vcc, exec
	s_or_b64 s[4:5], s[4:5], s[16:17]
	s_cbranch_execnz .LBB99_27
.LBB99_32:
	s_waitcnt vmcnt(7)
	v_cmp_le_f32_e32 vcc, s10, v16
	s_andn2_b64 s[4:5], s[4:5], exec
	s_and_b64 s[6:7], vcc, exec
	s_or_b64 s[4:5], s[4:5], s[6:7]
	s_cmp_lt_i32 s9, 1
	s_mov_b64 s[16:17], 0
	s_cbranch_scc0 .LBB99_28
.LBB99_33:
                                        ; implicit-def: $sgpr6_sgpr7
	s_mov_b64 s[18:19], 0
	s_cbranch_execnz .LBB99_37
	s_branch .LBB99_38
.LBB99_34:
	s_mov_b64 s[18:19], 0
                                        ; implicit-def: $sgpr6_sgpr7
	s_cbranch_execz .LBB99_36
; %bb.35:
	s_waitcnt vmcnt(6)
	v_cmp_lt_f32_e32 vcc, s10, v13
	s_andn2_b64 s[6:7], s[6:7], exec
	s_and_b64 s[20:21], vcc, exec
	s_or_b64 s[6:7], s[6:7], s[20:21]
.LBB99_36:
	s_branch .LBB99_38
.LBB99_37:
	s_cmp_lg_u32 s9, 0
	s_mov_b64 s[16:17], -1
	s_cselect_b64 s[18:19], -1, 0
.LBB99_38:
	s_andn2_b64 vcc, exec, s[18:19]
	s_cbranch_vccz .LBB99_44
; %bb.39:
	s_andn2_b64 vcc, exec, s[16:17]
	s_cbranch_vccz .LBB99_45
.LBB99_40:
	s_cmp_lt_i32 s9, 1
	s_mov_b64 s[18:19], 0
	s_cbranch_scc1 .LBB99_46
.LBB99_41:
	s_cmp_gt_i32 s9, 1
	s_cbranch_scc0 .LBB99_47
; %bb.42:
	s_cmp_eq_u32 s9, 2
	s_cbranch_scc0 .LBB99_253
; %bb.43:
	s_waitcnt vmcnt(6)
	v_cmp_ge_f32_e64 s[16:17], s10, v14
	s_mov_b64 s[20:21], 0
	s_branch .LBB99_49
.LBB99_44:
	s_waitcnt vmcnt(6)
	v_cmp_gt_f32_e32 vcc, s10, v13
	s_andn2_b64 s[6:7], s[6:7], exec
	s_and_b64 s[18:19], vcc, exec
	s_or_b64 s[6:7], s[6:7], s[18:19]
	s_cbranch_execnz .LBB99_40
.LBB99_45:
	s_waitcnt vmcnt(6)
	v_cmp_le_f32_e32 vcc, s10, v13
	s_andn2_b64 s[6:7], s[6:7], exec
	s_and_b64 s[16:17], vcc, exec
	s_or_b64 s[6:7], s[6:7], s[16:17]
	s_cmp_lt_i32 s9, 1
	s_mov_b64 s[18:19], 0
	s_cbranch_scc0 .LBB99_41
.LBB99_46:
                                        ; implicit-def: $sgpr16_sgpr17
	s_mov_b64 s[20:21], 0
	s_cbranch_execnz .LBB99_50
	s_branch .LBB99_51
.LBB99_47:
	s_mov_b64 s[20:21], 0
                                        ; implicit-def: $sgpr16_sgpr17
	s_cbranch_execz .LBB99_49
; %bb.48:
	s_waitcnt vmcnt(6)
	v_cmp_lt_f32_e32 vcc, s10, v14
	s_andn2_b64 s[16:17], s[16:17], exec
	s_and_b64 s[22:23], vcc, exec
	s_or_b64 s[16:17], s[16:17], s[22:23]
.LBB99_49:
	s_branch .LBB99_51
.LBB99_50:
	s_cmp_lg_u32 s9, 0
	s_mov_b64 s[18:19], -1
	s_cselect_b64 s[20:21], -1, 0
.LBB99_51:
	s_andn2_b64 vcc, exec, s[20:21]
	s_cbranch_vccz .LBB99_57
; %bb.52:
	s_andn2_b64 vcc, exec, s[18:19]
	s_cbranch_vccz .LBB99_58
.LBB99_53:
	s_cmp_lt_i32 s9, 1
	s_mov_b64 s[20:21], 0
	s_cbranch_scc1 .LBB99_59
.LBB99_54:
	s_cmp_gt_i32 s9, 1
	s_cbranch_scc0 .LBB99_60
; %bb.55:
	s_cmp_eq_u32 s9, 2
	s_cbranch_scc0 .LBB99_254
; %bb.56:
	s_waitcnt vmcnt(5)
	v_cmp_ge_f32_e64 s[18:19], s10, v11
	s_mov_b64 s[22:23], 0
	s_branch .LBB99_62
.LBB99_57:
	s_waitcnt vmcnt(6)
	v_cmp_gt_f32_e32 vcc, s10, v14
	s_andn2_b64 s[16:17], s[16:17], exec
	s_and_b64 s[20:21], vcc, exec
	s_or_b64 s[16:17], s[16:17], s[20:21]
	s_cbranch_execnz .LBB99_53
.LBB99_58:
	s_waitcnt vmcnt(6)
	v_cmp_le_f32_e32 vcc, s10, v14
	s_andn2_b64 s[16:17], s[16:17], exec
	s_and_b64 s[18:19], vcc, exec
	s_or_b64 s[16:17], s[16:17], s[18:19]
	s_cmp_lt_i32 s9, 1
	s_mov_b64 s[20:21], 0
	s_cbranch_scc0 .LBB99_54
.LBB99_59:
                                        ; implicit-def: $sgpr18_sgpr19
	s_mov_b64 s[22:23], 0
	s_cbranch_execnz .LBB99_63
	s_branch .LBB99_64
.LBB99_60:
	s_mov_b64 s[22:23], 0
                                        ; implicit-def: $sgpr18_sgpr19
	s_cbranch_execz .LBB99_62
; %bb.61:
	s_waitcnt vmcnt(5)
	v_cmp_lt_f32_e32 vcc, s10, v11
	s_andn2_b64 s[18:19], s[18:19], exec
	s_and_b64 s[24:25], vcc, exec
	s_or_b64 s[18:19], s[18:19], s[24:25]
.LBB99_62:
	s_branch .LBB99_64
.LBB99_63:
	s_cmp_lg_u32 s9, 0
	s_mov_b64 s[20:21], -1
	s_cselect_b64 s[22:23], -1, 0
.LBB99_64:
	s_andn2_b64 vcc, exec, s[22:23]
	s_cbranch_vccz .LBB99_70
; %bb.65:
	s_andn2_b64 vcc, exec, s[20:21]
	s_cbranch_vccz .LBB99_71
.LBB99_66:
	s_cmp_lt_i32 s9, 1
	s_mov_b64 s[22:23], 0
	s_cbranch_scc1 .LBB99_72
.LBB99_67:
	s_cmp_gt_i32 s9, 1
	s_cbranch_scc0 .LBB99_73
; %bb.68:
	s_cmp_eq_u32 s9, 2
	s_cbranch_scc0 .LBB99_255
; %bb.69:
	s_waitcnt vmcnt(5)
	v_cmp_ge_f32_e64 s[20:21], s10, v12
	s_mov_b64 s[24:25], 0
	s_branch .LBB99_75
.LBB99_70:
	s_waitcnt vmcnt(5)
	v_cmp_gt_f32_e32 vcc, s10, v11
	s_andn2_b64 s[18:19], s[18:19], exec
	s_and_b64 s[22:23], vcc, exec
	s_or_b64 s[18:19], s[18:19], s[22:23]
	s_cbranch_execnz .LBB99_66
.LBB99_71:
	s_waitcnt vmcnt(5)
	v_cmp_le_f32_e32 vcc, s10, v11
	s_andn2_b64 s[18:19], s[18:19], exec
	s_and_b64 s[20:21], vcc, exec
	s_or_b64 s[18:19], s[18:19], s[20:21]
	s_cmp_lt_i32 s9, 1
	s_mov_b64 s[22:23], 0
	s_cbranch_scc0 .LBB99_67
.LBB99_72:
                                        ; implicit-def: $sgpr20_sgpr21
	s_mov_b64 s[24:25], 0
	s_cbranch_execnz .LBB99_76
	s_branch .LBB99_77
.LBB99_73:
	s_mov_b64 s[24:25], 0
                                        ; implicit-def: $sgpr20_sgpr21
	s_cbranch_execz .LBB99_75
; %bb.74:
	s_waitcnt vmcnt(5)
	v_cmp_lt_f32_e32 vcc, s10, v12
	s_andn2_b64 s[20:21], s[20:21], exec
	s_and_b64 s[26:27], vcc, exec
	s_or_b64 s[20:21], s[20:21], s[26:27]
.LBB99_75:
	s_branch .LBB99_77
.LBB99_76:
	s_cmp_lg_u32 s9, 0
	s_mov_b64 s[22:23], -1
	s_cselect_b64 s[24:25], -1, 0
.LBB99_77:
	s_andn2_b64 vcc, exec, s[24:25]
	s_cbranch_vccz .LBB99_83
; %bb.78:
	s_andn2_b64 vcc, exec, s[22:23]
	s_cbranch_vccz .LBB99_84
.LBB99_79:
	s_cmp_lt_i32 s9, 1
	s_mov_b64 s[24:25], 0
	s_cbranch_scc1 .LBB99_85
.LBB99_80:
	s_cmp_gt_i32 s9, 1
	s_cbranch_scc0 .LBB99_86
; %bb.81:
	s_cmp_eq_u32 s9, 2
	s_cbranch_scc0 .LBB99_256
; %bb.82:
	s_waitcnt vmcnt(4)
	v_cmp_ge_f32_e64 s[22:23], s10, v9
	s_mov_b64 s[26:27], 0
	s_branch .LBB99_88
.LBB99_83:
	s_waitcnt vmcnt(5)
	v_cmp_gt_f32_e32 vcc, s10, v12
	s_andn2_b64 s[20:21], s[20:21], exec
	s_and_b64 s[24:25], vcc, exec
	s_or_b64 s[20:21], s[20:21], s[24:25]
	s_cbranch_execnz .LBB99_79
.LBB99_84:
	s_waitcnt vmcnt(5)
	v_cmp_le_f32_e32 vcc, s10, v12
	s_andn2_b64 s[20:21], s[20:21], exec
	s_and_b64 s[22:23], vcc, exec
	s_or_b64 s[20:21], s[20:21], s[22:23]
	s_cmp_lt_i32 s9, 1
	s_mov_b64 s[24:25], 0
	s_cbranch_scc0 .LBB99_80
.LBB99_85:
                                        ; implicit-def: $sgpr22_sgpr23
	s_mov_b64 s[26:27], 0
	s_cbranch_execnz .LBB99_89
	s_branch .LBB99_90
.LBB99_86:
	s_mov_b64 s[26:27], 0
                                        ; implicit-def: $sgpr22_sgpr23
	s_cbranch_execz .LBB99_88
; %bb.87:
	s_waitcnt vmcnt(4)
	v_cmp_lt_f32_e32 vcc, s10, v9
	s_andn2_b64 s[22:23], s[22:23], exec
	s_and_b64 s[28:29], vcc, exec
	s_or_b64 s[22:23], s[22:23], s[28:29]
.LBB99_88:
	s_branch .LBB99_90
.LBB99_89:
	s_cmp_lg_u32 s9, 0
	s_mov_b64 s[24:25], -1
	s_cselect_b64 s[26:27], -1, 0
.LBB99_90:
	s_andn2_b64 vcc, exec, s[26:27]
	s_cbranch_vccz .LBB99_96
; %bb.91:
	s_andn2_b64 vcc, exec, s[24:25]
	s_cbranch_vccz .LBB99_97
.LBB99_92:
	s_cmp_lt_i32 s9, 1
	s_mov_b64 s[26:27], 0
	s_cbranch_scc1 .LBB99_98
.LBB99_93:
	s_cmp_gt_i32 s9, 1
	s_cbranch_scc0 .LBB99_99
; %bb.94:
	s_cmp_eq_u32 s9, 2
	s_cbranch_scc0 .LBB99_257
; %bb.95:
	s_waitcnt vmcnt(4)
	v_cmp_ge_f32_e64 s[24:25], s10, v10
	s_mov_b64 s[28:29], 0
	s_branch .LBB99_101
.LBB99_96:
	s_waitcnt vmcnt(4)
	v_cmp_gt_f32_e32 vcc, s10, v9
	s_andn2_b64 s[22:23], s[22:23], exec
	s_and_b64 s[26:27], vcc, exec
	s_or_b64 s[22:23], s[22:23], s[26:27]
	s_cbranch_execnz .LBB99_92
.LBB99_97:
	s_waitcnt vmcnt(4)
	v_cmp_le_f32_e32 vcc, s10, v9
	s_andn2_b64 s[22:23], s[22:23], exec
	s_and_b64 s[24:25], vcc, exec
	s_or_b64 s[22:23], s[22:23], s[24:25]
	s_cmp_lt_i32 s9, 1
	s_mov_b64 s[26:27], 0
	s_cbranch_scc0 .LBB99_93
.LBB99_98:
                                        ; implicit-def: $sgpr24_sgpr25
	s_mov_b64 s[28:29], 0
	s_cbranch_execnz .LBB99_102
	s_branch .LBB99_103
.LBB99_99:
	s_mov_b64 s[28:29], 0
                                        ; implicit-def: $sgpr24_sgpr25
	s_cbranch_execz .LBB99_101
; %bb.100:
	s_waitcnt vmcnt(4)
	v_cmp_lt_f32_e32 vcc, s10, v10
	s_andn2_b64 s[24:25], s[24:25], exec
	s_and_b64 s[30:31], vcc, exec
	s_or_b64 s[24:25], s[24:25], s[30:31]
.LBB99_101:
	s_branch .LBB99_103
.LBB99_102:
	s_cmp_lg_u32 s9, 0
	s_mov_b64 s[26:27], -1
	s_cselect_b64 s[28:29], -1, 0
.LBB99_103:
	s_andn2_b64 vcc, exec, s[28:29]
	s_cbranch_vccz .LBB99_109
; %bb.104:
	s_andn2_b64 vcc, exec, s[26:27]
	s_cbranch_vccz .LBB99_110
.LBB99_105:
	s_cmp_lt_i32 s9, 1
	s_mov_b64 s[28:29], 0
	s_cbranch_scc1 .LBB99_111
.LBB99_106:
	s_cmp_gt_i32 s9, 1
	s_cbranch_scc0 .LBB99_112
; %bb.107:
	s_cmp_eq_u32 s9, 2
	s_cbranch_scc0 .LBB99_258
; %bb.108:
	s_waitcnt vmcnt(3)
	v_cmp_ge_f32_e64 s[26:27], s10, v7
	s_mov_b64 s[30:31], 0
	s_branch .LBB99_114
.LBB99_109:
	s_waitcnt vmcnt(4)
	v_cmp_gt_f32_e32 vcc, s10, v10
	s_andn2_b64 s[24:25], s[24:25], exec
	s_and_b64 s[28:29], vcc, exec
	s_or_b64 s[24:25], s[24:25], s[28:29]
	s_cbranch_execnz .LBB99_105
.LBB99_110:
	s_waitcnt vmcnt(4)
	v_cmp_le_f32_e32 vcc, s10, v10
	s_andn2_b64 s[24:25], s[24:25], exec
	s_and_b64 s[26:27], vcc, exec
	s_or_b64 s[24:25], s[24:25], s[26:27]
	s_cmp_lt_i32 s9, 1
	s_mov_b64 s[28:29], 0
	s_cbranch_scc0 .LBB99_106
.LBB99_111:
                                        ; implicit-def: $sgpr26_sgpr27
	s_mov_b64 s[30:31], 0
	s_cbranch_execnz .LBB99_115
	s_branch .LBB99_116
.LBB99_112:
	s_mov_b64 s[30:31], 0
                                        ; implicit-def: $sgpr26_sgpr27
	s_cbranch_execz .LBB99_114
; %bb.113:
	s_waitcnt vmcnt(3)
	v_cmp_lt_f32_e32 vcc, s10, v7
	s_andn2_b64 s[26:27], s[26:27], exec
	s_and_b64 s[34:35], vcc, exec
	s_or_b64 s[26:27], s[26:27], s[34:35]
.LBB99_114:
	s_branch .LBB99_116
.LBB99_115:
	s_cmp_lg_u32 s9, 0
	s_mov_b64 s[28:29], -1
	s_cselect_b64 s[30:31], -1, 0
.LBB99_116:
	s_andn2_b64 vcc, exec, s[30:31]
	s_cbranch_vccz .LBB99_122
; %bb.117:
	s_andn2_b64 vcc, exec, s[28:29]
	s_cbranch_vccz .LBB99_123
.LBB99_118:
	s_cmp_lt_i32 s9, 1
	s_mov_b64 s[30:31], 0
	s_cbranch_scc1 .LBB99_124
.LBB99_119:
	s_cmp_gt_i32 s9, 1
	s_cbranch_scc0 .LBB99_125
; %bb.120:
	s_cmp_eq_u32 s9, 2
	s_cbranch_scc0 .LBB99_259
; %bb.121:
	s_waitcnt vmcnt(3)
	v_cmp_ge_f32_e64 s[28:29], s10, v8
	s_mov_b64 s[34:35], 0
	s_branch .LBB99_127
.LBB99_122:
	s_waitcnt vmcnt(3)
	v_cmp_gt_f32_e32 vcc, s10, v7
	s_andn2_b64 s[26:27], s[26:27], exec
	s_and_b64 s[30:31], vcc, exec
	s_or_b64 s[26:27], s[26:27], s[30:31]
	s_cbranch_execnz .LBB99_118
.LBB99_123:
	s_waitcnt vmcnt(3)
	v_cmp_le_f32_e32 vcc, s10, v7
	s_andn2_b64 s[26:27], s[26:27], exec
	s_and_b64 s[28:29], vcc, exec
	s_or_b64 s[26:27], s[26:27], s[28:29]
	s_cmp_lt_i32 s9, 1
	s_mov_b64 s[30:31], 0
	s_cbranch_scc0 .LBB99_119
.LBB99_124:
                                        ; implicit-def: $sgpr28_sgpr29
	s_mov_b64 s[34:35], 0
	s_cbranch_execnz .LBB99_128
	s_branch .LBB99_129
.LBB99_125:
	s_mov_b64 s[34:35], 0
                                        ; implicit-def: $sgpr28_sgpr29
	s_cbranch_execz .LBB99_127
; %bb.126:
	s_waitcnt vmcnt(3)
	v_cmp_lt_f32_e32 vcc, s10, v8
	s_andn2_b64 s[28:29], s[28:29], exec
	s_and_b64 s[36:37], vcc, exec
	s_or_b64 s[28:29], s[28:29], s[36:37]
.LBB99_127:
	s_branch .LBB99_129
.LBB99_128:
	s_cmp_lg_u32 s9, 0
	s_mov_b64 s[30:31], -1
	s_cselect_b64 s[34:35], -1, 0
.LBB99_129:
	s_andn2_b64 vcc, exec, s[34:35]
	s_cbranch_vccz .LBB99_135
; %bb.130:
	s_andn2_b64 vcc, exec, s[30:31]
	s_cbranch_vccz .LBB99_136
.LBB99_131:
	s_cmp_lt_i32 s9, 1
	s_mov_b64 s[34:35], 0
	s_cbranch_scc1 .LBB99_137
.LBB99_132:
	s_cmp_gt_i32 s9, 1
	s_cbranch_scc0 .LBB99_138
; %bb.133:
	s_cmp_eq_u32 s9, 2
	s_cbranch_scc0 .LBB99_260
; %bb.134:
	s_waitcnt vmcnt(2)
	v_cmp_ge_f32_e64 s[30:31], s10, v5
	s_mov_b64 s[36:37], 0
	s_branch .LBB99_140
.LBB99_135:
	s_waitcnt vmcnt(3)
	v_cmp_gt_f32_e32 vcc, s10, v8
	s_andn2_b64 s[28:29], s[28:29], exec
	s_and_b64 s[34:35], vcc, exec
	s_or_b64 s[28:29], s[28:29], s[34:35]
	s_cbranch_execnz .LBB99_131
.LBB99_136:
	s_waitcnt vmcnt(3)
	v_cmp_le_f32_e32 vcc, s10, v8
	s_andn2_b64 s[28:29], s[28:29], exec
	s_and_b64 s[30:31], vcc, exec
	s_or_b64 s[28:29], s[28:29], s[30:31]
	s_cmp_lt_i32 s9, 1
	s_mov_b64 s[34:35], 0
	s_cbranch_scc0 .LBB99_132
.LBB99_137:
                                        ; implicit-def: $sgpr30_sgpr31
	s_mov_b64 s[36:37], 0
	s_cbranch_execnz .LBB99_141
	s_branch .LBB99_142
.LBB99_138:
	s_mov_b64 s[36:37], 0
                                        ; implicit-def: $sgpr30_sgpr31
	s_cbranch_execz .LBB99_140
; %bb.139:
	s_waitcnt vmcnt(2)
	v_cmp_lt_f32_e32 vcc, s10, v5
	s_andn2_b64 s[30:31], s[30:31], exec
	s_and_b64 s[38:39], vcc, exec
	s_or_b64 s[30:31], s[30:31], s[38:39]
.LBB99_140:
	s_branch .LBB99_142
.LBB99_141:
	s_cmp_lg_u32 s9, 0
	s_mov_b64 s[34:35], -1
	s_cselect_b64 s[36:37], -1, 0
.LBB99_142:
	s_andn2_b64 vcc, exec, s[36:37]
	s_cbranch_vccz .LBB99_148
; %bb.143:
	s_andn2_b64 vcc, exec, s[34:35]
	s_cbranch_vccz .LBB99_149
.LBB99_144:
	s_cmp_lt_i32 s9, 1
	s_mov_b64 s[36:37], 0
	s_cbranch_scc1 .LBB99_150
.LBB99_145:
	s_cmp_gt_i32 s9, 1
	s_cbranch_scc0 .LBB99_151
; %bb.146:
	s_cmp_eq_u32 s9, 2
	s_cbranch_scc0 .LBB99_261
; %bb.147:
	s_waitcnt vmcnt(2)
	v_cmp_ge_f32_e64 s[34:35], s10, v6
	s_mov_b64 s[38:39], 0
	s_branch .LBB99_153
.LBB99_148:
	s_waitcnt vmcnt(2)
	v_cmp_gt_f32_e32 vcc, s10, v5
	s_andn2_b64 s[30:31], s[30:31], exec
	s_and_b64 s[36:37], vcc, exec
	s_or_b64 s[30:31], s[30:31], s[36:37]
	s_cbranch_execnz .LBB99_144
.LBB99_149:
	s_waitcnt vmcnt(2)
	v_cmp_le_f32_e32 vcc, s10, v5
	s_andn2_b64 s[30:31], s[30:31], exec
	s_and_b64 s[34:35], vcc, exec
	s_or_b64 s[30:31], s[30:31], s[34:35]
	s_cmp_lt_i32 s9, 1
	s_mov_b64 s[36:37], 0
	s_cbranch_scc0 .LBB99_145
.LBB99_150:
                                        ; implicit-def: $sgpr34_sgpr35
	s_mov_b64 s[38:39], 0
	s_cbranch_execnz .LBB99_154
	s_branch .LBB99_155
.LBB99_151:
	s_mov_b64 s[38:39], 0
                                        ; implicit-def: $sgpr34_sgpr35
	s_cbranch_execz .LBB99_153
; %bb.152:
	s_waitcnt vmcnt(2)
	v_cmp_lt_f32_e32 vcc, s10, v6
	s_andn2_b64 s[34:35], s[34:35], exec
	s_and_b64 s[40:41], vcc, exec
	s_or_b64 s[34:35], s[34:35], s[40:41]
.LBB99_153:
	s_branch .LBB99_155
.LBB99_154:
	s_cmp_lg_u32 s9, 0
	s_mov_b64 s[36:37], -1
	s_cselect_b64 s[38:39], -1, 0
.LBB99_155:
	s_andn2_b64 vcc, exec, s[38:39]
	s_cbranch_vccz .LBB99_161
; %bb.156:
	s_andn2_b64 vcc, exec, s[36:37]
	s_cbranch_vccz .LBB99_162
.LBB99_157:
	s_cmp_lt_i32 s9, 1
	s_mov_b64 s[38:39], 0
	s_cbranch_scc1 .LBB99_163
.LBB99_158:
	s_cmp_gt_i32 s9, 1
	s_cbranch_scc0 .LBB99_164
; %bb.159:
	s_cmp_eq_u32 s9, 2
	s_cbranch_scc0 .LBB99_262
; %bb.160:
	s_waitcnt vmcnt(1)
	v_cmp_ge_f32_e64 s[36:37], s10, v3
	s_mov_b64 s[40:41], 0
	s_branch .LBB99_166
.LBB99_161:
	s_waitcnt vmcnt(2)
	v_cmp_gt_f32_e32 vcc, s10, v6
	s_andn2_b64 s[34:35], s[34:35], exec
	s_and_b64 s[38:39], vcc, exec
	s_or_b64 s[34:35], s[34:35], s[38:39]
	s_cbranch_execnz .LBB99_157
.LBB99_162:
	s_waitcnt vmcnt(2)
	v_cmp_le_f32_e32 vcc, s10, v6
	s_andn2_b64 s[34:35], s[34:35], exec
	s_and_b64 s[36:37], vcc, exec
	s_or_b64 s[34:35], s[34:35], s[36:37]
	s_cmp_lt_i32 s9, 1
	s_mov_b64 s[38:39], 0
	s_cbranch_scc0 .LBB99_158
.LBB99_163:
                                        ; implicit-def: $sgpr36_sgpr37
	s_mov_b64 s[40:41], 0
	s_cbranch_execnz .LBB99_167
	s_branch .LBB99_168
.LBB99_164:
	s_mov_b64 s[40:41], 0
                                        ; implicit-def: $sgpr36_sgpr37
	s_cbranch_execz .LBB99_166
; %bb.165:
	s_waitcnt vmcnt(1)
	v_cmp_lt_f32_e32 vcc, s10, v3
	s_andn2_b64 s[36:37], s[36:37], exec
	s_and_b64 s[42:43], vcc, exec
	s_or_b64 s[36:37], s[36:37], s[42:43]
.LBB99_166:
	s_branch .LBB99_168
.LBB99_167:
	s_cmp_lg_u32 s9, 0
	s_mov_b64 s[38:39], -1
	s_cselect_b64 s[40:41], -1, 0
.LBB99_168:
	s_andn2_b64 vcc, exec, s[40:41]
	s_cbranch_vccz .LBB99_174
; %bb.169:
	s_andn2_b64 vcc, exec, s[38:39]
	s_cbranch_vccz .LBB99_175
.LBB99_170:
	s_cmp_lt_i32 s9, 1
	s_mov_b64 s[40:41], 0
	s_cbranch_scc1 .LBB99_176
.LBB99_171:
	s_cmp_gt_i32 s9, 1
	s_cbranch_scc0 .LBB99_177
; %bb.172:
	s_cmp_eq_u32 s9, 2
	s_cbranch_scc0 .LBB99_263
; %bb.173:
	s_waitcnt vmcnt(1)
	v_cmp_ge_f32_e64 s[38:39], s10, v4
	s_mov_b64 s[42:43], 0
	s_branch .LBB99_179
.LBB99_174:
	s_waitcnt vmcnt(1)
	v_cmp_gt_f32_e32 vcc, s10, v3
	s_andn2_b64 s[36:37], s[36:37], exec
	s_and_b64 s[40:41], vcc, exec
	s_or_b64 s[36:37], s[36:37], s[40:41]
	s_cbranch_execnz .LBB99_170
.LBB99_175:
	s_waitcnt vmcnt(1)
	v_cmp_le_f32_e32 vcc, s10, v3
	s_andn2_b64 s[36:37], s[36:37], exec
	s_and_b64 s[38:39], vcc, exec
	s_or_b64 s[36:37], s[36:37], s[38:39]
	s_cmp_lt_i32 s9, 1
	s_mov_b64 s[40:41], 0
	s_cbranch_scc0 .LBB99_171
.LBB99_176:
                                        ; implicit-def: $sgpr38_sgpr39
	s_mov_b64 s[42:43], 0
	s_cbranch_execnz .LBB99_180
	s_branch .LBB99_181
.LBB99_177:
	s_mov_b64 s[42:43], 0
                                        ; implicit-def: $sgpr38_sgpr39
	s_cbranch_execz .LBB99_179
; %bb.178:
	s_waitcnt vmcnt(1)
	v_cmp_lt_f32_e32 vcc, s10, v4
	s_andn2_b64 s[38:39], s[38:39], exec
	s_and_b64 s[44:45], vcc, exec
	s_or_b64 s[38:39], s[38:39], s[44:45]
.LBB99_179:
	s_branch .LBB99_181
.LBB99_180:
	s_cmp_lg_u32 s9, 0
	s_mov_b64 s[40:41], -1
	s_cselect_b64 s[42:43], -1, 0
.LBB99_181:
	s_andn2_b64 vcc, exec, s[42:43]
	s_cbranch_vccz .LBB99_187
; %bb.182:
	s_andn2_b64 vcc, exec, s[40:41]
	s_cbranch_vccz .LBB99_188
.LBB99_183:
	s_cmp_lt_i32 s9, 1
	s_mov_b64 s[42:43], 0
	s_cbranch_scc1 .LBB99_189
.LBB99_184:
	s_cmp_gt_i32 s9, 1
	s_cbranch_scc0 .LBB99_190
; %bb.185:
	s_cmp_eq_u32 s9, 2
	s_cbranch_scc0 .LBB99_264
; %bb.186:
	s_waitcnt vmcnt(0)
	v_cmp_ge_f32_e64 s[40:41], s10, v1
	s_mov_b64 s[44:45], 0
	s_branch .LBB99_192
.LBB99_187:
	s_waitcnt vmcnt(1)
	v_cmp_gt_f32_e32 vcc, s10, v4
	s_andn2_b64 s[38:39], s[38:39], exec
	s_and_b64 s[42:43], vcc, exec
	s_or_b64 s[38:39], s[38:39], s[42:43]
	s_cbranch_execnz .LBB99_183
.LBB99_188:
	s_waitcnt vmcnt(1)
	v_cmp_le_f32_e32 vcc, s10, v4
	s_andn2_b64 s[38:39], s[38:39], exec
	s_and_b64 s[40:41], vcc, exec
	s_or_b64 s[38:39], s[38:39], s[40:41]
	s_cmp_lt_i32 s9, 1
	s_mov_b64 s[42:43], 0
	s_cbranch_scc0 .LBB99_184
.LBB99_189:
                                        ; implicit-def: $sgpr40_sgpr41
	s_mov_b64 s[44:45], 0
	s_cbranch_execnz .LBB99_193
	s_branch .LBB99_194
.LBB99_190:
	s_mov_b64 s[44:45], 0
                                        ; implicit-def: $sgpr40_sgpr41
	s_cbranch_execz .LBB99_192
; %bb.191:
	s_waitcnt vmcnt(0)
	v_cmp_lt_f32_e32 vcc, s10, v1
	s_andn2_b64 s[40:41], s[40:41], exec
	s_and_b64 s[46:47], vcc, exec
	s_or_b64 s[40:41], s[40:41], s[46:47]
.LBB99_192:
	s_branch .LBB99_194
.LBB99_193:
	s_cmp_lg_u32 s9, 0
	s_mov_b64 s[42:43], -1
	s_cselect_b64 s[44:45], -1, 0
.LBB99_194:
	s_andn2_b64 vcc, exec, s[44:45]
	s_cbranch_vccz .LBB99_200
; %bb.195:
	s_andn2_b64 vcc, exec, s[42:43]
	s_cbranch_vccz .LBB99_201
.LBB99_196:
	s_cmp_lt_i32 s9, 1
	s_mov_b64 s[44:45], 0
	s_cbranch_scc1 .LBB99_202
.LBB99_197:
	s_cmp_gt_i32 s9, 1
	s_cbranch_scc0 .LBB99_203
; %bb.198:
	s_cmp_eq_u32 s9, 2
	s_cbranch_scc0 .LBB99_265
; %bb.199:
	s_waitcnt vmcnt(0)
	v_cmp_ge_f32_e64 s[42:43], s10, v2
	s_mov_b64 s[46:47], 0
	s_branch .LBB99_205
.LBB99_200:
	s_waitcnt vmcnt(0)
	v_cmp_gt_f32_e32 vcc, s10, v1
	s_andn2_b64 s[40:41], s[40:41], exec
	s_and_b64 s[44:45], vcc, exec
	s_or_b64 s[40:41], s[40:41], s[44:45]
	s_cbranch_execnz .LBB99_196
.LBB99_201:
	s_waitcnt vmcnt(0)
	v_cmp_le_f32_e32 vcc, s10, v1
	s_andn2_b64 s[40:41], s[40:41], exec
	s_and_b64 s[42:43], vcc, exec
	s_or_b64 s[40:41], s[40:41], s[42:43]
	s_cmp_lt_i32 s9, 1
	s_mov_b64 s[44:45], 0
	s_cbranch_scc0 .LBB99_197
.LBB99_202:
                                        ; implicit-def: $sgpr42_sgpr43
	s_mov_b64 s[46:47], 0
	s_cbranch_execnz .LBB99_206
	s_branch .LBB99_207
.LBB99_203:
	s_mov_b64 s[46:47], 0
                                        ; implicit-def: $sgpr42_sgpr43
	s_cbranch_execz .LBB99_205
; %bb.204:
	s_waitcnt vmcnt(0)
	v_cmp_lt_f32_e32 vcc, s10, v2
	s_andn2_b64 s[42:43], s[42:43], exec
	s_and_b64 s[48:49], vcc, exec
	s_or_b64 s[42:43], s[42:43], s[48:49]
.LBB99_205:
	s_branch .LBB99_207
.LBB99_206:
	s_cmp_lg_u32 s9, 0
	s_mov_b64 s[44:45], -1
	s_cselect_b64 s[46:47], -1, 0
.LBB99_207:
	s_andn2_b64 vcc, exec, s[46:47]
	s_cbranch_vccz .LBB99_243
; %bb.208:
	s_andn2_b64 vcc, exec, s[44:45]
	s_cbranch_vccnz .LBB99_210
.LBB99_209:
	s_waitcnt vmcnt(0)
	v_cmp_le_f32_e32 vcc, s10, v2
	s_andn2_b64 s[42:43], s[42:43], exec
	s_and_b64 s[44:45], vcc, exec
	s_or_b64 s[42:43], s[42:43], s[44:45]
.LBB99_210:
	s_waitcnt vmcnt(1)
	v_mov_b32_e32 v3, 0x100
	s_waitcnt vmcnt(0)
	v_cndmask_b32_e64 v2, 0, 1, s[36:37]
	v_cndmask_b32_e64 v4, 0, v3, s[38:39]
	v_or_b32_e32 v2, v4, v2
	v_cndmask_b32_e64 v4, 0, 1, s[30:31]
	v_cndmask_b32_e64 v5, 0, v3, s[34:35]
	v_or_b32_e32 v4, v5, v4
	;; [unrolled: 3-line block ×5, first 2 shown]
	v_cndmask_b32_e64 v8, 0, 1, s[6:7]
	v_cndmask_b32_e64 v9, 0, v3, s[16:17]
	;; [unrolled: 1-line block ×3, first 2 shown]
	v_or_b32_e32 v8, v9, v8
	v_cndmask_b32_e64 v9, 0, 1, s[0:1]
	v_cndmask_b32_e64 v10, 0, v3, s[4:5]
	;; [unrolled: 1-line block ×3, first 2 shown]
	s_add_u32 s0, s12, s2
	v_or_b32_e32 v9, v10, v9
	v_or_b32_e32 v1, v3, v1
	s_addc_u32 s1, s13, s3
	v_lshlrev_b32_e32 v3, 1, v0
	global_store_short v3, v9, s[0:1]
	global_store_short v3, v8, s[0:1] offset:512
	global_store_short v3, v7, s[0:1] offset:1024
	;; [unrolled: 1-line block ×7, first 2 shown]
	s_mov_b64 s[0:1], 0
.LBB99_211:
	s_and_b64 vcc, exec, s[0:1]
	s_cbranch_vccz .LBB99_519
; %bb.212:
	v_cmp_gt_i32_e64 s[0:1], s8, v0
	v_mov_b32_e32 v9, 0
	v_or_b32_e32 v1, s2, v0
	v_mov_b32_e32 v5, 0
	v_mov_b32_e32 v3, v0
	s_and_saveexec_b64 s[4:5], s[0:1]
	s_cbranch_execz .LBB99_214
; %bb.213:
	v_mov_b32_e32 v2, 0
	v_lshlrev_b64 v[2:3], 2, v[1:2]
	v_mov_b32_e32 v4, s15
	v_add_co_u32_e32 v2, vcc, s14, v2
	v_addc_co_u32_e32 v3, vcc, v4, v3, vcc
	global_load_dword v5, v[2:3], off
	v_or_b32_e32 v3, 0x100, v0
.LBB99_214:
	s_or_b64 exec, exec, s[4:5]
	v_cmp_gt_i32_e32 vcc, s8, v3
	s_and_saveexec_b64 s[4:5], vcc
	s_cbranch_execz .LBB99_216
; %bb.215:
	v_add_u32_e32 v6, s2, v3
	v_mov_b32_e32 v7, 0
	v_lshlrev_b64 v[6:7], 2, v[6:7]
	v_mov_b32_e32 v2, s15
	v_add_co_u32_e32 v6, vcc, s14, v6
	v_addc_co_u32_e32 v7, vcc, v2, v7, vcc
	global_load_dword v9, v[6:7], off
	v_add_u32_e32 v3, 0x100, v3
.LBB99_216:
	s_or_b64 exec, exec, s[4:5]
	v_cmp_gt_i32_e32 vcc, s8, v3
	v_mov_b32_e32 v13, 0
	v_mov_b32_e32 v11, 0
	s_and_saveexec_b64 s[4:5], vcc
	s_cbranch_execz .LBB99_218
; %bb.217:
	v_add_u32_e32 v6, s2, v3
	v_mov_b32_e32 v7, 0
	v_lshlrev_b64 v[6:7], 2, v[6:7]
	v_mov_b32_e32 v2, s15
	v_add_co_u32_e32 v6, vcc, s14, v6
	v_addc_co_u32_e32 v7, vcc, v2, v7, vcc
	global_load_dword v11, v[6:7], off
	v_add_u32_e32 v3, 0x100, v3
.LBB99_218:
	s_or_b64 exec, exec, s[4:5]
	v_cmp_gt_i32_e32 vcc, s8, v3
	s_and_saveexec_b64 s[4:5], vcc
	s_cbranch_execz .LBB99_220
; %bb.219:
	v_add_u32_e32 v6, s2, v3
	v_mov_b32_e32 v7, 0
	v_lshlrev_b64 v[6:7], 2, v[6:7]
	v_mov_b32_e32 v2, s15
	v_add_co_u32_e32 v6, vcc, s14, v6
	v_addc_co_u32_e32 v7, vcc, v2, v7, vcc
	global_load_dword v13, v[6:7], off
	v_add_u32_e32 v3, 0x100, v3
.LBB99_220:
	s_or_b64 exec, exec, s[4:5]
	v_cmp_gt_i32_e32 vcc, s8, v3
	v_mov_b32_e32 v18, 0
	v_mov_b32_e32 v15, 0
	s_and_saveexec_b64 s[4:5], vcc
	s_cbranch_execz .LBB99_222
; %bb.221:
	v_add_u32_e32 v6, s2, v3
	v_mov_b32_e32 v7, 0
	v_lshlrev_b64 v[6:7], 2, v[6:7]
	v_mov_b32_e32 v2, s15
	v_add_co_u32_e32 v6, vcc, s14, v6
	v_addc_co_u32_e32 v7, vcc, v2, v7, vcc
	global_load_dword v15, v[6:7], off
	v_add_u32_e32 v3, 0x100, v3
.LBB99_222:
	;; [unrolled: 30-line block ×6, first 2 shown]
	s_or_b64 exec, exec, s[4:5]
	v_cmp_gt_i32_e32 vcc, s8, v3
	s_and_saveexec_b64 s[4:5], vcc
	s_cbranch_execz .LBB99_240
; %bb.239:
	v_add_u32_e32 v6, s2, v3
	v_mov_b32_e32 v7, 0
	v_lshlrev_b64 v[6:7], 2, v[6:7]
	v_mov_b32_e32 v2, s15
	v_add_co_u32_e32 v6, vcc, s14, v6
	v_addc_co_u32_e32 v7, vcc, v2, v7, vcc
	global_load_dword v6, v[6:7], off
	v_add_u32_e32 v3, 0x100, v3
.LBB99_240:
	s_or_b64 exec, exec, s[4:5]
	v_cmp_gt_i32_e32 vcc, s8, v3
	v_mov_b32_e32 v2, 0
	v_mov_b32_e32 v4, 0
	s_and_saveexec_b64 s[4:5], vcc
	s_cbranch_execnz .LBB99_244
; %bb.241:
	s_or_b64 exec, exec, s[4:5]
	v_cmp_gt_i32_e32 vcc, s8, v3
	s_and_saveexec_b64 s[4:5], vcc
	s_cbranch_execnz .LBB99_245
.LBB99_242:
	s_or_b64 exec, exec, s[4:5]
                                        ; implicit-def: $vgpr3
	s_and_saveexec_b64 s[4:5], s[0:1]
	s_cbranch_execnz .LBB99_246
	s_branch .LBB99_276
.LBB99_243:
	s_waitcnt vmcnt(0)
	v_cmp_gt_f32_e32 vcc, s10, v2
	s_andn2_b64 s[42:43], s[42:43], exec
	s_and_b64 s[46:47], vcc, exec
	s_or_b64 s[42:43], s[42:43], s[46:47]
	s_cbranch_execz .LBB99_209
	s_branch .LBB99_210
.LBB99_244:
	v_add_u32_e32 v20, s2, v3
	v_mov_b32_e32 v21, 0
	v_lshlrev_b64 v[20:21], 2, v[20:21]
	v_mov_b32_e32 v4, s15
	v_add_co_u32_e32 v20, vcc, s14, v20
	v_addc_co_u32_e32 v21, vcc, v4, v21, vcc
	global_load_dword v4, v[20:21], off
	v_add_u32_e32 v3, 0x100, v3
	s_or_b64 exec, exec, s[4:5]
	v_cmp_gt_i32_e32 vcc, s8, v3
	s_and_saveexec_b64 s[4:5], vcc
	s_cbranch_execz .LBB99_242
.LBB99_245:
	v_add_u32_e32 v2, s2, v3
	v_mov_b32_e32 v3, 0
	v_lshlrev_b64 v[2:3], 2, v[2:3]
	v_mov_b32_e32 v7, s15
	v_add_co_u32_e32 v2, vcc, s14, v2
	v_addc_co_u32_e32 v3, vcc, v7, v3, vcc
	global_load_dword v2, v[2:3], off
	s_or_b64 exec, exec, s[4:5]
                                        ; implicit-def: $vgpr3
	s_and_saveexec_b64 s[4:5], s[0:1]
	s_cbranch_execz .LBB99_276
.LBB99_246:
	s_cmp_lt_i32 s9, 1
	s_mov_b64 s[6:7], 0
	s_cbranch_scc1 .LBB99_250
; %bb.247:
	s_cmp_gt_i32 s9, 1
	s_cbranch_scc0 .LBB99_266
; %bb.248:
	s_cmp_eq_u32 s9, 2
	s_cbranch_scc0 .LBB99_267
; %bb.249:
	s_waitcnt vmcnt(0)
	v_cmp_ge_f32_e64 s[14:15], s10, v5
	s_mov_b64 s[16:17], 0
	s_branch .LBB99_268
.LBB99_250:
                                        ; implicit-def: $sgpr14_sgpr15
	s_mov_b64 s[16:17], 0
	s_cbranch_execnz .LBB99_271
	s_branch .LBB99_272
.LBB99_251:
	s_mov_b64 s[16:17], -1
                                        ; implicit-def: $sgpr4_sgpr5
	s_branch .LBB99_23
.LBB99_252:
	s_mov_b64 s[18:19], -1
                                        ; implicit-def: $sgpr6_sgpr7
	s_branch .LBB99_36
.LBB99_253:
	s_mov_b64 s[20:21], -1
                                        ; implicit-def: $sgpr16_sgpr17
	s_branch .LBB99_49
.LBB99_254:
	s_mov_b64 s[22:23], -1
                                        ; implicit-def: $sgpr18_sgpr19
	s_branch .LBB99_62
.LBB99_255:
	s_mov_b64 s[24:25], -1
                                        ; implicit-def: $sgpr20_sgpr21
	s_branch .LBB99_75
.LBB99_256:
	s_mov_b64 s[26:27], -1
                                        ; implicit-def: $sgpr22_sgpr23
	s_branch .LBB99_88
.LBB99_257:
	s_mov_b64 s[28:29], -1
                                        ; implicit-def: $sgpr24_sgpr25
	s_branch .LBB99_101
.LBB99_258:
	s_mov_b64 s[30:31], -1
                                        ; implicit-def: $sgpr26_sgpr27
	s_branch .LBB99_114
.LBB99_259:
	s_mov_b64 s[34:35], -1
                                        ; implicit-def: $sgpr28_sgpr29
	s_branch .LBB99_127
.LBB99_260:
	s_mov_b64 s[36:37], -1
                                        ; implicit-def: $sgpr30_sgpr31
	s_branch .LBB99_140
.LBB99_261:
	s_mov_b64 s[38:39], -1
                                        ; implicit-def: $sgpr34_sgpr35
	s_branch .LBB99_153
.LBB99_262:
	s_mov_b64 s[40:41], -1
                                        ; implicit-def: $sgpr36_sgpr37
	s_branch .LBB99_166
.LBB99_263:
	s_mov_b64 s[42:43], -1
                                        ; implicit-def: $sgpr38_sgpr39
	s_branch .LBB99_179
.LBB99_264:
	s_mov_b64 s[44:45], -1
                                        ; implicit-def: $sgpr40_sgpr41
	s_branch .LBB99_192
.LBB99_265:
	s_mov_b64 s[46:47], -1
                                        ; implicit-def: $sgpr42_sgpr43
	s_branch .LBB99_205
.LBB99_266:
	s_mov_b64 s[16:17], 0
                                        ; implicit-def: $sgpr14_sgpr15
	s_cbranch_execnz .LBB99_269
	s_branch .LBB99_270
.LBB99_267:
	s_mov_b64 s[16:17], -1
                                        ; implicit-def: $sgpr14_sgpr15
.LBB99_268:
	s_branch .LBB99_270
.LBB99_269:
	s_waitcnt vmcnt(0)
	v_cmp_lt_f32_e32 vcc, s10, v5
	s_andn2_b64 s[14:15], s[14:15], exec
	s_and_b64 s[18:19], vcc, exec
	s_or_b64 s[14:15], s[14:15], s[18:19]
.LBB99_270:
	s_branch .LBB99_272
.LBB99_271:
	s_cmp_lg_u32 s9, 0
	s_mov_b64 s[6:7], -1
	s_cselect_b64 s[16:17], -1, 0
.LBB99_272:
	s_andn2_b64 vcc, exec, s[16:17]
	s_cbranch_vccz .LBB99_281
; %bb.273:
	s_andn2_b64 vcc, exec, s[6:7]
	s_cbranch_vccnz .LBB99_275
.LBB99_274:
	s_waitcnt vmcnt(0)
	v_cmp_le_f32_e32 vcc, s10, v5
	s_andn2_b64 s[6:7], s[14:15], exec
	s_and_b64 s[14:15], vcc, exec
	s_or_b64 s[14:15], s[6:7], s[14:15]
.LBB99_275:
	v_cndmask_b32_e64 v3, 0, 1, s[14:15]
.LBB99_276:
	s_or_b64 exec, exec, s[4:5]
	s_waitcnt vmcnt(0)
	v_or_b32_e32 v5, 0x100, v0
	v_cmp_gt_i32_e32 vcc, s8, v5
                                        ; implicit-def: $vgpr7
	s_and_saveexec_b64 s[4:5], vcc
	s_cbranch_execz .LBB99_291
; %bb.277:
	s_cmp_lt_i32 s9, 1
	s_mov_b64 s[6:7], 0
	s_cbranch_scc1 .LBB99_282
; %bb.278:
	s_cmp_gt_i32 s9, 1
	s_cbranch_scc0 .LBB99_283
; %bb.279:
	s_cmp_eq_u32 s9, 2
	s_cbranch_scc0 .LBB99_535
; %bb.280:
	v_cmp_ge_f32_e64 s[14:15], s10, v9
	s_mov_b64 s[16:17], 0
	s_branch .LBB99_285
.LBB99_281:
	s_waitcnt vmcnt(0)
	v_cmp_gt_f32_e32 vcc, s10, v5
	s_andn2_b64 s[14:15], s[14:15], exec
	s_and_b64 s[16:17], vcc, exec
	s_or_b64 s[14:15], s[14:15], s[16:17]
	s_cbranch_execz .LBB99_274
	s_branch .LBB99_275
.LBB99_282:
                                        ; implicit-def: $sgpr14_sgpr15
	s_mov_b64 s[16:17], 0
	s_cbranch_execnz .LBB99_286
	s_branch .LBB99_287
.LBB99_283:
	s_mov_b64 s[16:17], 0
                                        ; implicit-def: $sgpr14_sgpr15
	s_cbranch_execz .LBB99_285
; %bb.284:
	v_cmp_lt_f32_e32 vcc, s10, v9
	s_andn2_b64 s[14:15], s[14:15], exec
	s_and_b64 s[18:19], vcc, exec
	s_or_b64 s[14:15], s[14:15], s[18:19]
.LBB99_285:
	s_branch .LBB99_287
.LBB99_286:
	s_cmp_lg_u32 s9, 0
	s_mov_b64 s[6:7], -1
	s_cselect_b64 s[16:17], -1, 0
.LBB99_287:
	s_andn2_b64 vcc, exec, s[16:17]
	s_cbranch_vccz .LBB99_296
; %bb.288:
	s_andn2_b64 vcc, exec, s[6:7]
	s_cbranch_vccnz .LBB99_290
.LBB99_289:
	v_cmp_le_f32_e32 vcc, s10, v9
	s_andn2_b64 s[6:7], s[14:15], exec
	s_and_b64 s[14:15], vcc, exec
	s_or_b64 s[14:15], s[6:7], s[14:15]
.LBB99_290:
	v_cndmask_b32_e64 v7, 0, 1, s[14:15]
.LBB99_291:
	s_or_b64 exec, exec, s[4:5]
	v_or_b32_e32 v9, 0x200, v0
	v_cmp_gt_i32_e32 vcc, s8, v9
                                        ; implicit-def: $vgpr9
	s_and_saveexec_b64 s[4:5], vcc
	s_cbranch_execz .LBB99_306
; %bb.292:
	s_cmp_lt_i32 s9, 1
	s_mov_b64 s[6:7], 0
	s_cbranch_scc1 .LBB99_297
; %bb.293:
	s_cmp_gt_i32 s9, 1
	s_cbranch_scc0 .LBB99_298
; %bb.294:
	s_cmp_eq_u32 s9, 2
	s_cbranch_scc0 .LBB99_536
; %bb.295:
	v_cmp_ge_f32_e64 s[14:15], s10, v11
	s_mov_b64 s[16:17], 0
	s_branch .LBB99_300
.LBB99_296:
	v_cmp_gt_f32_e32 vcc, s10, v9
	s_andn2_b64 s[14:15], s[14:15], exec
	s_and_b64 s[16:17], vcc, exec
	s_or_b64 s[14:15], s[14:15], s[16:17]
	s_cbranch_execz .LBB99_289
	s_branch .LBB99_290
.LBB99_297:
                                        ; implicit-def: $sgpr14_sgpr15
	s_mov_b64 s[16:17], 0
	s_cbranch_execnz .LBB99_301
	s_branch .LBB99_302
.LBB99_298:
	s_mov_b64 s[16:17], 0
                                        ; implicit-def: $sgpr14_sgpr15
	s_cbranch_execz .LBB99_300
; %bb.299:
	v_cmp_lt_f32_e32 vcc, s10, v11
	s_andn2_b64 s[14:15], s[14:15], exec
	s_and_b64 s[18:19], vcc, exec
	s_or_b64 s[14:15], s[14:15], s[18:19]
.LBB99_300:
	s_branch .LBB99_302
.LBB99_301:
	s_cmp_lg_u32 s9, 0
	s_mov_b64 s[6:7], -1
	s_cselect_b64 s[16:17], -1, 0
.LBB99_302:
	s_andn2_b64 vcc, exec, s[16:17]
	s_cbranch_vccz .LBB99_311
; %bb.303:
	s_andn2_b64 vcc, exec, s[6:7]
	s_cbranch_vccnz .LBB99_305
.LBB99_304:
	v_cmp_le_f32_e32 vcc, s10, v11
	s_andn2_b64 s[6:7], s[14:15], exec
	s_and_b64 s[14:15], vcc, exec
	s_or_b64 s[14:15], s[6:7], s[14:15]
.LBB99_305:
	v_cndmask_b32_e64 v9, 0, 1, s[14:15]
.LBB99_306:
	s_or_b64 exec, exec, s[4:5]
	v_or_b32_e32 v11, 0x300, v0
	v_cmp_gt_i32_e32 vcc, s8, v11
                                        ; implicit-def: $vgpr11
	s_and_saveexec_b64 s[4:5], vcc
	s_cbranch_execz .LBB99_321
; %bb.307:
	s_cmp_lt_i32 s9, 1
	s_mov_b64 s[6:7], 0
	s_cbranch_scc1 .LBB99_312
; %bb.308:
	s_cmp_gt_i32 s9, 1
	s_cbranch_scc0 .LBB99_313
; %bb.309:
	s_cmp_eq_u32 s9, 2
	s_cbranch_scc0 .LBB99_537
; %bb.310:
	v_cmp_ge_f32_e64 s[14:15], s10, v13
	s_mov_b64 s[16:17], 0
	s_branch .LBB99_315
.LBB99_311:
	v_cmp_gt_f32_e32 vcc, s10, v11
	s_andn2_b64 s[14:15], s[14:15], exec
	s_and_b64 s[16:17], vcc, exec
	s_or_b64 s[14:15], s[14:15], s[16:17]
	s_cbranch_execz .LBB99_304
	s_branch .LBB99_305
.LBB99_312:
                                        ; implicit-def: $sgpr14_sgpr15
	s_mov_b64 s[16:17], 0
	s_cbranch_execnz .LBB99_316
	s_branch .LBB99_317
.LBB99_313:
	s_mov_b64 s[16:17], 0
                                        ; implicit-def: $sgpr14_sgpr15
	s_cbranch_execz .LBB99_315
; %bb.314:
	v_cmp_lt_f32_e32 vcc, s10, v13
	s_andn2_b64 s[14:15], s[14:15], exec
	s_and_b64 s[18:19], vcc, exec
	s_or_b64 s[14:15], s[14:15], s[18:19]
.LBB99_315:
	s_branch .LBB99_317
.LBB99_316:
	s_cmp_lg_u32 s9, 0
	s_mov_b64 s[6:7], -1
	s_cselect_b64 s[16:17], -1, 0
.LBB99_317:
	s_andn2_b64 vcc, exec, s[16:17]
	s_cbranch_vccz .LBB99_326
; %bb.318:
	s_andn2_b64 vcc, exec, s[6:7]
	s_cbranch_vccnz .LBB99_320
.LBB99_319:
	v_cmp_le_f32_e32 vcc, s10, v13
	s_andn2_b64 s[6:7], s[14:15], exec
	s_and_b64 s[14:15], vcc, exec
	s_or_b64 s[14:15], s[6:7], s[14:15]
.LBB99_320:
	v_cndmask_b32_e64 v11, 0, 1, s[14:15]
.LBB99_321:
	s_or_b64 exec, exec, s[4:5]
	v_or_b32_e32 v13, 0x400, v0
	v_cmp_gt_i32_e32 vcc, s8, v13
                                        ; implicit-def: $vgpr13
	s_and_saveexec_b64 s[4:5], vcc
	s_cbranch_execz .LBB99_336
; %bb.322:
	s_cmp_lt_i32 s9, 1
	s_mov_b64 s[6:7], 0
	s_cbranch_scc1 .LBB99_327
; %bb.323:
	s_cmp_gt_i32 s9, 1
	s_cbranch_scc0 .LBB99_328
; %bb.324:
	s_cmp_eq_u32 s9, 2
	s_cbranch_scc0 .LBB99_538
; %bb.325:
	v_cmp_ge_f32_e64 s[14:15], s10, v15
	s_mov_b64 s[16:17], 0
	s_branch .LBB99_330
.LBB99_326:
	v_cmp_gt_f32_e32 vcc, s10, v13
	s_andn2_b64 s[14:15], s[14:15], exec
	s_and_b64 s[16:17], vcc, exec
	s_or_b64 s[14:15], s[14:15], s[16:17]
	s_cbranch_execz .LBB99_319
	s_branch .LBB99_320
.LBB99_327:
                                        ; implicit-def: $sgpr14_sgpr15
	s_mov_b64 s[16:17], 0
	s_cbranch_execnz .LBB99_331
	s_branch .LBB99_332
.LBB99_328:
	s_mov_b64 s[16:17], 0
                                        ; implicit-def: $sgpr14_sgpr15
	s_cbranch_execz .LBB99_330
; %bb.329:
	v_cmp_lt_f32_e32 vcc, s10, v15
	s_andn2_b64 s[14:15], s[14:15], exec
	s_and_b64 s[18:19], vcc, exec
	s_or_b64 s[14:15], s[14:15], s[18:19]
.LBB99_330:
	s_branch .LBB99_332
.LBB99_331:
	s_cmp_lg_u32 s9, 0
	s_mov_b64 s[6:7], -1
	s_cselect_b64 s[16:17], -1, 0
.LBB99_332:
	s_andn2_b64 vcc, exec, s[16:17]
	s_cbranch_vccz .LBB99_341
; %bb.333:
	s_andn2_b64 vcc, exec, s[6:7]
	s_cbranch_vccnz .LBB99_335
.LBB99_334:
	v_cmp_le_f32_e32 vcc, s10, v15
	s_andn2_b64 s[6:7], s[14:15], exec
	s_and_b64 s[14:15], vcc, exec
	s_or_b64 s[14:15], s[6:7], s[14:15]
.LBB99_335:
	v_cndmask_b32_e64 v13, 0, 1, s[14:15]
.LBB99_336:
	s_or_b64 exec, exec, s[4:5]
	v_or_b32_e32 v15, 0x500, v0
	v_cmp_gt_i32_e32 vcc, s8, v15
                                        ; implicit-def: $vgpr15
	s_and_saveexec_b64 s[4:5], vcc
	s_cbranch_execz .LBB99_351
; %bb.337:
	s_cmp_lt_i32 s9, 1
	s_mov_b64 s[6:7], 0
	s_cbranch_scc1 .LBB99_342
; %bb.338:
	s_cmp_gt_i32 s9, 1
	s_cbranch_scc0 .LBB99_343
; %bb.339:
	s_cmp_eq_u32 s9, 2
	s_cbranch_scc0 .LBB99_539
; %bb.340:
	v_cmp_ge_f32_e64 s[14:15], s10, v18
	s_mov_b64 s[16:17], 0
	s_branch .LBB99_345
.LBB99_341:
	v_cmp_gt_f32_e32 vcc, s10, v15
	s_andn2_b64 s[14:15], s[14:15], exec
	s_and_b64 s[16:17], vcc, exec
	s_or_b64 s[14:15], s[14:15], s[16:17]
	s_cbranch_execz .LBB99_334
	s_branch .LBB99_335
.LBB99_342:
                                        ; implicit-def: $sgpr14_sgpr15
	s_mov_b64 s[16:17], 0
	s_cbranch_execnz .LBB99_346
	s_branch .LBB99_347
.LBB99_343:
	s_mov_b64 s[16:17], 0
                                        ; implicit-def: $sgpr14_sgpr15
	s_cbranch_execz .LBB99_345
; %bb.344:
	v_cmp_lt_f32_e32 vcc, s10, v18
	s_andn2_b64 s[14:15], s[14:15], exec
	s_and_b64 s[18:19], vcc, exec
	s_or_b64 s[14:15], s[14:15], s[18:19]
.LBB99_345:
	s_branch .LBB99_347
.LBB99_346:
	s_cmp_lg_u32 s9, 0
	s_mov_b64 s[6:7], -1
	s_cselect_b64 s[16:17], -1, 0
.LBB99_347:
	s_andn2_b64 vcc, exec, s[16:17]
	s_cbranch_vccz .LBB99_356
; %bb.348:
	s_andn2_b64 vcc, exec, s[6:7]
	s_cbranch_vccnz .LBB99_350
.LBB99_349:
	v_cmp_le_f32_e32 vcc, s10, v18
	s_andn2_b64 s[6:7], s[14:15], exec
	s_and_b64 s[14:15], vcc, exec
	s_or_b64 s[14:15], s[6:7], s[14:15]
.LBB99_350:
	v_cndmask_b32_e64 v15, 0, 1, s[14:15]
.LBB99_351:
	s_or_b64 exec, exec, s[4:5]
	v_or_b32_e32 v18, 0x600, v0
	v_cmp_gt_i32_e32 vcc, s8, v18
                                        ; implicit-def: $vgpr18
	s_and_saveexec_b64 s[4:5], vcc
	s_cbranch_execz .LBB99_366
; %bb.352:
	s_cmp_lt_i32 s9, 1
	s_mov_b64 s[6:7], 0
	s_cbranch_scc1 .LBB99_357
; %bb.353:
	s_cmp_gt_i32 s9, 1
	s_cbranch_scc0 .LBB99_358
; %bb.354:
	s_cmp_eq_u32 s9, 2
	s_cbranch_scc0 .LBB99_540
; %bb.355:
	v_cmp_ge_f32_e64 s[14:15], s10, v19
	s_mov_b64 s[16:17], 0
	s_branch .LBB99_360
.LBB99_356:
	v_cmp_gt_f32_e32 vcc, s10, v18
	s_andn2_b64 s[14:15], s[14:15], exec
	s_and_b64 s[16:17], vcc, exec
	s_or_b64 s[14:15], s[14:15], s[16:17]
	s_cbranch_execz .LBB99_349
	s_branch .LBB99_350
.LBB99_357:
                                        ; implicit-def: $sgpr14_sgpr15
	s_mov_b64 s[16:17], 0
	s_cbranch_execnz .LBB99_361
	s_branch .LBB99_362
.LBB99_358:
	s_mov_b64 s[16:17], 0
                                        ; implicit-def: $sgpr14_sgpr15
	s_cbranch_execz .LBB99_360
; %bb.359:
	v_cmp_lt_f32_e32 vcc, s10, v19
	s_andn2_b64 s[14:15], s[14:15], exec
	s_and_b64 s[18:19], vcc, exec
	s_or_b64 s[14:15], s[14:15], s[18:19]
.LBB99_360:
	s_branch .LBB99_362
.LBB99_361:
	s_cmp_lg_u32 s9, 0
	s_mov_b64 s[6:7], -1
	s_cselect_b64 s[16:17], -1, 0
.LBB99_362:
	s_andn2_b64 vcc, exec, s[16:17]
	s_cbranch_vccz .LBB99_371
; %bb.363:
	s_andn2_b64 vcc, exec, s[6:7]
	s_cbranch_vccnz .LBB99_365
.LBB99_364:
	v_cmp_le_f32_e32 vcc, s10, v19
	s_andn2_b64 s[6:7], s[14:15], exec
	s_and_b64 s[14:15], vcc, exec
	s_or_b64 s[14:15], s[6:7], s[14:15]
.LBB99_365:
	v_cndmask_b32_e64 v18, 0, 1, s[14:15]
.LBB99_366:
	s_or_b64 exec, exec, s[4:5]
	v_or_b32_e32 v19, 0x700, v0
	v_cmp_gt_i32_e32 vcc, s8, v19
                                        ; implicit-def: $vgpr19
	s_and_saveexec_b64 s[4:5], vcc
	s_cbranch_execz .LBB99_381
; %bb.367:
	s_cmp_lt_i32 s9, 1
	s_mov_b64 s[6:7], 0
	s_cbranch_scc1 .LBB99_372
; %bb.368:
	s_cmp_gt_i32 s9, 1
	s_cbranch_scc0 .LBB99_373
; %bb.369:
	s_cmp_eq_u32 s9, 2
	s_cbranch_scc0 .LBB99_541
; %bb.370:
	v_cmp_ge_f32_e64 s[14:15], s10, v17
	s_mov_b64 s[16:17], 0
	s_branch .LBB99_375
.LBB99_371:
	v_cmp_gt_f32_e32 vcc, s10, v19
	s_andn2_b64 s[14:15], s[14:15], exec
	s_and_b64 s[16:17], vcc, exec
	s_or_b64 s[14:15], s[14:15], s[16:17]
	s_cbranch_execz .LBB99_364
	s_branch .LBB99_365
.LBB99_372:
                                        ; implicit-def: $sgpr14_sgpr15
	s_mov_b64 s[16:17], 0
	s_cbranch_execnz .LBB99_376
	s_branch .LBB99_377
.LBB99_373:
	s_mov_b64 s[16:17], 0
                                        ; implicit-def: $sgpr14_sgpr15
	s_cbranch_execz .LBB99_375
; %bb.374:
	v_cmp_lt_f32_e32 vcc, s10, v17
	s_andn2_b64 s[14:15], s[14:15], exec
	s_and_b64 s[18:19], vcc, exec
	s_or_b64 s[14:15], s[14:15], s[18:19]
.LBB99_375:
	s_branch .LBB99_377
.LBB99_376:
	s_cmp_lg_u32 s9, 0
	s_mov_b64 s[6:7], -1
	s_cselect_b64 s[16:17], -1, 0
.LBB99_377:
	s_andn2_b64 vcc, exec, s[16:17]
	s_cbranch_vccz .LBB99_386
; %bb.378:
	s_andn2_b64 vcc, exec, s[6:7]
	s_cbranch_vccnz .LBB99_380
.LBB99_379:
	v_cmp_le_f32_e32 vcc, s10, v17
	s_andn2_b64 s[6:7], s[14:15], exec
	s_and_b64 s[14:15], vcc, exec
	s_or_b64 s[14:15], s[6:7], s[14:15]
.LBB99_380:
	v_cndmask_b32_e64 v19, 0, 1, s[14:15]
.LBB99_381:
	s_or_b64 exec, exec, s[4:5]
	v_or_b32_e32 v17, 0x800, v0
	v_cmp_gt_i32_e32 vcc, s8, v17
                                        ; implicit-def: $vgpr17
	s_and_saveexec_b64 s[4:5], vcc
	s_cbranch_execz .LBB99_396
; %bb.382:
	s_cmp_lt_i32 s9, 1
	s_mov_b64 s[6:7], 0
	s_cbranch_scc1 .LBB99_387
; %bb.383:
	s_cmp_gt_i32 s9, 1
	s_cbranch_scc0 .LBB99_388
; %bb.384:
	s_cmp_eq_u32 s9, 2
	s_cbranch_scc0 .LBB99_542
; %bb.385:
	v_cmp_ge_f32_e64 s[14:15], s10, v16
	s_mov_b64 s[16:17], 0
	s_branch .LBB99_390
.LBB99_386:
	v_cmp_gt_f32_e32 vcc, s10, v17
	s_andn2_b64 s[14:15], s[14:15], exec
	s_and_b64 s[16:17], vcc, exec
	s_or_b64 s[14:15], s[14:15], s[16:17]
	s_cbranch_execz .LBB99_379
	s_branch .LBB99_380
.LBB99_387:
                                        ; implicit-def: $sgpr14_sgpr15
	s_mov_b64 s[16:17], 0
	s_cbranch_execnz .LBB99_391
	s_branch .LBB99_392
.LBB99_388:
	s_mov_b64 s[16:17], 0
                                        ; implicit-def: $sgpr14_sgpr15
	s_cbranch_execz .LBB99_390
; %bb.389:
	v_cmp_lt_f32_e32 vcc, s10, v16
	s_andn2_b64 s[14:15], s[14:15], exec
	s_and_b64 s[18:19], vcc, exec
	s_or_b64 s[14:15], s[14:15], s[18:19]
.LBB99_390:
	s_branch .LBB99_392
.LBB99_391:
	s_cmp_lg_u32 s9, 0
	s_mov_b64 s[6:7], -1
	s_cselect_b64 s[16:17], -1, 0
.LBB99_392:
	s_andn2_b64 vcc, exec, s[16:17]
	s_cbranch_vccz .LBB99_401
; %bb.393:
	s_andn2_b64 vcc, exec, s[6:7]
	s_cbranch_vccnz .LBB99_395
.LBB99_394:
	v_cmp_le_f32_e32 vcc, s10, v16
	s_andn2_b64 s[6:7], s[14:15], exec
	s_and_b64 s[14:15], vcc, exec
	s_or_b64 s[14:15], s[6:7], s[14:15]
.LBB99_395:
	v_cndmask_b32_e64 v17, 0, 1, s[14:15]
.LBB99_396:
	s_or_b64 exec, exec, s[4:5]
	v_or_b32_e32 v16, 0x900, v0
	v_cmp_gt_i32_e32 vcc, s8, v16
                                        ; implicit-def: $vgpr16
	s_and_saveexec_b64 s[4:5], vcc
	s_cbranch_execz .LBB99_411
; %bb.397:
	s_cmp_lt_i32 s9, 1
	s_mov_b64 s[6:7], 0
	s_cbranch_scc1 .LBB99_402
; %bb.398:
	s_cmp_gt_i32 s9, 1
	s_cbranch_scc0 .LBB99_403
; %bb.399:
	s_cmp_eq_u32 s9, 2
	s_cbranch_scc0 .LBB99_543
; %bb.400:
	v_cmp_ge_f32_e64 s[14:15], s10, v14
	s_mov_b64 s[16:17], 0
	s_branch .LBB99_405
.LBB99_401:
	v_cmp_gt_f32_e32 vcc, s10, v16
	s_andn2_b64 s[14:15], s[14:15], exec
	s_and_b64 s[16:17], vcc, exec
	s_or_b64 s[14:15], s[14:15], s[16:17]
	s_cbranch_execz .LBB99_394
	s_branch .LBB99_395
.LBB99_402:
                                        ; implicit-def: $sgpr14_sgpr15
	s_mov_b64 s[16:17], 0
	s_cbranch_execnz .LBB99_406
	s_branch .LBB99_407
.LBB99_403:
	s_mov_b64 s[16:17], 0
                                        ; implicit-def: $sgpr14_sgpr15
	s_cbranch_execz .LBB99_405
; %bb.404:
	v_cmp_lt_f32_e32 vcc, s10, v14
	s_andn2_b64 s[14:15], s[14:15], exec
	s_and_b64 s[18:19], vcc, exec
	s_or_b64 s[14:15], s[14:15], s[18:19]
.LBB99_405:
	s_branch .LBB99_407
.LBB99_406:
	s_cmp_lg_u32 s9, 0
	s_mov_b64 s[6:7], -1
	s_cselect_b64 s[16:17], -1, 0
.LBB99_407:
	s_andn2_b64 vcc, exec, s[16:17]
	s_cbranch_vccz .LBB99_416
; %bb.408:
	s_andn2_b64 vcc, exec, s[6:7]
	s_cbranch_vccnz .LBB99_410
.LBB99_409:
	v_cmp_le_f32_e32 vcc, s10, v14
	s_andn2_b64 s[6:7], s[14:15], exec
	s_and_b64 s[14:15], vcc, exec
	s_or_b64 s[14:15], s[6:7], s[14:15]
.LBB99_410:
	v_cndmask_b32_e64 v16, 0, 1, s[14:15]
.LBB99_411:
	s_or_b64 exec, exec, s[4:5]
	v_or_b32_e32 v14, 0xa00, v0
	v_cmp_gt_i32_e32 vcc, s8, v14
                                        ; implicit-def: $vgpr14
	s_and_saveexec_b64 s[4:5], vcc
	s_cbranch_execz .LBB99_426
; %bb.412:
	s_cmp_lt_i32 s9, 1
	s_mov_b64 s[6:7], 0
	s_cbranch_scc1 .LBB99_417
; %bb.413:
	s_cmp_gt_i32 s9, 1
	s_cbranch_scc0 .LBB99_418
; %bb.414:
	s_cmp_eq_u32 s9, 2
	s_cbranch_scc0 .LBB99_544
; %bb.415:
	v_cmp_ge_f32_e64 s[14:15], s10, v12
	s_mov_b64 s[16:17], 0
	s_branch .LBB99_420
.LBB99_416:
	v_cmp_gt_f32_e32 vcc, s10, v14
	s_andn2_b64 s[14:15], s[14:15], exec
	s_and_b64 s[16:17], vcc, exec
	s_or_b64 s[14:15], s[14:15], s[16:17]
	s_cbranch_execz .LBB99_409
	s_branch .LBB99_410
.LBB99_417:
                                        ; implicit-def: $sgpr14_sgpr15
	s_mov_b64 s[16:17], 0
	s_cbranch_execnz .LBB99_421
	s_branch .LBB99_422
.LBB99_418:
	s_mov_b64 s[16:17], 0
                                        ; implicit-def: $sgpr14_sgpr15
	s_cbranch_execz .LBB99_420
; %bb.419:
	v_cmp_lt_f32_e32 vcc, s10, v12
	s_andn2_b64 s[14:15], s[14:15], exec
	s_and_b64 s[18:19], vcc, exec
	s_or_b64 s[14:15], s[14:15], s[18:19]
.LBB99_420:
	s_branch .LBB99_422
.LBB99_421:
	s_cmp_lg_u32 s9, 0
	s_mov_b64 s[6:7], -1
	s_cselect_b64 s[16:17], -1, 0
.LBB99_422:
	s_andn2_b64 vcc, exec, s[16:17]
	s_cbranch_vccz .LBB99_431
; %bb.423:
	s_andn2_b64 vcc, exec, s[6:7]
	s_cbranch_vccnz .LBB99_425
.LBB99_424:
	v_cmp_le_f32_e32 vcc, s10, v12
	s_andn2_b64 s[6:7], s[14:15], exec
	s_and_b64 s[14:15], vcc, exec
	s_or_b64 s[14:15], s[6:7], s[14:15]
.LBB99_425:
	v_cndmask_b32_e64 v14, 0, 1, s[14:15]
.LBB99_426:
	s_or_b64 exec, exec, s[4:5]
	v_or_b32_e32 v12, 0xb00, v0
	v_cmp_gt_i32_e32 vcc, s8, v12
                                        ; implicit-def: $vgpr12
	s_and_saveexec_b64 s[4:5], vcc
	s_cbranch_execz .LBB99_441
; %bb.427:
	s_cmp_lt_i32 s9, 1
	s_mov_b64 s[6:7], 0
	s_cbranch_scc1 .LBB99_432
; %bb.428:
	s_cmp_gt_i32 s9, 1
	s_cbranch_scc0 .LBB99_433
; %bb.429:
	s_cmp_eq_u32 s9, 2
	s_cbranch_scc0 .LBB99_545
; %bb.430:
	v_cmp_ge_f32_e64 s[14:15], s10, v10
	s_mov_b64 s[16:17], 0
	s_branch .LBB99_435
.LBB99_431:
	v_cmp_gt_f32_e32 vcc, s10, v12
	s_andn2_b64 s[14:15], s[14:15], exec
	s_and_b64 s[16:17], vcc, exec
	s_or_b64 s[14:15], s[14:15], s[16:17]
	s_cbranch_execz .LBB99_424
	s_branch .LBB99_425
.LBB99_432:
                                        ; implicit-def: $sgpr14_sgpr15
	s_mov_b64 s[16:17], 0
	s_cbranch_execnz .LBB99_436
	s_branch .LBB99_437
.LBB99_433:
	s_mov_b64 s[16:17], 0
                                        ; implicit-def: $sgpr14_sgpr15
	s_cbranch_execz .LBB99_435
; %bb.434:
	v_cmp_lt_f32_e32 vcc, s10, v10
	s_andn2_b64 s[14:15], s[14:15], exec
	s_and_b64 s[18:19], vcc, exec
	s_or_b64 s[14:15], s[14:15], s[18:19]
.LBB99_435:
	s_branch .LBB99_437
.LBB99_436:
	s_cmp_lg_u32 s9, 0
	s_mov_b64 s[6:7], -1
	s_cselect_b64 s[16:17], -1, 0
.LBB99_437:
	s_andn2_b64 vcc, exec, s[16:17]
	s_cbranch_vccz .LBB99_446
; %bb.438:
	s_andn2_b64 vcc, exec, s[6:7]
	s_cbranch_vccnz .LBB99_440
.LBB99_439:
	v_cmp_le_f32_e32 vcc, s10, v10
	s_andn2_b64 s[6:7], s[14:15], exec
	s_and_b64 s[14:15], vcc, exec
	s_or_b64 s[14:15], s[6:7], s[14:15]
.LBB99_440:
	v_cndmask_b32_e64 v12, 0, 1, s[14:15]
.LBB99_441:
	s_or_b64 exec, exec, s[4:5]
	v_or_b32_e32 v10, 0xc00, v0
	v_cmp_gt_i32_e32 vcc, s8, v10
                                        ; implicit-def: $vgpr10
	s_and_saveexec_b64 s[4:5], vcc
	s_cbranch_execz .LBB99_456
; %bb.442:
	s_cmp_lt_i32 s9, 1
	s_mov_b64 s[6:7], 0
	s_cbranch_scc1 .LBB99_447
; %bb.443:
	s_cmp_gt_i32 s9, 1
	s_cbranch_scc0 .LBB99_448
; %bb.444:
	s_cmp_eq_u32 s9, 2
	s_cbranch_scc0 .LBB99_546
; %bb.445:
	v_cmp_ge_f32_e64 s[14:15], s10, v8
	s_mov_b64 s[16:17], 0
	s_branch .LBB99_450
.LBB99_446:
	v_cmp_gt_f32_e32 vcc, s10, v10
	s_andn2_b64 s[14:15], s[14:15], exec
	s_and_b64 s[16:17], vcc, exec
	s_or_b64 s[14:15], s[14:15], s[16:17]
	s_cbranch_execz .LBB99_439
	s_branch .LBB99_440
.LBB99_447:
                                        ; implicit-def: $sgpr14_sgpr15
	s_mov_b64 s[16:17], 0
	s_cbranch_execnz .LBB99_451
	s_branch .LBB99_452
.LBB99_448:
	s_mov_b64 s[16:17], 0
                                        ; implicit-def: $sgpr14_sgpr15
	s_cbranch_execz .LBB99_450
; %bb.449:
	v_cmp_lt_f32_e32 vcc, s10, v8
	s_andn2_b64 s[14:15], s[14:15], exec
	s_and_b64 s[18:19], vcc, exec
	s_or_b64 s[14:15], s[14:15], s[18:19]
.LBB99_450:
	s_branch .LBB99_452
.LBB99_451:
	s_cmp_lg_u32 s9, 0
	s_mov_b64 s[6:7], -1
	s_cselect_b64 s[16:17], -1, 0
.LBB99_452:
	s_andn2_b64 vcc, exec, s[16:17]
	s_cbranch_vccz .LBB99_461
; %bb.453:
	s_andn2_b64 vcc, exec, s[6:7]
	s_cbranch_vccnz .LBB99_455
.LBB99_454:
	v_cmp_le_f32_e32 vcc, s10, v8
	s_andn2_b64 s[6:7], s[14:15], exec
	s_and_b64 s[14:15], vcc, exec
	s_or_b64 s[14:15], s[6:7], s[14:15]
.LBB99_455:
	v_cndmask_b32_e64 v10, 0, 1, s[14:15]
.LBB99_456:
	s_or_b64 exec, exec, s[4:5]
	v_or_b32_e32 v8, 0xd00, v0
	v_cmp_gt_i32_e32 vcc, s8, v8
                                        ; implicit-def: $vgpr8
	s_and_saveexec_b64 s[4:5], vcc
	s_cbranch_execz .LBB99_471
; %bb.457:
	s_cmp_lt_i32 s9, 1
	s_mov_b64 s[6:7], 0
	s_cbranch_scc1 .LBB99_462
; %bb.458:
	s_cmp_gt_i32 s9, 1
	s_cbranch_scc0 .LBB99_463
; %bb.459:
	s_cmp_eq_u32 s9, 2
	s_cbranch_scc0 .LBB99_547
; %bb.460:
	v_cmp_ge_f32_e64 s[14:15], s10, v6
	s_mov_b64 s[16:17], 0
	s_branch .LBB99_465
.LBB99_461:
	v_cmp_gt_f32_e32 vcc, s10, v8
	s_andn2_b64 s[14:15], s[14:15], exec
	s_and_b64 s[16:17], vcc, exec
	s_or_b64 s[14:15], s[14:15], s[16:17]
	s_cbranch_execz .LBB99_454
	s_branch .LBB99_455
.LBB99_462:
                                        ; implicit-def: $sgpr14_sgpr15
	s_mov_b64 s[16:17], 0
	s_cbranch_execnz .LBB99_466
	s_branch .LBB99_467
.LBB99_463:
	s_mov_b64 s[16:17], 0
                                        ; implicit-def: $sgpr14_sgpr15
	s_cbranch_execz .LBB99_465
; %bb.464:
	v_cmp_lt_f32_e32 vcc, s10, v6
	s_andn2_b64 s[14:15], s[14:15], exec
	s_and_b64 s[18:19], vcc, exec
	s_or_b64 s[14:15], s[14:15], s[18:19]
.LBB99_465:
	s_branch .LBB99_467
.LBB99_466:
	s_cmp_lg_u32 s9, 0
	s_mov_b64 s[6:7], -1
	s_cselect_b64 s[16:17], -1, 0
.LBB99_467:
	s_andn2_b64 vcc, exec, s[16:17]
	s_cbranch_vccz .LBB99_476
; %bb.468:
	s_andn2_b64 vcc, exec, s[6:7]
	s_cbranch_vccnz .LBB99_470
.LBB99_469:
	v_cmp_le_f32_e32 vcc, s10, v6
	s_andn2_b64 s[6:7], s[14:15], exec
	s_and_b64 s[14:15], vcc, exec
	s_or_b64 s[14:15], s[6:7], s[14:15]
.LBB99_470:
	v_cndmask_b32_e64 v8, 0, 1, s[14:15]
.LBB99_471:
	s_or_b64 exec, exec, s[4:5]
	v_or_b32_e32 v6, 0xe00, v0
	v_cmp_gt_i32_e32 vcc, s8, v6
                                        ; implicit-def: $vgpr6
	s_and_saveexec_b64 s[4:5], vcc
	s_cbranch_execz .LBB99_486
; %bb.472:
	s_cmp_lt_i32 s9, 1
	s_mov_b64 s[6:7], 0
	s_cbranch_scc1 .LBB99_477
; %bb.473:
	s_cmp_gt_i32 s9, 1
	s_cbranch_scc0 .LBB99_478
; %bb.474:
	s_cmp_eq_u32 s9, 2
	s_cbranch_scc0 .LBB99_548
; %bb.475:
	v_cmp_ge_f32_e64 s[14:15], s10, v4
	s_mov_b64 s[16:17], 0
	s_branch .LBB99_480
.LBB99_476:
	v_cmp_gt_f32_e32 vcc, s10, v6
	s_andn2_b64 s[14:15], s[14:15], exec
	s_and_b64 s[16:17], vcc, exec
	s_or_b64 s[14:15], s[14:15], s[16:17]
	s_cbranch_execz .LBB99_469
	s_branch .LBB99_470
.LBB99_477:
                                        ; implicit-def: $sgpr14_sgpr15
	s_mov_b64 s[16:17], 0
	s_cbranch_execnz .LBB99_481
	s_branch .LBB99_482
.LBB99_478:
	s_mov_b64 s[16:17], 0
                                        ; implicit-def: $sgpr14_sgpr15
	s_cbranch_execz .LBB99_480
; %bb.479:
	v_cmp_lt_f32_e32 vcc, s10, v4
	s_andn2_b64 s[14:15], s[14:15], exec
	s_and_b64 s[18:19], vcc, exec
	s_or_b64 s[14:15], s[14:15], s[18:19]
.LBB99_480:
	s_branch .LBB99_482
.LBB99_481:
	s_cmp_lg_u32 s9, 0
	s_mov_b64 s[6:7], -1
	s_cselect_b64 s[16:17], -1, 0
.LBB99_482:
	s_andn2_b64 vcc, exec, s[16:17]
	s_cbranch_vccz .LBB99_491
; %bb.483:
	s_andn2_b64 vcc, exec, s[6:7]
	s_cbranch_vccnz .LBB99_485
.LBB99_484:
	v_cmp_le_f32_e32 vcc, s10, v4
	s_andn2_b64 s[6:7], s[14:15], exec
	s_and_b64 s[14:15], vcc, exec
	s_or_b64 s[14:15], s[6:7], s[14:15]
.LBB99_485:
	v_cndmask_b32_e64 v6, 0, 1, s[14:15]
.LBB99_486:
	s_or_b64 exec, exec, s[4:5]
	v_or_b32_e32 v4, 0xf00, v0
	v_cmp_gt_i32_e32 vcc, s8, v4
                                        ; implicit-def: $vgpr4
	s_and_saveexec_b64 s[4:5], vcc
	s_cbranch_execz .LBB99_501
; %bb.487:
	s_cmp_lt_i32 s9, 1
	s_mov_b64 s[6:7], 0
	s_cbranch_scc1 .LBB99_492
; %bb.488:
	s_cmp_gt_i32 s9, 1
	s_cbranch_scc0 .LBB99_493
; %bb.489:
	s_cmp_eq_u32 s9, 2
	s_cbranch_scc0 .LBB99_549
; %bb.490:
	v_cmp_ge_f32_e64 s[14:15], s10, v2
	s_mov_b64 s[16:17], 0
	s_branch .LBB99_495
.LBB99_491:
	v_cmp_gt_f32_e32 vcc, s10, v4
	s_andn2_b64 s[14:15], s[14:15], exec
	s_and_b64 s[16:17], vcc, exec
	s_or_b64 s[14:15], s[14:15], s[16:17]
	s_cbranch_execz .LBB99_484
	s_branch .LBB99_485
.LBB99_492:
                                        ; implicit-def: $sgpr14_sgpr15
	s_mov_b64 s[16:17], 0
	s_cbranch_execnz .LBB99_496
	s_branch .LBB99_497
.LBB99_493:
	s_mov_b64 s[16:17], 0
                                        ; implicit-def: $sgpr14_sgpr15
	s_cbranch_execz .LBB99_495
; %bb.494:
	v_cmp_lt_f32_e32 vcc, s10, v2
	s_andn2_b64 s[14:15], s[14:15], exec
	s_and_b64 s[18:19], vcc, exec
	s_or_b64 s[14:15], s[14:15], s[18:19]
.LBB99_495:
	s_branch .LBB99_497
.LBB99_496:
	s_cmp_lg_u32 s9, 0
	s_mov_b64 s[6:7], -1
	s_cselect_b64 s[16:17], -1, 0
.LBB99_497:
	s_andn2_b64 vcc, exec, s[16:17]
	s_cbranch_vccz .LBB99_534
; %bb.498:
	s_andn2_b64 vcc, exec, s[6:7]
	s_cbranch_vccnz .LBB99_500
.LBB99_499:
	v_cmp_le_f32_e32 vcc, s10, v2
	s_andn2_b64 s[6:7], s[14:15], exec
	s_and_b64 s[10:11], vcc, exec
	s_or_b64 s[14:15], s[6:7], s[10:11]
.LBB99_500:
	v_cndmask_b32_e64 v4, 0, 1, s[14:15]
.LBB99_501:
	s_or_b64 exec, exec, s[4:5]
	s_and_saveexec_b64 s[4:5], s[0:1]
	s_xor_b64 s[0:1], exec, s[4:5]
	s_cbranch_execz .LBB99_503
; %bb.502:
	v_mov_b32_e32 v0, v5
	global_store_byte v1, v3, s[12:13]
.LBB99_503:
	s_or_b64 exec, exec, s[0:1]
	v_cmp_gt_i32_e32 vcc, s8, v0
	s_and_saveexec_b64 s[0:1], vcc
	s_cbranch_execnz .LBB99_520
; %bb.504:
	s_or_b64 exec, exec, s[0:1]
	v_cmp_gt_i32_e32 vcc, s8, v0
	s_and_saveexec_b64 s[0:1], vcc
	s_cbranch_execnz .LBB99_521
.LBB99_505:
	s_or_b64 exec, exec, s[0:1]
	v_cmp_gt_i32_e32 vcc, s8, v0
	s_and_saveexec_b64 s[0:1], vcc
	s_cbranch_execnz .LBB99_522
.LBB99_506:
	s_or_b64 exec, exec, s[0:1]
	v_cmp_gt_i32_e32 vcc, s8, v0
	s_and_saveexec_b64 s[0:1], vcc
	s_cbranch_execnz .LBB99_523
.LBB99_507:
	s_or_b64 exec, exec, s[0:1]
	v_cmp_gt_i32_e32 vcc, s8, v0
	s_and_saveexec_b64 s[0:1], vcc
	s_cbranch_execnz .LBB99_524
.LBB99_508:
	s_or_b64 exec, exec, s[0:1]
	v_cmp_gt_i32_e32 vcc, s8, v0
	s_and_saveexec_b64 s[0:1], vcc
	s_cbranch_execnz .LBB99_525
.LBB99_509:
	s_or_b64 exec, exec, s[0:1]
	v_cmp_gt_i32_e32 vcc, s8, v0
	s_and_saveexec_b64 s[0:1], vcc
	s_cbranch_execnz .LBB99_526
.LBB99_510:
	s_or_b64 exec, exec, s[0:1]
	v_cmp_gt_i32_e32 vcc, s8, v0
	s_and_saveexec_b64 s[0:1], vcc
	s_cbranch_execnz .LBB99_527
.LBB99_511:
	s_or_b64 exec, exec, s[0:1]
	v_cmp_gt_i32_e32 vcc, s8, v0
	s_and_saveexec_b64 s[0:1], vcc
	s_cbranch_execnz .LBB99_528
.LBB99_512:
	s_or_b64 exec, exec, s[0:1]
	v_cmp_gt_i32_e32 vcc, s8, v0
	s_and_saveexec_b64 s[0:1], vcc
	s_cbranch_execnz .LBB99_529
.LBB99_513:
	s_or_b64 exec, exec, s[0:1]
	v_cmp_gt_i32_e32 vcc, s8, v0
	s_and_saveexec_b64 s[0:1], vcc
	s_cbranch_execnz .LBB99_530
.LBB99_514:
	s_or_b64 exec, exec, s[0:1]
	v_cmp_gt_i32_e32 vcc, s8, v0
	s_and_saveexec_b64 s[0:1], vcc
	s_cbranch_execnz .LBB99_531
.LBB99_515:
	s_or_b64 exec, exec, s[0:1]
	v_cmp_gt_i32_e32 vcc, s8, v0
	s_and_saveexec_b64 s[0:1], vcc
	s_cbranch_execnz .LBB99_532
.LBB99_516:
	s_or_b64 exec, exec, s[0:1]
	v_cmp_gt_i32_e32 vcc, s8, v0
	s_and_saveexec_b64 s[0:1], vcc
	s_cbranch_execnz .LBB99_533
.LBB99_517:
	s_or_b64 exec, exec, s[0:1]
	v_cmp_gt_i32_e32 vcc, s8, v0
	s_and_saveexec_b64 s[0:1], vcc
	s_cbranch_execz .LBB99_519
.LBB99_518:
	v_add_u32_e32 v0, s2, v0
	global_store_byte v0, v4, s[12:13]
.LBB99_519:
	s_endpgm
.LBB99_520:
	v_add_u32_e32 v1, s2, v0
	v_add_u32_e32 v0, 0x100, v0
	global_store_byte v1, v7, s[12:13]
	s_or_b64 exec, exec, s[0:1]
	v_cmp_gt_i32_e32 vcc, s8, v0
	s_and_saveexec_b64 s[0:1], vcc
	s_cbranch_execz .LBB99_505
.LBB99_521:
	v_add_u32_e32 v1, s2, v0
	v_add_u32_e32 v0, 0x100, v0
	global_store_byte v1, v9, s[12:13]
	s_or_b64 exec, exec, s[0:1]
	v_cmp_gt_i32_e32 vcc, s8, v0
	s_and_saveexec_b64 s[0:1], vcc
	s_cbranch_execz .LBB99_506
.LBB99_522:
	v_add_u32_e32 v1, s2, v0
	v_add_u32_e32 v0, 0x100, v0
	global_store_byte v1, v11, s[12:13]
	s_or_b64 exec, exec, s[0:1]
	v_cmp_gt_i32_e32 vcc, s8, v0
	s_and_saveexec_b64 s[0:1], vcc
	s_cbranch_execz .LBB99_507
.LBB99_523:
	v_add_u32_e32 v1, s2, v0
	v_add_u32_e32 v0, 0x100, v0
	global_store_byte v1, v13, s[12:13]
	s_or_b64 exec, exec, s[0:1]
	v_cmp_gt_i32_e32 vcc, s8, v0
	s_and_saveexec_b64 s[0:1], vcc
	s_cbranch_execz .LBB99_508
.LBB99_524:
	v_add_u32_e32 v1, s2, v0
	v_add_u32_e32 v0, 0x100, v0
	global_store_byte v1, v15, s[12:13]
	s_or_b64 exec, exec, s[0:1]
	v_cmp_gt_i32_e32 vcc, s8, v0
	s_and_saveexec_b64 s[0:1], vcc
	s_cbranch_execz .LBB99_509
.LBB99_525:
	v_add_u32_e32 v1, s2, v0
	v_add_u32_e32 v0, 0x100, v0
	global_store_byte v1, v18, s[12:13]
	s_or_b64 exec, exec, s[0:1]
	v_cmp_gt_i32_e32 vcc, s8, v0
	s_and_saveexec_b64 s[0:1], vcc
	s_cbranch_execz .LBB99_510
.LBB99_526:
	v_add_u32_e32 v1, s2, v0
	v_add_u32_e32 v0, 0x100, v0
	global_store_byte v1, v19, s[12:13]
	s_or_b64 exec, exec, s[0:1]
	v_cmp_gt_i32_e32 vcc, s8, v0
	s_and_saveexec_b64 s[0:1], vcc
	s_cbranch_execz .LBB99_511
.LBB99_527:
	v_add_u32_e32 v1, s2, v0
	v_add_u32_e32 v0, 0x100, v0
	global_store_byte v1, v17, s[12:13]
	s_or_b64 exec, exec, s[0:1]
	v_cmp_gt_i32_e32 vcc, s8, v0
	s_and_saveexec_b64 s[0:1], vcc
	s_cbranch_execz .LBB99_512
.LBB99_528:
	v_add_u32_e32 v1, s2, v0
	v_add_u32_e32 v0, 0x100, v0
	global_store_byte v1, v16, s[12:13]
	s_or_b64 exec, exec, s[0:1]
	v_cmp_gt_i32_e32 vcc, s8, v0
	s_and_saveexec_b64 s[0:1], vcc
	s_cbranch_execz .LBB99_513
.LBB99_529:
	v_add_u32_e32 v1, s2, v0
	v_add_u32_e32 v0, 0x100, v0
	global_store_byte v1, v14, s[12:13]
	s_or_b64 exec, exec, s[0:1]
	v_cmp_gt_i32_e32 vcc, s8, v0
	s_and_saveexec_b64 s[0:1], vcc
	s_cbranch_execz .LBB99_514
.LBB99_530:
	v_add_u32_e32 v1, s2, v0
	v_add_u32_e32 v0, 0x100, v0
	global_store_byte v1, v12, s[12:13]
	s_or_b64 exec, exec, s[0:1]
	v_cmp_gt_i32_e32 vcc, s8, v0
	s_and_saveexec_b64 s[0:1], vcc
	s_cbranch_execz .LBB99_515
.LBB99_531:
	v_add_u32_e32 v1, s2, v0
	v_add_u32_e32 v0, 0x100, v0
	global_store_byte v1, v10, s[12:13]
	s_or_b64 exec, exec, s[0:1]
	v_cmp_gt_i32_e32 vcc, s8, v0
	s_and_saveexec_b64 s[0:1], vcc
	s_cbranch_execz .LBB99_516
.LBB99_532:
	v_add_u32_e32 v1, s2, v0
	v_add_u32_e32 v0, 0x100, v0
	global_store_byte v1, v8, s[12:13]
	s_or_b64 exec, exec, s[0:1]
	v_cmp_gt_i32_e32 vcc, s8, v0
	s_and_saveexec_b64 s[0:1], vcc
	s_cbranch_execz .LBB99_517
.LBB99_533:
	v_add_u32_e32 v1, s2, v0
	v_add_u32_e32 v0, 0x100, v0
	global_store_byte v1, v6, s[12:13]
	s_or_b64 exec, exec, s[0:1]
	v_cmp_gt_i32_e32 vcc, s8, v0
	s_and_saveexec_b64 s[0:1], vcc
	s_cbranch_execnz .LBB99_518
	s_branch .LBB99_519
.LBB99_534:
	v_cmp_gt_f32_e32 vcc, s10, v2
	s_andn2_b64 s[14:15], s[14:15], exec
	s_and_b64 s[16:17], vcc, exec
	s_or_b64 s[14:15], s[14:15], s[16:17]
	s_cbranch_execz .LBB99_499
	s_branch .LBB99_500
.LBB99_535:
	s_mov_b64 s[16:17], -1
                                        ; implicit-def: $sgpr14_sgpr15
	s_branch .LBB99_285
.LBB99_536:
	s_mov_b64 s[16:17], -1
                                        ; implicit-def: $sgpr14_sgpr15
	s_branch .LBB99_300
.LBB99_537:
	s_mov_b64 s[16:17], -1
                                        ; implicit-def: $sgpr14_sgpr15
	s_branch .LBB99_315
.LBB99_538:
	s_mov_b64 s[16:17], -1
                                        ; implicit-def: $sgpr14_sgpr15
	s_branch .LBB99_330
.LBB99_539:
	s_mov_b64 s[16:17], -1
                                        ; implicit-def: $sgpr14_sgpr15
	s_branch .LBB99_345
.LBB99_540:
	s_mov_b64 s[16:17], -1
                                        ; implicit-def: $sgpr14_sgpr15
	s_branch .LBB99_360
.LBB99_541:
	s_mov_b64 s[16:17], -1
                                        ; implicit-def: $sgpr14_sgpr15
	s_branch .LBB99_375
.LBB99_542:
	s_mov_b64 s[16:17], -1
                                        ; implicit-def: $sgpr14_sgpr15
	s_branch .LBB99_390
.LBB99_543:
	s_mov_b64 s[16:17], -1
                                        ; implicit-def: $sgpr14_sgpr15
	s_branch .LBB99_405
.LBB99_544:
	s_mov_b64 s[16:17], -1
                                        ; implicit-def: $sgpr14_sgpr15
	s_branch .LBB99_420
.LBB99_545:
	s_mov_b64 s[16:17], -1
                                        ; implicit-def: $sgpr14_sgpr15
	s_branch .LBB99_435
.LBB99_546:
	s_mov_b64 s[16:17], -1
                                        ; implicit-def: $sgpr14_sgpr15
	s_branch .LBB99_450
.LBB99_547:
	s_mov_b64 s[16:17], -1
                                        ; implicit-def: $sgpr14_sgpr15
	s_branch .LBB99_465
.LBB99_548:
	s_mov_b64 s[16:17], -1
                                        ; implicit-def: $sgpr14_sgpr15
	s_branch .LBB99_480
.LBB99_549:
	s_mov_b64 s[16:17], -1
                                        ; implicit-def: $sgpr14_sgpr15
	s_branch .LBB99_495
	.section	.rodata,"a",@progbits
	.p2align	6, 0x0
	.amdhsa_kernel _ZN2at6native29vectorized_elementwise_kernelILi2EZNS0_21compare_scalar_kernelIfEEvRNS_18TensorIteratorBaseENS0_12_GLOBAL__N_16OpTypeET_EUlfE_St5arrayIPcLm2EEEEviT0_T1_
		.amdhsa_group_segment_fixed_size 0
		.amdhsa_private_segment_fixed_size 0
		.amdhsa_kernarg_size 32
		.amdhsa_user_sgpr_count 6
		.amdhsa_user_sgpr_private_segment_buffer 1
		.amdhsa_user_sgpr_dispatch_ptr 0
		.amdhsa_user_sgpr_queue_ptr 0
		.amdhsa_user_sgpr_kernarg_segment_ptr 1
		.amdhsa_user_sgpr_dispatch_id 0
		.amdhsa_user_sgpr_flat_scratch_init 0
		.amdhsa_user_sgpr_private_segment_size 0
		.amdhsa_uses_dynamic_stack 0
		.amdhsa_system_sgpr_private_segment_wavefront_offset 0
		.amdhsa_system_sgpr_workgroup_id_x 1
		.amdhsa_system_sgpr_workgroup_id_y 0
		.amdhsa_system_sgpr_workgroup_id_z 0
		.amdhsa_system_sgpr_workgroup_info 0
		.amdhsa_system_vgpr_workitem_id 0
		.amdhsa_next_free_vgpr 22
		.amdhsa_next_free_sgpr 50
		.amdhsa_reserve_vcc 1
		.amdhsa_reserve_flat_scratch 0
		.amdhsa_float_round_mode_32 0
		.amdhsa_float_round_mode_16_64 0
		.amdhsa_float_denorm_mode_32 3
		.amdhsa_float_denorm_mode_16_64 3
		.amdhsa_dx10_clamp 1
		.amdhsa_ieee_mode 1
		.amdhsa_fp16_overflow 0
		.amdhsa_exception_fp_ieee_invalid_op 0
		.amdhsa_exception_fp_denorm_src 0
		.amdhsa_exception_fp_ieee_div_zero 0
		.amdhsa_exception_fp_ieee_overflow 0
		.amdhsa_exception_fp_ieee_underflow 0
		.amdhsa_exception_fp_ieee_inexact 0
		.amdhsa_exception_int_div_zero 0
	.end_amdhsa_kernel
	.section	.text._ZN2at6native29vectorized_elementwise_kernelILi2EZNS0_21compare_scalar_kernelIfEEvRNS_18TensorIteratorBaseENS0_12_GLOBAL__N_16OpTypeET_EUlfE_St5arrayIPcLm2EEEEviT0_T1_,"axG",@progbits,_ZN2at6native29vectorized_elementwise_kernelILi2EZNS0_21compare_scalar_kernelIfEEvRNS_18TensorIteratorBaseENS0_12_GLOBAL__N_16OpTypeET_EUlfE_St5arrayIPcLm2EEEEviT0_T1_,comdat
.Lfunc_end99:
	.size	_ZN2at6native29vectorized_elementwise_kernelILi2EZNS0_21compare_scalar_kernelIfEEvRNS_18TensorIteratorBaseENS0_12_GLOBAL__N_16OpTypeET_EUlfE_St5arrayIPcLm2EEEEviT0_T1_, .Lfunc_end99-_ZN2at6native29vectorized_elementwise_kernelILi2EZNS0_21compare_scalar_kernelIfEEvRNS_18TensorIteratorBaseENS0_12_GLOBAL__N_16OpTypeET_EUlfE_St5arrayIPcLm2EEEEviT0_T1_
                                        ; -- End function
	.set _ZN2at6native29vectorized_elementwise_kernelILi2EZNS0_21compare_scalar_kernelIfEEvRNS_18TensorIteratorBaseENS0_12_GLOBAL__N_16OpTypeET_EUlfE_St5arrayIPcLm2EEEEviT0_T1_.num_vgpr, 22
	.set _ZN2at6native29vectorized_elementwise_kernelILi2EZNS0_21compare_scalar_kernelIfEEvRNS_18TensorIteratorBaseENS0_12_GLOBAL__N_16OpTypeET_EUlfE_St5arrayIPcLm2EEEEviT0_T1_.num_agpr, 0
	.set _ZN2at6native29vectorized_elementwise_kernelILi2EZNS0_21compare_scalar_kernelIfEEvRNS_18TensorIteratorBaseENS0_12_GLOBAL__N_16OpTypeET_EUlfE_St5arrayIPcLm2EEEEviT0_T1_.numbered_sgpr, 50
	.set _ZN2at6native29vectorized_elementwise_kernelILi2EZNS0_21compare_scalar_kernelIfEEvRNS_18TensorIteratorBaseENS0_12_GLOBAL__N_16OpTypeET_EUlfE_St5arrayIPcLm2EEEEviT0_T1_.num_named_barrier, 0
	.set _ZN2at6native29vectorized_elementwise_kernelILi2EZNS0_21compare_scalar_kernelIfEEvRNS_18TensorIteratorBaseENS0_12_GLOBAL__N_16OpTypeET_EUlfE_St5arrayIPcLm2EEEEviT0_T1_.private_seg_size, 0
	.set _ZN2at6native29vectorized_elementwise_kernelILi2EZNS0_21compare_scalar_kernelIfEEvRNS_18TensorIteratorBaseENS0_12_GLOBAL__N_16OpTypeET_EUlfE_St5arrayIPcLm2EEEEviT0_T1_.uses_vcc, 1
	.set _ZN2at6native29vectorized_elementwise_kernelILi2EZNS0_21compare_scalar_kernelIfEEvRNS_18TensorIteratorBaseENS0_12_GLOBAL__N_16OpTypeET_EUlfE_St5arrayIPcLm2EEEEviT0_T1_.uses_flat_scratch, 0
	.set _ZN2at6native29vectorized_elementwise_kernelILi2EZNS0_21compare_scalar_kernelIfEEvRNS_18TensorIteratorBaseENS0_12_GLOBAL__N_16OpTypeET_EUlfE_St5arrayIPcLm2EEEEviT0_T1_.has_dyn_sized_stack, 0
	.set _ZN2at6native29vectorized_elementwise_kernelILi2EZNS0_21compare_scalar_kernelIfEEvRNS_18TensorIteratorBaseENS0_12_GLOBAL__N_16OpTypeET_EUlfE_St5arrayIPcLm2EEEEviT0_T1_.has_recursion, 0
	.set _ZN2at6native29vectorized_elementwise_kernelILi2EZNS0_21compare_scalar_kernelIfEEvRNS_18TensorIteratorBaseENS0_12_GLOBAL__N_16OpTypeET_EUlfE_St5arrayIPcLm2EEEEviT0_T1_.has_indirect_call, 0
	.section	.AMDGPU.csdata,"",@progbits
; Kernel info:
; codeLenInByte = 8296
; TotalNumSgprs: 54
; NumVgprs: 22
; ScratchSize: 0
; MemoryBound: 0
; FloatMode: 240
; IeeeMode: 1
; LDSByteSize: 0 bytes/workgroup (compile time only)
; SGPRBlocks: 6
; VGPRBlocks: 5
; NumSGPRsForWavesPerEU: 54
; NumVGPRsForWavesPerEU: 22
; Occupancy: 10
; WaveLimiterHint : 1
; COMPUTE_PGM_RSRC2:SCRATCH_EN: 0
; COMPUTE_PGM_RSRC2:USER_SGPR: 6
; COMPUTE_PGM_RSRC2:TRAP_HANDLER: 0
; COMPUTE_PGM_RSRC2:TGID_X_EN: 1
; COMPUTE_PGM_RSRC2:TGID_Y_EN: 0
; COMPUTE_PGM_RSRC2:TGID_Z_EN: 0
; COMPUTE_PGM_RSRC2:TIDIG_COMP_CNT: 0
	.section	.text._ZN2at6native27unrolled_elementwise_kernelIZNS0_21compare_scalar_kernelIfEEvRNS_18TensorIteratorBaseENS0_12_GLOBAL__N_16OpTypeET_EUlfE_St5arrayIPcLm2EELi4E23TrivialOffsetCalculatorILi1EjESD_NS0_6memory15LoadWithoutCastENSE_16StoreWithoutCastEEEviS7_T0_T2_T3_T4_T5_,"axG",@progbits,_ZN2at6native27unrolled_elementwise_kernelIZNS0_21compare_scalar_kernelIfEEvRNS_18TensorIteratorBaseENS0_12_GLOBAL__N_16OpTypeET_EUlfE_St5arrayIPcLm2EELi4E23TrivialOffsetCalculatorILi1EjESD_NS0_6memory15LoadWithoutCastENSE_16StoreWithoutCastEEEviS7_T0_T2_T3_T4_T5_,comdat
	.globl	_ZN2at6native27unrolled_elementwise_kernelIZNS0_21compare_scalar_kernelIfEEvRNS_18TensorIteratorBaseENS0_12_GLOBAL__N_16OpTypeET_EUlfE_St5arrayIPcLm2EELi4E23TrivialOffsetCalculatorILi1EjESD_NS0_6memory15LoadWithoutCastENSE_16StoreWithoutCastEEEviS7_T0_T2_T3_T4_T5_ ; -- Begin function _ZN2at6native27unrolled_elementwise_kernelIZNS0_21compare_scalar_kernelIfEEvRNS_18TensorIteratorBaseENS0_12_GLOBAL__N_16OpTypeET_EUlfE_St5arrayIPcLm2EELi4E23TrivialOffsetCalculatorILi1EjESD_NS0_6memory15LoadWithoutCastENSE_16StoreWithoutCastEEEviS7_T0_T2_T3_T4_T5_
	.p2align	8
	.type	_ZN2at6native27unrolled_elementwise_kernelIZNS0_21compare_scalar_kernelIfEEvRNS_18TensorIteratorBaseENS0_12_GLOBAL__N_16OpTypeET_EUlfE_St5arrayIPcLm2EELi4E23TrivialOffsetCalculatorILi1EjESD_NS0_6memory15LoadWithoutCastENSE_16StoreWithoutCastEEEviS7_T0_T2_T3_T4_T5_,@function
_ZN2at6native27unrolled_elementwise_kernelIZNS0_21compare_scalar_kernelIfEEvRNS_18TensorIteratorBaseENS0_12_GLOBAL__N_16OpTypeET_EUlfE_St5arrayIPcLm2EELi4E23TrivialOffsetCalculatorILi1EjESD_NS0_6memory15LoadWithoutCastENSE_16StoreWithoutCastEEEviS7_T0_T2_T3_T4_T5_: ; @_ZN2at6native27unrolled_elementwise_kernelIZNS0_21compare_scalar_kernelIfEEvRNS_18TensorIteratorBaseENS0_12_GLOBAL__N_16OpTypeET_EUlfE_St5arrayIPcLm2EELi4E23TrivialOffsetCalculatorILi1EjESD_NS0_6memory15LoadWithoutCastENSE_16StoreWithoutCastEEEviS7_T0_T2_T3_T4_T5_
; %bb.0:
	s_load_dwordx8 s[8:15], s[4:5], 0x0
	s_waitcnt lgkmcnt(0)
	s_lshl_b32 s11, s6, 10
	v_mov_b32_e32 v6, 0
	v_or_b32_e32 v1, s11, v0
	v_mov_b32_e32 v5, 0
	s_sub_i32 s8, s8, s11
	v_cmp_gt_i32_e64 s[0:1], s8, v0
	v_mov_b32_e32 v3, v0
	s_and_saveexec_b64 s[2:3], s[0:1]
	s_cbranch_execz .LBB100_2
; %bb.1:
	v_mov_b32_e32 v2, 0
	v_lshlrev_b64 v[2:3], 2, v[1:2]
	v_mov_b32_e32 v4, s15
	v_add_co_u32_e32 v2, vcc, s14, v2
	v_addc_co_u32_e32 v3, vcc, v4, v3, vcc
	global_load_dword v5, v[2:3], off
	v_or_b32_e32 v3, 0x100, v0
.LBB100_2:
	s_or_b64 exec, exec, s[2:3]
	v_cmp_gt_i32_e32 vcc, s8, v3
	s_and_saveexec_b64 s[2:3], vcc
	s_cbranch_execz .LBB100_4
; %bb.3:
	v_add_u32_e32 v6, s11, v3
	v_mov_b32_e32 v7, 0
	v_lshlrev_b64 v[6:7], 2, v[6:7]
	v_mov_b32_e32 v2, s15
	v_add_co_u32_e32 v6, vcc, s14, v6
	v_addc_co_u32_e32 v7, vcc, v2, v7, vcc
	global_load_dword v6, v[6:7], off
	v_add_u32_e32 v3, 0x100, v3
.LBB100_4:
	s_or_b64 exec, exec, s[2:3]
	v_cmp_gt_i32_e32 vcc, s8, v3
	v_mov_b32_e32 v2, 0
	v_mov_b32_e32 v4, 0
	s_and_saveexec_b64 s[2:3], vcc
	s_cbranch_execnz .LBB100_7
; %bb.5:
	s_or_b64 exec, exec, s[2:3]
	v_cmp_gt_i32_e32 vcc, s8, v3
	s_and_saveexec_b64 s[2:3], vcc
	s_cbranch_execnz .LBB100_8
.LBB100_6:
	s_or_b64 exec, exec, s[2:3]
	v_mov_b32_e32 v3, 0
	s_and_saveexec_b64 s[2:3], s[0:1]
	s_cbranch_execnz .LBB100_9
	s_branch .LBB100_24
.LBB100_7:
	v_add_u32_e32 v7, s11, v3
	v_mov_b32_e32 v8, 0
	v_lshlrev_b64 v[7:8], 2, v[7:8]
	v_mov_b32_e32 v4, s15
	v_add_co_u32_e32 v7, vcc, s14, v7
	v_addc_co_u32_e32 v8, vcc, v4, v8, vcc
	global_load_dword v4, v[7:8], off
	v_add_u32_e32 v3, 0x100, v3
	s_or_b64 exec, exec, s[2:3]
	v_cmp_gt_i32_e32 vcc, s8, v3
	s_and_saveexec_b64 s[2:3], vcc
	s_cbranch_execz .LBB100_6
.LBB100_8:
	v_add_u32_e32 v2, s11, v3
	v_mov_b32_e32 v3, 0
	v_lshlrev_b64 v[2:3], 2, v[2:3]
	v_mov_b32_e32 v7, s15
	v_add_co_u32_e32 v2, vcc, s14, v2
	v_addc_co_u32_e32 v3, vcc, v7, v3, vcc
	global_load_dword v2, v[2:3], off
	s_or_b64 exec, exec, s[2:3]
	v_mov_b32_e32 v3, 0
	s_and_saveexec_b64 s[2:3], s[0:1]
	s_cbranch_execz .LBB100_24
.LBB100_9:
	s_cmp_lt_i32 s9, 1
	s_mov_b64 s[4:5], 0
	s_cbranch_scc1 .LBB100_13
; %bb.10:
	s_cmp_gt_i32 s9, 1
	s_cbranch_scc0 .LBB100_14
; %bb.11:
	s_cmp_eq_u32 s9, 2
	s_cbranch_scc0 .LBB100_15
; %bb.12:
	s_waitcnt vmcnt(0)
	v_cmp_ge_f32_e64 s[6:7], s10, v5
	s_mov_b64 s[14:15], 0
	s_branch .LBB100_16
.LBB100_13:
                                        ; implicit-def: $sgpr6_sgpr7
	s_mov_b64 s[14:15], 0
	s_cbranch_execnz .LBB100_19
	s_branch .LBB100_20
.LBB100_14:
	s_mov_b64 s[14:15], 0
                                        ; implicit-def: $sgpr6_sgpr7
	s_cbranch_execnz .LBB100_17
	s_branch .LBB100_18
.LBB100_15:
	s_mov_b64 s[14:15], -1
                                        ; implicit-def: $sgpr6_sgpr7
.LBB100_16:
	s_branch .LBB100_18
.LBB100_17:
	s_waitcnt vmcnt(0)
	v_cmp_lt_f32_e32 vcc, s10, v5
	s_andn2_b64 s[6:7], s[6:7], exec
	s_and_b64 s[16:17], vcc, exec
	s_or_b64 s[6:7], s[6:7], s[16:17]
.LBB100_18:
	s_branch .LBB100_20
.LBB100_19:
	s_cmp_lg_u32 s9, 0
	s_mov_b64 s[4:5], -1
	s_cselect_b64 s[14:15], -1, 0
.LBB100_20:
	s_andn2_b64 vcc, exec, s[14:15]
	s_cbranch_vccz .LBB100_29
; %bb.21:
	s_andn2_b64 vcc, exec, s[4:5]
	s_cbranch_vccnz .LBB100_23
.LBB100_22:
	s_waitcnt vmcnt(0)
	v_cmp_le_f32_e32 vcc, s10, v5
	s_andn2_b64 s[4:5], s[6:7], exec
	s_and_b64 s[6:7], vcc, exec
	s_or_b64 s[6:7], s[4:5], s[6:7]
.LBB100_23:
	v_cndmask_b32_e64 v3, 0, 1, s[6:7]
.LBB100_24:
	s_or_b64 exec, exec, s[2:3]
	s_waitcnt vmcnt(0)
	v_or_b32_e32 v5, 0x100, v0
	v_cmp_gt_i32_e32 vcc, s8, v5
	s_and_saveexec_b64 s[2:3], vcc
	s_cbranch_execz .LBB100_39
; %bb.25:
	s_cmp_lt_i32 s9, 1
	s_mov_b64 s[4:5], 0
	s_cbranch_scc1 .LBB100_30
; %bb.26:
	s_cmp_gt_i32 s9, 1
	s_cbranch_scc0 .LBB100_31
; %bb.27:
	s_cmp_eq_u32 s9, 2
	s_cbranch_scc0 .LBB100_79
; %bb.28:
	v_cmp_ge_f32_e64 s[6:7], s10, v6
	s_mov_b64 s[14:15], 0
	s_branch .LBB100_33
.LBB100_29:
	s_waitcnt vmcnt(0)
	v_cmp_gt_f32_e32 vcc, s10, v5
	s_andn2_b64 s[6:7], s[6:7], exec
	s_and_b64 s[14:15], vcc, exec
	s_or_b64 s[6:7], s[6:7], s[14:15]
	s_cbranch_execz .LBB100_22
	s_branch .LBB100_23
.LBB100_30:
                                        ; implicit-def: $sgpr6_sgpr7
	s_mov_b64 s[14:15], 0
	s_cbranch_execnz .LBB100_34
	s_branch .LBB100_35
.LBB100_31:
	s_mov_b64 s[14:15], 0
                                        ; implicit-def: $sgpr6_sgpr7
	s_cbranch_execz .LBB100_33
; %bb.32:
	v_cmp_lt_f32_e32 vcc, s10, v6
	s_andn2_b64 s[6:7], s[6:7], exec
	s_and_b64 s[16:17], vcc, exec
	s_or_b64 s[6:7], s[6:7], s[16:17]
.LBB100_33:
	s_branch .LBB100_35
.LBB100_34:
	s_cmp_lg_u32 s9, 0
	s_mov_b64 s[4:5], -1
	s_cselect_b64 s[14:15], -1, 0
.LBB100_35:
	s_andn2_b64 vcc, exec, s[14:15]
	s_cbranch_vccz .LBB100_44
; %bb.36:
	s_andn2_b64 vcc, exec, s[4:5]
	s_cbranch_vccnz .LBB100_38
.LBB100_37:
	v_cmp_le_f32_e32 vcc, s10, v6
	s_andn2_b64 s[4:5], s[6:7], exec
	s_and_b64 s[6:7], vcc, exec
	s_or_b64 s[6:7], s[4:5], s[6:7]
.LBB100_38:
	v_cndmask_b32_e64 v6, 0, 1, s[6:7]
	v_lshlrev_b16_e32 v6, 8, v6
	v_or_b32_e32 v3, v3, v6
	v_and_b32_e32 v3, 0xffff, v3
.LBB100_39:
	s_or_b64 exec, exec, s[2:3]
	v_or_b32_e32 v6, 0x200, v0
	v_cmp_gt_i32_e32 vcc, s8, v6
	s_and_saveexec_b64 s[2:3], vcc
	s_cbranch_execz .LBB100_54
; %bb.40:
	s_cmp_lt_i32 s9, 1
	s_mov_b64 s[4:5], 0
	s_cbranch_scc1 .LBB100_45
; %bb.41:
	s_cmp_gt_i32 s9, 1
	s_cbranch_scc0 .LBB100_46
; %bb.42:
	s_cmp_eq_u32 s9, 2
	s_cbranch_scc0 .LBB100_80
; %bb.43:
	v_cmp_ge_f32_e64 s[6:7], s10, v4
	s_mov_b64 s[14:15], 0
	s_branch .LBB100_48
.LBB100_44:
	v_cmp_gt_f32_e32 vcc, s10, v6
	s_andn2_b64 s[6:7], s[6:7], exec
	s_and_b64 s[14:15], vcc, exec
	s_or_b64 s[6:7], s[6:7], s[14:15]
	s_cbranch_execz .LBB100_37
	s_branch .LBB100_38
.LBB100_45:
                                        ; implicit-def: $sgpr6_sgpr7
	s_mov_b64 s[14:15], 0
	s_cbranch_execnz .LBB100_49
	s_branch .LBB100_50
.LBB100_46:
	s_mov_b64 s[14:15], 0
                                        ; implicit-def: $sgpr6_sgpr7
	s_cbranch_execz .LBB100_48
; %bb.47:
	v_cmp_lt_f32_e32 vcc, s10, v4
	s_andn2_b64 s[6:7], s[6:7], exec
	s_and_b64 s[16:17], vcc, exec
	s_or_b64 s[6:7], s[6:7], s[16:17]
.LBB100_48:
	s_branch .LBB100_50
.LBB100_49:
	s_cmp_lg_u32 s9, 0
	s_mov_b64 s[4:5], -1
	s_cselect_b64 s[14:15], -1, 0
.LBB100_50:
	s_andn2_b64 vcc, exec, s[14:15]
	s_cbranch_vccz .LBB100_59
; %bb.51:
	s_andn2_b64 vcc, exec, s[4:5]
	s_cbranch_vccnz .LBB100_53
.LBB100_52:
	v_cmp_le_f32_e32 vcc, s10, v4
	s_andn2_b64 s[4:5], s[6:7], exec
	s_and_b64 s[6:7], vcc, exec
	s_or_b64 s[6:7], s[4:5], s[6:7]
.LBB100_53:
	v_cndmask_b32_e64 v4, 0, 1, s[6:7]
	v_lshl_or_b32 v3, v4, 16, v3
.LBB100_54:
	s_or_b64 exec, exec, s[2:3]
	v_or_b32_e32 v4, 0x300, v0
	v_cmp_gt_i32_e32 vcc, s8, v4
	s_and_saveexec_b64 s[2:3], vcc
	s_cbranch_execz .LBB100_69
; %bb.55:
	s_cmp_lt_i32 s9, 1
	s_mov_b64 s[4:5], 0
	s_cbranch_scc1 .LBB100_60
; %bb.56:
	s_cmp_gt_i32 s9, 1
	s_cbranch_scc0 .LBB100_61
; %bb.57:
	s_cmp_eq_u32 s9, 2
	s_cbranch_scc0 .LBB100_81
; %bb.58:
	v_cmp_ge_f32_e64 s[6:7], s10, v2
	s_mov_b64 s[14:15], 0
	s_branch .LBB100_63
.LBB100_59:
	v_cmp_gt_f32_e32 vcc, s10, v4
	s_andn2_b64 s[6:7], s[6:7], exec
	s_and_b64 s[14:15], vcc, exec
	s_or_b64 s[6:7], s[6:7], s[14:15]
	s_cbranch_execz .LBB100_52
	s_branch .LBB100_53
.LBB100_60:
                                        ; implicit-def: $sgpr6_sgpr7
	s_mov_b64 s[14:15], 0
	s_cbranch_execnz .LBB100_64
	s_branch .LBB100_65
.LBB100_61:
	s_mov_b64 s[14:15], 0
                                        ; implicit-def: $sgpr6_sgpr7
	s_cbranch_execz .LBB100_63
; %bb.62:
	v_cmp_lt_f32_e32 vcc, s10, v2
	s_andn2_b64 s[6:7], s[6:7], exec
	s_and_b64 s[16:17], vcc, exec
	s_or_b64 s[6:7], s[6:7], s[16:17]
.LBB100_63:
	s_branch .LBB100_65
.LBB100_64:
	s_cmp_lg_u32 s9, 0
	s_mov_b64 s[4:5], -1
	s_cselect_b64 s[14:15], -1, 0
.LBB100_65:
	s_andn2_b64 vcc, exec, s[14:15]
	s_cbranch_vccz .LBB100_78
; %bb.66:
	s_andn2_b64 vcc, exec, s[4:5]
	s_cbranch_vccnz .LBB100_68
.LBB100_67:
	v_cmp_le_f32_e32 vcc, s10, v2
	s_andn2_b64 s[4:5], s[6:7], exec
	s_and_b64 s[6:7], vcc, exec
	s_or_b64 s[6:7], s[4:5], s[6:7]
.LBB100_68:
	v_cndmask_b32_e64 v2, 0, 1, s[6:7]
	v_lshlrev_b16_e32 v2, 8, v2
	v_or_b32_sdwa v2, v3, v2 dst_sel:WORD_1 dst_unused:UNUSED_PAD src0_sel:WORD_1 src1_sel:DWORD
	s_mov_b32 s4, 0xffff
	v_and_or_b32 v3, v3, s4, v2
.LBB100_69:
	s_or_b64 exec, exec, s[2:3]
	s_and_saveexec_b64 s[2:3], s[0:1]
	s_xor_b64 s[0:1], exec, s[2:3]
	s_cbranch_execz .LBB100_71
; %bb.70:
	v_mov_b32_e32 v0, v5
	global_store_byte v1, v3, s[12:13]
.LBB100_71:
	s_or_b64 exec, exec, s[0:1]
	v_cmp_gt_i32_e32 vcc, s8, v0
	s_and_saveexec_b64 s[0:1], vcc
	s_cbranch_execnz .LBB100_75
; %bb.72:
	s_or_b64 exec, exec, s[0:1]
	v_cmp_gt_i32_e32 vcc, s8, v0
	s_and_saveexec_b64 s[0:1], vcc
	s_cbranch_execnz .LBB100_76
.LBB100_73:
	s_or_b64 exec, exec, s[0:1]
	v_cmp_gt_i32_e32 vcc, s8, v0
	s_and_saveexec_b64 s[0:1], vcc
	s_cbranch_execnz .LBB100_77
.LBB100_74:
	s_endpgm
.LBB100_75:
	v_add_u32_e32 v1, 0x100, v0
	v_add_u32_e32 v0, s11, v0
	v_lshrrev_b32_e32 v2, 8, v3
	global_store_byte v0, v2, s[12:13]
	v_mov_b32_e32 v0, v1
	s_or_b64 exec, exec, s[0:1]
	v_cmp_gt_i32_e32 vcc, s8, v0
	s_and_saveexec_b64 s[0:1], vcc
	s_cbranch_execz .LBB100_73
.LBB100_76:
	v_add_u32_e32 v1, 0x100, v0
	v_add_u32_e32 v0, s11, v0
	global_store_byte_d16_hi v0, v3, s[12:13]
	v_mov_b32_e32 v0, v1
	s_or_b64 exec, exec, s[0:1]
	v_cmp_gt_i32_e32 vcc, s8, v0
	s_and_saveexec_b64 s[0:1], vcc
	s_cbranch_execz .LBB100_74
.LBB100_77:
	v_add_u32_e32 v0, s11, v0
	v_lshrrev_b32_e32 v1, 24, v3
	global_store_byte v0, v1, s[12:13]
	s_endpgm
.LBB100_78:
	v_cmp_gt_f32_e32 vcc, s10, v2
	s_andn2_b64 s[6:7], s[6:7], exec
	s_and_b64 s[14:15], vcc, exec
	s_or_b64 s[6:7], s[6:7], s[14:15]
	s_cbranch_execz .LBB100_67
	s_branch .LBB100_68
.LBB100_79:
	s_mov_b64 s[14:15], -1
                                        ; implicit-def: $sgpr6_sgpr7
	s_branch .LBB100_33
.LBB100_80:
	s_mov_b64 s[14:15], -1
                                        ; implicit-def: $sgpr6_sgpr7
	s_branch .LBB100_48
.LBB100_81:
	s_mov_b64 s[14:15], -1
                                        ; implicit-def: $sgpr6_sgpr7
	s_branch .LBB100_63
	.section	.rodata,"a",@progbits
	.p2align	6, 0x0
	.amdhsa_kernel _ZN2at6native27unrolled_elementwise_kernelIZNS0_21compare_scalar_kernelIfEEvRNS_18TensorIteratorBaseENS0_12_GLOBAL__N_16OpTypeET_EUlfE_St5arrayIPcLm2EELi4E23TrivialOffsetCalculatorILi1EjESD_NS0_6memory15LoadWithoutCastENSE_16StoreWithoutCastEEEviS7_T0_T2_T3_T4_T5_
		.amdhsa_group_segment_fixed_size 0
		.amdhsa_private_segment_fixed_size 0
		.amdhsa_kernarg_size 36
		.amdhsa_user_sgpr_count 6
		.amdhsa_user_sgpr_private_segment_buffer 1
		.amdhsa_user_sgpr_dispatch_ptr 0
		.amdhsa_user_sgpr_queue_ptr 0
		.amdhsa_user_sgpr_kernarg_segment_ptr 1
		.amdhsa_user_sgpr_dispatch_id 0
		.amdhsa_user_sgpr_flat_scratch_init 0
		.amdhsa_user_sgpr_private_segment_size 0
		.amdhsa_uses_dynamic_stack 0
		.amdhsa_system_sgpr_private_segment_wavefront_offset 0
		.amdhsa_system_sgpr_workgroup_id_x 1
		.amdhsa_system_sgpr_workgroup_id_y 0
		.amdhsa_system_sgpr_workgroup_id_z 0
		.amdhsa_system_sgpr_workgroup_info 0
		.amdhsa_system_vgpr_workitem_id 0
		.amdhsa_next_free_vgpr 9
		.amdhsa_next_free_sgpr 18
		.amdhsa_reserve_vcc 1
		.amdhsa_reserve_flat_scratch 0
		.amdhsa_float_round_mode_32 0
		.amdhsa_float_round_mode_16_64 0
		.amdhsa_float_denorm_mode_32 3
		.amdhsa_float_denorm_mode_16_64 3
		.amdhsa_dx10_clamp 1
		.amdhsa_ieee_mode 1
		.amdhsa_fp16_overflow 0
		.amdhsa_exception_fp_ieee_invalid_op 0
		.amdhsa_exception_fp_denorm_src 0
		.amdhsa_exception_fp_ieee_div_zero 0
		.amdhsa_exception_fp_ieee_overflow 0
		.amdhsa_exception_fp_ieee_underflow 0
		.amdhsa_exception_fp_ieee_inexact 0
		.amdhsa_exception_int_div_zero 0
	.end_amdhsa_kernel
	.section	.text._ZN2at6native27unrolled_elementwise_kernelIZNS0_21compare_scalar_kernelIfEEvRNS_18TensorIteratorBaseENS0_12_GLOBAL__N_16OpTypeET_EUlfE_St5arrayIPcLm2EELi4E23TrivialOffsetCalculatorILi1EjESD_NS0_6memory15LoadWithoutCastENSE_16StoreWithoutCastEEEviS7_T0_T2_T3_T4_T5_,"axG",@progbits,_ZN2at6native27unrolled_elementwise_kernelIZNS0_21compare_scalar_kernelIfEEvRNS_18TensorIteratorBaseENS0_12_GLOBAL__N_16OpTypeET_EUlfE_St5arrayIPcLm2EELi4E23TrivialOffsetCalculatorILi1EjESD_NS0_6memory15LoadWithoutCastENSE_16StoreWithoutCastEEEviS7_T0_T2_T3_T4_T5_,comdat
.Lfunc_end100:
	.size	_ZN2at6native27unrolled_elementwise_kernelIZNS0_21compare_scalar_kernelIfEEvRNS_18TensorIteratorBaseENS0_12_GLOBAL__N_16OpTypeET_EUlfE_St5arrayIPcLm2EELi4E23TrivialOffsetCalculatorILi1EjESD_NS0_6memory15LoadWithoutCastENSE_16StoreWithoutCastEEEviS7_T0_T2_T3_T4_T5_, .Lfunc_end100-_ZN2at6native27unrolled_elementwise_kernelIZNS0_21compare_scalar_kernelIfEEvRNS_18TensorIteratorBaseENS0_12_GLOBAL__N_16OpTypeET_EUlfE_St5arrayIPcLm2EELi4E23TrivialOffsetCalculatorILi1EjESD_NS0_6memory15LoadWithoutCastENSE_16StoreWithoutCastEEEviS7_T0_T2_T3_T4_T5_
                                        ; -- End function
	.set _ZN2at6native27unrolled_elementwise_kernelIZNS0_21compare_scalar_kernelIfEEvRNS_18TensorIteratorBaseENS0_12_GLOBAL__N_16OpTypeET_EUlfE_St5arrayIPcLm2EELi4E23TrivialOffsetCalculatorILi1EjESD_NS0_6memory15LoadWithoutCastENSE_16StoreWithoutCastEEEviS7_T0_T2_T3_T4_T5_.num_vgpr, 9
	.set _ZN2at6native27unrolled_elementwise_kernelIZNS0_21compare_scalar_kernelIfEEvRNS_18TensorIteratorBaseENS0_12_GLOBAL__N_16OpTypeET_EUlfE_St5arrayIPcLm2EELi4E23TrivialOffsetCalculatorILi1EjESD_NS0_6memory15LoadWithoutCastENSE_16StoreWithoutCastEEEviS7_T0_T2_T3_T4_T5_.num_agpr, 0
	.set _ZN2at6native27unrolled_elementwise_kernelIZNS0_21compare_scalar_kernelIfEEvRNS_18TensorIteratorBaseENS0_12_GLOBAL__N_16OpTypeET_EUlfE_St5arrayIPcLm2EELi4E23TrivialOffsetCalculatorILi1EjESD_NS0_6memory15LoadWithoutCastENSE_16StoreWithoutCastEEEviS7_T0_T2_T3_T4_T5_.numbered_sgpr, 18
	.set _ZN2at6native27unrolled_elementwise_kernelIZNS0_21compare_scalar_kernelIfEEvRNS_18TensorIteratorBaseENS0_12_GLOBAL__N_16OpTypeET_EUlfE_St5arrayIPcLm2EELi4E23TrivialOffsetCalculatorILi1EjESD_NS0_6memory15LoadWithoutCastENSE_16StoreWithoutCastEEEviS7_T0_T2_T3_T4_T5_.num_named_barrier, 0
	.set _ZN2at6native27unrolled_elementwise_kernelIZNS0_21compare_scalar_kernelIfEEvRNS_18TensorIteratorBaseENS0_12_GLOBAL__N_16OpTypeET_EUlfE_St5arrayIPcLm2EELi4E23TrivialOffsetCalculatorILi1EjESD_NS0_6memory15LoadWithoutCastENSE_16StoreWithoutCastEEEviS7_T0_T2_T3_T4_T5_.private_seg_size, 0
	.set _ZN2at6native27unrolled_elementwise_kernelIZNS0_21compare_scalar_kernelIfEEvRNS_18TensorIteratorBaseENS0_12_GLOBAL__N_16OpTypeET_EUlfE_St5arrayIPcLm2EELi4E23TrivialOffsetCalculatorILi1EjESD_NS0_6memory15LoadWithoutCastENSE_16StoreWithoutCastEEEviS7_T0_T2_T3_T4_T5_.uses_vcc, 1
	.set _ZN2at6native27unrolled_elementwise_kernelIZNS0_21compare_scalar_kernelIfEEvRNS_18TensorIteratorBaseENS0_12_GLOBAL__N_16OpTypeET_EUlfE_St5arrayIPcLm2EELi4E23TrivialOffsetCalculatorILi1EjESD_NS0_6memory15LoadWithoutCastENSE_16StoreWithoutCastEEEviS7_T0_T2_T3_T4_T5_.uses_flat_scratch, 0
	.set _ZN2at6native27unrolled_elementwise_kernelIZNS0_21compare_scalar_kernelIfEEvRNS_18TensorIteratorBaseENS0_12_GLOBAL__N_16OpTypeET_EUlfE_St5arrayIPcLm2EELi4E23TrivialOffsetCalculatorILi1EjESD_NS0_6memory15LoadWithoutCastENSE_16StoreWithoutCastEEEviS7_T0_T2_T3_T4_T5_.has_dyn_sized_stack, 0
	.set _ZN2at6native27unrolled_elementwise_kernelIZNS0_21compare_scalar_kernelIfEEvRNS_18TensorIteratorBaseENS0_12_GLOBAL__N_16OpTypeET_EUlfE_St5arrayIPcLm2EELi4E23TrivialOffsetCalculatorILi1EjESD_NS0_6memory15LoadWithoutCastENSE_16StoreWithoutCastEEEviS7_T0_T2_T3_T4_T5_.has_recursion, 0
	.set _ZN2at6native27unrolled_elementwise_kernelIZNS0_21compare_scalar_kernelIfEEvRNS_18TensorIteratorBaseENS0_12_GLOBAL__N_16OpTypeET_EUlfE_St5arrayIPcLm2EELi4E23TrivialOffsetCalculatorILi1EjESD_NS0_6memory15LoadWithoutCastENSE_16StoreWithoutCastEEEviS7_T0_T2_T3_T4_T5_.has_indirect_call, 0
	.section	.AMDGPU.csdata,"",@progbits
; Kernel info:
; codeLenInByte = 1328
; TotalNumSgprs: 22
; NumVgprs: 9
; ScratchSize: 0
; MemoryBound: 0
; FloatMode: 240
; IeeeMode: 1
; LDSByteSize: 0 bytes/workgroup (compile time only)
; SGPRBlocks: 2
; VGPRBlocks: 2
; NumSGPRsForWavesPerEU: 22
; NumVGPRsForWavesPerEU: 9
; Occupancy: 10
; WaveLimiterHint : 0
; COMPUTE_PGM_RSRC2:SCRATCH_EN: 0
; COMPUTE_PGM_RSRC2:USER_SGPR: 6
; COMPUTE_PGM_RSRC2:TRAP_HANDLER: 0
; COMPUTE_PGM_RSRC2:TGID_X_EN: 1
; COMPUTE_PGM_RSRC2:TGID_Y_EN: 0
; COMPUTE_PGM_RSRC2:TGID_Z_EN: 0
; COMPUTE_PGM_RSRC2:TIDIG_COMP_CNT: 0
	.section	.text._ZN2at6native32elementwise_kernel_manual_unrollILi128ELi8EZNS0_22gpu_kernel_impl_nocastIZNS0_21compare_scalar_kernelIfEEvRNS_18TensorIteratorBaseENS0_12_GLOBAL__N_16OpTypeET_EUlfE_EEvS5_RKS8_EUlibE_EEviT1_,"axG",@progbits,_ZN2at6native32elementwise_kernel_manual_unrollILi128ELi8EZNS0_22gpu_kernel_impl_nocastIZNS0_21compare_scalar_kernelIfEEvRNS_18TensorIteratorBaseENS0_12_GLOBAL__N_16OpTypeET_EUlfE_EEvS5_RKS8_EUlibE_EEviT1_,comdat
	.globl	_ZN2at6native32elementwise_kernel_manual_unrollILi128ELi8EZNS0_22gpu_kernel_impl_nocastIZNS0_21compare_scalar_kernelIfEEvRNS_18TensorIteratorBaseENS0_12_GLOBAL__N_16OpTypeET_EUlfE_EEvS5_RKS8_EUlibE_EEviT1_ ; -- Begin function _ZN2at6native32elementwise_kernel_manual_unrollILi128ELi8EZNS0_22gpu_kernel_impl_nocastIZNS0_21compare_scalar_kernelIfEEvRNS_18TensorIteratorBaseENS0_12_GLOBAL__N_16OpTypeET_EUlfE_EEvS5_RKS8_EUlibE_EEviT1_
	.p2align	8
	.type	_ZN2at6native32elementwise_kernel_manual_unrollILi128ELi8EZNS0_22gpu_kernel_impl_nocastIZNS0_21compare_scalar_kernelIfEEvRNS_18TensorIteratorBaseENS0_12_GLOBAL__N_16OpTypeET_EUlfE_EEvS5_RKS8_EUlibE_EEviT1_,@function
_ZN2at6native32elementwise_kernel_manual_unrollILi128ELi8EZNS0_22gpu_kernel_impl_nocastIZNS0_21compare_scalar_kernelIfEEvRNS_18TensorIteratorBaseENS0_12_GLOBAL__N_16OpTypeET_EUlfE_EEvS5_RKS8_EUlibE_EEviT1_: ; @_ZN2at6native32elementwise_kernel_manual_unrollILi128ELi8EZNS0_22gpu_kernel_impl_nocastIZNS0_21compare_scalar_kernelIfEEvRNS_18TensorIteratorBaseENS0_12_GLOBAL__N_16OpTypeET_EUlfE_EEvS5_RKS8_EUlibE_EEviT1_
; %bb.0:
	s_load_dword s57, s[4:5], 0x0
	s_load_dword s33, s[4:5], 0x8
	s_add_u32 s34, s4, 8
	s_addc_u32 s35, s5, 0
	v_lshl_or_b32 v15, s6, 10, v0
	v_or_b32_e32 v22, 0x380, v15
	s_waitcnt lgkmcnt(0)
	s_add_i32 s56, s33, -1
	s_cmp_gt_u32 s56, 1
	v_cmp_le_i32_e32 vcc, s57, v22
	s_cselect_b64 s[36:37], -1, 0
	s_and_saveexec_b64 s[0:1], vcc
	s_xor_b64 s[38:39], exec, s[0:1]
	s_cbranch_execz .LBB101_235
; %bb.1:
	s_load_dwordx4 s[24:27], s[34:35], 0x4
	s_load_dwordx2 s[42:43], s[34:35], 0x14
	s_load_dwordx4 s[20:23], s[34:35], 0xc4
	s_load_dwordx4 s[16:19], s[34:35], 0x148
	s_load_dwordx2 s[40:41], s[34:35], 0x158
	s_cmp_lg_u32 s33, 0
	s_cselect_b64 s[48:49], -1, 0
	s_add_u32 s46, s34, 0xc4
	s_addc_u32 s47, s35, 0
	s_min_u32 s58, s56, 15
	s_cmp_gt_u32 s33, 1
	s_cselect_b64 s[44:45], -1, 0
	v_cmp_gt_i32_e32 vcc, s57, v15
	s_and_saveexec_b64 s[50:51], vcc
	s_cbranch_execnz .LBB101_9
; %bb.2:
	s_or_b64 exec, exec, s[50:51]
	v_cmp_gt_i32_e32 vcc, s57, v15
	s_and_saveexec_b64 s[50:51], vcc
	s_cbranch_execnz .LBB101_38
.LBB101_3:
	s_or_b64 exec, exec, s[50:51]
	v_cmp_gt_i32_e32 vcc, s57, v15
	s_and_saveexec_b64 s[50:51], vcc
	s_cbranch_execnz .LBB101_66
.LBB101_4:
	s_or_b64 exec, exec, s[50:51]
	v_cmp_gt_i32_e32 vcc, s57, v15
	s_and_saveexec_b64 s[50:51], vcc
	s_cbranch_execnz .LBB101_94
.LBB101_5:
	s_or_b64 exec, exec, s[50:51]
	v_cmp_gt_i32_e32 vcc, s57, v15
	s_and_saveexec_b64 s[50:51], vcc
	s_cbranch_execnz .LBB101_122
.LBB101_6:
	s_or_b64 exec, exec, s[50:51]
	v_cmp_gt_i32_e32 vcc, s57, v15
	s_and_saveexec_b64 s[50:51], vcc
	s_cbranch_execnz .LBB101_150
.LBB101_7:
	s_or_b64 exec, exec, s[50:51]
	v_cmp_gt_i32_e32 vcc, s57, v15
	s_and_saveexec_b64 s[50:51], vcc
	s_cbranch_execnz .LBB101_178
.LBB101_8:
	s_or_b64 exec, exec, s[50:51]
	v_cmp_gt_i32_e32 vcc, s57, v15
	s_and_saveexec_b64 s[50:51], vcc
	s_cbranch_execnz .LBB101_206
	s_branch .LBB101_234
.LBB101_9:
	s_andn2_b64 vcc, exec, s[36:37]
	s_cbranch_vccnz .LBB101_14
; %bb.10:
	s_andn2_b64 vcc, exec, s[48:49]
	s_cbranch_vccnz .LBB101_15
; %bb.11:
	s_add_i32 s60, s58, 1
	s_cmp_eq_u32 s56, 2
	s_cbranch_scc1 .LBB101_16
; %bb.12:
	s_and_b32 s59, s60, 28
	v_mov_b32_e32 v2, 0
	s_mov_b32 s61, 0
	s_mov_b64 s[52:53], s[34:35]
	s_mov_b64 s[54:55], s[46:47]
	v_mov_b32_e32 v0, 0
	v_mov_b32_e32 v1, v15
.LBB101_13:                             ; =>This Inner Loop Header: Depth=1
	s_load_dwordx8 s[8:15], s[52:53], 0x4
	s_load_dwordx4 s[28:31], s[52:53], 0x24
	s_load_dwordx8 s[0:7], s[54:55], 0x0
	s_add_u32 s52, s52, 48
	s_addc_u32 s53, s53, 0
	s_waitcnt lgkmcnt(0)
	v_mul_hi_u32 v3, s9, v1
	s_add_i32 s61, s61, 4
	s_add_u32 s54, s54, 32
	s_addc_u32 s55, s55, 0
	v_add_u32_e32 v3, v1, v3
	v_lshrrev_b32_e32 v3, s10, v3
	v_mul_lo_u32 v4, v3, s8
	v_mul_hi_u32 v5, s12, v3
	s_cmp_lg_u32 s59, s61
	v_sub_u32_e32 v1, v1, v4
	v_add_u32_e32 v4, v3, v5
	v_mul_lo_u32 v5, v1, s0
	v_mul_lo_u32 v6, v1, s1
	v_lshrrev_b32_e32 v1, s13, v4
	v_mul_lo_u32 v4, v1, s11
	v_mul_hi_u32 v7, s15, v1
	v_sub_u32_e32 v3, v3, v4
	v_add_u32_e32 v4, v1, v7
	v_lshrrev_b32_e32 v4, s28, v4
	v_mul_hi_u32 v8, s30, v4
	v_mul_lo_u32 v9, v4, s14
	v_mul_lo_u32 v7, v3, s2
	;; [unrolled: 1-line block ×3, first 2 shown]
	v_sub_u32_e32 v9, v1, v9
	v_add_u32_e32 v1, v4, v8
	v_lshrrev_b32_e32 v1, s31, v1
	v_mul_lo_u32 v8, v1, s29
	v_mul_lo_u32 v10, v9, s4
	;; [unrolled: 1-line block ×3, first 2 shown]
	v_add3_u32 v0, v5, v0, v7
	v_sub_u32_e32 v4, v4, v8
	v_mul_lo_u32 v8, v4, s6
	v_mul_lo_u32 v4, v4, s7
	v_add3_u32 v2, v6, v2, v3
	v_add3_u32 v0, v10, v0, v8
	;; [unrolled: 1-line block ×3, first 2 shown]
	s_cbranch_scc1 .LBB101_13
	s_branch .LBB101_17
.LBB101_14:
                                        ; implicit-def: $vgpr0
                                        ; implicit-def: $vgpr2
	s_branch .LBB101_21
.LBB101_15:
	v_mov_b32_e32 v0, 0
	v_mov_b32_e32 v2, 0
	s_branch .LBB101_20
.LBB101_16:
	s_mov_b32 s59, 0
	v_mov_b32_e32 v0, 0
	v_mov_b32_e32 v2, 0
	;; [unrolled: 1-line block ×3, first 2 shown]
.LBB101_17:
	s_and_b32 s4, s60, 3
	s_cmp_eq_u32 s4, 0
	s_cbranch_scc1 .LBB101_20
; %bb.18:
	s_lshl_b32 s0, s59, 3
	s_add_u32 s0, s34, s0
	s_addc_u32 s1, s35, 0
	s_add_u32 s0, s0, 0xc4
	s_addc_u32 s1, s1, 0
	s_mul_i32 s2, s59, 12
	s_add_u32 s2, s34, s2
	s_addc_u32 s3, s35, 0
.LBB101_19:                             ; =>This Inner Loop Header: Depth=1
	s_load_dwordx2 s[6:7], s[2:3], 0x4
	s_load_dword s5, s[2:3], 0xc
	s_load_dwordx2 s[8:9], s[0:1], 0x0
	s_add_u32 s2, s2, 12
	s_addc_u32 s3, s3, 0
	s_waitcnt lgkmcnt(0)
	v_mul_hi_u32 v3, s7, v1
	s_add_u32 s0, s0, 8
	s_addc_u32 s1, s1, 0
	s_add_i32 s4, s4, -1
	v_add_u32_e32 v3, v1, v3
	v_lshrrev_b32_e32 v4, s5, v3
	v_mul_lo_u32 v3, v4, s6
	s_cmp_lg_u32 s4, 0
	v_sub_u32_e32 v3, v1, v3
	v_mad_u64_u32 v[0:1], s[6:7], v3, s8, v[0:1]
	v_mad_u64_u32 v[2:3], s[6:7], v3, s9, v[2:3]
	v_mov_b32_e32 v1, v4
	s_cbranch_scc1 .LBB101_19
.LBB101_20:
	s_cbranch_execnz .LBB101_23
.LBB101_21:
	s_waitcnt lgkmcnt(0)
	v_mul_hi_u32 v0, s25, v15
	s_andn2_b64 vcc, exec, s[44:45]
	v_add_u32_e32 v0, v15, v0
	v_lshrrev_b32_e32 v1, s26, v0
	v_mul_lo_u32 v0, v1, s24
	v_sub_u32_e32 v2, v15, v0
	v_mul_lo_u32 v0, v2, s20
	v_mul_lo_u32 v2, v2, s21
	s_cbranch_vccnz .LBB101_23
; %bb.22:
	v_mul_hi_u32 v3, s42, v1
	v_add_u32_e32 v3, v1, v3
	v_lshrrev_b32_e32 v3, s43, v3
	v_mul_lo_u32 v3, v3, s27
	v_sub_u32_e32 v3, v1, v3
	v_mad_u64_u32 v[0:1], s[0:1], v3, s22, v[0:1]
	v_mad_u64_u32 v[2:3], s[0:1], v3, s23, v[2:3]
.LBB101_23:
	s_waitcnt lgkmcnt(0)
	global_load_dword v1, v2, s[18:19]
	s_cmp_lt_i32 s40, 1
	s_mov_b64 s[0:1], 0
	s_cbranch_scc1 .LBB101_27
; %bb.24:
	s_cmp_gt_i32 s40, 1
	s_cbranch_scc0 .LBB101_28
; %bb.25:
	s_cmp_eq_u32 s40, 2
	s_cbranch_scc0 .LBB101_29
; %bb.26:
	s_waitcnt vmcnt(0)
	v_cmp_ge_f32_e64 s[2:3], s41, v1
	s_mov_b64 s[4:5], 0
	s_branch .LBB101_30
.LBB101_27:
                                        ; implicit-def: $sgpr2_sgpr3
	s_mov_b64 s[4:5], 0
	s_cbranch_execnz .LBB101_33
	s_branch .LBB101_34
.LBB101_28:
	s_mov_b64 s[4:5], 0
                                        ; implicit-def: $sgpr2_sgpr3
	s_cbranch_execnz .LBB101_31
	s_branch .LBB101_32
.LBB101_29:
	s_mov_b64 s[4:5], -1
                                        ; implicit-def: $sgpr2_sgpr3
.LBB101_30:
	s_branch .LBB101_32
.LBB101_31:
	s_waitcnt vmcnt(0)
	v_cmp_lt_f32_e32 vcc, s41, v1
	s_andn2_b64 s[2:3], s[2:3], exec
	s_and_b64 s[6:7], vcc, exec
	s_or_b64 s[2:3], s[2:3], s[6:7]
.LBB101_32:
	s_branch .LBB101_34
.LBB101_33:
	s_cmp_lg_u32 s40, 0
	s_mov_b64 s[0:1], -1
	s_cselect_b64 s[4:5], -1, 0
.LBB101_34:
	s_andn2_b64 vcc, exec, s[4:5]
	s_cbranch_vccz .LBB101_43
; %bb.35:
	s_andn2_b64 vcc, exec, s[0:1]
	s_cbranch_vccnz .LBB101_37
.LBB101_36:
	s_waitcnt vmcnt(0)
	v_cmp_le_f32_e32 vcc, s41, v1
	s_andn2_b64 s[0:1], s[2:3], exec
	s_and_b64 s[2:3], vcc, exec
	s_or_b64 s[2:3], s[0:1], s[2:3]
.LBB101_37:
	s_waitcnt vmcnt(0)
	v_cndmask_b32_e64 v1, 0, 1, s[2:3]
	v_add_u32_e32 v15, 0x80, v15
	global_store_byte v0, v1, s[16:17]
	s_or_b64 exec, exec, s[50:51]
	v_cmp_gt_i32_e32 vcc, s57, v15
	s_and_saveexec_b64 s[50:51], vcc
	s_cbranch_execz .LBB101_3
.LBB101_38:
	s_andn2_b64 vcc, exec, s[36:37]
	s_cbranch_vccnz .LBB101_44
; %bb.39:
	s_andn2_b64 vcc, exec, s[48:49]
	s_cbranch_vccnz .LBB101_45
; %bb.40:
	s_add_i32 s60, s58, 1
	s_cmp_eq_u32 s56, 2
	s_cbranch_scc1 .LBB101_46
; %bb.41:
	s_and_b32 s59, s60, 28
	v_mov_b32_e32 v2, 0
	s_mov_b32 s61, 0
	s_mov_b64 s[52:53], s[34:35]
	s_mov_b64 s[54:55], s[46:47]
	v_mov_b32_e32 v0, 0
	v_mov_b32_e32 v1, v15
.LBB101_42:                             ; =>This Inner Loop Header: Depth=1
	s_load_dwordx8 s[8:15], s[52:53], 0x4
	s_load_dwordx4 s[28:31], s[52:53], 0x24
	s_load_dwordx8 s[0:7], s[54:55], 0x0
	s_add_u32 s52, s52, 48
	s_addc_u32 s53, s53, 0
	s_waitcnt lgkmcnt(0)
	v_mul_hi_u32 v3, s9, v1
	s_add_i32 s61, s61, 4
	s_add_u32 s54, s54, 32
	s_addc_u32 s55, s55, 0
	v_add_u32_e32 v3, v1, v3
	v_lshrrev_b32_e32 v3, s10, v3
	v_mul_lo_u32 v4, v3, s8
	v_mul_hi_u32 v5, s12, v3
	s_cmp_eq_u32 s59, s61
	v_sub_u32_e32 v1, v1, v4
	v_add_u32_e32 v4, v3, v5
	v_mul_lo_u32 v5, v1, s0
	v_mul_lo_u32 v6, v1, s1
	v_lshrrev_b32_e32 v1, s13, v4
	v_mul_lo_u32 v4, v1, s11
	v_mul_hi_u32 v7, s15, v1
	v_sub_u32_e32 v3, v3, v4
	v_add_u32_e32 v4, v1, v7
	v_lshrrev_b32_e32 v4, s28, v4
	v_mul_hi_u32 v8, s30, v4
	v_mul_lo_u32 v9, v4, s14
	v_mul_lo_u32 v7, v3, s2
	;; [unrolled: 1-line block ×3, first 2 shown]
	v_sub_u32_e32 v9, v1, v9
	v_add_u32_e32 v1, v4, v8
	v_lshrrev_b32_e32 v1, s31, v1
	v_mul_lo_u32 v8, v1, s29
	v_mul_lo_u32 v10, v9, s4
	;; [unrolled: 1-line block ×3, first 2 shown]
	v_add3_u32 v0, v5, v0, v7
	v_sub_u32_e32 v4, v4, v8
	v_mul_lo_u32 v8, v4, s6
	v_mul_lo_u32 v4, v4, s7
	v_add3_u32 v2, v6, v2, v3
	v_add3_u32 v0, v10, v0, v8
	;; [unrolled: 1-line block ×3, first 2 shown]
	s_cbranch_scc0 .LBB101_42
	s_branch .LBB101_47
.LBB101_43:
	s_waitcnt vmcnt(0)
	v_cmp_gt_f32_e32 vcc, s41, v1
	s_andn2_b64 s[2:3], s[2:3], exec
	s_and_b64 s[4:5], vcc, exec
	s_or_b64 s[2:3], s[2:3], s[4:5]
	s_cbranch_execz .LBB101_36
	s_branch .LBB101_37
.LBB101_44:
                                        ; implicit-def: $vgpr0
                                        ; implicit-def: $vgpr2
	s_branch .LBB101_51
.LBB101_45:
	v_mov_b32_e32 v0, 0
	v_mov_b32_e32 v2, 0
	s_branch .LBB101_50
.LBB101_46:
	s_mov_b32 s59, 0
	v_mov_b32_e32 v0, 0
	v_mov_b32_e32 v2, 0
	v_mov_b32_e32 v1, v15
.LBB101_47:
	s_and_b32 s4, s60, 3
	s_cmp_eq_u32 s4, 0
	s_cbranch_scc1 .LBB101_50
; %bb.48:
	s_lshl_b32 s0, s59, 3
	s_add_u32 s0, s34, s0
	s_addc_u32 s1, s35, 0
	s_add_u32 s0, s0, 0xc4
	s_addc_u32 s1, s1, 0
	s_mul_i32 s2, s59, 12
	s_add_u32 s2, s34, s2
	s_addc_u32 s3, s35, 0
.LBB101_49:                             ; =>This Inner Loop Header: Depth=1
	s_load_dwordx2 s[6:7], s[2:3], 0x4
	s_load_dword s5, s[2:3], 0xc
	s_load_dwordx2 s[8:9], s[0:1], 0x0
	s_add_u32 s2, s2, 12
	s_addc_u32 s3, s3, 0
	s_waitcnt lgkmcnt(0)
	v_mul_hi_u32 v3, s7, v1
	s_add_u32 s0, s0, 8
	s_addc_u32 s1, s1, 0
	s_add_i32 s4, s4, -1
	v_add_u32_e32 v3, v1, v3
	v_lshrrev_b32_e32 v4, s5, v3
	v_mul_lo_u32 v3, v4, s6
	s_cmp_lg_u32 s4, 0
	v_sub_u32_e32 v3, v1, v3
	v_mad_u64_u32 v[0:1], s[6:7], v3, s8, v[0:1]
	v_mad_u64_u32 v[2:3], s[6:7], v3, s9, v[2:3]
	v_mov_b32_e32 v1, v4
	s_cbranch_scc1 .LBB101_49
.LBB101_50:
	s_cbranch_execnz .LBB101_53
.LBB101_51:
	s_waitcnt lgkmcnt(0)
	v_mul_hi_u32 v0, s25, v15
	s_andn2_b64 vcc, exec, s[44:45]
	v_add_u32_e32 v0, v15, v0
	v_lshrrev_b32_e32 v1, s26, v0
	v_mul_lo_u32 v0, v1, s24
	v_sub_u32_e32 v2, v15, v0
	v_mul_lo_u32 v0, v2, s20
	v_mul_lo_u32 v2, v2, s21
	s_cbranch_vccnz .LBB101_53
; %bb.52:
	v_mul_hi_u32 v3, s42, v1
	v_add_u32_e32 v3, v1, v3
	v_lshrrev_b32_e32 v3, s43, v3
	v_mul_lo_u32 v3, v3, s27
	v_sub_u32_e32 v3, v1, v3
	v_mad_u64_u32 v[0:1], s[0:1], v3, s22, v[0:1]
	v_mad_u64_u32 v[2:3], s[0:1], v3, s23, v[2:3]
.LBB101_53:
	s_waitcnt lgkmcnt(0)
	global_load_dword v1, v2, s[18:19]
	s_cmp_lt_i32 s40, 1
	s_mov_b64 s[0:1], 0
	s_cbranch_scc1 .LBB101_57
; %bb.54:
	s_cmp_gt_i32 s40, 1
	s_cbranch_scc0 .LBB101_58
; %bb.55:
	s_cmp_eq_u32 s40, 2
	s_cbranch_scc0 .LBB101_471
; %bb.56:
	s_waitcnt vmcnt(0)
	v_cmp_ge_f32_e64 s[2:3], s41, v1
	s_mov_b64 s[4:5], 0
	s_branch .LBB101_60
.LBB101_57:
                                        ; implicit-def: $sgpr2_sgpr3
	s_mov_b64 s[4:5], 0
	s_cbranch_execnz .LBB101_61
	s_branch .LBB101_62
.LBB101_58:
	s_mov_b64 s[4:5], 0
                                        ; implicit-def: $sgpr2_sgpr3
	s_cbranch_execz .LBB101_60
; %bb.59:
	s_waitcnt vmcnt(0)
	v_cmp_lt_f32_e32 vcc, s41, v1
	s_andn2_b64 s[2:3], s[2:3], exec
	s_and_b64 s[6:7], vcc, exec
	s_or_b64 s[2:3], s[2:3], s[6:7]
.LBB101_60:
	s_branch .LBB101_62
.LBB101_61:
	s_cmp_lg_u32 s40, 0
	s_mov_b64 s[0:1], -1
	s_cselect_b64 s[4:5], -1, 0
.LBB101_62:
	s_andn2_b64 vcc, exec, s[4:5]
	s_cbranch_vccz .LBB101_71
; %bb.63:
	s_andn2_b64 vcc, exec, s[0:1]
	s_cbranch_vccnz .LBB101_65
.LBB101_64:
	s_waitcnt vmcnt(0)
	v_cmp_le_f32_e32 vcc, s41, v1
	s_andn2_b64 s[0:1], s[2:3], exec
	s_and_b64 s[2:3], vcc, exec
	s_or_b64 s[2:3], s[0:1], s[2:3]
.LBB101_65:
	s_waitcnt vmcnt(0)
	v_cndmask_b32_e64 v1, 0, 1, s[2:3]
	v_add_u32_e32 v15, 0x80, v15
	global_store_byte v0, v1, s[16:17]
	s_or_b64 exec, exec, s[50:51]
	v_cmp_gt_i32_e32 vcc, s57, v15
	s_and_saveexec_b64 s[50:51], vcc
	s_cbranch_execz .LBB101_4
.LBB101_66:
	s_andn2_b64 vcc, exec, s[36:37]
	s_cbranch_vccnz .LBB101_72
; %bb.67:
	s_andn2_b64 vcc, exec, s[48:49]
	s_cbranch_vccnz .LBB101_73
; %bb.68:
	s_add_i32 s60, s58, 1
	s_cmp_eq_u32 s56, 2
	s_cbranch_scc1 .LBB101_74
; %bb.69:
	s_and_b32 s59, s60, 28
	v_mov_b32_e32 v2, 0
	s_mov_b32 s61, 0
	s_mov_b64 s[52:53], s[34:35]
	s_mov_b64 s[54:55], s[46:47]
	v_mov_b32_e32 v0, 0
	v_mov_b32_e32 v1, v15
.LBB101_70:                             ; =>This Inner Loop Header: Depth=1
	s_load_dwordx8 s[8:15], s[52:53], 0x4
	s_load_dwordx4 s[28:31], s[52:53], 0x24
	s_load_dwordx8 s[0:7], s[54:55], 0x0
	s_add_u32 s52, s52, 48
	s_addc_u32 s53, s53, 0
	s_waitcnt lgkmcnt(0)
	v_mul_hi_u32 v3, s9, v1
	s_add_i32 s61, s61, 4
	s_add_u32 s54, s54, 32
	s_addc_u32 s55, s55, 0
	v_add_u32_e32 v3, v1, v3
	v_lshrrev_b32_e32 v3, s10, v3
	v_mul_lo_u32 v4, v3, s8
	v_mul_hi_u32 v5, s12, v3
	s_cmp_eq_u32 s59, s61
	v_sub_u32_e32 v1, v1, v4
	v_add_u32_e32 v4, v3, v5
	v_mul_lo_u32 v5, v1, s0
	v_mul_lo_u32 v6, v1, s1
	v_lshrrev_b32_e32 v1, s13, v4
	v_mul_lo_u32 v4, v1, s11
	v_mul_hi_u32 v7, s15, v1
	v_sub_u32_e32 v3, v3, v4
	v_add_u32_e32 v4, v1, v7
	v_lshrrev_b32_e32 v4, s28, v4
	v_mul_hi_u32 v8, s30, v4
	v_mul_lo_u32 v9, v4, s14
	v_mul_lo_u32 v7, v3, s2
	;; [unrolled: 1-line block ×3, first 2 shown]
	v_sub_u32_e32 v9, v1, v9
	v_add_u32_e32 v1, v4, v8
	v_lshrrev_b32_e32 v1, s31, v1
	v_mul_lo_u32 v8, v1, s29
	v_mul_lo_u32 v10, v9, s4
	;; [unrolled: 1-line block ×3, first 2 shown]
	v_add3_u32 v0, v5, v0, v7
	v_sub_u32_e32 v4, v4, v8
	v_mul_lo_u32 v8, v4, s6
	v_mul_lo_u32 v4, v4, s7
	v_add3_u32 v2, v6, v2, v3
	v_add3_u32 v0, v10, v0, v8
	;; [unrolled: 1-line block ×3, first 2 shown]
	s_cbranch_scc0 .LBB101_70
	s_branch .LBB101_75
.LBB101_71:
	s_waitcnt vmcnt(0)
	v_cmp_gt_f32_e32 vcc, s41, v1
	s_andn2_b64 s[2:3], s[2:3], exec
	s_and_b64 s[4:5], vcc, exec
	s_or_b64 s[2:3], s[2:3], s[4:5]
	s_cbranch_execz .LBB101_64
	s_branch .LBB101_65
.LBB101_72:
                                        ; implicit-def: $vgpr0
                                        ; implicit-def: $vgpr2
	s_branch .LBB101_79
.LBB101_73:
	v_mov_b32_e32 v0, 0
	v_mov_b32_e32 v2, 0
	s_branch .LBB101_78
.LBB101_74:
	s_mov_b32 s59, 0
	v_mov_b32_e32 v0, 0
	v_mov_b32_e32 v2, 0
	;; [unrolled: 1-line block ×3, first 2 shown]
.LBB101_75:
	s_and_b32 s4, s60, 3
	s_cmp_eq_u32 s4, 0
	s_cbranch_scc1 .LBB101_78
; %bb.76:
	s_lshl_b32 s0, s59, 3
	s_add_u32 s0, s34, s0
	s_addc_u32 s1, s35, 0
	s_add_u32 s0, s0, 0xc4
	s_addc_u32 s1, s1, 0
	s_mul_i32 s2, s59, 12
	s_add_u32 s2, s34, s2
	s_addc_u32 s3, s35, 0
.LBB101_77:                             ; =>This Inner Loop Header: Depth=1
	s_load_dwordx2 s[6:7], s[2:3], 0x4
	s_load_dword s5, s[2:3], 0xc
	s_load_dwordx2 s[8:9], s[0:1], 0x0
	s_add_u32 s2, s2, 12
	s_addc_u32 s3, s3, 0
	s_waitcnt lgkmcnt(0)
	v_mul_hi_u32 v3, s7, v1
	s_add_u32 s0, s0, 8
	s_addc_u32 s1, s1, 0
	s_add_i32 s4, s4, -1
	v_add_u32_e32 v3, v1, v3
	v_lshrrev_b32_e32 v4, s5, v3
	v_mul_lo_u32 v3, v4, s6
	s_cmp_lg_u32 s4, 0
	v_sub_u32_e32 v3, v1, v3
	v_mad_u64_u32 v[0:1], s[6:7], v3, s8, v[0:1]
	v_mad_u64_u32 v[2:3], s[6:7], v3, s9, v[2:3]
	v_mov_b32_e32 v1, v4
	s_cbranch_scc1 .LBB101_77
.LBB101_78:
	s_cbranch_execnz .LBB101_81
.LBB101_79:
	s_waitcnt lgkmcnt(0)
	v_mul_hi_u32 v0, s25, v15
	s_andn2_b64 vcc, exec, s[44:45]
	v_add_u32_e32 v0, v15, v0
	v_lshrrev_b32_e32 v1, s26, v0
	v_mul_lo_u32 v0, v1, s24
	v_sub_u32_e32 v2, v15, v0
	v_mul_lo_u32 v0, v2, s20
	v_mul_lo_u32 v2, v2, s21
	s_cbranch_vccnz .LBB101_81
; %bb.80:
	v_mul_hi_u32 v3, s42, v1
	v_add_u32_e32 v3, v1, v3
	v_lshrrev_b32_e32 v3, s43, v3
	v_mul_lo_u32 v3, v3, s27
	v_sub_u32_e32 v3, v1, v3
	v_mad_u64_u32 v[0:1], s[0:1], v3, s22, v[0:1]
	v_mad_u64_u32 v[2:3], s[0:1], v3, s23, v[2:3]
.LBB101_81:
	s_waitcnt lgkmcnt(0)
	global_load_dword v1, v2, s[18:19]
	s_cmp_lt_i32 s40, 1
	s_mov_b64 s[0:1], 0
	s_cbranch_scc1 .LBB101_85
; %bb.82:
	s_cmp_gt_i32 s40, 1
	s_cbranch_scc0 .LBB101_86
; %bb.83:
	s_cmp_eq_u32 s40, 2
	s_cbranch_scc0 .LBB101_472
; %bb.84:
	s_waitcnt vmcnt(0)
	v_cmp_ge_f32_e64 s[2:3], s41, v1
	s_mov_b64 s[4:5], 0
	s_branch .LBB101_88
.LBB101_85:
                                        ; implicit-def: $sgpr2_sgpr3
	s_mov_b64 s[4:5], 0
	s_cbranch_execnz .LBB101_89
	s_branch .LBB101_90
.LBB101_86:
	s_mov_b64 s[4:5], 0
                                        ; implicit-def: $sgpr2_sgpr3
	s_cbranch_execz .LBB101_88
; %bb.87:
	s_waitcnt vmcnt(0)
	v_cmp_lt_f32_e32 vcc, s41, v1
	s_andn2_b64 s[2:3], s[2:3], exec
	s_and_b64 s[6:7], vcc, exec
	s_or_b64 s[2:3], s[2:3], s[6:7]
.LBB101_88:
	s_branch .LBB101_90
.LBB101_89:
	s_cmp_lg_u32 s40, 0
	s_mov_b64 s[0:1], -1
	s_cselect_b64 s[4:5], -1, 0
.LBB101_90:
	s_andn2_b64 vcc, exec, s[4:5]
	s_cbranch_vccz .LBB101_99
; %bb.91:
	s_andn2_b64 vcc, exec, s[0:1]
	s_cbranch_vccnz .LBB101_93
.LBB101_92:
	s_waitcnt vmcnt(0)
	v_cmp_le_f32_e32 vcc, s41, v1
	s_andn2_b64 s[0:1], s[2:3], exec
	s_and_b64 s[2:3], vcc, exec
	s_or_b64 s[2:3], s[0:1], s[2:3]
.LBB101_93:
	s_waitcnt vmcnt(0)
	v_cndmask_b32_e64 v1, 0, 1, s[2:3]
	v_add_u32_e32 v15, 0x80, v15
	global_store_byte v0, v1, s[16:17]
	s_or_b64 exec, exec, s[50:51]
	v_cmp_gt_i32_e32 vcc, s57, v15
	s_and_saveexec_b64 s[50:51], vcc
	s_cbranch_execz .LBB101_5
.LBB101_94:
	s_andn2_b64 vcc, exec, s[36:37]
	s_cbranch_vccnz .LBB101_100
; %bb.95:
	s_andn2_b64 vcc, exec, s[48:49]
	s_cbranch_vccnz .LBB101_101
; %bb.96:
	s_add_i32 s60, s58, 1
	s_cmp_eq_u32 s56, 2
	s_cbranch_scc1 .LBB101_102
; %bb.97:
	s_and_b32 s59, s60, 28
	v_mov_b32_e32 v2, 0
	s_mov_b32 s61, 0
	s_mov_b64 s[52:53], s[34:35]
	s_mov_b64 s[54:55], s[46:47]
	v_mov_b32_e32 v0, 0
	v_mov_b32_e32 v1, v15
.LBB101_98:                             ; =>This Inner Loop Header: Depth=1
	s_load_dwordx8 s[8:15], s[52:53], 0x4
	s_load_dwordx4 s[28:31], s[52:53], 0x24
	s_load_dwordx8 s[0:7], s[54:55], 0x0
	s_add_u32 s52, s52, 48
	s_addc_u32 s53, s53, 0
	s_waitcnt lgkmcnt(0)
	v_mul_hi_u32 v3, s9, v1
	s_add_i32 s61, s61, 4
	s_add_u32 s54, s54, 32
	s_addc_u32 s55, s55, 0
	v_add_u32_e32 v3, v1, v3
	v_lshrrev_b32_e32 v3, s10, v3
	v_mul_lo_u32 v4, v3, s8
	v_mul_hi_u32 v5, s12, v3
	s_cmp_eq_u32 s59, s61
	v_sub_u32_e32 v1, v1, v4
	v_add_u32_e32 v4, v3, v5
	v_mul_lo_u32 v5, v1, s0
	v_mul_lo_u32 v6, v1, s1
	v_lshrrev_b32_e32 v1, s13, v4
	v_mul_lo_u32 v4, v1, s11
	v_mul_hi_u32 v7, s15, v1
	v_sub_u32_e32 v3, v3, v4
	v_add_u32_e32 v4, v1, v7
	v_lshrrev_b32_e32 v4, s28, v4
	v_mul_hi_u32 v8, s30, v4
	v_mul_lo_u32 v9, v4, s14
	v_mul_lo_u32 v7, v3, s2
	v_mul_lo_u32 v3, v3, s3
	v_sub_u32_e32 v9, v1, v9
	v_add_u32_e32 v1, v4, v8
	v_lshrrev_b32_e32 v1, s31, v1
	v_mul_lo_u32 v8, v1, s29
	v_mul_lo_u32 v10, v9, s4
	;; [unrolled: 1-line block ×3, first 2 shown]
	v_add3_u32 v0, v5, v0, v7
	v_sub_u32_e32 v4, v4, v8
	v_mul_lo_u32 v8, v4, s6
	v_mul_lo_u32 v4, v4, s7
	v_add3_u32 v2, v6, v2, v3
	v_add3_u32 v0, v10, v0, v8
	;; [unrolled: 1-line block ×3, first 2 shown]
	s_cbranch_scc0 .LBB101_98
	s_branch .LBB101_103
.LBB101_99:
	s_waitcnt vmcnt(0)
	v_cmp_gt_f32_e32 vcc, s41, v1
	s_andn2_b64 s[2:3], s[2:3], exec
	s_and_b64 s[4:5], vcc, exec
	s_or_b64 s[2:3], s[2:3], s[4:5]
	s_cbranch_execz .LBB101_92
	s_branch .LBB101_93
.LBB101_100:
                                        ; implicit-def: $vgpr0
                                        ; implicit-def: $vgpr2
	s_branch .LBB101_107
.LBB101_101:
	v_mov_b32_e32 v0, 0
	v_mov_b32_e32 v2, 0
	s_branch .LBB101_106
.LBB101_102:
	s_mov_b32 s59, 0
	v_mov_b32_e32 v0, 0
	v_mov_b32_e32 v2, 0
	;; [unrolled: 1-line block ×3, first 2 shown]
.LBB101_103:
	s_and_b32 s4, s60, 3
	s_cmp_eq_u32 s4, 0
	s_cbranch_scc1 .LBB101_106
; %bb.104:
	s_lshl_b32 s0, s59, 3
	s_add_u32 s0, s34, s0
	s_addc_u32 s1, s35, 0
	s_add_u32 s0, s0, 0xc4
	s_addc_u32 s1, s1, 0
	s_mul_i32 s2, s59, 12
	s_add_u32 s2, s34, s2
	s_addc_u32 s3, s35, 0
.LBB101_105:                            ; =>This Inner Loop Header: Depth=1
	s_load_dwordx2 s[6:7], s[2:3], 0x4
	s_load_dword s5, s[2:3], 0xc
	s_load_dwordx2 s[8:9], s[0:1], 0x0
	s_add_u32 s2, s2, 12
	s_addc_u32 s3, s3, 0
	s_waitcnt lgkmcnt(0)
	v_mul_hi_u32 v3, s7, v1
	s_add_u32 s0, s0, 8
	s_addc_u32 s1, s1, 0
	s_add_i32 s4, s4, -1
	v_add_u32_e32 v3, v1, v3
	v_lshrrev_b32_e32 v4, s5, v3
	v_mul_lo_u32 v3, v4, s6
	s_cmp_lg_u32 s4, 0
	v_sub_u32_e32 v3, v1, v3
	v_mad_u64_u32 v[0:1], s[6:7], v3, s8, v[0:1]
	v_mad_u64_u32 v[2:3], s[6:7], v3, s9, v[2:3]
	v_mov_b32_e32 v1, v4
	s_cbranch_scc1 .LBB101_105
.LBB101_106:
	s_cbranch_execnz .LBB101_109
.LBB101_107:
	s_waitcnt lgkmcnt(0)
	v_mul_hi_u32 v0, s25, v15
	s_andn2_b64 vcc, exec, s[44:45]
	v_add_u32_e32 v0, v15, v0
	v_lshrrev_b32_e32 v1, s26, v0
	v_mul_lo_u32 v0, v1, s24
	v_sub_u32_e32 v2, v15, v0
	v_mul_lo_u32 v0, v2, s20
	v_mul_lo_u32 v2, v2, s21
	s_cbranch_vccnz .LBB101_109
; %bb.108:
	v_mul_hi_u32 v3, s42, v1
	v_add_u32_e32 v3, v1, v3
	v_lshrrev_b32_e32 v3, s43, v3
	v_mul_lo_u32 v3, v3, s27
	v_sub_u32_e32 v3, v1, v3
	v_mad_u64_u32 v[0:1], s[0:1], v3, s22, v[0:1]
	v_mad_u64_u32 v[2:3], s[0:1], v3, s23, v[2:3]
.LBB101_109:
	s_waitcnt lgkmcnt(0)
	global_load_dword v1, v2, s[18:19]
	s_cmp_lt_i32 s40, 1
	s_mov_b64 s[0:1], 0
	s_cbranch_scc1 .LBB101_113
; %bb.110:
	s_cmp_gt_i32 s40, 1
	s_cbranch_scc0 .LBB101_114
; %bb.111:
	s_cmp_eq_u32 s40, 2
	s_cbranch_scc0 .LBB101_473
; %bb.112:
	s_waitcnt vmcnt(0)
	v_cmp_ge_f32_e64 s[2:3], s41, v1
	s_mov_b64 s[4:5], 0
	s_branch .LBB101_116
.LBB101_113:
                                        ; implicit-def: $sgpr2_sgpr3
	s_mov_b64 s[4:5], 0
	s_cbranch_execnz .LBB101_117
	s_branch .LBB101_118
.LBB101_114:
	s_mov_b64 s[4:5], 0
                                        ; implicit-def: $sgpr2_sgpr3
	s_cbranch_execz .LBB101_116
; %bb.115:
	s_waitcnt vmcnt(0)
	v_cmp_lt_f32_e32 vcc, s41, v1
	s_andn2_b64 s[2:3], s[2:3], exec
	s_and_b64 s[6:7], vcc, exec
	s_or_b64 s[2:3], s[2:3], s[6:7]
.LBB101_116:
	s_branch .LBB101_118
.LBB101_117:
	s_cmp_lg_u32 s40, 0
	s_mov_b64 s[0:1], -1
	s_cselect_b64 s[4:5], -1, 0
.LBB101_118:
	s_andn2_b64 vcc, exec, s[4:5]
	s_cbranch_vccz .LBB101_127
; %bb.119:
	s_andn2_b64 vcc, exec, s[0:1]
	s_cbranch_vccnz .LBB101_121
.LBB101_120:
	s_waitcnt vmcnt(0)
	v_cmp_le_f32_e32 vcc, s41, v1
	s_andn2_b64 s[0:1], s[2:3], exec
	s_and_b64 s[2:3], vcc, exec
	s_or_b64 s[2:3], s[0:1], s[2:3]
.LBB101_121:
	s_waitcnt vmcnt(0)
	v_cndmask_b32_e64 v1, 0, 1, s[2:3]
	v_add_u32_e32 v15, 0x80, v15
	global_store_byte v0, v1, s[16:17]
	s_or_b64 exec, exec, s[50:51]
	v_cmp_gt_i32_e32 vcc, s57, v15
	s_and_saveexec_b64 s[50:51], vcc
	s_cbranch_execz .LBB101_6
.LBB101_122:
	s_andn2_b64 vcc, exec, s[36:37]
	s_cbranch_vccnz .LBB101_128
; %bb.123:
	s_andn2_b64 vcc, exec, s[48:49]
	s_cbranch_vccnz .LBB101_129
; %bb.124:
	s_add_i32 s60, s58, 1
	s_cmp_eq_u32 s56, 2
	s_cbranch_scc1 .LBB101_130
; %bb.125:
	s_and_b32 s59, s60, 28
	v_mov_b32_e32 v2, 0
	s_mov_b32 s61, 0
	s_mov_b64 s[52:53], s[34:35]
	s_mov_b64 s[54:55], s[46:47]
	v_mov_b32_e32 v0, 0
	v_mov_b32_e32 v1, v15
.LBB101_126:                            ; =>This Inner Loop Header: Depth=1
	s_load_dwordx8 s[8:15], s[52:53], 0x4
	s_load_dwordx4 s[28:31], s[52:53], 0x24
	s_load_dwordx8 s[0:7], s[54:55], 0x0
	s_add_u32 s52, s52, 48
	s_addc_u32 s53, s53, 0
	s_waitcnt lgkmcnt(0)
	v_mul_hi_u32 v3, s9, v1
	s_add_i32 s61, s61, 4
	s_add_u32 s54, s54, 32
	s_addc_u32 s55, s55, 0
	v_add_u32_e32 v3, v1, v3
	v_lshrrev_b32_e32 v3, s10, v3
	v_mul_lo_u32 v4, v3, s8
	v_mul_hi_u32 v5, s12, v3
	s_cmp_eq_u32 s59, s61
	v_sub_u32_e32 v1, v1, v4
	v_add_u32_e32 v4, v3, v5
	v_mul_lo_u32 v5, v1, s0
	v_mul_lo_u32 v6, v1, s1
	v_lshrrev_b32_e32 v1, s13, v4
	v_mul_lo_u32 v4, v1, s11
	v_mul_hi_u32 v7, s15, v1
	v_sub_u32_e32 v3, v3, v4
	v_add_u32_e32 v4, v1, v7
	v_lshrrev_b32_e32 v4, s28, v4
	v_mul_hi_u32 v8, s30, v4
	v_mul_lo_u32 v9, v4, s14
	v_mul_lo_u32 v7, v3, s2
	;; [unrolled: 1-line block ×3, first 2 shown]
	v_sub_u32_e32 v9, v1, v9
	v_add_u32_e32 v1, v4, v8
	v_lshrrev_b32_e32 v1, s31, v1
	v_mul_lo_u32 v8, v1, s29
	v_mul_lo_u32 v10, v9, s4
	;; [unrolled: 1-line block ×3, first 2 shown]
	v_add3_u32 v0, v5, v0, v7
	v_sub_u32_e32 v4, v4, v8
	v_mul_lo_u32 v8, v4, s6
	v_mul_lo_u32 v4, v4, s7
	v_add3_u32 v2, v6, v2, v3
	v_add3_u32 v0, v10, v0, v8
	;; [unrolled: 1-line block ×3, first 2 shown]
	s_cbranch_scc0 .LBB101_126
	s_branch .LBB101_131
.LBB101_127:
	s_waitcnt vmcnt(0)
	v_cmp_gt_f32_e32 vcc, s41, v1
	s_andn2_b64 s[2:3], s[2:3], exec
	s_and_b64 s[4:5], vcc, exec
	s_or_b64 s[2:3], s[2:3], s[4:5]
	s_cbranch_execz .LBB101_120
	s_branch .LBB101_121
.LBB101_128:
                                        ; implicit-def: $vgpr0
                                        ; implicit-def: $vgpr2
	s_branch .LBB101_135
.LBB101_129:
	v_mov_b32_e32 v0, 0
	v_mov_b32_e32 v2, 0
	s_branch .LBB101_134
.LBB101_130:
	s_mov_b32 s59, 0
	v_mov_b32_e32 v0, 0
	v_mov_b32_e32 v2, 0
	;; [unrolled: 1-line block ×3, first 2 shown]
.LBB101_131:
	s_and_b32 s4, s60, 3
	s_cmp_eq_u32 s4, 0
	s_cbranch_scc1 .LBB101_134
; %bb.132:
	s_lshl_b32 s0, s59, 3
	s_add_u32 s0, s34, s0
	s_addc_u32 s1, s35, 0
	s_add_u32 s0, s0, 0xc4
	s_addc_u32 s1, s1, 0
	s_mul_i32 s2, s59, 12
	s_add_u32 s2, s34, s2
	s_addc_u32 s3, s35, 0
.LBB101_133:                            ; =>This Inner Loop Header: Depth=1
	s_load_dwordx2 s[6:7], s[2:3], 0x4
	s_load_dword s5, s[2:3], 0xc
	s_load_dwordx2 s[8:9], s[0:1], 0x0
	s_add_u32 s2, s2, 12
	s_addc_u32 s3, s3, 0
	s_waitcnt lgkmcnt(0)
	v_mul_hi_u32 v3, s7, v1
	s_add_u32 s0, s0, 8
	s_addc_u32 s1, s1, 0
	s_add_i32 s4, s4, -1
	v_add_u32_e32 v3, v1, v3
	v_lshrrev_b32_e32 v4, s5, v3
	v_mul_lo_u32 v3, v4, s6
	s_cmp_lg_u32 s4, 0
	v_sub_u32_e32 v3, v1, v3
	v_mad_u64_u32 v[0:1], s[6:7], v3, s8, v[0:1]
	v_mad_u64_u32 v[2:3], s[6:7], v3, s9, v[2:3]
	v_mov_b32_e32 v1, v4
	s_cbranch_scc1 .LBB101_133
.LBB101_134:
	s_cbranch_execnz .LBB101_137
.LBB101_135:
	s_waitcnt lgkmcnt(0)
	v_mul_hi_u32 v0, s25, v15
	s_andn2_b64 vcc, exec, s[44:45]
	v_add_u32_e32 v0, v15, v0
	v_lshrrev_b32_e32 v1, s26, v0
	v_mul_lo_u32 v0, v1, s24
	v_sub_u32_e32 v2, v15, v0
	v_mul_lo_u32 v0, v2, s20
	v_mul_lo_u32 v2, v2, s21
	s_cbranch_vccnz .LBB101_137
; %bb.136:
	v_mul_hi_u32 v3, s42, v1
	v_add_u32_e32 v3, v1, v3
	v_lshrrev_b32_e32 v3, s43, v3
	v_mul_lo_u32 v3, v3, s27
	v_sub_u32_e32 v3, v1, v3
	v_mad_u64_u32 v[0:1], s[0:1], v3, s22, v[0:1]
	v_mad_u64_u32 v[2:3], s[0:1], v3, s23, v[2:3]
.LBB101_137:
	s_waitcnt lgkmcnt(0)
	global_load_dword v1, v2, s[18:19]
	s_cmp_lt_i32 s40, 1
	s_mov_b64 s[0:1], 0
	s_cbranch_scc1 .LBB101_141
; %bb.138:
	s_cmp_gt_i32 s40, 1
	s_cbranch_scc0 .LBB101_142
; %bb.139:
	s_cmp_eq_u32 s40, 2
	s_cbranch_scc0 .LBB101_474
; %bb.140:
	s_waitcnt vmcnt(0)
	v_cmp_ge_f32_e64 s[2:3], s41, v1
	s_mov_b64 s[4:5], 0
	s_branch .LBB101_144
.LBB101_141:
                                        ; implicit-def: $sgpr2_sgpr3
	s_mov_b64 s[4:5], 0
	s_cbranch_execnz .LBB101_145
	s_branch .LBB101_146
.LBB101_142:
	s_mov_b64 s[4:5], 0
                                        ; implicit-def: $sgpr2_sgpr3
	s_cbranch_execz .LBB101_144
; %bb.143:
	s_waitcnt vmcnt(0)
	v_cmp_lt_f32_e32 vcc, s41, v1
	s_andn2_b64 s[2:3], s[2:3], exec
	s_and_b64 s[6:7], vcc, exec
	s_or_b64 s[2:3], s[2:3], s[6:7]
.LBB101_144:
	s_branch .LBB101_146
.LBB101_145:
	s_cmp_lg_u32 s40, 0
	s_mov_b64 s[0:1], -1
	s_cselect_b64 s[4:5], -1, 0
.LBB101_146:
	s_andn2_b64 vcc, exec, s[4:5]
	s_cbranch_vccz .LBB101_155
; %bb.147:
	s_andn2_b64 vcc, exec, s[0:1]
	s_cbranch_vccnz .LBB101_149
.LBB101_148:
	s_waitcnt vmcnt(0)
	v_cmp_le_f32_e32 vcc, s41, v1
	s_andn2_b64 s[0:1], s[2:3], exec
	s_and_b64 s[2:3], vcc, exec
	s_or_b64 s[2:3], s[0:1], s[2:3]
.LBB101_149:
	s_waitcnt vmcnt(0)
	v_cndmask_b32_e64 v1, 0, 1, s[2:3]
	v_add_u32_e32 v15, 0x80, v15
	global_store_byte v0, v1, s[16:17]
	s_or_b64 exec, exec, s[50:51]
	v_cmp_gt_i32_e32 vcc, s57, v15
	s_and_saveexec_b64 s[50:51], vcc
	s_cbranch_execz .LBB101_7
.LBB101_150:
	s_andn2_b64 vcc, exec, s[36:37]
	s_cbranch_vccnz .LBB101_156
; %bb.151:
	s_andn2_b64 vcc, exec, s[48:49]
	s_cbranch_vccnz .LBB101_157
; %bb.152:
	s_add_i32 s60, s58, 1
	s_cmp_eq_u32 s56, 2
	s_cbranch_scc1 .LBB101_158
; %bb.153:
	s_and_b32 s59, s60, 28
	v_mov_b32_e32 v2, 0
	s_mov_b32 s61, 0
	s_mov_b64 s[52:53], s[34:35]
	s_mov_b64 s[54:55], s[46:47]
	v_mov_b32_e32 v0, 0
	v_mov_b32_e32 v1, v15
.LBB101_154:                            ; =>This Inner Loop Header: Depth=1
	s_load_dwordx8 s[8:15], s[52:53], 0x4
	s_load_dwordx4 s[28:31], s[52:53], 0x24
	s_load_dwordx8 s[0:7], s[54:55], 0x0
	s_add_u32 s52, s52, 48
	s_addc_u32 s53, s53, 0
	s_waitcnt lgkmcnt(0)
	v_mul_hi_u32 v3, s9, v1
	s_add_i32 s61, s61, 4
	s_add_u32 s54, s54, 32
	s_addc_u32 s55, s55, 0
	v_add_u32_e32 v3, v1, v3
	v_lshrrev_b32_e32 v3, s10, v3
	v_mul_lo_u32 v4, v3, s8
	v_mul_hi_u32 v5, s12, v3
	s_cmp_eq_u32 s59, s61
	v_sub_u32_e32 v1, v1, v4
	v_add_u32_e32 v4, v3, v5
	v_mul_lo_u32 v5, v1, s0
	v_mul_lo_u32 v6, v1, s1
	v_lshrrev_b32_e32 v1, s13, v4
	v_mul_lo_u32 v4, v1, s11
	v_mul_hi_u32 v7, s15, v1
	v_sub_u32_e32 v3, v3, v4
	v_add_u32_e32 v4, v1, v7
	v_lshrrev_b32_e32 v4, s28, v4
	v_mul_hi_u32 v8, s30, v4
	v_mul_lo_u32 v9, v4, s14
	v_mul_lo_u32 v7, v3, s2
	;; [unrolled: 1-line block ×3, first 2 shown]
	v_sub_u32_e32 v9, v1, v9
	v_add_u32_e32 v1, v4, v8
	v_lshrrev_b32_e32 v1, s31, v1
	v_mul_lo_u32 v8, v1, s29
	v_mul_lo_u32 v10, v9, s4
	;; [unrolled: 1-line block ×3, first 2 shown]
	v_add3_u32 v0, v5, v0, v7
	v_sub_u32_e32 v4, v4, v8
	v_mul_lo_u32 v8, v4, s6
	v_mul_lo_u32 v4, v4, s7
	v_add3_u32 v2, v6, v2, v3
	v_add3_u32 v0, v10, v0, v8
	;; [unrolled: 1-line block ×3, first 2 shown]
	s_cbranch_scc0 .LBB101_154
	s_branch .LBB101_159
.LBB101_155:
	s_waitcnt vmcnt(0)
	v_cmp_gt_f32_e32 vcc, s41, v1
	s_andn2_b64 s[2:3], s[2:3], exec
	s_and_b64 s[4:5], vcc, exec
	s_or_b64 s[2:3], s[2:3], s[4:5]
	s_cbranch_execz .LBB101_148
	s_branch .LBB101_149
.LBB101_156:
                                        ; implicit-def: $vgpr0
                                        ; implicit-def: $vgpr2
	s_branch .LBB101_163
.LBB101_157:
	v_mov_b32_e32 v0, 0
	v_mov_b32_e32 v2, 0
	s_branch .LBB101_162
.LBB101_158:
	s_mov_b32 s59, 0
	v_mov_b32_e32 v0, 0
	v_mov_b32_e32 v2, 0
	;; [unrolled: 1-line block ×3, first 2 shown]
.LBB101_159:
	s_and_b32 s4, s60, 3
	s_cmp_eq_u32 s4, 0
	s_cbranch_scc1 .LBB101_162
; %bb.160:
	s_lshl_b32 s0, s59, 3
	s_add_u32 s0, s34, s0
	s_addc_u32 s1, s35, 0
	s_add_u32 s0, s0, 0xc4
	s_addc_u32 s1, s1, 0
	s_mul_i32 s2, s59, 12
	s_add_u32 s2, s34, s2
	s_addc_u32 s3, s35, 0
.LBB101_161:                            ; =>This Inner Loop Header: Depth=1
	s_load_dwordx2 s[6:7], s[2:3], 0x4
	s_load_dword s5, s[2:3], 0xc
	s_load_dwordx2 s[8:9], s[0:1], 0x0
	s_add_u32 s2, s2, 12
	s_addc_u32 s3, s3, 0
	s_waitcnt lgkmcnt(0)
	v_mul_hi_u32 v3, s7, v1
	s_add_u32 s0, s0, 8
	s_addc_u32 s1, s1, 0
	s_add_i32 s4, s4, -1
	v_add_u32_e32 v3, v1, v3
	v_lshrrev_b32_e32 v4, s5, v3
	v_mul_lo_u32 v3, v4, s6
	s_cmp_lg_u32 s4, 0
	v_sub_u32_e32 v3, v1, v3
	v_mad_u64_u32 v[0:1], s[6:7], v3, s8, v[0:1]
	v_mad_u64_u32 v[2:3], s[6:7], v3, s9, v[2:3]
	v_mov_b32_e32 v1, v4
	s_cbranch_scc1 .LBB101_161
.LBB101_162:
	s_cbranch_execnz .LBB101_165
.LBB101_163:
	s_waitcnt lgkmcnt(0)
	v_mul_hi_u32 v0, s25, v15
	s_andn2_b64 vcc, exec, s[44:45]
	v_add_u32_e32 v0, v15, v0
	v_lshrrev_b32_e32 v1, s26, v0
	v_mul_lo_u32 v0, v1, s24
	v_sub_u32_e32 v2, v15, v0
	v_mul_lo_u32 v0, v2, s20
	v_mul_lo_u32 v2, v2, s21
	s_cbranch_vccnz .LBB101_165
; %bb.164:
	v_mul_hi_u32 v3, s42, v1
	v_add_u32_e32 v3, v1, v3
	v_lshrrev_b32_e32 v3, s43, v3
	v_mul_lo_u32 v3, v3, s27
	v_sub_u32_e32 v3, v1, v3
	v_mad_u64_u32 v[0:1], s[0:1], v3, s22, v[0:1]
	v_mad_u64_u32 v[2:3], s[0:1], v3, s23, v[2:3]
.LBB101_165:
	s_waitcnt lgkmcnt(0)
	global_load_dword v1, v2, s[18:19]
	s_cmp_lt_i32 s40, 1
	s_mov_b64 s[0:1], 0
	s_cbranch_scc1 .LBB101_169
; %bb.166:
	s_cmp_gt_i32 s40, 1
	s_cbranch_scc0 .LBB101_170
; %bb.167:
	s_cmp_eq_u32 s40, 2
	s_cbranch_scc0 .LBB101_475
; %bb.168:
	s_waitcnt vmcnt(0)
	v_cmp_ge_f32_e64 s[2:3], s41, v1
	s_mov_b64 s[4:5], 0
	s_branch .LBB101_172
.LBB101_169:
                                        ; implicit-def: $sgpr2_sgpr3
	s_mov_b64 s[4:5], 0
	s_cbranch_execnz .LBB101_173
	s_branch .LBB101_174
.LBB101_170:
	s_mov_b64 s[4:5], 0
                                        ; implicit-def: $sgpr2_sgpr3
	s_cbranch_execz .LBB101_172
; %bb.171:
	s_waitcnt vmcnt(0)
	v_cmp_lt_f32_e32 vcc, s41, v1
	s_andn2_b64 s[2:3], s[2:3], exec
	s_and_b64 s[6:7], vcc, exec
	s_or_b64 s[2:3], s[2:3], s[6:7]
.LBB101_172:
	s_branch .LBB101_174
.LBB101_173:
	s_cmp_lg_u32 s40, 0
	s_mov_b64 s[0:1], -1
	s_cselect_b64 s[4:5], -1, 0
.LBB101_174:
	s_andn2_b64 vcc, exec, s[4:5]
	s_cbranch_vccz .LBB101_183
; %bb.175:
	s_andn2_b64 vcc, exec, s[0:1]
	s_cbranch_vccnz .LBB101_177
.LBB101_176:
	s_waitcnt vmcnt(0)
	v_cmp_le_f32_e32 vcc, s41, v1
	s_andn2_b64 s[0:1], s[2:3], exec
	s_and_b64 s[2:3], vcc, exec
	s_or_b64 s[2:3], s[0:1], s[2:3]
.LBB101_177:
	s_waitcnt vmcnt(0)
	v_cndmask_b32_e64 v1, 0, 1, s[2:3]
	v_add_u32_e32 v15, 0x80, v15
	global_store_byte v0, v1, s[16:17]
	s_or_b64 exec, exec, s[50:51]
	v_cmp_gt_i32_e32 vcc, s57, v15
	s_and_saveexec_b64 s[50:51], vcc
	s_cbranch_execz .LBB101_8
.LBB101_178:
	s_andn2_b64 vcc, exec, s[36:37]
	s_cbranch_vccnz .LBB101_184
; %bb.179:
	s_andn2_b64 vcc, exec, s[48:49]
	s_cbranch_vccnz .LBB101_185
; %bb.180:
	s_add_i32 s60, s58, 1
	s_cmp_eq_u32 s56, 2
	s_cbranch_scc1 .LBB101_186
; %bb.181:
	s_and_b32 s59, s60, 28
	v_mov_b32_e32 v2, 0
	s_mov_b32 s61, 0
	s_mov_b64 s[52:53], s[34:35]
	s_mov_b64 s[54:55], s[46:47]
	v_mov_b32_e32 v0, 0
	v_mov_b32_e32 v1, v15
.LBB101_182:                            ; =>This Inner Loop Header: Depth=1
	s_load_dwordx8 s[8:15], s[52:53], 0x4
	s_load_dwordx4 s[28:31], s[52:53], 0x24
	s_load_dwordx8 s[0:7], s[54:55], 0x0
	s_add_u32 s52, s52, 48
	s_addc_u32 s53, s53, 0
	s_waitcnt lgkmcnt(0)
	v_mul_hi_u32 v3, s9, v1
	s_add_i32 s61, s61, 4
	s_add_u32 s54, s54, 32
	s_addc_u32 s55, s55, 0
	v_add_u32_e32 v3, v1, v3
	v_lshrrev_b32_e32 v3, s10, v3
	v_mul_lo_u32 v4, v3, s8
	v_mul_hi_u32 v5, s12, v3
	s_cmp_eq_u32 s59, s61
	v_sub_u32_e32 v1, v1, v4
	v_add_u32_e32 v4, v3, v5
	v_mul_lo_u32 v5, v1, s0
	v_mul_lo_u32 v6, v1, s1
	v_lshrrev_b32_e32 v1, s13, v4
	v_mul_lo_u32 v4, v1, s11
	v_mul_hi_u32 v7, s15, v1
	v_sub_u32_e32 v3, v3, v4
	v_add_u32_e32 v4, v1, v7
	v_lshrrev_b32_e32 v4, s28, v4
	v_mul_hi_u32 v8, s30, v4
	v_mul_lo_u32 v9, v4, s14
	v_mul_lo_u32 v7, v3, s2
	;; [unrolled: 1-line block ×3, first 2 shown]
	v_sub_u32_e32 v9, v1, v9
	v_add_u32_e32 v1, v4, v8
	v_lshrrev_b32_e32 v1, s31, v1
	v_mul_lo_u32 v8, v1, s29
	v_mul_lo_u32 v10, v9, s4
	;; [unrolled: 1-line block ×3, first 2 shown]
	v_add3_u32 v0, v5, v0, v7
	v_sub_u32_e32 v4, v4, v8
	v_mul_lo_u32 v8, v4, s6
	v_mul_lo_u32 v4, v4, s7
	v_add3_u32 v2, v6, v2, v3
	v_add3_u32 v0, v10, v0, v8
	;; [unrolled: 1-line block ×3, first 2 shown]
	s_cbranch_scc0 .LBB101_182
	s_branch .LBB101_187
.LBB101_183:
	s_waitcnt vmcnt(0)
	v_cmp_gt_f32_e32 vcc, s41, v1
	s_andn2_b64 s[2:3], s[2:3], exec
	s_and_b64 s[4:5], vcc, exec
	s_or_b64 s[2:3], s[2:3], s[4:5]
	s_cbranch_execz .LBB101_176
	s_branch .LBB101_177
.LBB101_184:
                                        ; implicit-def: $vgpr0
                                        ; implicit-def: $vgpr2
	s_branch .LBB101_191
.LBB101_185:
	v_mov_b32_e32 v0, 0
	v_mov_b32_e32 v2, 0
	s_branch .LBB101_190
.LBB101_186:
	s_mov_b32 s59, 0
	v_mov_b32_e32 v0, 0
	v_mov_b32_e32 v2, 0
	;; [unrolled: 1-line block ×3, first 2 shown]
.LBB101_187:
	s_and_b32 s4, s60, 3
	s_cmp_eq_u32 s4, 0
	s_cbranch_scc1 .LBB101_190
; %bb.188:
	s_lshl_b32 s0, s59, 3
	s_add_u32 s0, s34, s0
	s_addc_u32 s1, s35, 0
	s_add_u32 s0, s0, 0xc4
	s_addc_u32 s1, s1, 0
	s_mul_i32 s2, s59, 12
	s_add_u32 s2, s34, s2
	s_addc_u32 s3, s35, 0
.LBB101_189:                            ; =>This Inner Loop Header: Depth=1
	s_load_dwordx2 s[6:7], s[2:3], 0x4
	s_load_dword s5, s[2:3], 0xc
	s_load_dwordx2 s[8:9], s[0:1], 0x0
	s_add_u32 s2, s2, 12
	s_addc_u32 s3, s3, 0
	s_waitcnt lgkmcnt(0)
	v_mul_hi_u32 v3, s7, v1
	s_add_u32 s0, s0, 8
	s_addc_u32 s1, s1, 0
	s_add_i32 s4, s4, -1
	v_add_u32_e32 v3, v1, v3
	v_lshrrev_b32_e32 v4, s5, v3
	v_mul_lo_u32 v3, v4, s6
	s_cmp_lg_u32 s4, 0
	v_sub_u32_e32 v3, v1, v3
	v_mad_u64_u32 v[0:1], s[6:7], v3, s8, v[0:1]
	v_mad_u64_u32 v[2:3], s[6:7], v3, s9, v[2:3]
	v_mov_b32_e32 v1, v4
	s_cbranch_scc1 .LBB101_189
.LBB101_190:
	s_cbranch_execnz .LBB101_193
.LBB101_191:
	s_waitcnt lgkmcnt(0)
	v_mul_hi_u32 v0, s25, v15
	s_andn2_b64 vcc, exec, s[44:45]
	v_add_u32_e32 v0, v15, v0
	v_lshrrev_b32_e32 v1, s26, v0
	v_mul_lo_u32 v0, v1, s24
	v_sub_u32_e32 v2, v15, v0
	v_mul_lo_u32 v0, v2, s20
	v_mul_lo_u32 v2, v2, s21
	s_cbranch_vccnz .LBB101_193
; %bb.192:
	v_mul_hi_u32 v3, s42, v1
	v_add_u32_e32 v3, v1, v3
	v_lshrrev_b32_e32 v3, s43, v3
	v_mul_lo_u32 v3, v3, s27
	v_sub_u32_e32 v3, v1, v3
	v_mad_u64_u32 v[0:1], s[0:1], v3, s22, v[0:1]
	v_mad_u64_u32 v[2:3], s[0:1], v3, s23, v[2:3]
.LBB101_193:
	s_waitcnt lgkmcnt(0)
	global_load_dword v1, v2, s[18:19]
	s_cmp_lt_i32 s40, 1
	s_mov_b64 s[0:1], 0
	s_cbranch_scc1 .LBB101_197
; %bb.194:
	s_cmp_gt_i32 s40, 1
	s_cbranch_scc0 .LBB101_198
; %bb.195:
	s_cmp_eq_u32 s40, 2
	s_cbranch_scc0 .LBB101_476
; %bb.196:
	s_waitcnt vmcnt(0)
	v_cmp_ge_f32_e64 s[2:3], s41, v1
	s_mov_b64 s[4:5], 0
	s_branch .LBB101_200
.LBB101_197:
                                        ; implicit-def: $sgpr2_sgpr3
	s_mov_b64 s[4:5], 0
	s_cbranch_execnz .LBB101_201
	s_branch .LBB101_202
.LBB101_198:
	s_mov_b64 s[4:5], 0
                                        ; implicit-def: $sgpr2_sgpr3
	s_cbranch_execz .LBB101_200
; %bb.199:
	s_waitcnt vmcnt(0)
	v_cmp_lt_f32_e32 vcc, s41, v1
	s_andn2_b64 s[2:3], s[2:3], exec
	s_and_b64 s[6:7], vcc, exec
	s_or_b64 s[2:3], s[2:3], s[6:7]
.LBB101_200:
	s_branch .LBB101_202
.LBB101_201:
	s_cmp_lg_u32 s40, 0
	s_mov_b64 s[0:1], -1
	s_cselect_b64 s[4:5], -1, 0
.LBB101_202:
	s_andn2_b64 vcc, exec, s[4:5]
	s_cbranch_vccz .LBB101_211
; %bb.203:
	s_andn2_b64 vcc, exec, s[0:1]
	s_cbranch_vccnz .LBB101_205
.LBB101_204:
	s_waitcnt vmcnt(0)
	v_cmp_le_f32_e32 vcc, s41, v1
	s_andn2_b64 s[0:1], s[2:3], exec
	s_and_b64 s[2:3], vcc, exec
	s_or_b64 s[2:3], s[0:1], s[2:3]
.LBB101_205:
	s_waitcnt vmcnt(0)
	v_cndmask_b32_e64 v1, 0, 1, s[2:3]
	v_add_u32_e32 v15, 0x80, v15
	global_store_byte v0, v1, s[16:17]
	s_or_b64 exec, exec, s[50:51]
	v_cmp_gt_i32_e32 vcc, s57, v15
	s_and_saveexec_b64 s[50:51], vcc
	s_cbranch_execz .LBB101_234
.LBB101_206:
	s_andn2_b64 vcc, exec, s[36:37]
	s_cbranch_vccnz .LBB101_212
; %bb.207:
	s_andn2_b64 vcc, exec, s[48:49]
	s_cbranch_vccnz .LBB101_213
; %bb.208:
	s_add_i32 s58, s58, 1
	s_cmp_eq_u32 s56, 2
	s_cbranch_scc1 .LBB101_214
; %bb.209:
	s_and_b32 s52, s58, 28
	v_mov_b32_e32 v2, 0
	s_mov_b32 s53, 0
	s_mov_b64 s[48:49], s[34:35]
	v_mov_b32_e32 v0, 0
	v_mov_b32_e32 v1, v15
.LBB101_210:                            ; =>This Inner Loop Header: Depth=1
	s_load_dwordx8 s[8:15], s[48:49], 0x4
	s_load_dwordx4 s[28:31], s[48:49], 0x24
	s_load_dwordx8 s[0:7], s[46:47], 0x0
	s_add_u32 s48, s48, 48
	s_addc_u32 s49, s49, 0
	s_waitcnt lgkmcnt(0)
	v_mul_hi_u32 v3, s9, v1
	s_add_i32 s53, s53, 4
	s_add_u32 s46, s46, 32
	s_addc_u32 s47, s47, 0
	v_add_u32_e32 v3, v1, v3
	v_lshrrev_b32_e32 v3, s10, v3
	v_mul_lo_u32 v4, v3, s8
	v_mul_hi_u32 v5, s12, v3
	s_cmp_eq_u32 s52, s53
	v_sub_u32_e32 v1, v1, v4
	v_add_u32_e32 v4, v3, v5
	v_mul_lo_u32 v5, v1, s0
	v_mul_lo_u32 v6, v1, s1
	v_lshrrev_b32_e32 v1, s13, v4
	v_mul_lo_u32 v4, v1, s11
	v_mul_hi_u32 v7, s15, v1
	v_sub_u32_e32 v3, v3, v4
	v_add_u32_e32 v4, v1, v7
	v_lshrrev_b32_e32 v4, s28, v4
	v_mul_hi_u32 v8, s30, v4
	v_mul_lo_u32 v9, v4, s14
	v_mul_lo_u32 v7, v3, s2
	;; [unrolled: 1-line block ×3, first 2 shown]
	v_sub_u32_e32 v9, v1, v9
	v_add_u32_e32 v1, v4, v8
	v_lshrrev_b32_e32 v1, s31, v1
	v_mul_lo_u32 v8, v1, s29
	v_mul_lo_u32 v10, v9, s4
	;; [unrolled: 1-line block ×3, first 2 shown]
	v_add3_u32 v0, v5, v0, v7
	v_sub_u32_e32 v4, v4, v8
	v_mul_lo_u32 v8, v4, s6
	v_mul_lo_u32 v4, v4, s7
	v_add3_u32 v2, v6, v2, v3
	v_add3_u32 v0, v10, v0, v8
	;; [unrolled: 1-line block ×3, first 2 shown]
	s_cbranch_scc0 .LBB101_210
	s_branch .LBB101_215
.LBB101_211:
	s_waitcnt vmcnt(0)
	v_cmp_gt_f32_e32 vcc, s41, v1
	s_andn2_b64 s[2:3], s[2:3], exec
	s_and_b64 s[4:5], vcc, exec
	s_or_b64 s[2:3], s[2:3], s[4:5]
	s_cbranch_execz .LBB101_204
	s_branch .LBB101_205
.LBB101_212:
                                        ; implicit-def: $vgpr0
                                        ; implicit-def: $vgpr2
	s_branch .LBB101_219
.LBB101_213:
	v_mov_b32_e32 v0, 0
	v_mov_b32_e32 v2, 0
	s_branch .LBB101_218
.LBB101_214:
	s_mov_b32 s52, 0
	v_mov_b32_e32 v0, 0
	v_mov_b32_e32 v2, 0
	;; [unrolled: 1-line block ×3, first 2 shown]
.LBB101_215:
	s_and_b32 s4, s58, 3
	s_cmp_eq_u32 s4, 0
	s_cbranch_scc1 .LBB101_218
; %bb.216:
	s_lshl_b32 s0, s52, 3
	s_add_u32 s0, s34, s0
	s_addc_u32 s1, s35, 0
	s_add_u32 s0, s0, 0xc4
	s_addc_u32 s1, s1, 0
	s_mul_i32 s2, s52, 12
	s_add_u32 s2, s34, s2
	s_addc_u32 s3, s35, 0
.LBB101_217:                            ; =>This Inner Loop Header: Depth=1
	s_load_dwordx2 s[6:7], s[2:3], 0x4
	s_load_dword s5, s[2:3], 0xc
	s_load_dwordx2 s[8:9], s[0:1], 0x0
	s_add_u32 s2, s2, 12
	s_addc_u32 s3, s3, 0
	s_waitcnt lgkmcnt(0)
	v_mul_hi_u32 v3, s7, v1
	s_add_u32 s0, s0, 8
	s_addc_u32 s1, s1, 0
	s_add_i32 s4, s4, -1
	v_add_u32_e32 v3, v1, v3
	v_lshrrev_b32_e32 v4, s5, v3
	v_mul_lo_u32 v3, v4, s6
	s_cmp_lg_u32 s4, 0
	v_sub_u32_e32 v3, v1, v3
	v_mad_u64_u32 v[0:1], s[6:7], v3, s8, v[0:1]
	v_mad_u64_u32 v[2:3], s[6:7], v3, s9, v[2:3]
	v_mov_b32_e32 v1, v4
	s_cbranch_scc1 .LBB101_217
.LBB101_218:
	s_cbranch_execnz .LBB101_221
.LBB101_219:
	s_waitcnt lgkmcnt(0)
	v_mul_hi_u32 v0, s25, v15
	s_andn2_b64 vcc, exec, s[44:45]
	v_add_u32_e32 v0, v15, v0
	v_lshrrev_b32_e32 v1, s26, v0
	v_mul_lo_u32 v0, v1, s24
	v_sub_u32_e32 v2, v15, v0
	v_mul_lo_u32 v0, v2, s20
	v_mul_lo_u32 v2, v2, s21
	s_cbranch_vccnz .LBB101_221
; %bb.220:
	v_mul_hi_u32 v3, s42, v1
	v_add_u32_e32 v3, v1, v3
	v_lshrrev_b32_e32 v3, s43, v3
	v_mul_lo_u32 v3, v3, s27
	v_sub_u32_e32 v3, v1, v3
	v_mad_u64_u32 v[0:1], s[0:1], v3, s22, v[0:1]
	v_mad_u64_u32 v[2:3], s[0:1], v3, s23, v[2:3]
.LBB101_221:
	s_waitcnt lgkmcnt(0)
	global_load_dword v1, v2, s[18:19]
	s_cmp_lt_i32 s40, 1
	s_mov_b64 s[0:1], 0
	s_cbranch_scc1 .LBB101_225
; %bb.222:
	s_cmp_gt_i32 s40, 1
	s_cbranch_scc0 .LBB101_226
; %bb.223:
	s_cmp_eq_u32 s40, 2
	s_cbranch_scc0 .LBB101_477
; %bb.224:
	s_waitcnt vmcnt(0)
	v_cmp_ge_f32_e64 s[2:3], s41, v1
	s_mov_b64 s[4:5], 0
	s_branch .LBB101_228
.LBB101_225:
                                        ; implicit-def: $sgpr2_sgpr3
	s_mov_b64 s[4:5], 0
	s_cbranch_execnz .LBB101_229
	s_branch .LBB101_230
.LBB101_226:
	s_mov_b64 s[4:5], 0
                                        ; implicit-def: $sgpr2_sgpr3
	s_cbranch_execz .LBB101_228
; %bb.227:
	s_waitcnt vmcnt(0)
	v_cmp_lt_f32_e32 vcc, s41, v1
	s_andn2_b64 s[2:3], s[2:3], exec
	s_and_b64 s[6:7], vcc, exec
	s_or_b64 s[2:3], s[2:3], s[6:7]
.LBB101_228:
	s_branch .LBB101_230
.LBB101_229:
	s_cmp_lg_u32 s40, 0
	s_mov_b64 s[0:1], -1
	s_cselect_b64 s[4:5], -1, 0
.LBB101_230:
	s_andn2_b64 vcc, exec, s[4:5]
	s_cbranch_vccz .LBB101_244
; %bb.231:
	s_andn2_b64 vcc, exec, s[0:1]
	s_cbranch_vccnz .LBB101_233
.LBB101_232:
	s_waitcnt vmcnt(0)
	v_cmp_le_f32_e32 vcc, s41, v1
	s_andn2_b64 s[0:1], s[2:3], exec
	s_and_b64 s[2:3], vcc, exec
	s_or_b64 s[2:3], s[0:1], s[2:3]
.LBB101_233:
	s_waitcnt vmcnt(0)
	v_cndmask_b32_e64 v1, 0, 1, s[2:3]
	global_store_byte v0, v1, s[16:17]
.LBB101_234:
	s_or_b64 exec, exec, s[50:51]
                                        ; implicit-def: $vgpr22
                                        ; implicit-def: $vgpr15
.LBB101_235:
	s_andn2_saveexec_b64 s[0:1], s[38:39]
	s_cbranch_execz .LBB101_242
; %bb.236:
	v_cndmask_b32_e64 v0, 0, 1, s[36:37]
	v_cmp_ne_u32_e64 s[0:1], 1, v0
	s_andn2_b64 vcc, exec, s[36:37]
	s_cbranch_vccnz .LBB101_243
; %bb.237:
	s_cmp_lg_u32 s33, 0
	s_waitcnt lgkmcnt(0)
	s_mov_b32 s26, 0
	s_cbranch_scc0 .LBB101_245
; %bb.238:
	s_min_u32 s27, s56, 15
	s_add_i32 s27, s27, 1
	s_cmp_eq_u32 s56, 2
	s_cbranch_scc1 .LBB101_246
; %bb.239:
	s_and_b32 s26, s27, 28
	s_add_u32 s2, s34, 0xc4
	s_addc_u32 s3, s35, 0
	v_mov_b32_e32 v5, 0
	s_mov_b32 s28, 0
	s_mov_b64 s[24:25], s[34:35]
	v_mov_b32_e32 v0, 0
	v_mov_b32_e32 v1, v15
.LBB101_240:                            ; =>This Inner Loop Header: Depth=1
	s_load_dwordx8 s[12:19], s[24:25], 0x4
	s_load_dwordx4 s[20:23], s[24:25], 0x24
	s_load_dwordx8 s[4:11], s[2:3], 0x0
	s_add_u32 s24, s24, 48
	s_addc_u32 s25, s25, 0
	s_waitcnt lgkmcnt(0)
	v_mul_hi_u32 v2, s13, v1
	s_add_i32 s28, s28, 4
	s_add_u32 s2, s2, 32
	s_addc_u32 s3, s3, 0
	v_add_u32_e32 v2, v1, v2
	v_lshrrev_b32_e32 v2, s14, v2
	v_mul_lo_u32 v3, v2, s12
	v_mul_hi_u32 v4, s16, v2
	s_cmp_lg_u32 s26, s28
	v_sub_u32_e32 v1, v1, v3
	v_add_u32_e32 v3, v2, v4
	v_mul_lo_u32 v4, v1, s4
	v_mul_lo_u32 v6, v1, s5
	v_lshrrev_b32_e32 v1, s17, v3
	v_mul_lo_u32 v3, v1, s15
	v_mul_hi_u32 v7, s19, v1
	v_sub_u32_e32 v2, v2, v3
	v_add_u32_e32 v3, v1, v7
	v_lshrrev_b32_e32 v3, s20, v3
	v_mul_hi_u32 v8, s22, v3
	v_mul_lo_u32 v9, v3, s18
	v_mul_lo_u32 v7, v2, s6
	;; [unrolled: 1-line block ×3, first 2 shown]
	v_sub_u32_e32 v9, v1, v9
	v_add_u32_e32 v1, v3, v8
	v_lshrrev_b32_e32 v1, s23, v1
	v_mul_lo_u32 v8, v1, s21
	v_mul_lo_u32 v10, v9, s8
	;; [unrolled: 1-line block ×3, first 2 shown]
	v_add3_u32 v0, v4, v0, v7
	v_sub_u32_e32 v3, v3, v8
	v_mul_lo_u32 v8, v3, s10
	v_mul_lo_u32 v3, v3, s11
	v_add3_u32 v2, v6, v5, v2
	v_add3_u32 v0, v10, v0, v8
	v_add3_u32 v5, v9, v2, v3
	s_cbranch_scc1 .LBB101_240
; %bb.241:
	s_and_b32 s6, s27, 3
	s_cmp_eq_u32 s6, 0
	s_cbranch_scc0 .LBB101_247
	s_branch .LBB101_249
.LBB101_242:
	s_endpgm
.LBB101_243:
                                        ; implicit-def: $vgpr0
                                        ; implicit-def: $vgpr5
	s_branch .LBB101_250
.LBB101_244:
	s_waitcnt vmcnt(0)
	v_cmp_gt_f32_e32 vcc, s41, v1
	s_andn2_b64 s[2:3], s[2:3], exec
	s_and_b64 s[4:5], vcc, exec
	s_or_b64 s[2:3], s[2:3], s[4:5]
	s_cbranch_execz .LBB101_232
	s_branch .LBB101_233
.LBB101_245:
	v_mov_b32_e32 v0, 0
	v_mov_b32_e32 v5, 0
	s_branch .LBB101_249
.LBB101_246:
	v_mov_b32_e32 v0, 0
	v_mov_b32_e32 v5, 0
	;; [unrolled: 1-line block ×3, first 2 shown]
	s_and_b32 s6, s27, 3
	s_cmp_eq_u32 s6, 0
	s_cbranch_scc1 .LBB101_249
.LBB101_247:
	s_lshl_b32 s2, s26, 3
	s_add_u32 s2, s34, s2
	s_addc_u32 s3, s35, 0
	s_add_u32 s2, s2, 0xc4
	s_addc_u32 s3, s3, 0
	s_mul_i32 s4, s26, 12
	s_add_u32 s4, s34, s4
	s_addc_u32 s5, s35, 0
.LBB101_248:                            ; =>This Inner Loop Header: Depth=1
	s_load_dwordx2 s[8:9], s[4:5], 0x4
	s_load_dword s7, s[4:5], 0xc
	s_load_dwordx2 s[10:11], s[2:3], 0x0
	s_add_u32 s4, s4, 12
	s_addc_u32 s5, s5, 0
	s_waitcnt lgkmcnt(0)
	v_mul_hi_u32 v2, s9, v1
	s_add_u32 s2, s2, 8
	s_addc_u32 s3, s3, 0
	s_add_i32 s6, s6, -1
	v_add_u32_e32 v2, v1, v2
	v_lshrrev_b32_e32 v2, s7, v2
	v_mul_lo_u32 v3, v2, s8
	s_cmp_lg_u32 s6, 0
	v_sub_u32_e32 v3, v1, v3
	v_mad_u64_u32 v[0:1], s[8:9], v3, s10, v[0:1]
	v_mad_u64_u32 v[5:6], s[8:9], v3, s11, v[5:6]
	v_mov_b32_e32 v1, v2
	s_cbranch_scc1 .LBB101_248
.LBB101_249:
	s_cbranch_execnz .LBB101_252
.LBB101_250:
	s_load_dwordx4 s[4:7], s[34:35], 0x4
	s_load_dwordx2 s[2:3], s[34:35], 0xc4
	s_cmp_lt_u32 s33, 2
	s_waitcnt lgkmcnt(0)
	v_mul_hi_u32 v0, s5, v15
	v_add_u32_e32 v0, v15, v0
	v_lshrrev_b32_e32 v1, s6, v0
	v_mul_lo_u32 v0, v1, s4
	v_sub_u32_e32 v2, v15, v0
	v_mul_lo_u32 v0, v2, s2
	v_mul_lo_u32 v5, v2, s3
	s_cbranch_scc1 .LBB101_252
; %bb.251:
	s_load_dwordx4 s[4:7], s[34:35], 0x10
	s_load_dwordx2 s[2:3], s[34:35], 0xcc
	s_waitcnt lgkmcnt(0)
	v_mul_hi_u32 v2, s5, v1
	v_add_u32_e32 v2, v1, v2
	v_lshrrev_b32_e32 v2, s6, v2
	v_mul_lo_u32 v2, v2, s4
	v_sub_u32_e32 v2, v1, v2
	v_mad_u64_u32 v[0:1], s[4:5], v2, s2, v[0:1]
	v_mad_u64_u32 v[5:6], s[2:3], v2, s3, v[5:6]
.LBB101_252:
	s_and_b64 vcc, exec, s[0:1]
	v_add_u32_e32 v3, 0x80, v15
	s_cbranch_vccnz .LBB101_258
; %bb.253:
	s_cmp_lg_u32 s33, 0
	s_waitcnt lgkmcnt(0)
	s_mov_b32 s26, 0
	s_cbranch_scc0 .LBB101_259
; %bb.254:
	s_min_u32 s27, s56, 15
	s_add_i32 s27, s27, 1
	s_cmp_eq_u32 s56, 2
	s_cbranch_scc1 .LBB101_260
; %bb.255:
	s_and_b32 s26, s27, 28
	s_add_u32 s2, s34, 0xc4
	s_addc_u32 s3, s35, 0
	v_mov_b32_e32 v6, 0
	s_mov_b32 s28, 0
	s_mov_b64 s[24:25], s[34:35]
	v_mov_b32_e32 v1, 0
	v_mov_b32_e32 v2, v3
.LBB101_256:                            ; =>This Inner Loop Header: Depth=1
	s_load_dwordx8 s[12:19], s[24:25], 0x4
	s_load_dwordx4 s[20:23], s[24:25], 0x24
	s_load_dwordx8 s[4:11], s[2:3], 0x0
	s_add_u32 s24, s24, 48
	s_addc_u32 s25, s25, 0
	s_waitcnt lgkmcnt(0)
	v_mul_hi_u32 v4, s13, v2
	s_add_i32 s28, s28, 4
	s_add_u32 s2, s2, 32
	s_addc_u32 s3, s3, 0
	v_add_u32_e32 v4, v2, v4
	v_lshrrev_b32_e32 v4, s14, v4
	v_mul_lo_u32 v7, v4, s12
	v_mul_hi_u32 v8, s16, v4
	s_cmp_lg_u32 s26, s28
	v_sub_u32_e32 v2, v2, v7
	v_add_u32_e32 v7, v4, v8
	v_mul_lo_u32 v8, v2, s4
	v_mul_lo_u32 v9, v2, s5
	v_lshrrev_b32_e32 v2, s17, v7
	v_mul_lo_u32 v7, v2, s15
	v_mul_hi_u32 v10, s19, v2
	v_sub_u32_e32 v4, v4, v7
	v_add_u32_e32 v7, v2, v10
	v_lshrrev_b32_e32 v7, s20, v7
	v_mul_hi_u32 v11, s22, v7
	v_mul_lo_u32 v12, v7, s18
	v_mul_lo_u32 v10, v4, s6
	;; [unrolled: 1-line block ×3, first 2 shown]
	v_sub_u32_e32 v12, v2, v12
	v_add_u32_e32 v2, v7, v11
	v_lshrrev_b32_e32 v2, s23, v2
	v_mul_lo_u32 v11, v2, s21
	v_mul_lo_u32 v13, v12, s8
	;; [unrolled: 1-line block ×3, first 2 shown]
	v_add3_u32 v1, v8, v1, v10
	v_sub_u32_e32 v7, v7, v11
	v_mul_lo_u32 v11, v7, s10
	v_mul_lo_u32 v7, v7, s11
	v_add3_u32 v4, v9, v6, v4
	v_add3_u32 v1, v13, v1, v11
	;; [unrolled: 1-line block ×3, first 2 shown]
	s_cbranch_scc1 .LBB101_256
; %bb.257:
	s_and_b32 s6, s27, 3
	s_cmp_eq_u32 s6, 0
	s_cbranch_scc0 .LBB101_261
	s_branch .LBB101_263
.LBB101_258:
                                        ; implicit-def: $vgpr1
                                        ; implicit-def: $vgpr6
	s_branch .LBB101_264
.LBB101_259:
	v_mov_b32_e32 v1, 0
	v_mov_b32_e32 v6, 0
	s_branch .LBB101_263
.LBB101_260:
	v_mov_b32_e32 v1, 0
	v_mov_b32_e32 v6, 0
	;; [unrolled: 1-line block ×3, first 2 shown]
	s_and_b32 s6, s27, 3
	s_cmp_eq_u32 s6, 0
	s_cbranch_scc1 .LBB101_263
.LBB101_261:
	s_lshl_b32 s2, s26, 3
	s_add_u32 s2, s34, s2
	s_addc_u32 s3, s35, 0
	s_add_u32 s2, s2, 0xc4
	s_addc_u32 s3, s3, 0
	s_mul_i32 s4, s26, 12
	s_add_u32 s4, s34, s4
	s_addc_u32 s5, s35, 0
.LBB101_262:                            ; =>This Inner Loop Header: Depth=1
	s_load_dwordx2 s[8:9], s[4:5], 0x4
	s_load_dword s7, s[4:5], 0xc
	s_load_dwordx2 s[10:11], s[2:3], 0x0
	s_add_u32 s4, s4, 12
	s_addc_u32 s5, s5, 0
	s_waitcnt lgkmcnt(0)
	v_mul_hi_u32 v4, s9, v2
	s_add_u32 s2, s2, 8
	s_addc_u32 s3, s3, 0
	s_add_i32 s6, s6, -1
	v_add_u32_e32 v4, v2, v4
	v_lshrrev_b32_e32 v4, s7, v4
	v_mul_lo_u32 v7, v4, s8
	s_cmp_lg_u32 s6, 0
	v_sub_u32_e32 v7, v2, v7
	v_mad_u64_u32 v[1:2], s[8:9], v7, s10, v[1:2]
	v_mad_u64_u32 v[6:7], s[8:9], v7, s11, v[6:7]
	v_mov_b32_e32 v2, v4
	s_cbranch_scc1 .LBB101_262
.LBB101_263:
	s_cbranch_execnz .LBB101_266
.LBB101_264:
	s_load_dwordx4 s[4:7], s[34:35], 0x4
	s_load_dwordx2 s[2:3], s[34:35], 0xc4
	s_cmp_lt_u32 s33, 2
	s_waitcnt lgkmcnt(0)
	v_mul_hi_u32 v1, s5, v3
	v_add_u32_e32 v1, v3, v1
	v_lshrrev_b32_e32 v2, s6, v1
	v_mul_lo_u32 v1, v2, s4
	v_sub_u32_e32 v3, v3, v1
	v_mul_lo_u32 v1, v3, s2
	v_mul_lo_u32 v6, v3, s3
	s_cbranch_scc1 .LBB101_266
; %bb.265:
	s_load_dwordx4 s[4:7], s[34:35], 0x10
	s_load_dwordx2 s[2:3], s[34:35], 0xcc
	s_waitcnt lgkmcnt(0)
	v_mul_hi_u32 v3, s5, v2
	v_add_u32_e32 v3, v2, v3
	v_lshrrev_b32_e32 v3, s6, v3
	v_mul_lo_u32 v3, v3, s4
	v_sub_u32_e32 v3, v2, v3
	v_mad_u64_u32 v[1:2], s[4:5], v3, s2, v[1:2]
	v_mad_u64_u32 v[6:7], s[2:3], v3, s3, v[6:7]
.LBB101_266:
	s_and_b64 vcc, exec, s[0:1]
	v_add_u32_e32 v4, 0x100, v15
	s_cbranch_vccnz .LBB101_272
; %bb.267:
	s_cmp_lg_u32 s33, 0
	s_waitcnt lgkmcnt(0)
	s_mov_b32 s26, 0
	s_cbranch_scc0 .LBB101_273
; %bb.268:
	s_min_u32 s27, s56, 15
	s_add_i32 s27, s27, 1
	s_cmp_eq_u32 s56, 2
	s_cbranch_scc1 .LBB101_274
; %bb.269:
	s_and_b32 s26, s27, 28
	s_add_u32 s2, s34, 0xc4
	s_addc_u32 s3, s35, 0
	v_mov_b32_e32 v9, 0
	s_mov_b32 s28, 0
	s_mov_b64 s[24:25], s[34:35]
	v_mov_b32_e32 v2, 0
	v_mov_b32_e32 v3, v4
.LBB101_270:                            ; =>This Inner Loop Header: Depth=1
	s_load_dwordx8 s[12:19], s[24:25], 0x4
	s_load_dwordx4 s[20:23], s[24:25], 0x24
	s_load_dwordx8 s[4:11], s[2:3], 0x0
	s_add_u32 s24, s24, 48
	s_addc_u32 s25, s25, 0
	s_waitcnt lgkmcnt(0)
	v_mul_hi_u32 v7, s13, v3
	s_add_i32 s28, s28, 4
	s_add_u32 s2, s2, 32
	s_addc_u32 s3, s3, 0
	v_add_u32_e32 v7, v3, v7
	v_lshrrev_b32_e32 v7, s14, v7
	v_mul_lo_u32 v8, v7, s12
	v_mul_hi_u32 v10, s16, v7
	s_cmp_lg_u32 s26, s28
	v_sub_u32_e32 v3, v3, v8
	v_add_u32_e32 v8, v7, v10
	v_mul_lo_u32 v10, v3, s4
	v_mul_lo_u32 v11, v3, s5
	v_lshrrev_b32_e32 v3, s17, v8
	v_mul_lo_u32 v8, v3, s15
	v_mul_hi_u32 v12, s19, v3
	v_sub_u32_e32 v7, v7, v8
	v_add_u32_e32 v8, v3, v12
	v_lshrrev_b32_e32 v8, s20, v8
	v_mul_hi_u32 v13, s22, v8
	v_mul_lo_u32 v14, v8, s18
	v_mul_lo_u32 v12, v7, s6
	;; [unrolled: 1-line block ×3, first 2 shown]
	v_sub_u32_e32 v14, v3, v14
	v_add_u32_e32 v3, v8, v13
	v_lshrrev_b32_e32 v3, s23, v3
	v_mul_lo_u32 v13, v3, s21
	v_mul_lo_u32 v16, v14, s8
	;; [unrolled: 1-line block ×3, first 2 shown]
	v_add3_u32 v2, v10, v2, v12
	v_sub_u32_e32 v8, v8, v13
	v_mul_lo_u32 v13, v8, s10
	v_mul_lo_u32 v8, v8, s11
	v_add3_u32 v7, v11, v9, v7
	v_add3_u32 v2, v16, v2, v13
	;; [unrolled: 1-line block ×3, first 2 shown]
	s_cbranch_scc1 .LBB101_270
; %bb.271:
	s_and_b32 s6, s27, 3
	s_cmp_eq_u32 s6, 0
	s_cbranch_scc0 .LBB101_275
	s_branch .LBB101_277
.LBB101_272:
                                        ; implicit-def: $vgpr2
                                        ; implicit-def: $vgpr9
	s_branch .LBB101_278
.LBB101_273:
	v_mov_b32_e32 v2, 0
	v_mov_b32_e32 v9, 0
	s_branch .LBB101_277
.LBB101_274:
	v_mov_b32_e32 v2, 0
	v_mov_b32_e32 v9, 0
	;; [unrolled: 1-line block ×3, first 2 shown]
	s_and_b32 s6, s27, 3
	s_cmp_eq_u32 s6, 0
	s_cbranch_scc1 .LBB101_277
.LBB101_275:
	s_lshl_b32 s2, s26, 3
	s_add_u32 s2, s34, s2
	s_addc_u32 s3, s35, 0
	s_add_u32 s2, s2, 0xc4
	s_addc_u32 s3, s3, 0
	s_mul_i32 s4, s26, 12
	s_add_u32 s4, s34, s4
	s_addc_u32 s5, s35, 0
.LBB101_276:                            ; =>This Inner Loop Header: Depth=1
	s_load_dwordx2 s[8:9], s[4:5], 0x4
	s_load_dword s7, s[4:5], 0xc
	s_load_dwordx2 s[10:11], s[2:3], 0x0
	s_add_u32 s4, s4, 12
	s_addc_u32 s5, s5, 0
	s_waitcnt lgkmcnt(0)
	v_mul_hi_u32 v7, s9, v3
	s_add_u32 s2, s2, 8
	s_addc_u32 s3, s3, 0
	s_add_i32 s6, s6, -1
	v_add_u32_e32 v7, v3, v7
	v_lshrrev_b32_e32 v7, s7, v7
	v_mul_lo_u32 v8, v7, s8
	s_cmp_lg_u32 s6, 0
	v_sub_u32_e32 v8, v3, v8
	v_mad_u64_u32 v[2:3], s[8:9], v8, s10, v[2:3]
	v_mad_u64_u32 v[9:10], s[8:9], v8, s11, v[9:10]
	v_mov_b32_e32 v3, v7
	s_cbranch_scc1 .LBB101_276
.LBB101_277:
	s_cbranch_execnz .LBB101_280
.LBB101_278:
	s_load_dwordx4 s[4:7], s[34:35], 0x4
	s_load_dwordx2 s[2:3], s[34:35], 0xc4
	s_cmp_lt_u32 s33, 2
	s_waitcnt lgkmcnt(0)
	v_mul_hi_u32 v2, s5, v4
	v_add_u32_e32 v2, v4, v2
	v_lshrrev_b32_e32 v3, s6, v2
	v_mul_lo_u32 v2, v3, s4
	v_sub_u32_e32 v4, v4, v2
	v_mul_lo_u32 v2, v4, s2
	v_mul_lo_u32 v9, v4, s3
	s_cbranch_scc1 .LBB101_280
; %bb.279:
	s_load_dwordx4 s[4:7], s[34:35], 0x10
	s_load_dwordx2 s[2:3], s[34:35], 0xcc
	s_waitcnt lgkmcnt(0)
	v_mul_hi_u32 v4, s5, v3
	v_add_u32_e32 v4, v3, v4
	v_lshrrev_b32_e32 v4, s6, v4
	v_mul_lo_u32 v4, v4, s4
	v_sub_u32_e32 v4, v3, v4
	v_mad_u64_u32 v[2:3], s[4:5], v4, s2, v[2:3]
	v_mad_u64_u32 v[9:10], s[2:3], v4, s3, v[9:10]
.LBB101_280:
	s_and_b64 vcc, exec, s[0:1]
	v_add_u32_e32 v7, 0x180, v15
	s_cbranch_vccnz .LBB101_286
; %bb.281:
	s_cmp_lg_u32 s33, 0
	s_waitcnt lgkmcnt(0)
	s_mov_b32 s26, 0
	s_cbranch_scc0 .LBB101_287
; %bb.282:
	s_min_u32 s27, s56, 15
	s_add_i32 s27, s27, 1
	s_cmp_eq_u32 s56, 2
	s_cbranch_scc1 .LBB101_288
; %bb.283:
	s_and_b32 s26, s27, 28
	s_add_u32 s2, s34, 0xc4
	s_addc_u32 s3, s35, 0
	v_mov_b32_e32 v12, 0
	s_mov_b32 s28, 0
	s_mov_b64 s[24:25], s[34:35]
	v_mov_b32_e32 v3, 0
	v_mov_b32_e32 v4, v7
.LBB101_284:                            ; =>This Inner Loop Header: Depth=1
	s_load_dwordx8 s[12:19], s[24:25], 0x4
	s_load_dwordx4 s[20:23], s[24:25], 0x24
	s_load_dwordx8 s[4:11], s[2:3], 0x0
	s_add_u32 s24, s24, 48
	s_addc_u32 s25, s25, 0
	s_waitcnt lgkmcnt(0)
	v_mul_hi_u32 v8, s13, v4
	s_add_i32 s28, s28, 4
	s_add_u32 s2, s2, 32
	s_addc_u32 s3, s3, 0
	v_add_u32_e32 v8, v4, v8
	v_lshrrev_b32_e32 v8, s14, v8
	v_mul_lo_u32 v10, v8, s12
	v_mul_hi_u32 v11, s16, v8
	s_cmp_lg_u32 s26, s28
	v_sub_u32_e32 v4, v4, v10
	v_add_u32_e32 v10, v8, v11
	v_mul_lo_u32 v11, v4, s4
	v_mul_lo_u32 v13, v4, s5
	v_lshrrev_b32_e32 v4, s17, v10
	v_mul_lo_u32 v10, v4, s15
	v_mul_hi_u32 v14, s19, v4
	v_sub_u32_e32 v8, v8, v10
	v_add_u32_e32 v10, v4, v14
	v_lshrrev_b32_e32 v10, s20, v10
	v_mul_hi_u32 v16, s22, v10
	v_mul_lo_u32 v17, v10, s18
	v_mul_lo_u32 v14, v8, s6
	;; [unrolled: 1-line block ×3, first 2 shown]
	v_sub_u32_e32 v17, v4, v17
	v_add_u32_e32 v4, v10, v16
	v_lshrrev_b32_e32 v4, s23, v4
	v_mul_lo_u32 v16, v4, s21
	v_mul_lo_u32 v18, v17, s8
	v_mul_lo_u32 v17, v17, s9
	v_add3_u32 v3, v11, v3, v14
	v_sub_u32_e32 v10, v10, v16
	v_mul_lo_u32 v16, v10, s10
	v_mul_lo_u32 v10, v10, s11
	v_add3_u32 v8, v13, v12, v8
	v_add3_u32 v3, v18, v3, v16
	;; [unrolled: 1-line block ×3, first 2 shown]
	s_cbranch_scc1 .LBB101_284
; %bb.285:
	s_and_b32 s6, s27, 3
	s_cmp_eq_u32 s6, 0
	s_cbranch_scc0 .LBB101_289
	s_branch .LBB101_291
.LBB101_286:
                                        ; implicit-def: $vgpr3
                                        ; implicit-def: $vgpr12
	s_branch .LBB101_292
.LBB101_287:
	v_mov_b32_e32 v3, 0
	v_mov_b32_e32 v12, 0
	s_branch .LBB101_291
.LBB101_288:
	v_mov_b32_e32 v3, 0
	v_mov_b32_e32 v12, 0
	v_mov_b32_e32 v4, v7
	s_and_b32 s6, s27, 3
	s_cmp_eq_u32 s6, 0
	s_cbranch_scc1 .LBB101_291
.LBB101_289:
	s_lshl_b32 s2, s26, 3
	s_add_u32 s2, s34, s2
	s_addc_u32 s3, s35, 0
	s_add_u32 s2, s2, 0xc4
	s_addc_u32 s3, s3, 0
	s_mul_i32 s4, s26, 12
	s_add_u32 s4, s34, s4
	s_addc_u32 s5, s35, 0
.LBB101_290:                            ; =>This Inner Loop Header: Depth=1
	s_load_dwordx2 s[8:9], s[4:5], 0x4
	s_load_dword s7, s[4:5], 0xc
	s_load_dwordx2 s[10:11], s[2:3], 0x0
	s_add_u32 s4, s4, 12
	s_addc_u32 s5, s5, 0
	s_waitcnt lgkmcnt(0)
	v_mul_hi_u32 v8, s9, v4
	s_add_u32 s2, s2, 8
	s_addc_u32 s3, s3, 0
	s_add_i32 s6, s6, -1
	v_add_u32_e32 v8, v4, v8
	v_lshrrev_b32_e32 v8, s7, v8
	v_mul_lo_u32 v10, v8, s8
	s_cmp_lg_u32 s6, 0
	v_sub_u32_e32 v10, v4, v10
	v_mad_u64_u32 v[3:4], s[8:9], v10, s10, v[3:4]
	v_mad_u64_u32 v[12:13], s[8:9], v10, s11, v[12:13]
	v_mov_b32_e32 v4, v8
	s_cbranch_scc1 .LBB101_290
.LBB101_291:
	s_cbranch_execnz .LBB101_294
.LBB101_292:
	s_load_dwordx4 s[4:7], s[34:35], 0x4
	s_load_dwordx2 s[2:3], s[34:35], 0xc4
	s_cmp_lt_u32 s33, 2
	s_waitcnt lgkmcnt(0)
	v_mul_hi_u32 v3, s5, v7
	v_add_u32_e32 v3, v7, v3
	v_lshrrev_b32_e32 v4, s6, v3
	v_mul_lo_u32 v3, v4, s4
	v_sub_u32_e32 v7, v7, v3
	v_mul_lo_u32 v3, v7, s2
	v_mul_lo_u32 v12, v7, s3
	s_cbranch_scc1 .LBB101_294
; %bb.293:
	s_load_dwordx4 s[4:7], s[34:35], 0x10
	s_load_dwordx2 s[2:3], s[34:35], 0xcc
	s_waitcnt lgkmcnt(0)
	v_mul_hi_u32 v7, s5, v4
	v_add_u32_e32 v7, v4, v7
	v_lshrrev_b32_e32 v7, s6, v7
	v_mul_lo_u32 v7, v7, s4
	v_sub_u32_e32 v7, v4, v7
	v_mad_u64_u32 v[3:4], s[4:5], v7, s2, v[3:4]
	v_mad_u64_u32 v[12:13], s[2:3], v7, s3, v[12:13]
.LBB101_294:
	s_and_b64 vcc, exec, s[0:1]
	v_add_u32_e32 v4, 0x200, v15
	s_cbranch_vccnz .LBB101_300
; %bb.295:
	s_cmp_lg_u32 s33, 0
	s_waitcnt lgkmcnt(0)
	s_mov_b32 s26, 0
	s_cbranch_scc0 .LBB101_301
; %bb.296:
	s_min_u32 s27, s56, 15
	s_add_i32 s27, s27, 1
	s_cmp_eq_u32 s56, 2
	s_cbranch_scc1 .LBB101_302
; %bb.297:
	s_and_b32 s26, s27, 28
	s_add_u32 s2, s34, 0xc4
	s_addc_u32 s3, s35, 0
	v_mov_b32_e32 v13, 0
	s_mov_b32 s28, 0
	s_mov_b64 s[24:25], s[34:35]
	v_mov_b32_e32 v7, 0
	v_mov_b32_e32 v8, v4
.LBB101_298:                            ; =>This Inner Loop Header: Depth=1
	s_load_dwordx8 s[12:19], s[24:25], 0x4
	s_load_dwordx4 s[20:23], s[24:25], 0x24
	s_load_dwordx8 s[4:11], s[2:3], 0x0
	s_add_u32 s24, s24, 48
	s_addc_u32 s25, s25, 0
	s_waitcnt lgkmcnt(0)
	v_mul_hi_u32 v10, s13, v8
	s_add_i32 s28, s28, 4
	s_add_u32 s2, s2, 32
	s_addc_u32 s3, s3, 0
	v_add_u32_e32 v10, v8, v10
	v_lshrrev_b32_e32 v10, s14, v10
	v_mul_lo_u32 v11, v10, s12
	v_mul_hi_u32 v14, s16, v10
	s_cmp_lg_u32 s26, s28
	v_sub_u32_e32 v8, v8, v11
	v_add_u32_e32 v11, v10, v14
	v_mul_lo_u32 v14, v8, s4
	v_mul_lo_u32 v16, v8, s5
	v_lshrrev_b32_e32 v8, s17, v11
	v_mul_lo_u32 v11, v8, s15
	v_mul_hi_u32 v17, s19, v8
	v_sub_u32_e32 v10, v10, v11
	v_add_u32_e32 v11, v8, v17
	v_lshrrev_b32_e32 v11, s20, v11
	v_mul_hi_u32 v18, s22, v11
	v_mul_lo_u32 v19, v11, s18
	v_mul_lo_u32 v17, v10, s6
	;; [unrolled: 1-line block ×3, first 2 shown]
	v_sub_u32_e32 v19, v8, v19
	v_add_u32_e32 v8, v11, v18
	v_lshrrev_b32_e32 v8, s23, v8
	v_mul_lo_u32 v18, v8, s21
	v_mul_lo_u32 v20, v19, s8
	;; [unrolled: 1-line block ×3, first 2 shown]
	v_add3_u32 v7, v14, v7, v17
	v_sub_u32_e32 v11, v11, v18
	v_mul_lo_u32 v18, v11, s10
	v_mul_lo_u32 v11, v11, s11
	v_add3_u32 v10, v16, v13, v10
	v_add3_u32 v7, v20, v7, v18
	;; [unrolled: 1-line block ×3, first 2 shown]
	s_cbranch_scc1 .LBB101_298
; %bb.299:
	s_and_b32 s6, s27, 3
	s_cmp_eq_u32 s6, 0
	s_cbranch_scc0 .LBB101_303
	s_branch .LBB101_305
.LBB101_300:
                                        ; implicit-def: $vgpr7
                                        ; implicit-def: $vgpr13
	s_branch .LBB101_306
.LBB101_301:
	v_mov_b32_e32 v7, 0
	v_mov_b32_e32 v13, 0
	s_branch .LBB101_305
.LBB101_302:
	v_mov_b32_e32 v7, 0
	v_mov_b32_e32 v13, 0
	;; [unrolled: 1-line block ×3, first 2 shown]
	s_and_b32 s6, s27, 3
	s_cmp_eq_u32 s6, 0
	s_cbranch_scc1 .LBB101_305
.LBB101_303:
	s_lshl_b32 s2, s26, 3
	s_add_u32 s2, s34, s2
	s_addc_u32 s3, s35, 0
	s_add_u32 s2, s2, 0xc4
	s_addc_u32 s3, s3, 0
	s_mul_i32 s4, s26, 12
	s_add_u32 s4, s34, s4
	s_addc_u32 s5, s35, 0
.LBB101_304:                            ; =>This Inner Loop Header: Depth=1
	s_load_dwordx2 s[8:9], s[4:5], 0x4
	s_load_dword s7, s[4:5], 0xc
	s_load_dwordx2 s[10:11], s[2:3], 0x0
	s_add_u32 s4, s4, 12
	s_addc_u32 s5, s5, 0
	s_waitcnt lgkmcnt(0)
	v_mul_hi_u32 v10, s9, v8
	s_add_u32 s2, s2, 8
	s_addc_u32 s3, s3, 0
	s_add_i32 s6, s6, -1
	v_add_u32_e32 v10, v8, v10
	v_lshrrev_b32_e32 v10, s7, v10
	v_mul_lo_u32 v11, v10, s8
	s_cmp_lg_u32 s6, 0
	v_sub_u32_e32 v11, v8, v11
	v_mad_u64_u32 v[7:8], s[8:9], v11, s10, v[7:8]
	v_mad_u64_u32 v[13:14], s[8:9], v11, s11, v[13:14]
	v_mov_b32_e32 v8, v10
	s_cbranch_scc1 .LBB101_304
.LBB101_305:
	s_cbranch_execnz .LBB101_308
.LBB101_306:
	s_load_dwordx4 s[4:7], s[34:35], 0x4
	s_load_dwordx2 s[2:3], s[34:35], 0xc4
	s_cmp_lt_u32 s33, 2
	s_waitcnt lgkmcnt(0)
	v_mul_hi_u32 v7, s5, v4
	v_add_u32_e32 v7, v4, v7
	v_lshrrev_b32_e32 v8, s6, v7
	v_mul_lo_u32 v7, v8, s4
	v_sub_u32_e32 v4, v4, v7
	v_mul_lo_u32 v7, v4, s2
	v_mul_lo_u32 v13, v4, s3
	s_cbranch_scc1 .LBB101_308
; %bb.307:
	s_load_dwordx4 s[4:7], s[34:35], 0x10
	s_load_dwordx2 s[2:3], s[34:35], 0xcc
	s_waitcnt lgkmcnt(0)
	v_mul_hi_u32 v4, s5, v8
	v_add_u32_e32 v4, v8, v4
	v_lshrrev_b32_e32 v4, s6, v4
	v_mul_lo_u32 v4, v4, s4
	v_sub_u32_e32 v4, v8, v4
	v_mad_u64_u32 v[7:8], s[4:5], v4, s2, v[7:8]
	v_mad_u64_u32 v[13:14], s[2:3], v4, s3, v[13:14]
.LBB101_308:
	s_and_b64 vcc, exec, s[0:1]
	v_add_u32_e32 v4, 0x280, v15
	s_cbranch_vccnz .LBB101_314
; %bb.309:
	s_cmp_lg_u32 s33, 0
	s_waitcnt lgkmcnt(0)
	s_mov_b32 s26, 0
	s_cbranch_scc0 .LBB101_315
; %bb.310:
	s_min_u32 s27, s56, 15
	s_add_i32 s27, s27, 1
	s_cmp_eq_u32 s56, 2
	s_cbranch_scc1 .LBB101_316
; %bb.311:
	s_and_b32 s26, s27, 28
	s_add_u32 s2, s34, 0xc4
	s_addc_u32 s3, s35, 0
	v_mov_b32_e32 v16, 0
	s_mov_b32 s28, 0
	s_mov_b64 s[24:25], s[34:35]
	v_mov_b32_e32 v10, 0
	v_mov_b32_e32 v8, v4
.LBB101_312:                            ; =>This Inner Loop Header: Depth=1
	s_load_dwordx8 s[12:19], s[24:25], 0x4
	s_load_dwordx4 s[20:23], s[24:25], 0x24
	s_load_dwordx8 s[4:11], s[2:3], 0x0
	s_add_u32 s24, s24, 48
	s_addc_u32 s25, s25, 0
	s_waitcnt lgkmcnt(0)
	v_mul_hi_u32 v11, s13, v8
	s_add_i32 s28, s28, 4
	s_add_u32 s2, s2, 32
	s_addc_u32 s3, s3, 0
	v_add_u32_e32 v11, v8, v11
	v_lshrrev_b32_e32 v11, s14, v11
	v_mul_lo_u32 v14, v11, s12
	v_mul_hi_u32 v17, s16, v11
	s_cmp_lg_u32 s26, s28
	v_sub_u32_e32 v8, v8, v14
	v_add_u32_e32 v14, v11, v17
	v_mul_lo_u32 v17, v8, s4
	v_mul_lo_u32 v18, v8, s5
	v_lshrrev_b32_e32 v8, s17, v14
	v_mul_lo_u32 v14, v8, s15
	v_mul_hi_u32 v19, s19, v8
	v_sub_u32_e32 v11, v11, v14
	v_add_u32_e32 v14, v8, v19
	v_lshrrev_b32_e32 v14, s20, v14
	v_mul_hi_u32 v20, s22, v14
	v_mul_lo_u32 v21, v14, s18
	v_mul_lo_u32 v19, v11, s6
	;; [unrolled: 1-line block ×3, first 2 shown]
	v_sub_u32_e32 v21, v8, v21
	v_add_u32_e32 v8, v14, v20
	v_lshrrev_b32_e32 v8, s23, v8
	v_mul_lo_u32 v20, v8, s21
	v_mul_lo_u32 v23, v21, s8
	;; [unrolled: 1-line block ×3, first 2 shown]
	v_add3_u32 v10, v17, v10, v19
	v_sub_u32_e32 v14, v14, v20
	v_mul_lo_u32 v20, v14, s10
	v_mul_lo_u32 v14, v14, s11
	v_add3_u32 v11, v18, v16, v11
	v_add3_u32 v10, v23, v10, v20
	;; [unrolled: 1-line block ×3, first 2 shown]
	s_cbranch_scc1 .LBB101_312
; %bb.313:
	s_and_b32 s6, s27, 3
	s_cmp_eq_u32 s6, 0
	s_cbranch_scc0 .LBB101_317
	s_branch .LBB101_319
.LBB101_314:
                                        ; implicit-def: $vgpr10
                                        ; implicit-def: $vgpr16
	s_branch .LBB101_320
.LBB101_315:
	v_mov_b32_e32 v10, 0
	v_mov_b32_e32 v16, 0
	s_branch .LBB101_319
.LBB101_316:
	v_mov_b32_e32 v10, 0
	v_mov_b32_e32 v16, 0
	;; [unrolled: 1-line block ×3, first 2 shown]
	s_and_b32 s6, s27, 3
	s_cmp_eq_u32 s6, 0
	s_cbranch_scc1 .LBB101_319
.LBB101_317:
	s_lshl_b32 s2, s26, 3
	s_add_u32 s2, s34, s2
	s_addc_u32 s3, s35, 0
	s_add_u32 s2, s2, 0xc4
	s_addc_u32 s3, s3, 0
	s_mul_i32 s4, s26, 12
	s_add_u32 s4, s34, s4
	s_addc_u32 s5, s35, 0
.LBB101_318:                            ; =>This Inner Loop Header: Depth=1
	s_load_dwordx2 s[8:9], s[4:5], 0x4
	s_load_dword s7, s[4:5], 0xc
	s_load_dwordx2 s[10:11], s[2:3], 0x0
	s_add_u32 s4, s4, 12
	s_addc_u32 s5, s5, 0
	s_waitcnt lgkmcnt(0)
	v_mul_hi_u32 v11, s9, v8
	s_add_u32 s2, s2, 8
	s_addc_u32 s3, s3, 0
	s_add_i32 s6, s6, -1
	v_add_u32_e32 v11, v8, v11
	v_lshrrev_b32_e32 v14, s7, v11
	v_mul_lo_u32 v11, v14, s8
	s_cmp_lg_u32 s6, 0
	v_sub_u32_e32 v8, v8, v11
	v_mad_u64_u32 v[10:11], s[8:9], v8, s10, v[10:11]
	v_mad_u64_u32 v[16:17], s[8:9], v8, s11, v[16:17]
	v_mov_b32_e32 v8, v14
	s_cbranch_scc1 .LBB101_318
.LBB101_319:
	s_cbranch_execnz .LBB101_322
.LBB101_320:
	s_load_dwordx4 s[4:7], s[34:35], 0x4
	s_load_dwordx2 s[2:3], s[34:35], 0xc4
	s_cmp_lt_u32 s33, 2
	s_waitcnt lgkmcnt(0)
	v_mul_hi_u32 v8, s5, v4
	v_add_u32_e32 v8, v4, v8
	v_lshrrev_b32_e32 v8, s6, v8
	v_mul_lo_u32 v10, v8, s4
	v_sub_u32_e32 v4, v4, v10
	v_mul_lo_u32 v10, v4, s2
	v_mul_lo_u32 v16, v4, s3
	s_cbranch_scc1 .LBB101_322
; %bb.321:
	s_load_dwordx4 s[4:7], s[34:35], 0x10
	s_load_dwordx2 s[2:3], s[34:35], 0xcc
	s_waitcnt lgkmcnt(0)
	v_mul_hi_u32 v4, s5, v8
	v_add_u32_e32 v4, v8, v4
	v_lshrrev_b32_e32 v4, s6, v4
	v_mul_lo_u32 v4, v4, s4
	v_sub_u32_e32 v4, v8, v4
	v_mad_u64_u32 v[10:11], s[4:5], v4, s2, v[10:11]
	v_mad_u64_u32 v[16:17], s[2:3], v4, s3, v[16:17]
.LBB101_322:
	s_and_b64 vcc, exec, s[0:1]
	v_add_u32_e32 v4, 0x300, v15
	s_cbranch_vccnz .LBB101_328
; %bb.323:
	s_cmp_lg_u32 s33, 0
	s_waitcnt lgkmcnt(0)
	s_mov_b32 s26, 0
	s_cbranch_scc0 .LBB101_329
; %bb.324:
	s_min_u32 s27, s56, 15
	s_add_i32 s27, s27, 1
	s_cmp_eq_u32 s56, 2
	s_cbranch_scc1 .LBB101_330
; %bb.325:
	s_and_b32 s26, s27, 28
	s_add_u32 s2, s34, 0xc4
	s_addc_u32 s3, s35, 0
	v_mov_b32_e32 v17, 0
	s_mov_b32 s28, 0
	s_mov_b64 s[24:25], s[34:35]
	v_mov_b32_e32 v14, 0
	v_mov_b32_e32 v8, v4
.LBB101_326:                            ; =>This Inner Loop Header: Depth=1
	s_load_dwordx8 s[12:19], s[24:25], 0x4
	s_load_dwordx4 s[20:23], s[24:25], 0x24
	s_load_dwordx8 s[4:11], s[2:3], 0x0
	s_add_u32 s24, s24, 48
	s_addc_u32 s25, s25, 0
	s_waitcnt lgkmcnt(0)
	v_mul_hi_u32 v11, s13, v8
	s_add_i32 s28, s28, 4
	s_add_u32 s2, s2, 32
	s_addc_u32 s3, s3, 0
	v_add_u32_e32 v11, v8, v11
	v_lshrrev_b32_e32 v11, s14, v11
	v_mul_lo_u32 v15, v11, s12
	v_mul_hi_u32 v18, s16, v11
	s_cmp_lg_u32 s26, s28
	v_sub_u32_e32 v8, v8, v15
	v_add_u32_e32 v15, v11, v18
	v_mul_lo_u32 v18, v8, s4
	v_mul_lo_u32 v19, v8, s5
	v_lshrrev_b32_e32 v8, s17, v15
	v_mul_lo_u32 v15, v8, s15
	v_mul_hi_u32 v20, s19, v8
	v_sub_u32_e32 v11, v11, v15
	v_add_u32_e32 v15, v8, v20
	v_lshrrev_b32_e32 v15, s20, v15
	v_mul_hi_u32 v21, s22, v15
	v_mul_lo_u32 v23, v15, s18
	v_mul_lo_u32 v20, v11, s6
	;; [unrolled: 1-line block ×3, first 2 shown]
	v_sub_u32_e32 v23, v8, v23
	v_add_u32_e32 v8, v15, v21
	v_lshrrev_b32_e32 v8, s23, v8
	v_mul_lo_u32 v21, v8, s21
	v_mul_lo_u32 v24, v23, s8
	;; [unrolled: 1-line block ×3, first 2 shown]
	v_add3_u32 v14, v18, v14, v20
	v_sub_u32_e32 v15, v15, v21
	v_mul_lo_u32 v21, v15, s10
	v_mul_lo_u32 v15, v15, s11
	v_add3_u32 v11, v19, v17, v11
	v_add3_u32 v14, v24, v14, v21
	;; [unrolled: 1-line block ×3, first 2 shown]
	s_cbranch_scc1 .LBB101_326
; %bb.327:
	s_and_b32 s6, s27, 3
	s_cmp_eq_u32 s6, 0
	s_cbranch_scc0 .LBB101_331
	s_branch .LBB101_333
.LBB101_328:
                                        ; implicit-def: $vgpr14
                                        ; implicit-def: $vgpr17
	s_branch .LBB101_334
.LBB101_329:
	v_mov_b32_e32 v14, 0
	v_mov_b32_e32 v17, 0
	s_branch .LBB101_333
.LBB101_330:
	v_mov_b32_e32 v14, 0
	v_mov_b32_e32 v17, 0
	;; [unrolled: 1-line block ×3, first 2 shown]
	s_and_b32 s6, s27, 3
	s_cmp_eq_u32 s6, 0
	s_cbranch_scc1 .LBB101_333
.LBB101_331:
	s_lshl_b32 s2, s26, 3
	s_add_u32 s2, s34, s2
	s_addc_u32 s3, s35, 0
	s_add_u32 s2, s2, 0xc4
	s_addc_u32 s3, s3, 0
	s_mul_i32 s4, s26, 12
	s_add_u32 s4, s34, s4
	s_addc_u32 s5, s35, 0
.LBB101_332:                            ; =>This Inner Loop Header: Depth=1
	s_load_dwordx2 s[8:9], s[4:5], 0x4
	s_load_dword s7, s[4:5], 0xc
	s_load_dwordx2 s[10:11], s[2:3], 0x0
	s_add_u32 s4, s4, 12
	s_addc_u32 s5, s5, 0
	s_waitcnt lgkmcnt(0)
	v_mul_hi_u32 v11, s9, v8
	s_add_u32 s2, s2, 8
	s_addc_u32 s3, s3, 0
	s_add_i32 s6, s6, -1
	v_add_u32_e32 v11, v8, v11
	v_lshrrev_b32_e32 v11, s7, v11
	v_mul_lo_u32 v15, v11, s8
	s_cmp_lg_u32 s6, 0
	v_sub_u32_e32 v8, v8, v15
	v_mad_u64_u32 v[14:15], s[8:9], v8, s10, v[14:15]
	v_mad_u64_u32 v[17:18], s[8:9], v8, s11, v[17:18]
	v_mov_b32_e32 v8, v11
	s_cbranch_scc1 .LBB101_332
.LBB101_333:
	s_cbranch_execnz .LBB101_336
.LBB101_334:
	s_load_dwordx4 s[4:7], s[34:35], 0x4
	s_load_dwordx2 s[2:3], s[34:35], 0xc4
	s_cmp_lt_u32 s33, 2
	s_waitcnt lgkmcnt(0)
	v_mul_hi_u32 v8, s5, v4
	v_add_u32_e32 v8, v4, v8
	v_lshrrev_b32_e32 v8, s6, v8
	v_mul_lo_u32 v11, v8, s4
	v_sub_u32_e32 v4, v4, v11
	v_mul_lo_u32 v14, v4, s2
	v_mul_lo_u32 v17, v4, s3
	s_cbranch_scc1 .LBB101_336
; %bb.335:
	s_load_dwordx4 s[4:7], s[34:35], 0x10
	s_load_dwordx2 s[2:3], s[34:35], 0xcc
	s_waitcnt lgkmcnt(0)
	v_mul_hi_u32 v4, s5, v8
	v_add_u32_e32 v4, v8, v4
	v_lshrrev_b32_e32 v4, s6, v4
	v_mul_lo_u32 v4, v4, s4
	v_sub_u32_e32 v4, v8, v4
	v_mad_u64_u32 v[14:15], s[4:5], v4, s2, v[14:15]
	v_mad_u64_u32 v[17:18], s[2:3], v4, s3, v[17:18]
.LBB101_336:
	s_and_b64 vcc, exec, s[0:1]
	s_cbranch_vccnz .LBB101_342
; %bb.337:
	s_cmp_lg_u32 s33, 0
	s_waitcnt lgkmcnt(0)
	s_mov_b32 s24, 0
	s_cbranch_scc0 .LBB101_343
; %bb.338:
	s_min_u32 s25, s56, 15
	s_add_i32 s25, s25, 1
	s_cmp_eq_u32 s56, 2
	s_cbranch_scc1 .LBB101_344
; %bb.339:
	s_and_b32 s24, s25, 28
	s_add_u32 s20, s34, 0xc4
	s_addc_u32 s21, s35, 0
	v_mov_b32_e32 v20, 0
	s_mov_b32 s26, 0
	s_mov_b64 s[22:23], s[34:35]
	v_mov_b32_e32 v18, 0
	v_mov_b32_e32 v4, v22
.LBB101_340:                            ; =>This Inner Loop Header: Depth=1
	s_load_dwordx8 s[8:15], s[22:23], 0x4
	s_load_dwordx4 s[16:19], s[22:23], 0x24
	s_load_dwordx8 s[0:7], s[20:21], 0x0
	s_add_u32 s22, s22, 48
	s_addc_u32 s23, s23, 0
	s_waitcnt lgkmcnt(0)
	v_mul_hi_u32 v8, s9, v4
	s_add_i32 s26, s26, 4
	s_add_u32 s20, s20, 32
	s_addc_u32 s21, s21, 0
	v_add_u32_e32 v8, v4, v8
	v_lshrrev_b32_e32 v8, s10, v8
	v_mul_lo_u32 v11, v8, s8
	v_mul_hi_u32 v15, s12, v8
	s_cmp_lg_u32 s24, s26
	v_sub_u32_e32 v4, v4, v11
	v_add_u32_e32 v11, v8, v15
	v_mul_lo_u32 v15, v4, s0
	v_mul_lo_u32 v19, v4, s1
	v_lshrrev_b32_e32 v4, s13, v11
	v_mul_lo_u32 v11, v4, s11
	v_mul_hi_u32 v21, s15, v4
	v_sub_u32_e32 v8, v8, v11
	v_add_u32_e32 v11, v4, v21
	v_lshrrev_b32_e32 v11, s16, v11
	v_mul_hi_u32 v23, s18, v11
	v_mul_lo_u32 v24, v11, s14
	v_mul_lo_u32 v21, v8, s2
	;; [unrolled: 1-line block ×3, first 2 shown]
	v_sub_u32_e32 v24, v4, v24
	v_add_u32_e32 v4, v11, v23
	v_lshrrev_b32_e32 v4, s19, v4
	v_mul_lo_u32 v23, v4, s17
	v_mul_lo_u32 v25, v24, s4
	;; [unrolled: 1-line block ×3, first 2 shown]
	v_add3_u32 v15, v15, v18, v21
	v_sub_u32_e32 v11, v11, v23
	v_mul_lo_u32 v23, v11, s6
	v_mul_lo_u32 v11, v11, s7
	v_add3_u32 v8, v19, v20, v8
	v_add3_u32 v18, v25, v15, v23
	;; [unrolled: 1-line block ×3, first 2 shown]
	s_cbranch_scc1 .LBB101_340
; %bb.341:
	s_and_b32 s4, s25, 3
	s_cmp_eq_u32 s4, 0
	s_cbranch_scc0 .LBB101_345
	s_branch .LBB101_347
.LBB101_342:
                                        ; implicit-def: $vgpr18
                                        ; implicit-def: $vgpr20
	s_branch .LBB101_348
.LBB101_343:
	v_mov_b32_e32 v18, 0
	v_mov_b32_e32 v20, 0
	s_branch .LBB101_347
.LBB101_344:
	v_mov_b32_e32 v18, 0
	v_mov_b32_e32 v20, 0
	;; [unrolled: 1-line block ×3, first 2 shown]
	s_and_b32 s4, s25, 3
	s_cmp_eq_u32 s4, 0
	s_cbranch_scc1 .LBB101_347
.LBB101_345:
	s_lshl_b32 s0, s24, 3
	s_add_u32 s0, s34, s0
	s_addc_u32 s1, s35, 0
	s_add_u32 s0, s0, 0xc4
	s_addc_u32 s1, s1, 0
	s_mul_i32 s2, s24, 12
	s_add_u32 s2, s34, s2
	s_addc_u32 s3, s35, 0
.LBB101_346:                            ; =>This Inner Loop Header: Depth=1
	s_load_dwordx2 s[6:7], s[2:3], 0x4
	s_load_dword s5, s[2:3], 0xc
	s_load_dwordx2 s[8:9], s[0:1], 0x0
	s_add_u32 s2, s2, 12
	s_addc_u32 s3, s3, 0
	s_waitcnt lgkmcnt(0)
	v_mul_hi_u32 v8, s7, v4
	s_add_u32 s0, s0, 8
	s_addc_u32 s1, s1, 0
	s_add_i32 s4, s4, -1
	v_add_u32_e32 v8, v4, v8
	v_lshrrev_b32_e32 v8, s5, v8
	v_mul_lo_u32 v11, v8, s6
	s_cmp_lg_u32 s4, 0
	v_sub_u32_e32 v4, v4, v11
	v_mad_u64_u32 v[18:19], s[6:7], v4, s8, v[18:19]
	v_mad_u64_u32 v[20:21], s[6:7], v4, s9, v[20:21]
	v_mov_b32_e32 v4, v8
	s_cbranch_scc1 .LBB101_346
.LBB101_347:
	s_cbranch_execnz .LBB101_350
.LBB101_348:
	s_load_dwordx4 s[0:3], s[34:35], 0x4
	s_load_dwordx2 s[4:5], s[34:35], 0xc4
	s_cmp_lt_u32 s33, 2
	s_waitcnt lgkmcnt(0)
	v_mul_hi_u32 v4, s1, v22
	v_add_u32_e32 v4, v22, v4
	v_lshrrev_b32_e32 v4, s2, v4
	v_mul_lo_u32 v8, v4, s0
	v_sub_u32_e32 v8, v22, v8
	v_mul_lo_u32 v18, v8, s4
	v_mul_lo_u32 v20, v8, s5
	s_cbranch_scc1 .LBB101_350
; %bb.349:
	s_load_dwordx4 s[0:3], s[34:35], 0x10
	s_load_dwordx2 s[4:5], s[34:35], 0xcc
	s_waitcnt lgkmcnt(0)
	v_mul_hi_u32 v8, s1, v4
	v_add_u32_e32 v8, v4, v8
	v_lshrrev_b32_e32 v8, s2, v8
	v_mul_lo_u32 v8, v8, s0
	v_sub_u32_e32 v4, v4, v8
	v_mad_u64_u32 v[18:19], s[0:1], v4, s4, v[18:19]
	v_mad_u64_u32 v[20:21], s[0:1], v4, s5, v[20:21]
.LBB101_350:
	s_load_dwordx4 s[0:3], s[34:35], 0x148
	s_load_dwordx2 s[4:5], s[34:35], 0x158
	s_mov_b64 s[8:9], 0
	s_waitcnt lgkmcnt(0)
	global_load_dword v4, v5, s[2:3]
	s_cmp_lt_i32 s4, 1
	s_cbranch_scc1 .LBB101_354
; %bb.351:
	s_cmp_gt_i32 s4, 1
	s_cbranch_scc0 .LBB101_355
; %bb.352:
	s_cmp_eq_u32 s4, 2
	s_cbranch_scc0 .LBB101_356
; %bb.353:
	s_waitcnt vmcnt(0)
	v_cmp_ge_f32_e64 s[6:7], s5, v4
	s_mov_b64 s[10:11], 0
	s_branch .LBB101_357
.LBB101_354:
                                        ; implicit-def: $sgpr6_sgpr7
	s_mov_b64 s[10:11], 0
	s_cbranch_execnz .LBB101_360
	s_branch .LBB101_361
.LBB101_355:
	s_mov_b64 s[10:11], 0
                                        ; implicit-def: $sgpr6_sgpr7
	s_cbranch_execnz .LBB101_358
	s_branch .LBB101_359
.LBB101_356:
	s_mov_b64 s[10:11], -1
                                        ; implicit-def: $sgpr6_sgpr7
.LBB101_357:
	s_branch .LBB101_359
.LBB101_358:
	s_waitcnt vmcnt(0)
	v_cmp_lt_f32_e32 vcc, s5, v4
	s_andn2_b64 s[6:7], s[6:7], exec
	s_and_b64 s[12:13], vcc, exec
	s_or_b64 s[6:7], s[6:7], s[12:13]
.LBB101_359:
	s_branch .LBB101_361
.LBB101_360:
	s_cmp_lg_u32 s4, 0
	s_mov_b64 s[8:9], -1
	s_cselect_b64 s[10:11], -1, 0
.LBB101_361:
	s_andn2_b64 vcc, exec, s[10:11]
	s_cbranch_vccz .LBB101_367
; %bb.362:
	s_andn2_b64 vcc, exec, s[8:9]
	s_cbranch_vccz .LBB101_368
.LBB101_363:
	global_load_dword v4, v6, s[2:3]
	s_cmp_lt_i32 s4, 1
	s_mov_b64 s[10:11], 0
	s_cbranch_scc1 .LBB101_369
.LBB101_364:
	s_cmp_gt_i32 s4, 1
	s_cbranch_scc0 .LBB101_370
; %bb.365:
	s_cmp_eq_u32 s4, 2
	s_cbranch_scc0 .LBB101_371
; %bb.366:
	s_waitcnt vmcnt(0)
	v_cmp_ge_f32_e64 s[8:9], s5, v4
	s_mov_b64 s[12:13], 0
	s_branch .LBB101_372
.LBB101_367:
	s_waitcnt vmcnt(0)
	v_cmp_gt_f32_e32 vcc, s5, v4
	s_andn2_b64 s[6:7], s[6:7], exec
	s_and_b64 s[10:11], vcc, exec
	s_or_b64 s[6:7], s[6:7], s[10:11]
	s_cbranch_execnz .LBB101_363
.LBB101_368:
	s_waitcnt vmcnt(0)
	v_cmp_le_f32_e32 vcc, s5, v4
	s_andn2_b64 s[6:7], s[6:7], exec
	s_and_b64 s[8:9], vcc, exec
	s_or_b64 s[6:7], s[6:7], s[8:9]
	global_load_dword v4, v6, s[2:3]
	s_cmp_lt_i32 s4, 1
	s_mov_b64 s[10:11], 0
	s_cbranch_scc0 .LBB101_364
.LBB101_369:
                                        ; implicit-def: $sgpr8_sgpr9
	s_mov_b64 s[12:13], 0
	s_cbranch_execnz .LBB101_375
	s_branch .LBB101_376
.LBB101_370:
	s_mov_b64 s[12:13], 0
                                        ; implicit-def: $sgpr8_sgpr9
	s_cbranch_execnz .LBB101_373
	s_branch .LBB101_374
.LBB101_371:
	s_mov_b64 s[12:13], -1
                                        ; implicit-def: $sgpr8_sgpr9
.LBB101_372:
	s_branch .LBB101_374
.LBB101_373:
	s_waitcnt vmcnt(0)
	v_cmp_lt_f32_e32 vcc, s5, v4
	s_andn2_b64 s[8:9], s[8:9], exec
	s_and_b64 s[14:15], vcc, exec
	s_or_b64 s[8:9], s[8:9], s[14:15]
.LBB101_374:
	s_branch .LBB101_376
.LBB101_375:
	s_cmp_lg_u32 s4, 0
	s_mov_b64 s[10:11], -1
	s_cselect_b64 s[12:13], -1, 0
.LBB101_376:
	s_andn2_b64 vcc, exec, s[12:13]
	s_cbranch_vccz .LBB101_382
; %bb.377:
	s_andn2_b64 vcc, exec, s[10:11]
	s_cbranch_vccz .LBB101_383
.LBB101_378:
	global_load_dword v4, v9, s[2:3]
	s_cmp_lt_i32 s4, 1
	s_mov_b64 s[12:13], 0
	s_cbranch_scc1 .LBB101_384
.LBB101_379:
	s_cmp_gt_i32 s4, 1
	s_cbranch_scc0 .LBB101_385
; %bb.380:
	s_cmp_eq_u32 s4, 2
	s_cbranch_scc0 .LBB101_386
; %bb.381:
	s_waitcnt vmcnt(0)
	v_cmp_ge_f32_e64 s[10:11], s5, v4
	s_mov_b64 s[14:15], 0
	s_branch .LBB101_387
.LBB101_382:
	s_waitcnt vmcnt(0)
	v_cmp_gt_f32_e32 vcc, s5, v4
	s_andn2_b64 s[8:9], s[8:9], exec
	s_and_b64 s[12:13], vcc, exec
	s_or_b64 s[8:9], s[8:9], s[12:13]
	s_cbranch_execnz .LBB101_378
.LBB101_383:
	s_waitcnt vmcnt(0)
	v_cmp_le_f32_e32 vcc, s5, v4
	s_andn2_b64 s[8:9], s[8:9], exec
	s_and_b64 s[10:11], vcc, exec
	s_or_b64 s[8:9], s[8:9], s[10:11]
	global_load_dword v4, v9, s[2:3]
	s_cmp_lt_i32 s4, 1
	s_mov_b64 s[12:13], 0
	s_cbranch_scc0 .LBB101_379
.LBB101_384:
                                        ; implicit-def: $sgpr10_sgpr11
	s_mov_b64 s[14:15], 0
	s_cbranch_execnz .LBB101_390
	s_branch .LBB101_391
.LBB101_385:
	s_mov_b64 s[14:15], 0
                                        ; implicit-def: $sgpr10_sgpr11
	s_cbranch_execnz .LBB101_388
	s_branch .LBB101_389
.LBB101_386:
	s_mov_b64 s[14:15], -1
                                        ; implicit-def: $sgpr10_sgpr11
.LBB101_387:
	s_branch .LBB101_389
.LBB101_388:
	s_waitcnt vmcnt(0)
	v_cmp_lt_f32_e32 vcc, s5, v4
	s_andn2_b64 s[10:11], s[10:11], exec
	s_and_b64 s[16:17], vcc, exec
	s_or_b64 s[10:11], s[10:11], s[16:17]
.LBB101_389:
	s_branch .LBB101_391
.LBB101_390:
	s_cmp_lg_u32 s4, 0
	s_mov_b64 s[12:13], -1
	s_cselect_b64 s[14:15], -1, 0
.LBB101_391:
	s_andn2_b64 vcc, exec, s[14:15]
	s_cbranch_vccz .LBB101_397
; %bb.392:
	s_andn2_b64 vcc, exec, s[12:13]
	s_cbranch_vccz .LBB101_398
.LBB101_393:
	global_load_dword v4, v12, s[2:3]
	s_cmp_lt_i32 s4, 1
	s_mov_b64 s[14:15], 0
	s_cbranch_scc1 .LBB101_399
.LBB101_394:
	s_cmp_gt_i32 s4, 1
	s_cbranch_scc0 .LBB101_400
; %bb.395:
	s_cmp_eq_u32 s4, 2
	s_cbranch_scc0 .LBB101_401
; %bb.396:
	s_waitcnt vmcnt(0)
	v_cmp_ge_f32_e64 s[12:13], s5, v4
	s_mov_b64 s[16:17], 0
	s_branch .LBB101_402
.LBB101_397:
	s_waitcnt vmcnt(0)
	v_cmp_gt_f32_e32 vcc, s5, v4
	s_andn2_b64 s[10:11], s[10:11], exec
	s_and_b64 s[14:15], vcc, exec
	s_or_b64 s[10:11], s[10:11], s[14:15]
	s_cbranch_execnz .LBB101_393
.LBB101_398:
	s_waitcnt vmcnt(0)
	v_cmp_le_f32_e32 vcc, s5, v4
	s_andn2_b64 s[10:11], s[10:11], exec
	s_and_b64 s[12:13], vcc, exec
	s_or_b64 s[10:11], s[10:11], s[12:13]
	global_load_dword v4, v12, s[2:3]
	s_cmp_lt_i32 s4, 1
	s_mov_b64 s[14:15], 0
	s_cbranch_scc0 .LBB101_394
.LBB101_399:
                                        ; implicit-def: $sgpr12_sgpr13
	s_mov_b64 s[16:17], 0
	s_cbranch_execnz .LBB101_405
	s_branch .LBB101_406
.LBB101_400:
	s_mov_b64 s[16:17], 0
                                        ; implicit-def: $sgpr12_sgpr13
	s_cbranch_execnz .LBB101_403
	s_branch .LBB101_404
.LBB101_401:
	s_mov_b64 s[16:17], -1
                                        ; implicit-def: $sgpr12_sgpr13
.LBB101_402:
	s_branch .LBB101_404
.LBB101_403:
	s_waitcnt vmcnt(0)
	v_cmp_lt_f32_e32 vcc, s5, v4
	s_andn2_b64 s[12:13], s[12:13], exec
	s_and_b64 s[18:19], vcc, exec
	s_or_b64 s[12:13], s[12:13], s[18:19]
.LBB101_404:
	s_branch .LBB101_406
.LBB101_405:
	s_cmp_lg_u32 s4, 0
	s_mov_b64 s[14:15], -1
	s_cselect_b64 s[16:17], -1, 0
.LBB101_406:
	s_andn2_b64 vcc, exec, s[16:17]
	s_cbranch_vccz .LBB101_412
; %bb.407:
	s_andn2_b64 vcc, exec, s[14:15]
	s_cbranch_vccz .LBB101_413
.LBB101_408:
	global_load_dword v4, v13, s[2:3]
	s_cmp_lt_i32 s4, 1
	s_mov_b64 s[16:17], 0
	s_cbranch_scc1 .LBB101_414
.LBB101_409:
	s_cmp_gt_i32 s4, 1
	s_cbranch_scc0 .LBB101_415
; %bb.410:
	s_cmp_eq_u32 s4, 2
	s_cbranch_scc0 .LBB101_416
; %bb.411:
	s_waitcnt vmcnt(0)
	v_cmp_ge_f32_e64 s[14:15], s5, v4
	s_mov_b64 s[18:19], 0
	s_branch .LBB101_417
.LBB101_412:
	s_waitcnt vmcnt(0)
	v_cmp_gt_f32_e32 vcc, s5, v4
	s_andn2_b64 s[12:13], s[12:13], exec
	s_and_b64 s[16:17], vcc, exec
	s_or_b64 s[12:13], s[12:13], s[16:17]
	s_cbranch_execnz .LBB101_408
.LBB101_413:
	s_waitcnt vmcnt(0)
	v_cmp_le_f32_e32 vcc, s5, v4
	s_andn2_b64 s[12:13], s[12:13], exec
	s_and_b64 s[14:15], vcc, exec
	s_or_b64 s[12:13], s[12:13], s[14:15]
	global_load_dword v4, v13, s[2:3]
	s_cmp_lt_i32 s4, 1
	s_mov_b64 s[16:17], 0
	s_cbranch_scc0 .LBB101_409
.LBB101_414:
                                        ; implicit-def: $sgpr14_sgpr15
	s_mov_b64 s[18:19], 0
	s_cbranch_execnz .LBB101_420
	s_branch .LBB101_421
.LBB101_415:
	s_mov_b64 s[18:19], 0
                                        ; implicit-def: $sgpr14_sgpr15
	s_cbranch_execnz .LBB101_418
	s_branch .LBB101_419
.LBB101_416:
	s_mov_b64 s[18:19], -1
                                        ; implicit-def: $sgpr14_sgpr15
.LBB101_417:
	s_branch .LBB101_419
.LBB101_418:
	s_waitcnt vmcnt(0)
	v_cmp_lt_f32_e32 vcc, s5, v4
	s_andn2_b64 s[14:15], s[14:15], exec
	s_and_b64 s[20:21], vcc, exec
	s_or_b64 s[14:15], s[14:15], s[20:21]
.LBB101_419:
	s_branch .LBB101_421
.LBB101_420:
	s_cmp_lg_u32 s4, 0
	s_mov_b64 s[16:17], -1
	s_cselect_b64 s[18:19], -1, 0
.LBB101_421:
	s_andn2_b64 vcc, exec, s[18:19]
	s_cbranch_vccz .LBB101_427
; %bb.422:
	s_andn2_b64 vcc, exec, s[16:17]
	s_cbranch_vccz .LBB101_428
.LBB101_423:
	global_load_dword v4, v16, s[2:3]
	s_cmp_lt_i32 s4, 1
	s_mov_b64 s[18:19], 0
	s_cbranch_scc1 .LBB101_429
.LBB101_424:
	s_cmp_gt_i32 s4, 1
	s_cbranch_scc0 .LBB101_430
; %bb.425:
	s_cmp_eq_u32 s4, 2
	s_cbranch_scc0 .LBB101_431
; %bb.426:
	s_waitcnt vmcnt(0)
	v_cmp_ge_f32_e64 s[16:17], s5, v4
	s_mov_b64 s[20:21], 0
	s_branch .LBB101_432
.LBB101_427:
	s_waitcnt vmcnt(0)
	v_cmp_gt_f32_e32 vcc, s5, v4
	s_andn2_b64 s[14:15], s[14:15], exec
	s_and_b64 s[18:19], vcc, exec
	s_or_b64 s[14:15], s[14:15], s[18:19]
	s_cbranch_execnz .LBB101_423
.LBB101_428:
	s_waitcnt vmcnt(0)
	v_cmp_le_f32_e32 vcc, s5, v4
	s_andn2_b64 s[14:15], s[14:15], exec
	s_and_b64 s[16:17], vcc, exec
	s_or_b64 s[14:15], s[14:15], s[16:17]
	global_load_dword v4, v16, s[2:3]
	s_cmp_lt_i32 s4, 1
	s_mov_b64 s[18:19], 0
	s_cbranch_scc0 .LBB101_424
.LBB101_429:
                                        ; implicit-def: $sgpr16_sgpr17
	s_mov_b64 s[20:21], 0
	s_cbranch_execnz .LBB101_435
	s_branch .LBB101_436
.LBB101_430:
	s_mov_b64 s[20:21], 0
                                        ; implicit-def: $sgpr16_sgpr17
	s_cbranch_execnz .LBB101_433
	s_branch .LBB101_434
.LBB101_431:
	s_mov_b64 s[20:21], -1
                                        ; implicit-def: $sgpr16_sgpr17
.LBB101_432:
	s_branch .LBB101_434
.LBB101_433:
	s_waitcnt vmcnt(0)
	v_cmp_lt_f32_e32 vcc, s5, v4
	s_andn2_b64 s[16:17], s[16:17], exec
	s_and_b64 s[22:23], vcc, exec
	s_or_b64 s[16:17], s[16:17], s[22:23]
.LBB101_434:
	s_branch .LBB101_436
.LBB101_435:
	s_cmp_lg_u32 s4, 0
	s_mov_b64 s[18:19], -1
	s_cselect_b64 s[20:21], -1, 0
.LBB101_436:
	s_andn2_b64 vcc, exec, s[20:21]
	s_cbranch_vccz .LBB101_442
; %bb.437:
	s_andn2_b64 vcc, exec, s[18:19]
	s_cbranch_vccz .LBB101_443
.LBB101_438:
	global_load_dword v4, v17, s[2:3]
	s_cmp_lt_i32 s4, 1
	s_mov_b64 s[20:21], 0
	s_cbranch_scc1 .LBB101_444
.LBB101_439:
	s_cmp_gt_i32 s4, 1
	s_cbranch_scc0 .LBB101_445
; %bb.440:
	s_cmp_eq_u32 s4, 2
	s_cbranch_scc0 .LBB101_446
; %bb.441:
	s_waitcnt vmcnt(0)
	v_cmp_ge_f32_e64 s[18:19], s5, v4
	s_mov_b64 s[22:23], 0
	s_branch .LBB101_447
.LBB101_442:
	s_waitcnt vmcnt(0)
	v_cmp_gt_f32_e32 vcc, s5, v4
	s_andn2_b64 s[16:17], s[16:17], exec
	s_and_b64 s[20:21], vcc, exec
	s_or_b64 s[16:17], s[16:17], s[20:21]
	s_cbranch_execnz .LBB101_438
.LBB101_443:
	s_waitcnt vmcnt(0)
	v_cmp_le_f32_e32 vcc, s5, v4
	s_andn2_b64 s[16:17], s[16:17], exec
	s_and_b64 s[18:19], vcc, exec
	s_or_b64 s[16:17], s[16:17], s[18:19]
	global_load_dword v4, v17, s[2:3]
	s_cmp_lt_i32 s4, 1
	s_mov_b64 s[20:21], 0
	s_cbranch_scc0 .LBB101_439
.LBB101_444:
                                        ; implicit-def: $sgpr18_sgpr19
	s_mov_b64 s[22:23], 0
	s_cbranch_execnz .LBB101_450
	s_branch .LBB101_451
.LBB101_445:
	s_mov_b64 s[22:23], 0
                                        ; implicit-def: $sgpr18_sgpr19
	s_cbranch_execnz .LBB101_448
	s_branch .LBB101_449
.LBB101_446:
	s_mov_b64 s[22:23], -1
                                        ; implicit-def: $sgpr18_sgpr19
.LBB101_447:
	s_branch .LBB101_449
.LBB101_448:
	s_waitcnt vmcnt(0)
	v_cmp_lt_f32_e32 vcc, s5, v4
	s_andn2_b64 s[18:19], s[18:19], exec
	s_and_b64 s[24:25], vcc, exec
	s_or_b64 s[18:19], s[18:19], s[24:25]
.LBB101_449:
	s_branch .LBB101_451
.LBB101_450:
	s_cmp_lg_u32 s4, 0
	s_mov_b64 s[20:21], -1
	s_cselect_b64 s[22:23], -1, 0
.LBB101_451:
	s_andn2_b64 vcc, exec, s[22:23]
	s_cbranch_vccz .LBB101_457
; %bb.452:
	s_andn2_b64 vcc, exec, s[20:21]
	s_cbranch_vccz .LBB101_458
.LBB101_453:
	global_load_dword v4, v20, s[2:3]
	s_cmp_lt_i32 s4, 1
	s_mov_b64 s[20:21], 0
	s_cbranch_scc1 .LBB101_459
.LBB101_454:
	s_cmp_gt_i32 s4, 1
	s_cbranch_scc0 .LBB101_460
; %bb.455:
	s_cmp_eq_u32 s4, 2
	s_cbranch_scc0 .LBB101_461
; %bb.456:
	s_waitcnt vmcnt(0)
	v_cmp_ge_f32_e64 s[2:3], s5, v4
	s_mov_b64 s[22:23], 0
	s_branch .LBB101_462
.LBB101_457:
	s_waitcnt vmcnt(0)
	v_cmp_gt_f32_e32 vcc, s5, v4
	s_andn2_b64 s[18:19], s[18:19], exec
	s_and_b64 s[22:23], vcc, exec
	s_or_b64 s[18:19], s[18:19], s[22:23]
	s_cbranch_execnz .LBB101_453
.LBB101_458:
	s_waitcnt vmcnt(0)
	v_cmp_le_f32_e32 vcc, s5, v4
	s_andn2_b64 s[18:19], s[18:19], exec
	s_and_b64 s[20:21], vcc, exec
	s_or_b64 s[18:19], s[18:19], s[20:21]
	global_load_dword v4, v20, s[2:3]
	s_cmp_lt_i32 s4, 1
	s_mov_b64 s[20:21], 0
	s_cbranch_scc0 .LBB101_454
.LBB101_459:
                                        ; implicit-def: $sgpr2_sgpr3
	s_mov_b64 s[22:23], 0
	s_cbranch_execnz .LBB101_465
	s_branch .LBB101_466
.LBB101_460:
	s_mov_b64 s[22:23], 0
                                        ; implicit-def: $sgpr2_sgpr3
	s_cbranch_execnz .LBB101_463
	s_branch .LBB101_464
.LBB101_461:
	s_mov_b64 s[22:23], -1
                                        ; implicit-def: $sgpr2_sgpr3
.LBB101_462:
	s_branch .LBB101_464
.LBB101_463:
	s_waitcnt vmcnt(0)
	v_cmp_lt_f32_e32 vcc, s5, v4
	s_andn2_b64 s[2:3], s[2:3], exec
	s_and_b64 s[24:25], vcc, exec
	s_or_b64 s[2:3], s[2:3], s[24:25]
.LBB101_464:
	s_branch .LBB101_466
.LBB101_465:
	s_cmp_lg_u32 s4, 0
	s_mov_b64 s[20:21], -1
	s_cselect_b64 s[22:23], -1, 0
.LBB101_466:
	s_andn2_b64 vcc, exec, s[22:23]
	s_cbranch_vccz .LBB101_470
; %bb.467:
	s_andn2_b64 vcc, exec, s[20:21]
	s_cbranch_vccnz .LBB101_469
.LBB101_468:
	s_waitcnt vmcnt(0)
	v_cmp_le_f32_e32 vcc, s5, v4
	s_andn2_b64 s[2:3], s[2:3], exec
	s_and_b64 s[4:5], vcc, exec
	s_or_b64 s[2:3], s[2:3], s[4:5]
.LBB101_469:
	v_cndmask_b32_e64 v12, 0, 1, s[6:7]
	s_waitcnt vmcnt(0)
	v_cndmask_b32_e64 v4, 0, 1, s[18:19]
	v_cndmask_b32_e64 v5, 0, 1, s[16:17]
	;; [unrolled: 1-line block ×7, first 2 shown]
	global_store_byte v0, v12, s[0:1]
	global_store_byte v1, v11, s[0:1]
	;; [unrolled: 1-line block ×8, first 2 shown]
	s_endpgm
.LBB101_470:
	s_waitcnt vmcnt(0)
	v_cmp_gt_f32_e32 vcc, s5, v4
	s_andn2_b64 s[2:3], s[2:3], exec
	s_and_b64 s[22:23], vcc, exec
	s_or_b64 s[2:3], s[2:3], s[22:23]
	s_cbranch_execz .LBB101_468
	s_branch .LBB101_469
.LBB101_471:
	s_mov_b64 s[4:5], -1
                                        ; implicit-def: $sgpr2_sgpr3
	s_branch .LBB101_60
.LBB101_472:
	s_mov_b64 s[4:5], -1
                                        ; implicit-def: $sgpr2_sgpr3
	s_branch .LBB101_88
.LBB101_473:
	s_mov_b64 s[4:5], -1
                                        ; implicit-def: $sgpr2_sgpr3
	s_branch .LBB101_116
.LBB101_474:
	s_mov_b64 s[4:5], -1
                                        ; implicit-def: $sgpr2_sgpr3
	s_branch .LBB101_144
.LBB101_475:
	s_mov_b64 s[4:5], -1
                                        ; implicit-def: $sgpr2_sgpr3
	s_branch .LBB101_172
.LBB101_476:
	s_mov_b64 s[4:5], -1
                                        ; implicit-def: $sgpr2_sgpr3
	s_branch .LBB101_200
.LBB101_477:
	s_mov_b64 s[4:5], -1
                                        ; implicit-def: $sgpr2_sgpr3
	s_branch .LBB101_228
	.section	.rodata,"a",@progbits
	.p2align	6, 0x0
	.amdhsa_kernel _ZN2at6native32elementwise_kernel_manual_unrollILi128ELi8EZNS0_22gpu_kernel_impl_nocastIZNS0_21compare_scalar_kernelIfEEvRNS_18TensorIteratorBaseENS0_12_GLOBAL__N_16OpTypeET_EUlfE_EEvS5_RKS8_EUlibE_EEviT1_
		.amdhsa_group_segment_fixed_size 0
		.amdhsa_private_segment_fixed_size 0
		.amdhsa_kernarg_size 360
		.amdhsa_user_sgpr_count 6
		.amdhsa_user_sgpr_private_segment_buffer 1
		.amdhsa_user_sgpr_dispatch_ptr 0
		.amdhsa_user_sgpr_queue_ptr 0
		.amdhsa_user_sgpr_kernarg_segment_ptr 1
		.amdhsa_user_sgpr_dispatch_id 0
		.amdhsa_user_sgpr_flat_scratch_init 0
		.amdhsa_user_sgpr_private_segment_size 0
		.amdhsa_uses_dynamic_stack 0
		.amdhsa_system_sgpr_private_segment_wavefront_offset 0
		.amdhsa_system_sgpr_workgroup_id_x 1
		.amdhsa_system_sgpr_workgroup_id_y 0
		.amdhsa_system_sgpr_workgroup_id_z 0
		.amdhsa_system_sgpr_workgroup_info 0
		.amdhsa_system_vgpr_workitem_id 0
		.amdhsa_next_free_vgpr 26
		.amdhsa_next_free_sgpr 62
		.amdhsa_reserve_vcc 1
		.amdhsa_reserve_flat_scratch 0
		.amdhsa_float_round_mode_32 0
		.amdhsa_float_round_mode_16_64 0
		.amdhsa_float_denorm_mode_32 3
		.amdhsa_float_denorm_mode_16_64 3
		.amdhsa_dx10_clamp 1
		.amdhsa_ieee_mode 1
		.amdhsa_fp16_overflow 0
		.amdhsa_exception_fp_ieee_invalid_op 0
		.amdhsa_exception_fp_denorm_src 0
		.amdhsa_exception_fp_ieee_div_zero 0
		.amdhsa_exception_fp_ieee_overflow 0
		.amdhsa_exception_fp_ieee_underflow 0
		.amdhsa_exception_fp_ieee_inexact 0
		.amdhsa_exception_int_div_zero 0
	.end_amdhsa_kernel
	.section	.text._ZN2at6native32elementwise_kernel_manual_unrollILi128ELi8EZNS0_22gpu_kernel_impl_nocastIZNS0_21compare_scalar_kernelIfEEvRNS_18TensorIteratorBaseENS0_12_GLOBAL__N_16OpTypeET_EUlfE_EEvS5_RKS8_EUlibE_EEviT1_,"axG",@progbits,_ZN2at6native32elementwise_kernel_manual_unrollILi128ELi8EZNS0_22gpu_kernel_impl_nocastIZNS0_21compare_scalar_kernelIfEEvRNS_18TensorIteratorBaseENS0_12_GLOBAL__N_16OpTypeET_EUlfE_EEvS5_RKS8_EUlibE_EEviT1_,comdat
.Lfunc_end101:
	.size	_ZN2at6native32elementwise_kernel_manual_unrollILi128ELi8EZNS0_22gpu_kernel_impl_nocastIZNS0_21compare_scalar_kernelIfEEvRNS_18TensorIteratorBaseENS0_12_GLOBAL__N_16OpTypeET_EUlfE_EEvS5_RKS8_EUlibE_EEviT1_, .Lfunc_end101-_ZN2at6native32elementwise_kernel_manual_unrollILi128ELi8EZNS0_22gpu_kernel_impl_nocastIZNS0_21compare_scalar_kernelIfEEvRNS_18TensorIteratorBaseENS0_12_GLOBAL__N_16OpTypeET_EUlfE_EEvS5_RKS8_EUlibE_EEviT1_
                                        ; -- End function
	.set _ZN2at6native32elementwise_kernel_manual_unrollILi128ELi8EZNS0_22gpu_kernel_impl_nocastIZNS0_21compare_scalar_kernelIfEEvRNS_18TensorIteratorBaseENS0_12_GLOBAL__N_16OpTypeET_EUlfE_EEvS5_RKS8_EUlibE_EEviT1_.num_vgpr, 26
	.set _ZN2at6native32elementwise_kernel_manual_unrollILi128ELi8EZNS0_22gpu_kernel_impl_nocastIZNS0_21compare_scalar_kernelIfEEvRNS_18TensorIteratorBaseENS0_12_GLOBAL__N_16OpTypeET_EUlfE_EEvS5_RKS8_EUlibE_EEviT1_.num_agpr, 0
	.set _ZN2at6native32elementwise_kernel_manual_unrollILi128ELi8EZNS0_22gpu_kernel_impl_nocastIZNS0_21compare_scalar_kernelIfEEvRNS_18TensorIteratorBaseENS0_12_GLOBAL__N_16OpTypeET_EUlfE_EEvS5_RKS8_EUlibE_EEviT1_.numbered_sgpr, 62
	.set _ZN2at6native32elementwise_kernel_manual_unrollILi128ELi8EZNS0_22gpu_kernel_impl_nocastIZNS0_21compare_scalar_kernelIfEEvRNS_18TensorIteratorBaseENS0_12_GLOBAL__N_16OpTypeET_EUlfE_EEvS5_RKS8_EUlibE_EEviT1_.num_named_barrier, 0
	.set _ZN2at6native32elementwise_kernel_manual_unrollILi128ELi8EZNS0_22gpu_kernel_impl_nocastIZNS0_21compare_scalar_kernelIfEEvRNS_18TensorIteratorBaseENS0_12_GLOBAL__N_16OpTypeET_EUlfE_EEvS5_RKS8_EUlibE_EEviT1_.private_seg_size, 0
	.set _ZN2at6native32elementwise_kernel_manual_unrollILi128ELi8EZNS0_22gpu_kernel_impl_nocastIZNS0_21compare_scalar_kernelIfEEvRNS_18TensorIteratorBaseENS0_12_GLOBAL__N_16OpTypeET_EUlfE_EEvS5_RKS8_EUlibE_EEviT1_.uses_vcc, 1
	.set _ZN2at6native32elementwise_kernel_manual_unrollILi128ELi8EZNS0_22gpu_kernel_impl_nocastIZNS0_21compare_scalar_kernelIfEEvRNS_18TensorIteratorBaseENS0_12_GLOBAL__N_16OpTypeET_EUlfE_EEvS5_RKS8_EUlibE_EEviT1_.uses_flat_scratch, 0
	.set _ZN2at6native32elementwise_kernel_manual_unrollILi128ELi8EZNS0_22gpu_kernel_impl_nocastIZNS0_21compare_scalar_kernelIfEEvRNS_18TensorIteratorBaseENS0_12_GLOBAL__N_16OpTypeET_EUlfE_EEvS5_RKS8_EUlibE_EEviT1_.has_dyn_sized_stack, 0
	.set _ZN2at6native32elementwise_kernel_manual_unrollILi128ELi8EZNS0_22gpu_kernel_impl_nocastIZNS0_21compare_scalar_kernelIfEEvRNS_18TensorIteratorBaseENS0_12_GLOBAL__N_16OpTypeET_EUlfE_EEvS5_RKS8_EUlibE_EEviT1_.has_recursion, 0
	.set _ZN2at6native32elementwise_kernel_manual_unrollILi128ELi8EZNS0_22gpu_kernel_impl_nocastIZNS0_21compare_scalar_kernelIfEEvRNS_18TensorIteratorBaseENS0_12_GLOBAL__N_16OpTypeET_EUlfE_EEvS5_RKS8_EUlibE_EEviT1_.has_indirect_call, 0
	.section	.AMDGPU.csdata,"",@progbits
; Kernel info:
; codeLenInByte = 14260
; TotalNumSgprs: 66
; NumVgprs: 26
; ScratchSize: 0
; MemoryBound: 0
; FloatMode: 240
; IeeeMode: 1
; LDSByteSize: 0 bytes/workgroup (compile time only)
; SGPRBlocks: 8
; VGPRBlocks: 6
; NumSGPRsForWavesPerEU: 66
; NumVGPRsForWavesPerEU: 26
; Occupancy: 9
; WaveLimiterHint : 1
; COMPUTE_PGM_RSRC2:SCRATCH_EN: 0
; COMPUTE_PGM_RSRC2:USER_SGPR: 6
; COMPUTE_PGM_RSRC2:TRAP_HANDLER: 0
; COMPUTE_PGM_RSRC2:TGID_X_EN: 1
; COMPUTE_PGM_RSRC2:TGID_Y_EN: 0
; COMPUTE_PGM_RSRC2:TGID_Z_EN: 0
; COMPUTE_PGM_RSRC2:TIDIG_COMP_CNT: 0
	.section	.text._ZN2at6native32elementwise_kernel_manual_unrollILi128ELi4EZNS0_15gpu_kernel_implIZNS0_21compare_scalar_kernelIfEEvRNS_18TensorIteratorBaseENS0_12_GLOBAL__N_16OpTypeET_EUlfE_EEvS5_RKS8_EUlibE_EEviT1_,"axG",@progbits,_ZN2at6native32elementwise_kernel_manual_unrollILi128ELi4EZNS0_15gpu_kernel_implIZNS0_21compare_scalar_kernelIfEEvRNS_18TensorIteratorBaseENS0_12_GLOBAL__N_16OpTypeET_EUlfE_EEvS5_RKS8_EUlibE_EEviT1_,comdat
	.globl	_ZN2at6native32elementwise_kernel_manual_unrollILi128ELi4EZNS0_15gpu_kernel_implIZNS0_21compare_scalar_kernelIfEEvRNS_18TensorIteratorBaseENS0_12_GLOBAL__N_16OpTypeET_EUlfE_EEvS5_RKS8_EUlibE_EEviT1_ ; -- Begin function _ZN2at6native32elementwise_kernel_manual_unrollILi128ELi4EZNS0_15gpu_kernel_implIZNS0_21compare_scalar_kernelIfEEvRNS_18TensorIteratorBaseENS0_12_GLOBAL__N_16OpTypeET_EUlfE_EEvS5_RKS8_EUlibE_EEviT1_
	.p2align	8
	.type	_ZN2at6native32elementwise_kernel_manual_unrollILi128ELi4EZNS0_15gpu_kernel_implIZNS0_21compare_scalar_kernelIfEEvRNS_18TensorIteratorBaseENS0_12_GLOBAL__N_16OpTypeET_EUlfE_EEvS5_RKS8_EUlibE_EEviT1_,@function
_ZN2at6native32elementwise_kernel_manual_unrollILi128ELi4EZNS0_15gpu_kernel_implIZNS0_21compare_scalar_kernelIfEEvRNS_18TensorIteratorBaseENS0_12_GLOBAL__N_16OpTypeET_EUlfE_EEvS5_RKS8_EUlibE_EEviT1_: ; @_ZN2at6native32elementwise_kernel_manual_unrollILi128ELi4EZNS0_15gpu_kernel_implIZNS0_21compare_scalar_kernelIfEEvRNS_18TensorIteratorBaseENS0_12_GLOBAL__N_16OpTypeET_EUlfE_EEvS5_RKS8_EUlibE_EEviT1_
; %bb.0:
	s_load_dword s33, s[4:5], 0x28
	s_load_dword s40, s[4:5], 0x0
	s_load_dwordx8 s[8:15], s[4:5], 0x8
	v_lshl_or_b32 v2, s6, 9, v0
	v_or_b32_e32 v0, 0x180, v2
	s_waitcnt lgkmcnt(0)
	s_bfe_u32 s44, s33, 0x80008
	v_cmp_le_i32_e32 vcc, s40, v0
	s_mov_b64 s[2:3], 0
	s_mov_b64 s[6:7], 0
	s_and_saveexec_b64 s[0:1], vcc
	s_xor_b64 s[4:5], exec, s[0:1]
	s_cbranch_execz .LBB102_1092
; %bb.1:
	v_cmp_gt_i32_e32 vcc, s40, v2
	s_mov_b64 s[20:21], -1
	s_mov_b64 s[22:23], 0
	s_mov_b64 s[16:17], 0
	s_and_saveexec_b64 s[18:19], vcc
	s_cbranch_execz .LBB102_268
; %bb.2:
	v_mul_lo_u32 v0, v2, s13
	v_mov_b32_e32 v1, s11
	s_and_b32 s24, 0xffff, s44
	s_cmp_lt_i32 s24, 11
	v_ashrrev_i32_e32 v3, 31, v0
	v_add_co_u32_e32 v0, vcc, s10, v0
	v_addc_co_u32_e32 v1, vcc, v1, v3, vcc
	s_cbranch_scc1 .LBB102_9
; %bb.3:
	s_cmp_gt_i32 s24, 25
	s_cbranch_scc0 .LBB102_15
; %bb.4:
	s_cmp_gt_i32 s24, 28
	s_cbranch_scc0 .LBB102_17
	;; [unrolled: 3-line block ×4, first 2 shown]
; %bb.7:
	s_cmp_eq_u32 s24, 46
	s_cbranch_scc0 .LBB102_44
; %bb.8:
	global_load_dword v3, v[0:1], off
	s_mov_b64 s[0:1], -1
	s_waitcnt vmcnt(0)
	v_lshlrev_b32_e32 v3, 16, v3
	s_branch .LBB102_46
.LBB102_9:
                                        ; implicit-def: $vgpr3
	s_mov_b64 s[0:1], 0
	s_cbranch_execnz .LBB102_219
.LBB102_10:
	s_andn2_b64 vcc, exec, s[0:1]
	s_cbranch_vccnz .LBB102_266
.LBB102_11:
	s_cmp_lt_i32 s14, 1
	s_mov_b64 s[0:1], 0
	s_cbranch_scc1 .LBB102_16
; %bb.12:
	s_cmp_gt_i32 s14, 1
	s_cbranch_scc0 .LBB102_18
; %bb.13:
	s_cmp_eq_u32 s14, 2
	s_cbranch_scc0 .LBB102_20
; %bb.14:
	s_waitcnt vmcnt(0)
	v_cmp_ge_f32_e64 s[6:7], s15, v3
	s_mov_b64 s[20:21], 0
	s_branch .LBB102_21
.LBB102_15:
	s_mov_b64 s[0:1], 0
                                        ; implicit-def: $vgpr3
	s_cbranch_execnz .LBB102_184
	s_branch .LBB102_218
.LBB102_16:
                                        ; implicit-def: $sgpr6_sgpr7
	s_mov_b64 s[20:21], 0
	s_cbranch_execnz .LBB102_25
	s_branch .LBB102_26
.LBB102_17:
	s_mov_b64 s[6:7], -1
	s_mov_b64 s[0:1], 0
                                        ; implicit-def: $vgpr3
	s_branch .LBB102_165
.LBB102_18:
	s_mov_b64 s[24:25], -1
	s_mov_b64 s[20:21], 0
                                        ; implicit-def: $sgpr6_sgpr7
	s_branch .LBB102_22
.LBB102_19:
	s_mov_b64 s[6:7], -1
	s_mov_b64 s[0:1], 0
                                        ; implicit-def: $vgpr3
	s_branch .LBB102_160
.LBB102_20:
	s_mov_b64 s[20:21], -1
                                        ; implicit-def: $sgpr6_sgpr7
.LBB102_21:
	s_mov_b64 s[24:25], 0
.LBB102_22:
	s_and_b64 vcc, exec, s[24:25]
	s_cbranch_vccz .LBB102_24
; %bb.23:
	s_waitcnt vmcnt(0)
	v_cmp_lt_f32_e32 vcc, s15, v3
	s_andn2_b64 s[6:7], s[6:7], exec
	s_and_b64 s[24:25], vcc, exec
	s_or_b64 s[6:7], s[6:7], s[24:25]
.LBB102_24:
	s_branch .LBB102_26
.LBB102_25:
	s_cmp_lg_u32 s14, 0
	s_mov_b64 s[0:1], -1
	s_cselect_b64 s[20:21], -1, 0
.LBB102_26:
	s_andn2_b64 vcc, exec, s[20:21]
	s_cbranch_vccnz .LBB102_28
; %bb.27:
	s_waitcnt vmcnt(0)
	v_cmp_gt_f32_e32 vcc, s15, v3
	s_andn2_b64 s[6:7], s[6:7], exec
	s_and_b64 s[20:21], vcc, exec
	s_or_b64 s[6:7], s[6:7], s[20:21]
	s_cbranch_execz .LBB102_29
	s_branch .LBB102_30
.LBB102_28:
	s_andn2_b64 vcc, exec, s[0:1]
	s_cbranch_vccnz .LBB102_30
.LBB102_29:
	s_waitcnt vmcnt(0)
	v_cmp_le_f32_e32 vcc, s15, v3
	s_andn2_b64 s[0:1], s[6:7], exec
	s_and_b64 s[6:7], vcc, exec
	s_or_b64 s[6:7], s[0:1], s[6:7]
.LBB102_30:
	v_mul_lo_u32 v0, v2, s12
	v_mov_b32_e32 v1, s9
	s_and_b32 s28, s33, 0xff
	s_cmp_lt_i32 s28, 11
	s_waitcnt vmcnt(0)
	v_ashrrev_i32_e32 v3, 31, v0
	v_add_co_u32_e32 v0, vcc, s8, v0
	v_addc_co_u32_e32 v1, vcc, v1, v3, vcc
	s_cbranch_scc1 .LBB102_37
; %bb.31:
	s_and_b32 s29, 0xffff, s28
	s_cmp_gt_i32 s29, 25
	s_cbranch_scc0 .LBB102_40
; %bb.32:
	s_cmp_gt_i32 s29, 28
	s_cbranch_scc0 .LBB102_41
; %bb.33:
	;; [unrolled: 3-line block ×4, first 2 shown]
	s_mov_b64 s[24:25], 0
	s_mov_b64 s[0:1], -1
	s_cmp_eq_u32 s29, 46
	s_mov_b64 s[20:21], 0
	s_cbranch_scc0 .LBB102_50
; %bb.36:
	v_cndmask_b32_e64 v3, 0, 1.0, s[6:7]
	v_bfe_u32 v4, v3, 16, 1
	s_movk_i32 s0, 0x7fff
	v_add3_u32 v3, v3, v4, s0
	v_lshrrev_b32_e32 v3, 16, v3
	global_store_dword v[0:1], v3, off
	s_mov_b64 s[20:21], -1
	s_mov_b64 s[0:1], 0
	s_branch .LBB102_50
.LBB102_37:
	s_mov_b64 s[0:1], 0
	s_mov_b64 s[20:21], 0
	s_cbranch_execnz .LBB102_119
.LBB102_38:
	s_andn2_b64 vcc, exec, s[20:21]
	s_cbranch_vccnz .LBB102_157
.LBB102_39:
	v_add_u32_e32 v2, 0x80, v2
	s_mov_b64 s[20:21], -1
	s_branch .LBB102_267
.LBB102_40:
	s_mov_b64 s[24:25], -1
	s_mov_b64 s[0:1], 0
	s_mov_b64 s[20:21], 0
	s_branch .LBB102_77
.LBB102_41:
	s_mov_b64 s[24:25], -1
	s_mov_b64 s[0:1], 0
	s_mov_b64 s[20:21], 0
	s_branch .LBB102_60
.LBB102_42:
	s_mov_b64 s[6:7], -1
	s_branch .LBB102_45
.LBB102_43:
	s_mov_b64 s[24:25], -1
	s_mov_b64 s[0:1], 0
	s_mov_b64 s[20:21], 0
	s_branch .LBB102_56
.LBB102_44:
	s_mov_b64 s[16:17], -1
.LBB102_45:
	s_mov_b64 s[0:1], 0
                                        ; implicit-def: $vgpr3
.LBB102_46:
	s_and_b64 vcc, exec, s[6:7]
	s_cbranch_vccz .LBB102_159
; %bb.47:
	s_cmp_eq_u32 s24, 44
	s_cbranch_scc0 .LBB102_158
; %bb.48:
	global_load_ubyte v3, v[0:1], off
	s_movk_i32 s6, 0xff
	v_mov_b32_e32 v4, 0x7f800001
	v_mov_b32_e32 v5, 0x400000
	s_mov_b64 s[0:1], -1
	s_mov_b64 s[16:17], 0
	s_waitcnt vmcnt(0)
	v_lshlrev_b32_e32 v6, 23, v3
	v_cmp_ne_u32_e32 vcc, s6, v3
	v_cndmask_b32_e32 v4, v4, v6, vcc
	v_cmp_ne_u32_e32 vcc, 0, v3
	v_cndmask_b32_e32 v3, v5, v4, vcc
	s_branch .LBB102_159
.LBB102_49:
	s_mov_b64 s[24:25], -1
	s_mov_b64 s[0:1], 0
	s_mov_b64 s[20:21], 0
.LBB102_50:
	s_and_b64 vcc, exec, s[24:25]
	s_cbranch_vccz .LBB102_55
; %bb.51:
	s_cmp_eq_u32 s29, 44
	s_mov_b64 s[0:1], -1
	s_cbranch_scc0 .LBB102_55
; %bb.52:
	v_cndmask_b32_e64 v4, 0, 1.0, s[6:7]
	v_lshrrev_b32_e32 v3, 23, v4
	s_movk_i32 s0, 0xff
	v_cmp_ne_u32_e32 vcc, s0, v3
	v_mov_b32_e32 v5, 0xff
	s_and_saveexec_b64 s[20:21], vcc
; %bb.53:
	s_mov_b32 s0, 0x3fffff
	v_and_b32_e32 v5, 0x400000, v4
	v_and_or_b32 v4, v4, s0, v3
	v_cmp_ne_u32_e32 vcc, 0, v5
	v_cmp_ne_u32_e64 s[0:1], 0, v4
	s_and_b64 s[0:1], vcc, s[0:1]
	v_cndmask_b32_e64 v4, 0, 1, s[0:1]
	v_add_u32_e32 v5, v3, v4
; %bb.54:
	s_or_b64 exec, exec, s[20:21]
	s_mov_b64 s[20:21], -1
	s_mov_b64 s[0:1], 0
	global_store_byte v[0:1], v5, off
.LBB102_55:
	s_mov_b64 s[24:25], 0
.LBB102_56:
	s_and_b64 vcc, exec, s[24:25]
	s_cbranch_vccz .LBB102_59
; %bb.57:
	s_cmp_eq_u32 s29, 29
	s_mov_b64 s[0:1], -1
	s_cbranch_scc0 .LBB102_59
; %bb.58:
	s_mov_b32 s0, 0
	v_cndmask_b32_e64 v3, 0, 1, s[6:7]
	v_mov_b32_e32 v4, s0
	global_store_dwordx2 v[0:1], v[3:4], off
	s_mov_b64 s[20:21], -1
	s_mov_b64 s[0:1], 0
.LBB102_59:
	s_mov_b64 s[24:25], 0
.LBB102_60:
	s_and_b64 vcc, exec, s[24:25]
	s_cbranch_vccz .LBB102_76
; %bb.61:
	s_cmp_lt_i32 s29, 27
	s_mov_b64 s[20:21], -1
	s_cbranch_scc1 .LBB102_67
; %bb.62:
	s_cmp_gt_i32 s29, 27
	s_cbranch_scc0 .LBB102_64
; %bb.63:
	v_cndmask_b32_e64 v3, 0, 1, s[6:7]
	s_mov_b64 s[20:21], 0
	global_store_dword v[0:1], v3, off
.LBB102_64:
	s_andn2_b64 vcc, exec, s[20:21]
	s_cbranch_vccnz .LBB102_66
; %bb.65:
	v_cndmask_b32_e64 v3, 0, 1, s[6:7]
	global_store_short v[0:1], v3, off
.LBB102_66:
	s_mov_b64 s[20:21], 0
.LBB102_67:
	s_andn2_b64 vcc, exec, s[20:21]
	s_cbranch_vccnz .LBB102_75
; %bb.68:
	v_cndmask_b32_e64 v4, 0, 1.0, s[6:7]
	s_mov_b32 s20, 0x43800000
	v_cmp_gt_u32_e32 vcc, s20, v4
	v_mov_b32_e32 v5, 0x80
	s_and_saveexec_b64 s[20:21], vcc
	s_cbranch_execz .LBB102_74
; %bb.69:
	s_mov_b32 s24, 0x3bffffff
	v_cmp_lt_u32_e32 vcc, s24, v4
	s_mov_b64 s[24:25], 0
                                        ; implicit-def: $vgpr3
	s_and_saveexec_b64 s[26:27], vcc
	s_xor_b64 s[26:27], exec, s[26:27]
	s_cbranch_execz .LBB102_311
; %bb.70:
	v_bfe_u32 v3, v4, 20, 1
	s_mov_b32 s30, 0x487ffff
	v_add3_u32 v3, v4, v3, s30
	s_mov_b64 s[24:25], exec
	v_lshrrev_b32_e32 v3, 20, v3
                                        ; implicit-def: $vgpr4
	s_andn2_saveexec_b64 s[26:27], s[26:27]
	s_cbranch_execnz .LBB102_312
.LBB102_71:
	s_or_b64 exec, exec, s[26:27]
	v_mov_b32_e32 v5, 0
	s_and_saveexec_b64 s[26:27], s[24:25]
.LBB102_72:
	v_mov_b32_e32 v5, v3
.LBB102_73:
	s_or_b64 exec, exec, s[26:27]
.LBB102_74:
	s_or_b64 exec, exec, s[20:21]
	global_store_byte v[0:1], v5, off
.LBB102_75:
	s_mov_b64 s[20:21], -1
.LBB102_76:
	s_mov_b64 s[24:25], 0
.LBB102_77:
	s_and_b64 vcc, exec, s[24:25]
	s_cbranch_vccz .LBB102_118
; %bb.78:
	s_cmp_gt_i32 s29, 22
	s_mov_b64 s[24:25], -1
	s_cbranch_scc0 .LBB102_110
; %bb.79:
	s_cmp_lt_i32 s29, 24
	s_mov_b64 s[20:21], -1
	s_cbranch_scc1 .LBB102_99
; %bb.80:
	s_cmp_gt_i32 s29, 24
	s_cbranch_scc0 .LBB102_88
; %bb.81:
	v_cndmask_b32_e64 v4, 0, 1.0, s[6:7]
	s_mov_b32 s20, 0x47800000
	v_cmp_gt_u32_e32 vcc, s20, v4
	v_mov_b32_e32 v5, 0x80
	s_and_saveexec_b64 s[20:21], vcc
	s_cbranch_execz .LBB102_87
; %bb.82:
	s_mov_b32 s24, 0x37ffffff
	v_cmp_lt_u32_e32 vcc, s24, v4
	s_mov_b64 s[24:25], 0
                                        ; implicit-def: $vgpr3
	s_and_saveexec_b64 s[26:27], vcc
	s_xor_b64 s[26:27], exec, s[26:27]
	s_cbranch_execz .LBB102_315
; %bb.83:
	v_bfe_u32 v3, v4, 21, 1
	s_mov_b32 s30, 0x88fffff
	v_add3_u32 v3, v4, v3, s30
	s_mov_b64 s[24:25], exec
	v_lshrrev_b32_e32 v3, 21, v3
                                        ; implicit-def: $vgpr4
	s_andn2_saveexec_b64 s[26:27], s[26:27]
	s_cbranch_execnz .LBB102_316
.LBB102_84:
	s_or_b64 exec, exec, s[26:27]
	v_mov_b32_e32 v5, 0
	s_and_saveexec_b64 s[26:27], s[24:25]
.LBB102_85:
	v_mov_b32_e32 v5, v3
.LBB102_86:
	s_or_b64 exec, exec, s[26:27]
.LBB102_87:
	s_or_b64 exec, exec, s[20:21]
	s_mov_b64 s[20:21], 0
	global_store_byte v[0:1], v5, off
.LBB102_88:
	s_and_b64 vcc, exec, s[20:21]
	s_cbranch_vccz .LBB102_98
; %bb.89:
	v_cndmask_b32_e64 v3, 0, 1.0, s[6:7]
	s_mov_b32 s20, 0x43f00000
	v_cmp_gt_u32_e32 vcc, s20, v3
                                        ; implicit-def: $vgpr4
	s_and_saveexec_b64 s[20:21], vcc
	s_xor_b64 s[20:21], exec, s[20:21]
	s_cbranch_execz .LBB102_95
; %bb.90:
	s_mov_b32 s24, 0x3c7fffff
	v_cmp_lt_u32_e32 vcc, s24, v3
                                        ; implicit-def: $vgpr4
	s_and_saveexec_b64 s[24:25], vcc
	s_xor_b64 s[24:25], exec, s[24:25]
; %bb.91:
	v_bfe_u32 v4, v3, 20, 1
	s_mov_b32 s26, 0x407ffff
	v_add3_u32 v3, v3, v4, s26
	v_lshrrev_b32_e32 v4, 20, v3
	v_and_b32_e32 v3, 0xff00000, v3
	s_mov_b32 s26, 0x7f00000
	v_mov_b32_e32 v5, 0x7e
	v_cmp_ne_u32_e32 vcc, s26, v3
	v_cndmask_b32_e32 v4, v5, v4, vcc
                                        ; implicit-def: $vgpr3
; %bb.92:
	s_andn2_saveexec_b64 s[24:25], s[24:25]
; %bb.93:
	v_add_f32_e32 v4, 0x46800000, v3
; %bb.94:
	s_or_b64 exec, exec, s[24:25]
                                        ; implicit-def: $vgpr3
.LBB102_95:
	s_andn2_saveexec_b64 s[20:21], s[20:21]
; %bb.96:
	s_mov_b32 s24, 0x7f800000
	v_mov_b32_e32 v4, 0x7e
	v_mov_b32_e32 v5, 0x7f
	v_cmp_lt_u32_e32 vcc, s24, v3
	v_cndmask_b32_e32 v4, v4, v5, vcc
; %bb.97:
	s_or_b64 exec, exec, s[20:21]
	global_store_byte v[0:1], v4, off
.LBB102_98:
	s_mov_b64 s[20:21], 0
.LBB102_99:
	s_andn2_b64 vcc, exec, s[20:21]
	s_cbranch_vccnz .LBB102_109
; %bb.100:
	v_cndmask_b32_e64 v3, 0, 1.0, s[6:7]
	s_mov_b32 s20, 0x47800000
	v_cmp_gt_u32_e32 vcc, s20, v3
                                        ; implicit-def: $vgpr4
	s_and_saveexec_b64 s[20:21], vcc
	s_xor_b64 s[20:21], exec, s[20:21]
	s_cbranch_execz .LBB102_106
; %bb.101:
	s_mov_b32 s24, 0x387fffff
	v_cmp_lt_u32_e32 vcc, s24, v3
                                        ; implicit-def: $vgpr4
	s_and_saveexec_b64 s[24:25], vcc
	s_xor_b64 s[24:25], exec, s[24:25]
; %bb.102:
	v_bfe_u32 v4, v3, 21, 1
	s_mov_b32 s26, 0x80fffff
	v_add3_u32 v3, v3, v4, s26
	v_lshrrev_b32_e32 v4, 21, v3
                                        ; implicit-def: $vgpr3
; %bb.103:
	s_andn2_saveexec_b64 s[24:25], s[24:25]
; %bb.104:
	v_add_f32_e32 v4, 0x43000000, v3
; %bb.105:
	s_or_b64 exec, exec, s[24:25]
                                        ; implicit-def: $vgpr3
.LBB102_106:
	s_andn2_saveexec_b64 s[20:21], s[20:21]
; %bb.107:
	s_mov_b32 s24, 0x7f800000
	v_mov_b32_e32 v4, 0x7c
	v_mov_b32_e32 v5, 0x7f
	v_cmp_lt_u32_e32 vcc, s24, v3
	v_cndmask_b32_e32 v4, v4, v5, vcc
; %bb.108:
	s_or_b64 exec, exec, s[20:21]
	global_store_byte v[0:1], v4, off
.LBB102_109:
	s_mov_b64 s[24:25], 0
	s_mov_b64 s[20:21], -1
.LBB102_110:
	s_andn2_b64 vcc, exec, s[24:25]
	s_cbranch_vccnz .LBB102_118
; %bb.111:
	s_cmp_gt_i32 s29, 14
	s_mov_b64 s[24:25], -1
	s_cbranch_scc0 .LBB102_115
; %bb.112:
	s_cmp_eq_u32 s29, 15
	s_mov_b64 s[0:1], -1
	s_cbranch_scc0 .LBB102_114
; %bb.113:
	v_cndmask_b32_e64 v3, 0, 1.0, s[6:7]
	v_bfe_u32 v4, v3, 16, 1
	s_movk_i32 s0, 0x7fff
	v_add3_u32 v3, v3, v4, s0
	global_store_short_d16_hi v[0:1], v3, off
	s_mov_b64 s[20:21], -1
	s_mov_b64 s[0:1], 0
.LBB102_114:
	s_mov_b64 s[24:25], 0
.LBB102_115:
	s_and_b64 vcc, exec, s[24:25]
	s_cbranch_vccz .LBB102_118
; %bb.116:
	s_cmp_eq_u32 s29, 11
	s_mov_b64 s[0:1], -1
	s_cbranch_scc0 .LBB102_118
; %bb.117:
	v_cndmask_b32_e64 v3, 0, 1, s[6:7]
	s_mov_b64 s[20:21], -1
	s_mov_b64 s[0:1], 0
	global_store_byte v[0:1], v3, off
.LBB102_118:
	s_branch .LBB102_38
.LBB102_119:
	s_and_b32 s24, 0xffff, s28
	s_cmp_lt_i32 s24, 5
	s_mov_b64 s[20:21], -1
	s_cbranch_scc1 .LBB102_140
; %bb.120:
	s_cmp_lt_i32 s24, 8
	s_cbranch_scc1 .LBB102_130
; %bb.121:
	s_cmp_lt_i32 s24, 9
	s_cbranch_scc1 .LBB102_127
; %bb.122:
	s_cmp_gt_i32 s24, 9
	s_cbranch_scc0 .LBB102_124
; %bb.123:
	v_cndmask_b32_e64 v3, 0, 1, s[6:7]
	v_cvt_f64_u32_e32 v[3:4], v3
	v_mov_b32_e32 v5, 0
	v_mov_b32_e32 v6, v5
	s_mov_b64 s[20:21], 0
	global_store_dwordx4 v[0:1], v[3:6], off
.LBB102_124:
	s_andn2_b64 vcc, exec, s[20:21]
	s_cbranch_vccnz .LBB102_126
; %bb.125:
	v_cndmask_b32_e64 v3, 0, 1.0, s[6:7]
	v_mov_b32_e32 v4, 0
	global_store_dwordx2 v[0:1], v[3:4], off
.LBB102_126:
	s_mov_b64 s[20:21], 0
.LBB102_127:
	s_andn2_b64 vcc, exec, s[20:21]
	s_cbranch_vccnz .LBB102_129
; %bb.128:
	v_cndmask_b32_e64 v3, 0, 1.0, s[6:7]
	v_cvt_f16_f32_e32 v3, v3
	global_store_dword v[0:1], v3, off
.LBB102_129:
	s_mov_b64 s[20:21], 0
.LBB102_130:
	s_andn2_b64 vcc, exec, s[20:21]
	s_cbranch_vccnz .LBB102_139
; %bb.131:
	s_cmp_lt_i32 s24, 6
	s_mov_b64 s[20:21], -1
	s_cbranch_scc1 .LBB102_137
; %bb.132:
	s_cmp_gt_i32 s24, 6
	s_cbranch_scc0 .LBB102_134
; %bb.133:
	v_cndmask_b32_e64 v3, 0, 1, s[6:7]
	v_cvt_f64_u32_e32 v[3:4], v3
	s_mov_b64 s[20:21], 0
	global_store_dwordx2 v[0:1], v[3:4], off
.LBB102_134:
	s_andn2_b64 vcc, exec, s[20:21]
	s_cbranch_vccnz .LBB102_136
; %bb.135:
	v_cndmask_b32_e64 v3, 0, 1.0, s[6:7]
	global_store_dword v[0:1], v3, off
.LBB102_136:
	s_mov_b64 s[20:21], 0
.LBB102_137:
	s_andn2_b64 vcc, exec, s[20:21]
	s_cbranch_vccnz .LBB102_139
; %bb.138:
	v_cndmask_b32_e64 v3, 0, 1.0, s[6:7]
	v_cvt_f16_f32_e32 v3, v3
	global_store_short v[0:1], v3, off
.LBB102_139:
	s_mov_b64 s[20:21], 0
.LBB102_140:
	s_andn2_b64 vcc, exec, s[20:21]
	s_cbranch_vccnz .LBB102_156
; %bb.141:
	s_cmp_lt_i32 s24, 2
	s_mov_b64 s[20:21], -1
	s_cbranch_scc1 .LBB102_151
; %bb.142:
	s_cmp_lt_i32 s24, 3
	s_cbranch_scc1 .LBB102_148
; %bb.143:
	s_cmp_gt_i32 s24, 3
	s_cbranch_scc0 .LBB102_145
; %bb.144:
	s_mov_b32 s20, 0
	v_cndmask_b32_e64 v3, 0, 1, s[6:7]
	v_mov_b32_e32 v4, s20
	global_store_dwordx2 v[0:1], v[3:4], off
	s_mov_b64 s[20:21], 0
.LBB102_145:
	s_andn2_b64 vcc, exec, s[20:21]
	s_cbranch_vccnz .LBB102_147
; %bb.146:
	v_cndmask_b32_e64 v3, 0, 1, s[6:7]
	global_store_dword v[0:1], v3, off
.LBB102_147:
	s_mov_b64 s[20:21], 0
.LBB102_148:
	s_andn2_b64 vcc, exec, s[20:21]
	s_cbranch_vccnz .LBB102_150
; %bb.149:
	v_cndmask_b32_e64 v3, 0, 1, s[6:7]
	global_store_short v[0:1], v3, off
.LBB102_150:
	s_mov_b64 s[20:21], 0
.LBB102_151:
	s_andn2_b64 vcc, exec, s[20:21]
	s_cbranch_vccnz .LBB102_156
; %bb.152:
	s_mov_b64 s[20:21], -1
	s_cmp_gt_i32 s24, 0
	v_cndmask_b32_e64 v3, 0, 1, s[6:7]
	s_cbranch_scc0 .LBB102_154
; %bb.153:
	global_store_byte v[0:1], v3, off
	s_mov_b64 s[20:21], 0
.LBB102_154:
	s_andn2_b64 vcc, exec, s[20:21]
	s_cbranch_vccnz .LBB102_156
; %bb.155:
	global_store_byte v[0:1], v3, off
.LBB102_156:
	s_branch .LBB102_39
.LBB102_157:
	s_mov_b64 s[20:21], 0
                                        ; implicit-def: $vgpr2
	s_branch .LBB102_267
.LBB102_158:
	s_mov_b64 s[16:17], -1
                                        ; implicit-def: $vgpr3
.LBB102_159:
	s_mov_b64 s[6:7], 0
.LBB102_160:
	s_and_b64 vcc, exec, s[6:7]
	s_cbranch_vccz .LBB102_164
; %bb.161:
	s_cmp_eq_u32 s24, 29
	s_cbranch_scc0 .LBB102_163
; %bb.162:
	global_load_dwordx2 v[3:4], v[0:1], off
	s_mov_b64 s[0:1], -1
	s_mov_b64 s[16:17], 0
	s_mov_b64 s[6:7], 0
	s_waitcnt vmcnt(0)
	v_ffbh_u32_e32 v5, v4
	v_min_u32_e32 v5, 32, v5
	v_lshlrev_b64 v[3:4], v5, v[3:4]
	v_min_u32_e32 v3, 1, v3
	v_or_b32_e32 v3, v4, v3
	v_cvt_f32_u32_e32 v3, v3
	v_sub_u32_e32 v4, 32, v5
	v_ldexp_f32 v3, v3, v4
	s_branch .LBB102_165
.LBB102_163:
	s_mov_b64 s[16:17], -1
                                        ; implicit-def: $vgpr3
.LBB102_164:
	s_mov_b64 s[6:7], 0
.LBB102_165:
	s_and_b64 vcc, exec, s[6:7]
	s_cbranch_vccz .LBB102_183
; %bb.166:
	s_cmp_lt_i32 s24, 27
	s_cbranch_scc1 .LBB102_169
; %bb.167:
	s_cmp_gt_i32 s24, 27
	s_cbranch_scc0 .LBB102_170
; %bb.168:
	global_load_dword v3, v[0:1], off
	s_mov_b64 s[0:1], 0
	s_waitcnt vmcnt(0)
	v_cvt_f32_u32_e32 v3, v3
	s_branch .LBB102_171
.LBB102_169:
	s_mov_b64 s[0:1], -1
                                        ; implicit-def: $vgpr3
	s_branch .LBB102_174
.LBB102_170:
	s_mov_b64 s[0:1], -1
                                        ; implicit-def: $vgpr3
.LBB102_171:
	s_andn2_b64 vcc, exec, s[0:1]
	s_cbranch_vccnz .LBB102_173
; %bb.172:
	global_load_ushort v3, v[0:1], off
	s_waitcnt vmcnt(0)
	v_cvt_f32_u32_e32 v3, v3
.LBB102_173:
	s_mov_b64 s[0:1], 0
.LBB102_174:
	s_andn2_b64 vcc, exec, s[0:1]
	s_cbranch_vccnz .LBB102_182
; %bb.175:
	global_load_ubyte v4, v[0:1], off
	s_movk_i32 s0, 0x7f
	s_waitcnt vmcnt(0)
	v_cmp_lt_i16_e32 vcc, s0, v4
	s_mov_b64 s[0:1], 0
	s_and_saveexec_b64 s[6:7], vcc
	s_xor_b64 s[6:7], exec, s[6:7]
	s_cbranch_execz .LBB102_195
; %bb.176:
	s_movk_i32 s0, 0x80
	v_cmp_eq_u16_e32 vcc, s0, v4
	s_mov_b64 s[0:1], -1
	s_and_saveexec_b64 s[20:21], vcc
; %bb.177:
	s_xor_b64 s[0:1], exec, -1
; %bb.178:
	s_or_b64 exec, exec, s[20:21]
	s_and_b64 s[0:1], s[0:1], exec
	s_or_saveexec_b64 s[6:7], s[6:7]
	v_mov_b32_e32 v3, 0x7f800001
	s_xor_b64 exec, exec, s[6:7]
	s_cbranch_execnz .LBB102_196
.LBB102_179:
	s_or_b64 exec, exec, s[6:7]
	s_and_saveexec_b64 s[6:7], s[0:1]
	s_cbranch_execz .LBB102_181
.LBB102_180:
	v_lshlrev_b32_e32 v3, 24, v4
	v_and_b32_e32 v4, 0xffff, v4
	v_and_b32_e32 v5, 7, v4
	v_ffbh_u32_e32 v7, v5
	v_min_u32_e32 v7, 32, v7
	v_subrev_u32_e32 v8, 28, v7
	v_bfe_u32 v6, v4, 3, 4
	v_lshlrev_b32_e32 v4, v8, v4
	v_sub_u32_e32 v7, 29, v7
	v_and_b32_e32 v4, 7, v4
	v_cmp_eq_u32_e32 vcc, 0, v6
	v_cndmask_b32_e32 v6, v6, v7, vcc
	v_cndmask_b32_e32 v4, v5, v4, vcc
	v_mov_b32_e32 v5, 0x3b800000
	v_lshlrev_b32_e32 v4, 20, v4
	v_and_b32_e32 v3, 0x80000000, v3
	v_lshl_add_u32 v5, v6, 23, v5
	v_or3_b32 v3, v3, v5, v4
.LBB102_181:
	s_or_b64 exec, exec, s[6:7]
.LBB102_182:
	s_mov_b64 s[0:1], -1
.LBB102_183:
	s_branch .LBB102_218
.LBB102_184:
	s_cmp_gt_i32 s24, 22
	s_cbranch_scc0 .LBB102_194
; %bb.185:
	s_cmp_lt_i32 s24, 24
	s_cbranch_scc1 .LBB102_197
; %bb.186:
	s_cmp_gt_i32 s24, 24
	s_cbranch_scc0 .LBB102_198
; %bb.187:
	global_load_ubyte v4, v[0:1], off
	s_movk_i32 s0, 0x7f
	s_waitcnt vmcnt(0)
	v_cmp_lt_i16_e32 vcc, s0, v4
	s_mov_b64 s[0:1], 0
	s_and_saveexec_b64 s[6:7], vcc
	s_xor_b64 s[6:7], exec, s[6:7]
	s_cbranch_execz .LBB102_210
; %bb.188:
	s_movk_i32 s0, 0x80
	v_cmp_eq_u16_e32 vcc, s0, v4
	s_mov_b64 s[0:1], -1
	s_and_saveexec_b64 s[20:21], vcc
; %bb.189:
	s_xor_b64 s[0:1], exec, -1
; %bb.190:
	s_or_b64 exec, exec, s[20:21]
	s_and_b64 s[0:1], s[0:1], exec
	s_or_saveexec_b64 s[6:7], s[6:7]
	v_mov_b32_e32 v3, 0x7f800001
	s_xor_b64 exec, exec, s[6:7]
	s_cbranch_execnz .LBB102_211
.LBB102_191:
	s_or_b64 exec, exec, s[6:7]
	s_and_saveexec_b64 s[6:7], s[0:1]
	s_cbranch_execz .LBB102_193
.LBB102_192:
	v_lshlrev_b32_e32 v3, 24, v4
	v_and_b32_e32 v4, 0xffff, v4
	v_and_b32_e32 v5, 3, v4
	v_ffbh_u32_e32 v7, v5
	v_min_u32_e32 v7, 32, v7
	v_subrev_u32_e32 v8, 29, v7
	v_bfe_u32 v6, v4, 2, 5
	v_lshlrev_b32_e32 v4, v8, v4
	v_sub_u32_e32 v7, 30, v7
	v_and_b32_e32 v4, 3, v4
	v_cmp_eq_u32_e32 vcc, 0, v6
	v_cndmask_b32_e32 v6, v6, v7, vcc
	v_cndmask_b32_e32 v4, v5, v4, vcc
	v_mov_b32_e32 v5, 0x37800000
	v_lshlrev_b32_e32 v4, 21, v4
	v_and_b32_e32 v3, 0x80000000, v3
	v_lshl_add_u32 v5, v6, 23, v5
	v_or3_b32 v3, v3, v5, v4
.LBB102_193:
	s_or_b64 exec, exec, s[6:7]
	s_mov_b64 s[0:1], 0
	s_branch .LBB102_199
.LBB102_194:
	s_mov_b64 s[6:7], -1
                                        ; implicit-def: $vgpr3
	s_branch .LBB102_205
.LBB102_195:
	s_or_saveexec_b64 s[6:7], s[6:7]
	v_mov_b32_e32 v3, 0x7f800001
	s_xor_b64 exec, exec, s[6:7]
	s_cbranch_execz .LBB102_179
.LBB102_196:
	v_cmp_ne_u16_e32 vcc, 0, v4
	s_andn2_b64 s[0:1], s[0:1], exec
	s_and_b64 s[20:21], vcc, exec
	v_mov_b32_e32 v3, 0
	s_or_b64 s[0:1], s[0:1], s[20:21]
	s_or_b64 exec, exec, s[6:7]
	s_and_saveexec_b64 s[6:7], s[0:1]
	s_cbranch_execnz .LBB102_180
	s_branch .LBB102_181
.LBB102_197:
	s_mov_b64 s[0:1], -1
                                        ; implicit-def: $vgpr3
	s_branch .LBB102_202
.LBB102_198:
	s_mov_b64 s[0:1], -1
                                        ; implicit-def: $vgpr3
.LBB102_199:
	s_and_b64 vcc, exec, s[0:1]
	s_cbranch_vccz .LBB102_201
; %bb.200:
	global_load_ubyte v3, v[0:1], off
	s_mov_b32 s0, 0x7f800000
	s_waitcnt vmcnt(0)
	v_lshlrev_b32_e32 v3, 24, v3
	v_and_b32_e32 v4, 0x7f000000, v3
	v_ffbh_u32_e32 v5, v4
	v_min_u32_e32 v5, 32, v5
	v_sub_u32_e64 v5, v5, 4 clamp
	v_lshlrev_b32_e32 v7, v5, v4
	v_lshlrev_b32_e32 v5, 23, v5
	v_lshrrev_b32_e32 v7, 4, v7
	v_add_u32_e32 v6, 0x1000000, v4
	v_sub_u32_e32 v5, v7, v5
	v_ashrrev_i32_e32 v6, 8, v6
	v_add_u32_e32 v5, 0x3c000000, v5
	v_and_or_b32 v5, v6, s0, v5
	v_cmp_ne_u32_e32 vcc, 0, v4
	v_cndmask_b32_e32 v4, 0, v5, vcc
	s_brev_b32 s0, 1
	v_and_or_b32 v3, v3, s0, v4
.LBB102_201:
	s_mov_b64 s[0:1], 0
.LBB102_202:
	s_andn2_b64 vcc, exec, s[0:1]
	s_cbranch_vccnz .LBB102_204
; %bb.203:
	global_load_ubyte v3, v[0:1], off
	s_movk_i32 s0, 0x7f00
	s_brev_b32 s1, 16
	s_waitcnt vmcnt(0)
	v_lshlrev_b16_e32 v4, 8, v3
	v_lshlrev_b32_e32 v3, 25, v3
	v_lshrrev_b32_e32 v5, 4, v3
	v_and_or_b32 v6, v4, s0, 0.5
	v_or_b32_e32 v5, 0x70000000, v5
	v_add_f32_e32 v6, -0.5, v6
	v_mul_f32_e32 v5, 0x7800000, v5
	v_cmp_gt_u32_e32 vcc, s1, v3
	v_bfe_i32 v4, v4, 0, 16
	v_cndmask_b32_e32 v3, v5, v6, vcc
	s_brev_b32 s0, 1
	v_and_or_b32 v3, v4, s0, v3
.LBB102_204:
	s_mov_b64 s[6:7], 0
	s_mov_b64 s[0:1], -1
.LBB102_205:
	s_andn2_b64 vcc, exec, s[6:7]
	s_cbranch_vccnz .LBB102_218
; %bb.206:
	s_cmp_gt_i32 s24, 14
	s_cbranch_scc0 .LBB102_209
; %bb.207:
	s_cmp_eq_u32 s24, 15
	s_cbranch_scc0 .LBB102_212
; %bb.208:
	global_load_ushort v3, v[0:1], off
	s_mov_b64 s[0:1], -1
	s_mov_b64 s[16:17], 0
	s_waitcnt vmcnt(0)
	v_lshlrev_b32_e32 v3, 16, v3
	s_branch .LBB102_213
.LBB102_209:
	s_mov_b64 s[6:7], -1
                                        ; implicit-def: $vgpr3
	s_branch .LBB102_214
.LBB102_210:
	s_or_saveexec_b64 s[6:7], s[6:7]
	v_mov_b32_e32 v3, 0x7f800001
	s_xor_b64 exec, exec, s[6:7]
	s_cbranch_execz .LBB102_191
.LBB102_211:
	v_cmp_ne_u16_e32 vcc, 0, v4
	s_andn2_b64 s[0:1], s[0:1], exec
	s_and_b64 s[20:21], vcc, exec
	v_mov_b32_e32 v3, 0
	s_or_b64 s[0:1], s[0:1], s[20:21]
	s_or_b64 exec, exec, s[6:7]
	s_and_saveexec_b64 s[6:7], s[0:1]
	s_cbranch_execnz .LBB102_192
	s_branch .LBB102_193
.LBB102_212:
	s_mov_b64 s[16:17], -1
                                        ; implicit-def: $vgpr3
.LBB102_213:
	s_mov_b64 s[6:7], 0
.LBB102_214:
	s_and_b64 vcc, exec, s[6:7]
	s_cbranch_vccz .LBB102_218
; %bb.215:
	s_cmp_eq_u32 s24, 11
	s_cbranch_scc0 .LBB102_217
; %bb.216:
	global_load_ubyte v3, v[0:1], off
	s_mov_b64 s[0:1], -1
	s_mov_b64 s[16:17], 0
	s_waitcnt vmcnt(0)
	v_cmp_ne_u16_e32 vcc, 0, v3
	v_cndmask_b32_e64 v3, 0, 1.0, vcc
	s_branch .LBB102_218
.LBB102_217:
	s_mov_b64 s[16:17], -1
                                        ; implicit-def: $vgpr3
.LBB102_218:
	s_branch .LBB102_10
.LBB102_219:
	s_cmp_lt_i32 s24, 5
	s_cbranch_scc1 .LBB102_224
; %bb.220:
	s_cmp_lt_i32 s24, 8
	s_cbranch_scc1 .LBB102_225
; %bb.221:
	;; [unrolled: 3-line block ×3, first 2 shown]
	s_cmp_gt_i32 s24, 9
	s_cbranch_scc0 .LBB102_227
; %bb.223:
	global_load_dwordx2 v[3:4], v[0:1], off
	s_mov_b64 s[0:1], 0
	s_waitcnt vmcnt(0)
	v_cvt_f32_f64_e32 v3, v[3:4]
	s_branch .LBB102_228
.LBB102_224:
                                        ; implicit-def: $vgpr3
	s_branch .LBB102_246
.LBB102_225:
	s_mov_b64 s[0:1], -1
                                        ; implicit-def: $vgpr3
	s_branch .LBB102_234
.LBB102_226:
	s_mov_b64 s[0:1], -1
                                        ; implicit-def: $vgpr3
	s_branch .LBB102_231
.LBB102_227:
	s_mov_b64 s[0:1], -1
                                        ; implicit-def: $vgpr3
.LBB102_228:
	s_andn2_b64 vcc, exec, s[0:1]
	s_cbranch_vccnz .LBB102_230
; %bb.229:
	global_load_dword v3, v[0:1], off
.LBB102_230:
	s_mov_b64 s[0:1], 0
.LBB102_231:
	s_andn2_b64 vcc, exec, s[0:1]
	s_cbranch_vccnz .LBB102_233
; %bb.232:
	global_load_dword v3, v[0:1], off
	s_waitcnt vmcnt(0)
	v_cvt_f32_f16_e32 v3, v3
.LBB102_233:
	s_mov_b64 s[0:1], 0
.LBB102_234:
	s_andn2_b64 vcc, exec, s[0:1]
	s_cbranch_vccnz .LBB102_245
; %bb.235:
	s_cmp_lt_i32 s24, 6
	s_cbranch_scc1 .LBB102_238
; %bb.236:
	s_cmp_gt_i32 s24, 6
	s_cbranch_scc0 .LBB102_239
; %bb.237:
	global_load_dwordx2 v[3:4], v[0:1], off
	s_mov_b64 s[0:1], 0
	s_waitcnt vmcnt(0)
	v_cvt_f32_f64_e32 v3, v[3:4]
	s_branch .LBB102_240
.LBB102_238:
	s_mov_b64 s[0:1], -1
                                        ; implicit-def: $vgpr3
	s_branch .LBB102_243
.LBB102_239:
	s_mov_b64 s[0:1], -1
                                        ; implicit-def: $vgpr3
.LBB102_240:
	s_andn2_b64 vcc, exec, s[0:1]
	s_cbranch_vccnz .LBB102_242
; %bb.241:
	global_load_dword v3, v[0:1], off
.LBB102_242:
	s_mov_b64 s[0:1], 0
.LBB102_243:
	s_andn2_b64 vcc, exec, s[0:1]
	s_cbranch_vccnz .LBB102_245
; %bb.244:
	global_load_ushort v3, v[0:1], off
	s_waitcnt vmcnt(0)
	v_cvt_f32_f16_e32 v3, v3
.LBB102_245:
	s_cbranch_execnz .LBB102_265
.LBB102_246:
	s_cmp_lt_i32 s24, 2
	s_cbranch_scc1 .LBB102_250
; %bb.247:
	s_cmp_lt_i32 s24, 3
	s_cbranch_scc1 .LBB102_251
; %bb.248:
	s_cmp_gt_i32 s24, 3
	s_cbranch_scc0 .LBB102_252
; %bb.249:
	global_load_dwordx2 v[3:4], v[0:1], off
	s_mov_b64 s[0:1], 0
	s_waitcnt vmcnt(0)
	v_xor_b32_e32 v6, v3, v4
	v_ffbh_i32_e32 v5, v4
	v_ashrrev_i32_e32 v6, 31, v6
	v_add_u32_e32 v5, -1, v5
	v_add_u32_e32 v6, 32, v6
	v_min_u32_e32 v5, v5, v6
	v_lshlrev_b64 v[3:4], v5, v[3:4]
	v_min_u32_e32 v3, 1, v3
	v_or_b32_e32 v3, v4, v3
	v_cvt_f32_i32_e32 v3, v3
	v_sub_u32_e32 v4, 32, v5
	v_ldexp_f32 v3, v3, v4
	s_branch .LBB102_253
.LBB102_250:
	s_mov_b64 s[0:1], -1
                                        ; implicit-def: $vgpr3
	s_branch .LBB102_259
.LBB102_251:
	s_mov_b64 s[0:1], -1
                                        ; implicit-def: $vgpr3
	s_branch .LBB102_256
.LBB102_252:
	s_mov_b64 s[0:1], -1
                                        ; implicit-def: $vgpr3
.LBB102_253:
	s_andn2_b64 vcc, exec, s[0:1]
	s_cbranch_vccnz .LBB102_255
; %bb.254:
	global_load_dword v3, v[0:1], off
	s_waitcnt vmcnt(0)
	v_cvt_f32_i32_e32 v3, v3
.LBB102_255:
	s_mov_b64 s[0:1], 0
.LBB102_256:
	s_andn2_b64 vcc, exec, s[0:1]
	s_cbranch_vccnz .LBB102_258
; %bb.257:
	global_load_sshort v3, v[0:1], off
	s_waitcnt vmcnt(0)
	v_cvt_f32_i32_e32 v3, v3
.LBB102_258:
	s_mov_b64 s[0:1], 0
.LBB102_259:
	s_andn2_b64 vcc, exec, s[0:1]
	s_cbranch_vccnz .LBB102_265
; %bb.260:
	s_cmp_gt_i32 s24, 0
	s_cbranch_scc0 .LBB102_262
; %bb.261:
	global_load_sbyte v3, v[0:1], off
	s_mov_b64 s[0:1], 0
	s_waitcnt vmcnt(0)
	v_cvt_f32_i32_e32 v3, v3
	s_branch .LBB102_263
.LBB102_262:
	s_mov_b64 s[0:1], -1
                                        ; implicit-def: $vgpr3
.LBB102_263:
	s_andn2_b64 vcc, exec, s[0:1]
	s_cbranch_vccnz .LBB102_265
; %bb.264:
	global_load_ubyte v0, v[0:1], off
	s_waitcnt vmcnt(0)
	v_cvt_f32_ubyte0_e32 v3, v0
.LBB102_265:
	s_branch .LBB102_11
.LBB102_266:
	s_mov_b64 s[0:1], 0
                                        ; implicit-def: $vgpr2
	s_mov_b64 s[20:21], 0
.LBB102_267:
	s_and_b64 s[6:7], s[0:1], exec
	s_and_b64 s[16:17], s[16:17], exec
	s_orn2_b64 s[20:21], s[20:21], exec
.LBB102_268:
	s_or_b64 exec, exec, s[18:19]
	s_mov_b64 s[24:25], 0
	s_mov_b64 s[0:1], 0
                                        ; implicit-def: $vgpr0_vgpr1
                                        ; implicit-def: $vgpr3
	s_and_saveexec_b64 s[18:19], s[20:21]
	s_cbranch_execz .LBB102_277
; %bb.269:
	v_cmp_gt_i32_e32 vcc, s40, v2
	s_mov_b64 s[0:1], -1
	s_mov_b64 s[20:21], s[16:17]
	s_mov_b64 s[22:23], s[6:7]
	s_and_saveexec_b64 s[24:25], vcc
	s_cbranch_execz .LBB102_545
; %bb.270:
	v_mul_lo_u32 v0, v2, s13
	v_mov_b32_e32 v1, s11
	s_and_b32 s28, 0xffff, s44
	s_cmp_lt_i32 s28, 11
	s_waitcnt vmcnt(0)
	v_ashrrev_i32_e32 v3, 31, v0
	v_add_co_u32_e32 v0, vcc, s10, v0
	v_addc_co_u32_e32 v1, vcc, v1, v3, vcc
	s_cbranch_scc1 .LBB102_280
; %bb.271:
	s_cmp_gt_i32 s28, 25
	s_cbranch_scc0 .LBB102_286
; %bb.272:
	s_cmp_gt_i32 s28, 28
	s_cbranch_scc0 .LBB102_290
; %bb.273:
	s_cmp_gt_i32 s28, 43
	s_cbranch_scc0 .LBB102_292
; %bb.274:
	s_cmp_gt_i32 s28, 45
	s_cbranch_scc0 .LBB102_313
; %bb.275:
	s_cmp_eq_u32 s28, 46
	s_mov_b64 s[22:23], 0
	s_cbranch_scc0 .LBB102_317
; %bb.276:
	global_load_dword v3, v[0:1], off
	s_mov_b64 s[20:21], 0
	s_waitcnt vmcnt(0)
	v_lshlrev_b32_e32 v3, 16, v3
	s_branch .LBB102_318
.LBB102_277:
	s_or_b64 exec, exec, s[18:19]
	s_mov_b64 s[18:19], 0
	s_and_saveexec_b64 s[20:21], s[16:17]
	s_cbranch_execnz .LBB102_908
.LBB102_278:
	s_or_b64 exec, exec, s[20:21]
	s_and_saveexec_b64 s[16:17], s[22:23]
	s_xor_b64 s[16:17], exec, s[16:17]
	s_cbranch_execz .LBB102_909
.LBB102_279:
	global_load_ubyte v3, v[0:1], off
	s_or_b64 s[0:1], s[0:1], exec
	s_waitcnt vmcnt(0)
	v_cmp_ne_u16_e32 vcc, 0, v3
	v_cndmask_b32_e64 v3, 0, 1.0, vcc
	s_or_b64 exec, exec, s[16:17]
	s_and_saveexec_b64 s[16:17], s[24:25]
	s_cbranch_execz .LBB102_955
	s_branch .LBB102_910
.LBB102_280:
	s_mov_b64 s[0:1], 0
                                        ; implicit-def: $vgpr3
	s_mov_b64 s[20:21], s[16:17]
	s_cbranch_execnz .LBB102_495
.LBB102_281:
	s_andn2_b64 vcc, exec, s[0:1]
	s_cbranch_vccnz .LBB102_543
.LBB102_282:
	s_cmp_lt_i32 s14, 1
	s_mov_b64 s[0:1], 0
	s_cbranch_scc1 .LBB102_287
; %bb.283:
	s_cmp_gt_i32 s14, 1
	s_cbranch_scc0 .LBB102_291
; %bb.284:
	s_cmp_eq_u32 s14, 2
	s_cbranch_scc0 .LBB102_293
; %bb.285:
	s_waitcnt vmcnt(0)
	v_cmp_ge_f32_e64 s[22:23], s15, v3
	s_mov_b64 s[26:27], 0
	s_branch .LBB102_294
.LBB102_286:
	s_mov_b64 s[22:23], -1
	s_mov_b64 s[0:1], 0
	s_mov_b64 s[20:21], s[16:17]
                                        ; implicit-def: $vgpr3
	s_branch .LBB102_459
.LBB102_287:
                                        ; implicit-def: $sgpr22_sgpr23
	s_mov_b64 s[26:27], 0
	s_cbranch_execnz .LBB102_298
.LBB102_288:
	s_andn2_b64 vcc, exec, s[26:27]
	s_cbranch_vccnz .LBB102_299
.LBB102_289:
	s_waitcnt vmcnt(0)
	v_cmp_gt_f32_e32 vcc, s15, v3
	s_andn2_b64 s[22:23], s[22:23], exec
	s_and_b64 s[26:27], vcc, exec
	s_or_b64 s[22:23], s[22:23], s[26:27]
	s_cbranch_execz .LBB102_300
	s_branch .LBB102_301
.LBB102_290:
	s_mov_b64 s[22:23], -1
	s_mov_b64 s[0:1], 0
	s_mov_b64 s[20:21], s[16:17]
                                        ; implicit-def: $vgpr3
	s_branch .LBB102_440
.LBB102_291:
	s_mov_b64 s[28:29], -1
	s_mov_b64 s[26:27], 0
                                        ; implicit-def: $sgpr22_sgpr23
	s_branch .LBB102_295
.LBB102_292:
	s_mov_b64 s[22:23], -1
	s_mov_b64 s[0:1], 0
	s_mov_b64 s[20:21], s[16:17]
                                        ; implicit-def: $vgpr3
	s_branch .LBB102_435
.LBB102_293:
	s_mov_b64 s[26:27], -1
                                        ; implicit-def: $sgpr22_sgpr23
.LBB102_294:
	s_mov_b64 s[28:29], 0
.LBB102_295:
	s_and_b64 vcc, exec, s[28:29]
	s_cbranch_vccz .LBB102_297
; %bb.296:
	s_waitcnt vmcnt(0)
	v_cmp_lt_f32_e32 vcc, s15, v3
	s_andn2_b64 s[22:23], s[22:23], exec
	s_and_b64 s[28:29], vcc, exec
	s_or_b64 s[22:23], s[22:23], s[28:29]
.LBB102_297:
	s_branch .LBB102_288
.LBB102_298:
	s_cmp_lg_u32 s14, 0
	s_mov_b64 s[0:1], -1
	s_cselect_b64 s[26:27], -1, 0
	s_andn2_b64 vcc, exec, s[26:27]
	s_cbranch_vccz .LBB102_289
.LBB102_299:
	s_andn2_b64 vcc, exec, s[0:1]
	s_cbranch_vccnz .LBB102_301
.LBB102_300:
	s_waitcnt vmcnt(0)
	v_cmp_le_f32_e32 vcc, s15, v3
	s_andn2_b64 s[0:1], s[22:23], exec
	s_and_b64 s[22:23], vcc, exec
	s_or_b64 s[22:23], s[0:1], s[22:23]
.LBB102_301:
	v_mul_lo_u32 v0, v2, s12
	v_mov_b32_e32 v1, s9
	s_and_b32 s34, s33, 0xff
	s_cmp_lt_i32 s34, 11
	s_waitcnt vmcnt(0)
	v_ashrrev_i32_e32 v3, 31, v0
	v_add_co_u32_e32 v0, vcc, s8, v0
	v_addc_co_u32_e32 v1, vcc, v1, v3, vcc
	s_cbranch_scc1 .LBB102_308
; %bb.302:
	s_and_b32 s35, 0xffff, s34
	s_cmp_gt_i32 s35, 25
	s_cbranch_scc0 .LBB102_309
; %bb.303:
	s_cmp_gt_i32 s35, 28
	s_cbranch_scc0 .LBB102_310
; %bb.304:
	;; [unrolled: 3-line block ×4, first 2 shown]
	s_mov_b64 s[28:29], 0
	s_mov_b64 s[0:1], -1
	s_cmp_eq_u32 s35, 46
	s_mov_b64 s[26:27], 0
	s_cbranch_scc0 .LBB102_322
; %bb.307:
	v_cndmask_b32_e64 v3, 0, 1.0, s[22:23]
	v_bfe_u32 v4, v3, 16, 1
	s_movk_i32 s0, 0x7fff
	v_add3_u32 v3, v3, v4, s0
	v_lshrrev_b32_e32 v3, 16, v3
	global_store_dword v[0:1], v3, off
	s_mov_b64 s[26:27], -1
	s_mov_b64 s[0:1], 0
	s_branch .LBB102_322
.LBB102_308:
	s_mov_b64 s[28:29], -1
	s_mov_b64 s[26:27], 0
	s_mov_b64 s[0:1], s[6:7]
	s_branch .LBB102_391
.LBB102_309:
	s_mov_b64 s[28:29], -1
	s_mov_b64 s[26:27], 0
	s_mov_b64 s[0:1], s[6:7]
	s_branch .LBB102_349
.LBB102_310:
	s_mov_b64 s[28:29], -1
	s_mov_b64 s[26:27], 0
	s_mov_b64 s[0:1], s[6:7]
	s_branch .LBB102_332
.LBB102_311:
	s_andn2_saveexec_b64 s[26:27], s[26:27]
	s_cbranch_execz .LBB102_71
.LBB102_312:
	v_add_f32_e32 v3, 0x46000000, v4
	v_and_b32_e32 v3, 0xff, v3
	v_cmp_ne_u32_e32 vcc, 0, v3
	s_andn2_b64 s[24:25], s[24:25], exec
	s_and_b64 s[30:31], vcc, exec
	s_or_b64 s[24:25], s[24:25], s[30:31]
	s_or_b64 exec, exec, s[26:27]
	v_mov_b32_e32 v5, 0
	s_and_saveexec_b64 s[26:27], s[24:25]
	s_cbranch_execnz .LBB102_72
	s_branch .LBB102_73
.LBB102_313:
	s_mov_b64 s[22:23], -1
	s_mov_b64 s[0:1], 0
	s_mov_b64 s[20:21], s[16:17]
                                        ; implicit-def: $vgpr3
	s_branch .LBB102_318
.LBB102_314:
	s_mov_b64 s[28:29], -1
	s_mov_b64 s[26:27], 0
	s_mov_b64 s[0:1], s[6:7]
	s_branch .LBB102_328
.LBB102_315:
	s_andn2_saveexec_b64 s[26:27], s[26:27]
	s_cbranch_execz .LBB102_84
.LBB102_316:
	v_add_f32_e32 v3, 0x42800000, v4
	v_and_b32_e32 v3, 0xff, v3
	v_cmp_ne_u32_e32 vcc, 0, v3
	s_andn2_b64 s[24:25], s[24:25], exec
	s_and_b64 s[30:31], vcc, exec
	s_or_b64 s[24:25], s[24:25], s[30:31]
	s_or_b64 exec, exec, s[26:27]
	v_mov_b32_e32 v5, 0
	s_and_saveexec_b64 s[26:27], s[24:25]
	s_cbranch_execnz .LBB102_85
	s_branch .LBB102_86
.LBB102_317:
	s_mov_b64 s[20:21], -1
                                        ; implicit-def: $vgpr3
	s_mov_b64 s[0:1], 0
.LBB102_318:
	s_and_b64 vcc, exec, s[22:23]
	s_cbranch_vccz .LBB102_434
; %bb.319:
	s_cmp_eq_u32 s28, 44
	s_cbranch_scc0 .LBB102_433
; %bb.320:
	global_load_ubyte v3, v[0:1], off
	s_movk_i32 s20, 0xff
	v_mov_b32_e32 v4, 0x7f800001
	v_mov_b32_e32 v5, 0x400000
	s_mov_b64 s[0:1], -1
	s_waitcnt vmcnt(0)
	v_lshlrev_b32_e32 v6, 23, v3
	v_cmp_ne_u32_e32 vcc, s20, v3
	v_cndmask_b32_e32 v4, v4, v6, vcc
	v_cmp_ne_u32_e32 vcc, 0, v3
	v_cndmask_b32_e32 v3, v5, v4, vcc
	s_mov_b64 s[20:21], 0
	s_branch .LBB102_434
.LBB102_321:
	s_mov_b64 s[28:29], -1
	s_mov_b64 s[26:27], 0
	s_mov_b64 s[0:1], s[6:7]
.LBB102_322:
	s_and_b64 vcc, exec, s[28:29]
	s_cbranch_vccz .LBB102_327
; %bb.323:
	s_cmp_eq_u32 s35, 44
	s_mov_b64 s[0:1], -1
	s_cbranch_scc0 .LBB102_327
; %bb.324:
	v_cndmask_b32_e64 v4, 0, 1.0, s[22:23]
	v_lshrrev_b32_e32 v3, 23, v4
	s_movk_i32 s0, 0xff
	v_cmp_ne_u32_e32 vcc, s0, v3
	v_mov_b32_e32 v5, 0xff
	s_and_saveexec_b64 s[26:27], vcc
; %bb.325:
	s_mov_b32 s0, 0x3fffff
	v_and_b32_e32 v5, 0x400000, v4
	v_and_or_b32 v4, v4, s0, v3
	v_cmp_ne_u32_e32 vcc, 0, v5
	v_cmp_ne_u32_e64 s[0:1], 0, v4
	s_and_b64 s[0:1], vcc, s[0:1]
	v_cndmask_b32_e64 v4, 0, 1, s[0:1]
	v_add_u32_e32 v5, v3, v4
; %bb.326:
	s_or_b64 exec, exec, s[26:27]
	s_mov_b64 s[26:27], -1
	s_mov_b64 s[0:1], 0
	global_store_byte v[0:1], v5, off
.LBB102_327:
	s_mov_b64 s[28:29], 0
.LBB102_328:
	s_and_b64 vcc, exec, s[28:29]
	s_cbranch_vccz .LBB102_331
; %bb.329:
	s_cmp_eq_u32 s35, 29
	s_mov_b64 s[0:1], -1
	s_cbranch_scc0 .LBB102_331
; %bb.330:
	s_mov_b32 s0, 0
	v_cndmask_b32_e64 v3, 0, 1, s[22:23]
	v_mov_b32_e32 v4, s0
	global_store_dwordx2 v[0:1], v[3:4], off
	s_mov_b64 s[26:27], -1
	s_mov_b64 s[0:1], 0
.LBB102_331:
	s_mov_b64 s[28:29], 0
.LBB102_332:
	s_and_b64 vcc, exec, s[28:29]
	s_cbranch_vccz .LBB102_348
; %bb.333:
	s_cmp_lt_i32 s35, 27
	s_mov_b64 s[26:27], -1
	s_cbranch_scc1 .LBB102_339
; %bb.334:
	s_cmp_gt_i32 s35, 27
	s_cbranch_scc0 .LBB102_336
; %bb.335:
	v_cndmask_b32_e64 v3, 0, 1, s[22:23]
	s_mov_b64 s[26:27], 0
	global_store_dword v[0:1], v3, off
.LBB102_336:
	s_andn2_b64 vcc, exec, s[26:27]
	s_cbranch_vccnz .LBB102_338
; %bb.337:
	v_cndmask_b32_e64 v3, 0, 1, s[22:23]
	global_store_short v[0:1], v3, off
.LBB102_338:
	s_mov_b64 s[26:27], 0
.LBB102_339:
	s_andn2_b64 vcc, exec, s[26:27]
	s_cbranch_vccnz .LBB102_347
; %bb.340:
	v_cndmask_b32_e64 v4, 0, 1.0, s[22:23]
	s_mov_b32 s26, 0x43800000
	v_cmp_gt_u32_e32 vcc, s26, v4
	v_mov_b32_e32 v5, 0x80
	s_and_saveexec_b64 s[26:27], vcc
	s_cbranch_execz .LBB102_346
; %bb.341:
	s_mov_b32 s28, 0x3bffffff
	v_cmp_lt_u32_e32 vcc, s28, v4
	s_mov_b64 s[28:29], 0
                                        ; implicit-def: $vgpr3
	s_and_saveexec_b64 s[30:31], vcc
	s_xor_b64 s[30:31], exec, s[30:31]
	s_cbranch_execz .LBB102_558
; %bb.342:
	v_bfe_u32 v3, v4, 20, 1
	s_mov_b32 s36, 0x487ffff
	v_add3_u32 v3, v4, v3, s36
	s_mov_b64 s[28:29], exec
	v_lshrrev_b32_e32 v3, 20, v3
                                        ; implicit-def: $vgpr4
	s_andn2_saveexec_b64 s[30:31], s[30:31]
	s_cbranch_execnz .LBB102_559
.LBB102_343:
	s_or_b64 exec, exec, s[30:31]
	v_mov_b32_e32 v5, 0
	s_and_saveexec_b64 s[30:31], s[28:29]
.LBB102_344:
	v_mov_b32_e32 v5, v3
.LBB102_345:
	s_or_b64 exec, exec, s[30:31]
.LBB102_346:
	s_or_b64 exec, exec, s[26:27]
	global_store_byte v[0:1], v5, off
.LBB102_347:
	s_mov_b64 s[26:27], -1
.LBB102_348:
	s_mov_b64 s[28:29], 0
.LBB102_349:
	s_and_b64 vcc, exec, s[28:29]
	s_cbranch_vccz .LBB102_390
; %bb.350:
	s_cmp_gt_i32 s35, 22
	s_mov_b64 s[28:29], -1
	s_cbranch_scc0 .LBB102_382
; %bb.351:
	s_cmp_lt_i32 s35, 24
	s_mov_b64 s[26:27], -1
	s_cbranch_scc1 .LBB102_371
; %bb.352:
	s_cmp_gt_i32 s35, 24
	s_cbranch_scc0 .LBB102_360
; %bb.353:
	v_cndmask_b32_e64 v4, 0, 1.0, s[22:23]
	s_mov_b32 s26, 0x47800000
	v_cmp_gt_u32_e32 vcc, s26, v4
	v_mov_b32_e32 v5, 0x80
	s_and_saveexec_b64 s[26:27], vcc
	s_cbranch_execz .LBB102_359
; %bb.354:
	s_mov_b32 s28, 0x37ffffff
	v_cmp_lt_u32_e32 vcc, s28, v4
	s_mov_b64 s[28:29], 0
                                        ; implicit-def: $vgpr3
	s_and_saveexec_b64 s[30:31], vcc
	s_xor_b64 s[30:31], exec, s[30:31]
	s_cbranch_execz .LBB102_561
; %bb.355:
	v_bfe_u32 v3, v4, 21, 1
	s_mov_b32 s36, 0x88fffff
	v_add3_u32 v3, v4, v3, s36
	s_mov_b64 s[28:29], exec
	v_lshrrev_b32_e32 v3, 21, v3
                                        ; implicit-def: $vgpr4
	s_andn2_saveexec_b64 s[30:31], s[30:31]
	s_cbranch_execnz .LBB102_562
.LBB102_356:
	s_or_b64 exec, exec, s[30:31]
	v_mov_b32_e32 v5, 0
	s_and_saveexec_b64 s[30:31], s[28:29]
.LBB102_357:
	v_mov_b32_e32 v5, v3
.LBB102_358:
	s_or_b64 exec, exec, s[30:31]
.LBB102_359:
	s_or_b64 exec, exec, s[26:27]
	s_mov_b64 s[26:27], 0
	global_store_byte v[0:1], v5, off
.LBB102_360:
	s_and_b64 vcc, exec, s[26:27]
	s_cbranch_vccz .LBB102_370
; %bb.361:
	v_cndmask_b32_e64 v3, 0, 1.0, s[22:23]
	s_mov_b32 s26, 0x43f00000
	v_cmp_gt_u32_e32 vcc, s26, v3
                                        ; implicit-def: $vgpr4
	s_and_saveexec_b64 s[26:27], vcc
	s_xor_b64 s[26:27], exec, s[26:27]
	s_cbranch_execz .LBB102_367
; %bb.362:
	s_mov_b32 s28, 0x3c7fffff
	v_cmp_lt_u32_e32 vcc, s28, v3
                                        ; implicit-def: $vgpr4
	s_and_saveexec_b64 s[28:29], vcc
	s_xor_b64 s[28:29], exec, s[28:29]
; %bb.363:
	v_bfe_u32 v4, v3, 20, 1
	s_mov_b32 s30, 0x407ffff
	v_add3_u32 v3, v3, v4, s30
	v_lshrrev_b32_e32 v4, 20, v3
	v_and_b32_e32 v3, 0xff00000, v3
	s_mov_b32 s30, 0x7f00000
	v_mov_b32_e32 v5, 0x7e
	v_cmp_ne_u32_e32 vcc, s30, v3
	v_cndmask_b32_e32 v4, v5, v4, vcc
                                        ; implicit-def: $vgpr3
; %bb.364:
	s_andn2_saveexec_b64 s[28:29], s[28:29]
; %bb.365:
	v_add_f32_e32 v4, 0x46800000, v3
; %bb.366:
	s_or_b64 exec, exec, s[28:29]
                                        ; implicit-def: $vgpr3
.LBB102_367:
	s_andn2_saveexec_b64 s[26:27], s[26:27]
; %bb.368:
	s_mov_b32 s28, 0x7f800000
	v_mov_b32_e32 v4, 0x7e
	v_mov_b32_e32 v5, 0x7f
	v_cmp_lt_u32_e32 vcc, s28, v3
	v_cndmask_b32_e32 v4, v4, v5, vcc
; %bb.369:
	s_or_b64 exec, exec, s[26:27]
	global_store_byte v[0:1], v4, off
.LBB102_370:
	s_mov_b64 s[26:27], 0
.LBB102_371:
	s_andn2_b64 vcc, exec, s[26:27]
	s_cbranch_vccnz .LBB102_381
; %bb.372:
	v_cndmask_b32_e64 v3, 0, 1.0, s[22:23]
	s_mov_b32 s26, 0x47800000
	v_cmp_gt_u32_e32 vcc, s26, v3
                                        ; implicit-def: $vgpr4
	s_and_saveexec_b64 s[26:27], vcc
	s_xor_b64 s[26:27], exec, s[26:27]
	s_cbranch_execz .LBB102_378
; %bb.373:
	s_mov_b32 s28, 0x387fffff
	v_cmp_lt_u32_e32 vcc, s28, v3
                                        ; implicit-def: $vgpr4
	s_and_saveexec_b64 s[28:29], vcc
	s_xor_b64 s[28:29], exec, s[28:29]
; %bb.374:
	v_bfe_u32 v4, v3, 21, 1
	s_mov_b32 s30, 0x80fffff
	v_add3_u32 v3, v3, v4, s30
	v_lshrrev_b32_e32 v4, 21, v3
                                        ; implicit-def: $vgpr3
; %bb.375:
	s_andn2_saveexec_b64 s[28:29], s[28:29]
; %bb.376:
	v_add_f32_e32 v4, 0x43000000, v3
; %bb.377:
	s_or_b64 exec, exec, s[28:29]
                                        ; implicit-def: $vgpr3
.LBB102_378:
	s_andn2_saveexec_b64 s[26:27], s[26:27]
; %bb.379:
	s_mov_b32 s28, 0x7f800000
	v_mov_b32_e32 v4, 0x7c
	v_mov_b32_e32 v5, 0x7f
	v_cmp_lt_u32_e32 vcc, s28, v3
	v_cndmask_b32_e32 v4, v4, v5, vcc
; %bb.380:
	s_or_b64 exec, exec, s[26:27]
	global_store_byte v[0:1], v4, off
.LBB102_381:
	s_mov_b64 s[28:29], 0
	s_mov_b64 s[26:27], -1
.LBB102_382:
	s_andn2_b64 vcc, exec, s[28:29]
	s_cbranch_vccnz .LBB102_390
; %bb.383:
	s_cmp_gt_i32 s35, 14
	s_mov_b64 s[28:29], -1
	s_cbranch_scc0 .LBB102_387
; %bb.384:
	s_cmp_eq_u32 s35, 15
	s_mov_b64 s[0:1], -1
	s_cbranch_scc0 .LBB102_386
; %bb.385:
	v_cndmask_b32_e64 v3, 0, 1.0, s[22:23]
	v_bfe_u32 v4, v3, 16, 1
	s_movk_i32 s0, 0x7fff
	v_add3_u32 v3, v3, v4, s0
	global_store_short_d16_hi v[0:1], v3, off
	s_mov_b64 s[26:27], -1
	s_mov_b64 s[0:1], 0
.LBB102_386:
	s_mov_b64 s[28:29], 0
.LBB102_387:
	s_and_b64 vcc, exec, s[28:29]
	s_cbranch_vccz .LBB102_390
; %bb.388:
	s_cmp_eq_u32 s35, 11
	s_mov_b64 s[0:1], -1
	s_cbranch_scc0 .LBB102_390
; %bb.389:
	v_cndmask_b32_e64 v3, 0, 1, s[22:23]
	s_mov_b64 s[26:27], -1
	s_mov_b64 s[0:1], 0
	global_store_byte v[0:1], v3, off
.LBB102_390:
	s_mov_b64 s[28:29], 0
.LBB102_391:
	s_and_b64 vcc, exec, s[28:29]
	s_cbranch_vccz .LBB102_430
; %bb.392:
	s_and_b32 s28, 0xffff, s34
	s_cmp_lt_i32 s28, 5
	s_mov_b64 s[26:27], -1
	s_cbranch_scc1 .LBB102_413
; %bb.393:
	s_cmp_lt_i32 s28, 8
	s_cbranch_scc1 .LBB102_403
; %bb.394:
	s_cmp_lt_i32 s28, 9
	s_cbranch_scc1 .LBB102_400
; %bb.395:
	s_cmp_gt_i32 s28, 9
	s_cbranch_scc0 .LBB102_397
; %bb.396:
	v_cndmask_b32_e64 v3, 0, 1, s[22:23]
	v_cvt_f64_u32_e32 v[3:4], v3
	v_mov_b32_e32 v5, 0
	v_mov_b32_e32 v6, v5
	s_mov_b64 s[26:27], 0
	global_store_dwordx4 v[0:1], v[3:6], off
.LBB102_397:
	s_andn2_b64 vcc, exec, s[26:27]
	s_cbranch_vccnz .LBB102_399
; %bb.398:
	v_cndmask_b32_e64 v3, 0, 1.0, s[22:23]
	v_mov_b32_e32 v4, 0
	global_store_dwordx2 v[0:1], v[3:4], off
.LBB102_399:
	s_mov_b64 s[26:27], 0
.LBB102_400:
	s_andn2_b64 vcc, exec, s[26:27]
	s_cbranch_vccnz .LBB102_402
; %bb.401:
	v_cndmask_b32_e64 v3, 0, 1.0, s[22:23]
	v_cvt_f16_f32_e32 v3, v3
	global_store_dword v[0:1], v3, off
.LBB102_402:
	s_mov_b64 s[26:27], 0
.LBB102_403:
	s_andn2_b64 vcc, exec, s[26:27]
	s_cbranch_vccnz .LBB102_412
; %bb.404:
	s_cmp_lt_i32 s28, 6
	s_mov_b64 s[26:27], -1
	s_cbranch_scc1 .LBB102_410
; %bb.405:
	s_cmp_gt_i32 s28, 6
	s_cbranch_scc0 .LBB102_407
; %bb.406:
	v_cndmask_b32_e64 v3, 0, 1, s[22:23]
	v_cvt_f64_u32_e32 v[3:4], v3
	s_mov_b64 s[26:27], 0
	global_store_dwordx2 v[0:1], v[3:4], off
.LBB102_407:
	s_andn2_b64 vcc, exec, s[26:27]
	s_cbranch_vccnz .LBB102_409
; %bb.408:
	v_cndmask_b32_e64 v3, 0, 1.0, s[22:23]
	global_store_dword v[0:1], v3, off
.LBB102_409:
	s_mov_b64 s[26:27], 0
.LBB102_410:
	s_andn2_b64 vcc, exec, s[26:27]
	s_cbranch_vccnz .LBB102_412
; %bb.411:
	v_cndmask_b32_e64 v3, 0, 1.0, s[22:23]
	v_cvt_f16_f32_e32 v3, v3
	global_store_short v[0:1], v3, off
.LBB102_412:
	s_mov_b64 s[26:27], 0
.LBB102_413:
	s_andn2_b64 vcc, exec, s[26:27]
	s_cbranch_vccnz .LBB102_429
; %bb.414:
	s_cmp_lt_i32 s28, 2
	s_mov_b64 s[26:27], -1
	s_cbranch_scc1 .LBB102_424
; %bb.415:
	s_cmp_lt_i32 s28, 3
	s_cbranch_scc1 .LBB102_421
; %bb.416:
	s_cmp_gt_i32 s28, 3
	s_cbranch_scc0 .LBB102_418
; %bb.417:
	s_mov_b32 s26, 0
	v_cndmask_b32_e64 v3, 0, 1, s[22:23]
	v_mov_b32_e32 v4, s26
	s_mov_b64 s[26:27], 0
	global_store_dwordx2 v[0:1], v[3:4], off
.LBB102_418:
	s_andn2_b64 vcc, exec, s[26:27]
	s_cbranch_vccnz .LBB102_420
; %bb.419:
	v_cndmask_b32_e64 v3, 0, 1, s[22:23]
	global_store_dword v[0:1], v3, off
.LBB102_420:
	s_mov_b64 s[26:27], 0
.LBB102_421:
	s_andn2_b64 vcc, exec, s[26:27]
	s_cbranch_vccnz .LBB102_423
; %bb.422:
	v_cndmask_b32_e64 v3, 0, 1, s[22:23]
	global_store_short v[0:1], v3, off
.LBB102_423:
	s_mov_b64 s[26:27], 0
.LBB102_424:
	s_andn2_b64 vcc, exec, s[26:27]
	s_cbranch_vccnz .LBB102_429
; %bb.425:
	s_mov_b64 s[26:27], -1
	s_cmp_gt_i32 s28, 0
	v_cndmask_b32_e64 v3, 0, 1, s[22:23]
	s_cbranch_scc0 .LBB102_427
; %bb.426:
	s_mov_b64 s[26:27], 0
	global_store_byte v[0:1], v3, off
.LBB102_427:
	s_andn2_b64 vcc, exec, s[26:27]
	s_cbranch_vccnz .LBB102_429
; %bb.428:
	global_store_byte v[0:1], v3, off
.LBB102_429:
	s_mov_b64 s[26:27], -1
.LBB102_430:
	s_andn2_b64 vcc, exec, s[26:27]
	s_cbranch_vccnz .LBB102_432
; %bb.431:
	v_add_u32_e32 v2, 0x80, v2
	s_mov_b64 s[26:27], -1
	s_branch .LBB102_544
.LBB102_432:
	s_mov_b64 s[26:27], 0
                                        ; implicit-def: $vgpr2
	s_branch .LBB102_544
.LBB102_433:
	s_mov_b64 s[20:21], -1
                                        ; implicit-def: $vgpr3
.LBB102_434:
	s_mov_b64 s[22:23], 0
.LBB102_435:
	s_and_b64 vcc, exec, s[22:23]
	s_cbranch_vccz .LBB102_439
; %bb.436:
	s_cmp_eq_u32 s28, 29
	s_cbranch_scc0 .LBB102_438
; %bb.437:
	global_load_dwordx2 v[3:4], v[0:1], off
	s_mov_b64 s[0:1], -1
	s_mov_b64 s[20:21], 0
	s_mov_b64 s[22:23], 0
	s_waitcnt vmcnt(0)
	v_ffbh_u32_e32 v5, v4
	v_min_u32_e32 v5, 32, v5
	v_lshlrev_b64 v[3:4], v5, v[3:4]
	v_min_u32_e32 v3, 1, v3
	v_or_b32_e32 v3, v4, v3
	v_cvt_f32_u32_e32 v3, v3
	v_sub_u32_e32 v4, 32, v5
	v_ldexp_f32 v3, v3, v4
	s_branch .LBB102_440
.LBB102_438:
	s_mov_b64 s[20:21], -1
                                        ; implicit-def: $vgpr3
.LBB102_439:
	s_mov_b64 s[22:23], 0
.LBB102_440:
	s_and_b64 vcc, exec, s[22:23]
	s_cbranch_vccz .LBB102_458
; %bb.441:
	s_cmp_lt_i32 s28, 27
	s_cbranch_scc1 .LBB102_444
; %bb.442:
	s_cmp_gt_i32 s28, 27
	s_cbranch_scc0 .LBB102_445
; %bb.443:
	global_load_dword v3, v[0:1], off
	s_mov_b64 s[0:1], 0
	s_waitcnt vmcnt(0)
	v_cvt_f32_u32_e32 v3, v3
	s_branch .LBB102_446
.LBB102_444:
	s_mov_b64 s[0:1], -1
                                        ; implicit-def: $vgpr3
	s_branch .LBB102_449
.LBB102_445:
	s_mov_b64 s[0:1], -1
                                        ; implicit-def: $vgpr3
.LBB102_446:
	s_andn2_b64 vcc, exec, s[0:1]
	s_cbranch_vccnz .LBB102_448
; %bb.447:
	global_load_ushort v3, v[0:1], off
	s_waitcnt vmcnt(0)
	v_cvt_f32_u32_e32 v3, v3
.LBB102_448:
	s_mov_b64 s[0:1], 0
.LBB102_449:
	s_andn2_b64 vcc, exec, s[0:1]
	s_cbranch_vccnz .LBB102_457
; %bb.450:
	global_load_ubyte v4, v[0:1], off
	s_movk_i32 s0, 0x7f
	s_waitcnt vmcnt(0)
	v_cmp_lt_i16_e32 vcc, s0, v4
	s_mov_b64 s[0:1], 0
	s_and_saveexec_b64 s[22:23], vcc
	s_xor_b64 s[22:23], exec, s[22:23]
	s_cbranch_execz .LBB102_471
; %bb.451:
	s_movk_i32 s0, 0x80
	v_cmp_eq_u16_e32 vcc, s0, v4
	s_mov_b64 s[0:1], -1
	s_and_saveexec_b64 s[26:27], vcc
; %bb.452:
	s_xor_b64 s[0:1], exec, -1
; %bb.453:
	s_or_b64 exec, exec, s[26:27]
	s_and_b64 s[0:1], s[0:1], exec
	s_or_saveexec_b64 s[22:23], s[22:23]
	v_mov_b32_e32 v3, 0x7f800001
	s_xor_b64 exec, exec, s[22:23]
	s_cbranch_execnz .LBB102_472
.LBB102_454:
	s_or_b64 exec, exec, s[22:23]
	s_and_saveexec_b64 s[22:23], s[0:1]
	s_cbranch_execz .LBB102_456
.LBB102_455:
	v_lshlrev_b32_e32 v3, 24, v4
	v_and_b32_e32 v4, 0xffff, v4
	v_and_b32_e32 v5, 7, v4
	v_ffbh_u32_e32 v7, v5
	v_min_u32_e32 v7, 32, v7
	v_subrev_u32_e32 v8, 28, v7
	v_bfe_u32 v6, v4, 3, 4
	v_lshlrev_b32_e32 v4, v8, v4
	v_sub_u32_e32 v7, 29, v7
	v_and_b32_e32 v4, 7, v4
	v_cmp_eq_u32_e32 vcc, 0, v6
	v_cndmask_b32_e32 v6, v6, v7, vcc
	v_cndmask_b32_e32 v4, v5, v4, vcc
	v_mov_b32_e32 v5, 0x3b800000
	v_lshlrev_b32_e32 v4, 20, v4
	v_and_b32_e32 v3, 0x80000000, v3
	v_lshl_add_u32 v5, v6, 23, v5
	v_or3_b32 v3, v3, v5, v4
.LBB102_456:
	s_or_b64 exec, exec, s[22:23]
.LBB102_457:
	s_mov_b64 s[0:1], -1
.LBB102_458:
	s_mov_b64 s[22:23], 0
.LBB102_459:
	s_and_b64 vcc, exec, s[22:23]
	s_cbranch_vccz .LBB102_494
; %bb.460:
	s_cmp_gt_i32 s28, 22
	s_cbranch_scc0 .LBB102_470
; %bb.461:
	s_cmp_lt_i32 s28, 24
	s_cbranch_scc1 .LBB102_473
; %bb.462:
	s_cmp_gt_i32 s28, 24
	s_cbranch_scc0 .LBB102_474
; %bb.463:
	global_load_ubyte v4, v[0:1], off
	s_movk_i32 s0, 0x7f
	s_waitcnt vmcnt(0)
	v_cmp_lt_i16_e32 vcc, s0, v4
	s_mov_b64 s[0:1], 0
	s_and_saveexec_b64 s[22:23], vcc
	s_xor_b64 s[22:23], exec, s[22:23]
	s_cbranch_execz .LBB102_486
; %bb.464:
	s_movk_i32 s0, 0x80
	v_cmp_eq_u16_e32 vcc, s0, v4
	s_mov_b64 s[0:1], -1
	s_and_saveexec_b64 s[26:27], vcc
; %bb.465:
	s_xor_b64 s[0:1], exec, -1
; %bb.466:
	s_or_b64 exec, exec, s[26:27]
	s_and_b64 s[0:1], s[0:1], exec
	s_or_saveexec_b64 s[22:23], s[22:23]
	v_mov_b32_e32 v3, 0x7f800001
	s_xor_b64 exec, exec, s[22:23]
	s_cbranch_execnz .LBB102_487
.LBB102_467:
	s_or_b64 exec, exec, s[22:23]
	s_and_saveexec_b64 s[22:23], s[0:1]
	s_cbranch_execz .LBB102_469
.LBB102_468:
	v_lshlrev_b32_e32 v3, 24, v4
	v_and_b32_e32 v4, 0xffff, v4
	v_and_b32_e32 v5, 3, v4
	v_ffbh_u32_e32 v7, v5
	v_min_u32_e32 v7, 32, v7
	v_subrev_u32_e32 v8, 29, v7
	v_bfe_u32 v6, v4, 2, 5
	v_lshlrev_b32_e32 v4, v8, v4
	v_sub_u32_e32 v7, 30, v7
	v_and_b32_e32 v4, 3, v4
	v_cmp_eq_u32_e32 vcc, 0, v6
	v_cndmask_b32_e32 v6, v6, v7, vcc
	v_cndmask_b32_e32 v4, v5, v4, vcc
	v_mov_b32_e32 v5, 0x37800000
	v_lshlrev_b32_e32 v4, 21, v4
	v_and_b32_e32 v3, 0x80000000, v3
	v_lshl_add_u32 v5, v6, 23, v5
	v_or3_b32 v3, v3, v5, v4
.LBB102_469:
	s_or_b64 exec, exec, s[22:23]
	s_mov_b64 s[0:1], 0
	s_branch .LBB102_475
.LBB102_470:
	s_mov_b64 s[22:23], -1
                                        ; implicit-def: $vgpr3
	s_branch .LBB102_481
.LBB102_471:
	s_or_saveexec_b64 s[22:23], s[22:23]
	v_mov_b32_e32 v3, 0x7f800001
	s_xor_b64 exec, exec, s[22:23]
	s_cbranch_execz .LBB102_454
.LBB102_472:
	v_cmp_ne_u16_e32 vcc, 0, v4
	s_andn2_b64 s[0:1], s[0:1], exec
	s_and_b64 s[26:27], vcc, exec
	v_mov_b32_e32 v3, 0
	s_or_b64 s[0:1], s[0:1], s[26:27]
	s_or_b64 exec, exec, s[22:23]
	s_and_saveexec_b64 s[22:23], s[0:1]
	s_cbranch_execnz .LBB102_455
	s_branch .LBB102_456
.LBB102_473:
	s_mov_b64 s[0:1], -1
                                        ; implicit-def: $vgpr3
	s_branch .LBB102_478
.LBB102_474:
	s_mov_b64 s[0:1], -1
                                        ; implicit-def: $vgpr3
.LBB102_475:
	s_and_b64 vcc, exec, s[0:1]
	s_cbranch_vccz .LBB102_477
; %bb.476:
	global_load_ubyte v3, v[0:1], off
	s_mov_b32 s0, 0x7f800000
	s_waitcnt vmcnt(0)
	v_lshlrev_b32_e32 v3, 24, v3
	v_and_b32_e32 v4, 0x7f000000, v3
	v_ffbh_u32_e32 v5, v4
	v_min_u32_e32 v5, 32, v5
	v_sub_u32_e64 v5, v5, 4 clamp
	v_lshlrev_b32_e32 v7, v5, v4
	v_lshlrev_b32_e32 v5, 23, v5
	v_lshrrev_b32_e32 v7, 4, v7
	v_add_u32_e32 v6, 0x1000000, v4
	v_sub_u32_e32 v5, v7, v5
	v_ashrrev_i32_e32 v6, 8, v6
	v_add_u32_e32 v5, 0x3c000000, v5
	v_and_or_b32 v5, v6, s0, v5
	v_cmp_ne_u32_e32 vcc, 0, v4
	v_cndmask_b32_e32 v4, 0, v5, vcc
	s_brev_b32 s0, 1
	v_and_or_b32 v3, v3, s0, v4
.LBB102_477:
	s_mov_b64 s[0:1], 0
.LBB102_478:
	s_andn2_b64 vcc, exec, s[0:1]
	s_cbranch_vccnz .LBB102_480
; %bb.479:
	global_load_ubyte v3, v[0:1], off
	s_movk_i32 s0, 0x7f00
	s_brev_b32 s1, 16
	s_waitcnt vmcnt(0)
	v_lshlrev_b16_e32 v4, 8, v3
	v_lshlrev_b32_e32 v3, 25, v3
	v_lshrrev_b32_e32 v5, 4, v3
	v_and_or_b32 v6, v4, s0, 0.5
	v_or_b32_e32 v5, 0x70000000, v5
	v_add_f32_e32 v6, -0.5, v6
	v_mul_f32_e32 v5, 0x7800000, v5
	v_cmp_gt_u32_e32 vcc, s1, v3
	v_bfe_i32 v4, v4, 0, 16
	v_cndmask_b32_e32 v3, v5, v6, vcc
	s_brev_b32 s0, 1
	v_and_or_b32 v3, v4, s0, v3
.LBB102_480:
	s_mov_b64 s[22:23], 0
	s_mov_b64 s[0:1], -1
.LBB102_481:
	s_andn2_b64 vcc, exec, s[22:23]
	s_cbranch_vccnz .LBB102_494
; %bb.482:
	s_cmp_gt_i32 s28, 14
	s_cbranch_scc0 .LBB102_485
; %bb.483:
	s_cmp_eq_u32 s28, 15
	s_cbranch_scc0 .LBB102_488
; %bb.484:
	global_load_ushort v3, v[0:1], off
	s_mov_b64 s[0:1], -1
	s_mov_b64 s[20:21], 0
	s_waitcnt vmcnt(0)
	v_lshlrev_b32_e32 v3, 16, v3
	s_branch .LBB102_489
.LBB102_485:
	s_mov_b64 s[22:23], -1
                                        ; implicit-def: $vgpr3
	s_branch .LBB102_490
.LBB102_486:
	s_or_saveexec_b64 s[22:23], s[22:23]
	v_mov_b32_e32 v3, 0x7f800001
	s_xor_b64 exec, exec, s[22:23]
	s_cbranch_execz .LBB102_467
.LBB102_487:
	v_cmp_ne_u16_e32 vcc, 0, v4
	s_andn2_b64 s[0:1], s[0:1], exec
	s_and_b64 s[26:27], vcc, exec
	v_mov_b32_e32 v3, 0
	s_or_b64 s[0:1], s[0:1], s[26:27]
	s_or_b64 exec, exec, s[22:23]
	s_and_saveexec_b64 s[22:23], s[0:1]
	s_cbranch_execnz .LBB102_468
	s_branch .LBB102_469
.LBB102_488:
	s_mov_b64 s[20:21], -1
                                        ; implicit-def: $vgpr3
.LBB102_489:
	s_mov_b64 s[22:23], 0
.LBB102_490:
	s_and_b64 vcc, exec, s[22:23]
	s_cbranch_vccz .LBB102_494
; %bb.491:
	s_cmp_eq_u32 s28, 11
	s_cbranch_scc0 .LBB102_493
; %bb.492:
	global_load_ubyte v3, v[0:1], off
	s_mov_b64 s[0:1], -1
	s_mov_b64 s[20:21], 0
	s_waitcnt vmcnt(0)
	v_cmp_ne_u16_e32 vcc, 0, v3
	v_cndmask_b32_e64 v3, 0, 1.0, vcc
	s_branch .LBB102_494
.LBB102_493:
	s_mov_b64 s[20:21], -1
                                        ; implicit-def: $vgpr3
.LBB102_494:
	s_branch .LBB102_281
.LBB102_495:
	s_cmp_lt_i32 s28, 5
	s_cbranch_scc1 .LBB102_500
; %bb.496:
	s_cmp_lt_i32 s28, 8
	s_cbranch_scc1 .LBB102_501
; %bb.497:
	;; [unrolled: 3-line block ×3, first 2 shown]
	s_cmp_gt_i32 s28, 9
	s_cbranch_scc0 .LBB102_503
; %bb.499:
	global_load_dwordx2 v[3:4], v[0:1], off
	s_mov_b64 s[0:1], 0
	s_waitcnt vmcnt(0)
	v_cvt_f32_f64_e32 v3, v[3:4]
	s_branch .LBB102_504
.LBB102_500:
	s_mov_b64 s[0:1], -1
                                        ; implicit-def: $vgpr3
	s_branch .LBB102_522
.LBB102_501:
	s_mov_b64 s[0:1], -1
                                        ; implicit-def: $vgpr3
	s_branch .LBB102_510
.LBB102_502:
	s_mov_b64 s[0:1], -1
                                        ; implicit-def: $vgpr3
	s_branch .LBB102_507
.LBB102_503:
	s_mov_b64 s[0:1], -1
                                        ; implicit-def: $vgpr3
.LBB102_504:
	s_andn2_b64 vcc, exec, s[0:1]
	s_cbranch_vccnz .LBB102_506
; %bb.505:
	global_load_dword v3, v[0:1], off
.LBB102_506:
	s_mov_b64 s[0:1], 0
.LBB102_507:
	s_andn2_b64 vcc, exec, s[0:1]
	s_cbranch_vccnz .LBB102_509
; %bb.508:
	global_load_dword v3, v[0:1], off
	s_waitcnt vmcnt(0)
	v_cvt_f32_f16_e32 v3, v3
.LBB102_509:
	s_mov_b64 s[0:1], 0
.LBB102_510:
	s_andn2_b64 vcc, exec, s[0:1]
	s_cbranch_vccnz .LBB102_521
; %bb.511:
	s_cmp_lt_i32 s28, 6
	s_cbranch_scc1 .LBB102_514
; %bb.512:
	s_cmp_gt_i32 s28, 6
	s_cbranch_scc0 .LBB102_515
; %bb.513:
	global_load_dwordx2 v[3:4], v[0:1], off
	s_mov_b64 s[0:1], 0
	s_waitcnt vmcnt(0)
	v_cvt_f32_f64_e32 v3, v[3:4]
	s_branch .LBB102_516
.LBB102_514:
	s_mov_b64 s[0:1], -1
                                        ; implicit-def: $vgpr3
	s_branch .LBB102_519
.LBB102_515:
	s_mov_b64 s[0:1], -1
                                        ; implicit-def: $vgpr3
.LBB102_516:
	s_andn2_b64 vcc, exec, s[0:1]
	s_cbranch_vccnz .LBB102_518
; %bb.517:
	global_load_dword v3, v[0:1], off
.LBB102_518:
	s_mov_b64 s[0:1], 0
.LBB102_519:
	s_andn2_b64 vcc, exec, s[0:1]
	s_cbranch_vccnz .LBB102_521
; %bb.520:
	global_load_ushort v3, v[0:1], off
	s_waitcnt vmcnt(0)
	v_cvt_f32_f16_e32 v3, v3
.LBB102_521:
	s_mov_b64 s[0:1], 0
.LBB102_522:
	s_andn2_b64 vcc, exec, s[0:1]
	s_cbranch_vccnz .LBB102_542
; %bb.523:
	s_cmp_lt_i32 s28, 2
	s_cbranch_scc1 .LBB102_527
; %bb.524:
	s_cmp_lt_i32 s28, 3
	s_cbranch_scc1 .LBB102_528
; %bb.525:
	s_cmp_gt_i32 s28, 3
	s_cbranch_scc0 .LBB102_529
; %bb.526:
	global_load_dwordx2 v[3:4], v[0:1], off
	s_mov_b64 s[0:1], 0
	s_waitcnt vmcnt(0)
	v_xor_b32_e32 v6, v3, v4
	v_ffbh_i32_e32 v5, v4
	v_ashrrev_i32_e32 v6, 31, v6
	v_add_u32_e32 v5, -1, v5
	v_add_u32_e32 v6, 32, v6
	v_min_u32_e32 v5, v5, v6
	v_lshlrev_b64 v[3:4], v5, v[3:4]
	v_min_u32_e32 v3, 1, v3
	v_or_b32_e32 v3, v4, v3
	v_cvt_f32_i32_e32 v3, v3
	v_sub_u32_e32 v4, 32, v5
	v_ldexp_f32 v3, v3, v4
	s_branch .LBB102_530
.LBB102_527:
	s_mov_b64 s[0:1], -1
                                        ; implicit-def: $vgpr3
	s_branch .LBB102_536
.LBB102_528:
	s_mov_b64 s[0:1], -1
                                        ; implicit-def: $vgpr3
	s_branch .LBB102_533
.LBB102_529:
	s_mov_b64 s[0:1], -1
                                        ; implicit-def: $vgpr3
.LBB102_530:
	s_andn2_b64 vcc, exec, s[0:1]
	s_cbranch_vccnz .LBB102_532
; %bb.531:
	global_load_dword v3, v[0:1], off
	s_waitcnt vmcnt(0)
	v_cvt_f32_i32_e32 v3, v3
.LBB102_532:
	s_mov_b64 s[0:1], 0
.LBB102_533:
	s_andn2_b64 vcc, exec, s[0:1]
	s_cbranch_vccnz .LBB102_535
; %bb.534:
	global_load_sshort v3, v[0:1], off
	s_waitcnt vmcnt(0)
	v_cvt_f32_i32_e32 v3, v3
.LBB102_535:
	s_mov_b64 s[0:1], 0
.LBB102_536:
	s_andn2_b64 vcc, exec, s[0:1]
	s_cbranch_vccnz .LBB102_542
; %bb.537:
	s_cmp_gt_i32 s28, 0
	s_cbranch_scc0 .LBB102_539
; %bb.538:
	global_load_sbyte v3, v[0:1], off
	s_mov_b64 s[0:1], 0
	s_waitcnt vmcnt(0)
	v_cvt_f32_i32_e32 v3, v3
	s_branch .LBB102_540
.LBB102_539:
	s_mov_b64 s[0:1], -1
                                        ; implicit-def: $vgpr3
.LBB102_540:
	s_andn2_b64 vcc, exec, s[0:1]
	s_cbranch_vccnz .LBB102_542
; %bb.541:
	global_load_ubyte v0, v[0:1], off
	s_waitcnt vmcnt(0)
	v_cvt_f32_ubyte0_e32 v3, v0
.LBB102_542:
	s_branch .LBB102_282
.LBB102_543:
	s_mov_b64 s[26:27], 0
                                        ; implicit-def: $vgpr2
	s_mov_b64 s[0:1], s[6:7]
.LBB102_544:
	s_andn2_b64 s[22:23], s[6:7], exec
	s_and_b64 s[0:1], s[0:1], exec
	s_or_b64 s[22:23], s[22:23], s[0:1]
	s_andn2_b64 s[0:1], s[16:17], exec
	s_and_b64 s[20:21], s[20:21], exec
	s_or_b64 s[20:21], s[0:1], s[20:21]
	s_orn2_b64 s[0:1], s[26:27], exec
.LBB102_545:
	s_or_b64 exec, exec, s[24:25]
	s_mov_b64 s[26:27], 0
	s_mov_b64 s[28:29], 0
	;; [unrolled: 1-line block ×3, first 2 shown]
                                        ; implicit-def: $vgpr0_vgpr1
                                        ; implicit-def: $vgpr3
	s_and_saveexec_b64 s[24:25], s[0:1]
	s_cbranch_execz .LBB102_907
; %bb.546:
	v_cmp_gt_i32_e32 vcc, s40, v2
	s_mov_b64 s[36:37], -1
	s_mov_b64 s[0:1], s[20:21]
	s_mov_b64 s[30:31], s[22:23]
	s_and_saveexec_b64 s[26:27], vcc
	s_cbranch_execz .LBB102_821
; %bb.547:
	v_mul_lo_u32 v0, v2, s13
	v_mov_b32_e32 v1, s11
	s_and_b32 s36, 0xffff, s44
	s_cmp_lt_i32 s36, 11
	s_waitcnt vmcnt(0)
	v_ashrrev_i32_e32 v3, 31, v0
	v_add_co_u32_e32 v0, vcc, s10, v0
	v_addc_co_u32_e32 v1, vcc, v1, v3, vcc
	s_cbranch_scc1 .LBB102_554
; %bb.548:
	s_cmp_gt_i32 s36, 25
	s_cbranch_scc0 .LBB102_555
; %bb.549:
	s_cmp_gt_i32 s36, 28
	s_cbranch_scc0 .LBB102_556
	;; [unrolled: 3-line block ×4, first 2 shown]
; %bb.552:
	s_cmp_eq_u32 s36, 46
	s_mov_b64 s[30:31], 0
	s_cbranch_scc0 .LBB102_563
; %bb.553:
	global_load_dword v3, v[0:1], off
	s_mov_b64 s[0:1], -1
	s_waitcnt vmcnt(0)
	v_lshlrev_b32_e32 v3, 16, v3
	s_branch .LBB102_564
.LBB102_554:
	s_mov_b64 s[30:31], -1
	s_mov_b64 s[0:1], 0
                                        ; implicit-def: $vgpr3
	s_mov_b64 s[28:29], s[20:21]
	s_branch .LBB102_629
.LBB102_555:
	s_mov_b64 s[30:31], -1
	s_mov_b64 s[0:1], 0
	s_mov_b64 s[28:29], s[20:21]
                                        ; implicit-def: $vgpr3
	s_branch .LBB102_593
.LBB102_556:
	s_mov_b64 s[30:31], -1
	s_mov_b64 s[0:1], 0
	s_mov_b64 s[28:29], s[20:21]
                                        ; implicit-def: $vgpr3
	s_branch .LBB102_574
.LBB102_557:
	s_mov_b64 s[30:31], -1
	s_mov_b64 s[0:1], 0
	s_mov_b64 s[28:29], s[20:21]
                                        ; implicit-def: $vgpr3
	s_branch .LBB102_569
.LBB102_558:
	s_andn2_saveexec_b64 s[30:31], s[30:31]
	s_cbranch_execz .LBB102_343
.LBB102_559:
	v_add_f32_e32 v3, 0x46000000, v4
	v_and_b32_e32 v3, 0xff, v3
	v_cmp_ne_u32_e32 vcc, 0, v3
	s_andn2_b64 s[28:29], s[28:29], exec
	s_and_b64 s[36:37], vcc, exec
	s_or_b64 s[28:29], s[28:29], s[36:37]
	s_or_b64 exec, exec, s[30:31]
	v_mov_b32_e32 v5, 0
	s_and_saveexec_b64 s[30:31], s[28:29]
	s_cbranch_execnz .LBB102_344
	s_branch .LBB102_345
.LBB102_560:
	s_mov_b64 s[30:31], -1
	s_mov_b64 s[0:1], 0
	s_mov_b64 s[28:29], s[20:21]
                                        ; implicit-def: $vgpr3
	s_branch .LBB102_564
.LBB102_561:
	s_andn2_saveexec_b64 s[30:31], s[30:31]
	s_cbranch_execz .LBB102_356
.LBB102_562:
	v_add_f32_e32 v3, 0x42800000, v4
	v_and_b32_e32 v3, 0xff, v3
	v_cmp_ne_u32_e32 vcc, 0, v3
	s_andn2_b64 s[28:29], s[28:29], exec
	s_and_b64 s[36:37], vcc, exec
	s_or_b64 s[28:29], s[28:29], s[36:37]
	s_or_b64 exec, exec, s[30:31]
	v_mov_b32_e32 v5, 0
	s_and_saveexec_b64 s[30:31], s[28:29]
	s_cbranch_execnz .LBB102_357
	s_branch .LBB102_358
.LBB102_563:
	s_mov_b64 s[28:29], -1
                                        ; implicit-def: $vgpr3
	s_mov_b64 s[0:1], 0
.LBB102_564:
	s_and_b64 vcc, exec, s[30:31]
	s_cbranch_vccz .LBB102_568
; %bb.565:
	s_cmp_eq_u32 s36, 44
	s_cbranch_scc0 .LBB102_567
; %bb.566:
	global_load_ubyte v3, v[0:1], off
	s_movk_i32 s28, 0xff
	v_mov_b32_e32 v4, 0x7f800001
	v_mov_b32_e32 v5, 0x400000
	s_mov_b64 s[0:1], -1
	s_waitcnt vmcnt(0)
	v_lshlrev_b32_e32 v6, 23, v3
	v_cmp_ne_u32_e32 vcc, s28, v3
	v_cndmask_b32_e32 v4, v4, v6, vcc
	v_cmp_ne_u32_e32 vcc, 0, v3
	v_cndmask_b32_e32 v3, v5, v4, vcc
	s_mov_b64 s[28:29], 0
	s_branch .LBB102_568
.LBB102_567:
	s_mov_b64 s[28:29], -1
                                        ; implicit-def: $vgpr3
.LBB102_568:
	s_mov_b64 s[30:31], 0
.LBB102_569:
	s_and_b64 vcc, exec, s[30:31]
	s_cbranch_vccz .LBB102_573
; %bb.570:
	s_cmp_eq_u32 s36, 29
	s_cbranch_scc0 .LBB102_572
; %bb.571:
	global_load_dwordx2 v[3:4], v[0:1], off
	s_mov_b64 s[0:1], -1
	s_mov_b64 s[28:29], 0
	s_mov_b64 s[30:31], 0
	s_waitcnt vmcnt(0)
	v_ffbh_u32_e32 v5, v4
	v_min_u32_e32 v5, 32, v5
	v_lshlrev_b64 v[3:4], v5, v[3:4]
	v_min_u32_e32 v3, 1, v3
	v_or_b32_e32 v3, v4, v3
	v_cvt_f32_u32_e32 v3, v3
	v_sub_u32_e32 v4, 32, v5
	v_ldexp_f32 v3, v3, v4
	s_branch .LBB102_574
.LBB102_572:
	s_mov_b64 s[28:29], -1
                                        ; implicit-def: $vgpr3
.LBB102_573:
	s_mov_b64 s[30:31], 0
.LBB102_574:
	s_and_b64 vcc, exec, s[30:31]
	s_cbranch_vccz .LBB102_592
; %bb.575:
	s_cmp_lt_i32 s36, 27
	s_cbranch_scc1 .LBB102_578
; %bb.576:
	s_cmp_gt_i32 s36, 27
	s_cbranch_scc0 .LBB102_579
; %bb.577:
	global_load_dword v3, v[0:1], off
	s_mov_b64 s[0:1], 0
	s_waitcnt vmcnt(0)
	v_cvt_f32_u32_e32 v3, v3
	s_branch .LBB102_580
.LBB102_578:
	s_mov_b64 s[0:1], -1
                                        ; implicit-def: $vgpr3
	s_branch .LBB102_583
.LBB102_579:
	s_mov_b64 s[0:1], -1
                                        ; implicit-def: $vgpr3
.LBB102_580:
	s_andn2_b64 vcc, exec, s[0:1]
	s_cbranch_vccnz .LBB102_582
; %bb.581:
	global_load_ushort v3, v[0:1], off
	s_waitcnt vmcnt(0)
	v_cvt_f32_u32_e32 v3, v3
.LBB102_582:
	s_mov_b64 s[0:1], 0
.LBB102_583:
	s_andn2_b64 vcc, exec, s[0:1]
	s_cbranch_vccnz .LBB102_591
; %bb.584:
	global_load_ubyte v4, v[0:1], off
	s_movk_i32 s0, 0x7f
	s_waitcnt vmcnt(0)
	v_cmp_lt_i16_e32 vcc, s0, v4
	s_mov_b64 s[0:1], 0
	s_and_saveexec_b64 s[30:31], vcc
	s_xor_b64 s[30:31], exec, s[30:31]
	s_cbranch_execz .LBB102_605
; %bb.585:
	s_movk_i32 s0, 0x80
	v_cmp_eq_u16_e32 vcc, s0, v4
	s_mov_b64 s[0:1], -1
	s_and_saveexec_b64 s[34:35], vcc
; %bb.586:
	s_xor_b64 s[0:1], exec, -1
; %bb.587:
	s_or_b64 exec, exec, s[34:35]
	s_and_b64 s[0:1], s[0:1], exec
	s_or_saveexec_b64 s[30:31], s[30:31]
	v_mov_b32_e32 v3, 0x7f800001
	s_xor_b64 exec, exec, s[30:31]
	s_cbranch_execnz .LBB102_606
.LBB102_588:
	s_or_b64 exec, exec, s[30:31]
	s_and_saveexec_b64 s[30:31], s[0:1]
	s_cbranch_execz .LBB102_590
.LBB102_589:
	v_lshlrev_b32_e32 v3, 24, v4
	v_and_b32_e32 v4, 0xffff, v4
	v_and_b32_e32 v5, 7, v4
	v_ffbh_u32_e32 v7, v5
	v_min_u32_e32 v7, 32, v7
	v_subrev_u32_e32 v8, 28, v7
	v_bfe_u32 v6, v4, 3, 4
	v_lshlrev_b32_e32 v4, v8, v4
	v_sub_u32_e32 v7, 29, v7
	v_and_b32_e32 v4, 7, v4
	v_cmp_eq_u32_e32 vcc, 0, v6
	v_cndmask_b32_e32 v6, v6, v7, vcc
	v_cndmask_b32_e32 v4, v5, v4, vcc
	v_mov_b32_e32 v5, 0x3b800000
	v_lshlrev_b32_e32 v4, 20, v4
	v_and_b32_e32 v3, 0x80000000, v3
	v_lshl_add_u32 v5, v6, 23, v5
	v_or3_b32 v3, v3, v5, v4
.LBB102_590:
	s_or_b64 exec, exec, s[30:31]
.LBB102_591:
	s_mov_b64 s[0:1], -1
.LBB102_592:
	s_mov_b64 s[30:31], 0
.LBB102_593:
	s_and_b64 vcc, exec, s[30:31]
	s_cbranch_vccz .LBB102_628
; %bb.594:
	s_cmp_gt_i32 s36, 22
	s_cbranch_scc0 .LBB102_604
; %bb.595:
	s_cmp_lt_i32 s36, 24
	s_cbranch_scc1 .LBB102_607
; %bb.596:
	s_cmp_gt_i32 s36, 24
	s_cbranch_scc0 .LBB102_608
; %bb.597:
	global_load_ubyte v4, v[0:1], off
	s_movk_i32 s0, 0x7f
	s_waitcnt vmcnt(0)
	v_cmp_lt_i16_e32 vcc, s0, v4
	s_mov_b64 s[0:1], 0
	s_and_saveexec_b64 s[30:31], vcc
	s_xor_b64 s[30:31], exec, s[30:31]
	s_cbranch_execz .LBB102_620
; %bb.598:
	s_movk_i32 s0, 0x80
	v_cmp_eq_u16_e32 vcc, s0, v4
	s_mov_b64 s[0:1], -1
	s_and_saveexec_b64 s[34:35], vcc
; %bb.599:
	s_xor_b64 s[0:1], exec, -1
; %bb.600:
	s_or_b64 exec, exec, s[34:35]
	s_and_b64 s[0:1], s[0:1], exec
	s_or_saveexec_b64 s[30:31], s[30:31]
	v_mov_b32_e32 v3, 0x7f800001
	s_xor_b64 exec, exec, s[30:31]
	s_cbranch_execnz .LBB102_621
.LBB102_601:
	s_or_b64 exec, exec, s[30:31]
	s_and_saveexec_b64 s[30:31], s[0:1]
	s_cbranch_execz .LBB102_603
.LBB102_602:
	v_lshlrev_b32_e32 v3, 24, v4
	v_and_b32_e32 v4, 0xffff, v4
	v_and_b32_e32 v5, 3, v4
	v_ffbh_u32_e32 v7, v5
	v_min_u32_e32 v7, 32, v7
	v_subrev_u32_e32 v8, 29, v7
	v_bfe_u32 v6, v4, 2, 5
	v_lshlrev_b32_e32 v4, v8, v4
	v_sub_u32_e32 v7, 30, v7
	v_and_b32_e32 v4, 3, v4
	v_cmp_eq_u32_e32 vcc, 0, v6
	v_cndmask_b32_e32 v6, v6, v7, vcc
	v_cndmask_b32_e32 v4, v5, v4, vcc
	v_mov_b32_e32 v5, 0x37800000
	v_lshlrev_b32_e32 v4, 21, v4
	v_and_b32_e32 v3, 0x80000000, v3
	v_lshl_add_u32 v5, v6, 23, v5
	v_or3_b32 v3, v3, v5, v4
.LBB102_603:
	s_or_b64 exec, exec, s[30:31]
	s_mov_b64 s[0:1], 0
	s_branch .LBB102_609
.LBB102_604:
	s_mov_b64 s[30:31], -1
                                        ; implicit-def: $vgpr3
	s_branch .LBB102_615
.LBB102_605:
	s_or_saveexec_b64 s[30:31], s[30:31]
	v_mov_b32_e32 v3, 0x7f800001
	s_xor_b64 exec, exec, s[30:31]
	s_cbranch_execz .LBB102_588
.LBB102_606:
	v_cmp_ne_u16_e32 vcc, 0, v4
	s_andn2_b64 s[0:1], s[0:1], exec
	s_and_b64 s[34:35], vcc, exec
	v_mov_b32_e32 v3, 0
	s_or_b64 s[0:1], s[0:1], s[34:35]
	s_or_b64 exec, exec, s[30:31]
	s_and_saveexec_b64 s[30:31], s[0:1]
	s_cbranch_execnz .LBB102_589
	s_branch .LBB102_590
.LBB102_607:
	s_mov_b64 s[0:1], -1
                                        ; implicit-def: $vgpr3
	s_branch .LBB102_612
.LBB102_608:
	s_mov_b64 s[0:1], -1
                                        ; implicit-def: $vgpr3
.LBB102_609:
	s_and_b64 vcc, exec, s[0:1]
	s_cbranch_vccz .LBB102_611
; %bb.610:
	global_load_ubyte v3, v[0:1], off
	s_mov_b32 s0, 0x7f800000
	s_waitcnt vmcnt(0)
	v_lshlrev_b32_e32 v3, 24, v3
	v_and_b32_e32 v4, 0x7f000000, v3
	v_ffbh_u32_e32 v5, v4
	v_min_u32_e32 v5, 32, v5
	v_sub_u32_e64 v5, v5, 4 clamp
	v_lshlrev_b32_e32 v7, v5, v4
	v_lshlrev_b32_e32 v5, 23, v5
	v_lshrrev_b32_e32 v7, 4, v7
	v_add_u32_e32 v6, 0x1000000, v4
	v_sub_u32_e32 v5, v7, v5
	v_ashrrev_i32_e32 v6, 8, v6
	v_add_u32_e32 v5, 0x3c000000, v5
	v_and_or_b32 v5, v6, s0, v5
	v_cmp_ne_u32_e32 vcc, 0, v4
	v_cndmask_b32_e32 v4, 0, v5, vcc
	s_brev_b32 s0, 1
	v_and_or_b32 v3, v3, s0, v4
.LBB102_611:
	s_mov_b64 s[0:1], 0
.LBB102_612:
	s_andn2_b64 vcc, exec, s[0:1]
	s_cbranch_vccnz .LBB102_614
; %bb.613:
	global_load_ubyte v3, v[0:1], off
	s_movk_i32 s0, 0x7f00
	s_brev_b32 s1, 16
	s_waitcnt vmcnt(0)
	v_lshlrev_b16_e32 v4, 8, v3
	v_lshlrev_b32_e32 v3, 25, v3
	v_lshrrev_b32_e32 v5, 4, v3
	v_and_or_b32 v6, v4, s0, 0.5
	v_or_b32_e32 v5, 0x70000000, v5
	v_add_f32_e32 v6, -0.5, v6
	v_mul_f32_e32 v5, 0x7800000, v5
	v_cmp_gt_u32_e32 vcc, s1, v3
	v_bfe_i32 v4, v4, 0, 16
	v_cndmask_b32_e32 v3, v5, v6, vcc
	s_brev_b32 s0, 1
	v_and_or_b32 v3, v4, s0, v3
.LBB102_614:
	s_mov_b64 s[30:31], 0
	s_mov_b64 s[0:1], -1
.LBB102_615:
	s_andn2_b64 vcc, exec, s[30:31]
	s_cbranch_vccnz .LBB102_628
; %bb.616:
	s_cmp_gt_i32 s36, 14
	s_cbranch_scc0 .LBB102_619
; %bb.617:
	s_cmp_eq_u32 s36, 15
	s_cbranch_scc0 .LBB102_622
; %bb.618:
	global_load_ushort v3, v[0:1], off
	s_mov_b64 s[0:1], -1
	s_mov_b64 s[28:29], 0
	s_waitcnt vmcnt(0)
	v_lshlrev_b32_e32 v3, 16, v3
	s_branch .LBB102_623
.LBB102_619:
	s_mov_b64 s[30:31], -1
                                        ; implicit-def: $vgpr3
	s_branch .LBB102_624
.LBB102_620:
	s_or_saveexec_b64 s[30:31], s[30:31]
	v_mov_b32_e32 v3, 0x7f800001
	s_xor_b64 exec, exec, s[30:31]
	s_cbranch_execz .LBB102_601
.LBB102_621:
	v_cmp_ne_u16_e32 vcc, 0, v4
	s_andn2_b64 s[0:1], s[0:1], exec
	s_and_b64 s[34:35], vcc, exec
	v_mov_b32_e32 v3, 0
	s_or_b64 s[0:1], s[0:1], s[34:35]
	s_or_b64 exec, exec, s[30:31]
	s_and_saveexec_b64 s[30:31], s[0:1]
	s_cbranch_execnz .LBB102_602
	s_branch .LBB102_603
.LBB102_622:
	s_mov_b64 s[28:29], -1
                                        ; implicit-def: $vgpr3
.LBB102_623:
	s_mov_b64 s[30:31], 0
.LBB102_624:
	s_and_b64 vcc, exec, s[30:31]
	s_cbranch_vccz .LBB102_628
; %bb.625:
	s_cmp_eq_u32 s36, 11
	s_cbranch_scc0 .LBB102_627
; %bb.626:
	global_load_ubyte v3, v[0:1], off
	s_mov_b64 s[0:1], -1
	s_mov_b64 s[28:29], 0
	s_waitcnt vmcnt(0)
	v_cmp_ne_u16_e32 vcc, 0, v3
	v_cndmask_b32_e64 v3, 0, 1.0, vcc
	s_branch .LBB102_628
.LBB102_627:
	s_mov_b64 s[28:29], -1
                                        ; implicit-def: $vgpr3
.LBB102_628:
	s_mov_b64 s[30:31], 0
.LBB102_629:
	s_and_b64 vcc, exec, s[30:31]
	s_cbranch_vccz .LBB102_678
; %bb.630:
	s_cmp_lt_i32 s36, 5
	s_cbranch_scc1 .LBB102_635
; %bb.631:
	s_cmp_lt_i32 s36, 8
	s_cbranch_scc1 .LBB102_636
; %bb.632:
	s_cmp_lt_i32 s36, 9
	s_cbranch_scc1 .LBB102_637
; %bb.633:
	s_cmp_gt_i32 s36, 9
	s_cbranch_scc0 .LBB102_638
; %bb.634:
	global_load_dwordx2 v[3:4], v[0:1], off
	s_mov_b64 s[0:1], 0
	s_waitcnt vmcnt(0)
	v_cvt_f32_f64_e32 v3, v[3:4]
	s_branch .LBB102_639
.LBB102_635:
	s_mov_b64 s[0:1], -1
                                        ; implicit-def: $vgpr3
	s_branch .LBB102_657
.LBB102_636:
	s_mov_b64 s[0:1], -1
                                        ; implicit-def: $vgpr3
	s_branch .LBB102_645
.LBB102_637:
	s_mov_b64 s[0:1], -1
                                        ; implicit-def: $vgpr3
	s_branch .LBB102_642
.LBB102_638:
	s_mov_b64 s[0:1], -1
                                        ; implicit-def: $vgpr3
.LBB102_639:
	s_andn2_b64 vcc, exec, s[0:1]
	s_cbranch_vccnz .LBB102_641
; %bb.640:
	global_load_dword v3, v[0:1], off
.LBB102_641:
	s_mov_b64 s[0:1], 0
.LBB102_642:
	s_andn2_b64 vcc, exec, s[0:1]
	s_cbranch_vccnz .LBB102_644
; %bb.643:
	global_load_dword v3, v[0:1], off
	s_waitcnt vmcnt(0)
	v_cvt_f32_f16_e32 v3, v3
.LBB102_644:
	s_mov_b64 s[0:1], 0
.LBB102_645:
	s_andn2_b64 vcc, exec, s[0:1]
	s_cbranch_vccnz .LBB102_656
; %bb.646:
	s_cmp_lt_i32 s36, 6
	s_cbranch_scc1 .LBB102_649
; %bb.647:
	s_cmp_gt_i32 s36, 6
	s_cbranch_scc0 .LBB102_650
; %bb.648:
	global_load_dwordx2 v[3:4], v[0:1], off
	s_mov_b64 s[0:1], 0
	s_waitcnt vmcnt(0)
	v_cvt_f32_f64_e32 v3, v[3:4]
	s_branch .LBB102_651
.LBB102_649:
	s_mov_b64 s[0:1], -1
                                        ; implicit-def: $vgpr3
	s_branch .LBB102_654
.LBB102_650:
	s_mov_b64 s[0:1], -1
                                        ; implicit-def: $vgpr3
.LBB102_651:
	s_andn2_b64 vcc, exec, s[0:1]
	s_cbranch_vccnz .LBB102_653
; %bb.652:
	global_load_dword v3, v[0:1], off
.LBB102_653:
	s_mov_b64 s[0:1], 0
.LBB102_654:
	s_andn2_b64 vcc, exec, s[0:1]
	s_cbranch_vccnz .LBB102_656
; %bb.655:
	global_load_ushort v3, v[0:1], off
	s_waitcnt vmcnt(0)
	v_cvt_f32_f16_e32 v3, v3
.LBB102_656:
	s_mov_b64 s[0:1], 0
.LBB102_657:
	s_andn2_b64 vcc, exec, s[0:1]
	s_cbranch_vccnz .LBB102_677
; %bb.658:
	s_cmp_lt_i32 s36, 2
	s_cbranch_scc1 .LBB102_662
; %bb.659:
	s_cmp_lt_i32 s36, 3
	s_cbranch_scc1 .LBB102_663
; %bb.660:
	s_cmp_gt_i32 s36, 3
	s_cbranch_scc0 .LBB102_664
; %bb.661:
	global_load_dwordx2 v[3:4], v[0:1], off
	s_mov_b64 s[0:1], 0
	s_waitcnt vmcnt(0)
	v_xor_b32_e32 v6, v3, v4
	v_ffbh_i32_e32 v5, v4
	v_ashrrev_i32_e32 v6, 31, v6
	v_add_u32_e32 v5, -1, v5
	v_add_u32_e32 v6, 32, v6
	v_min_u32_e32 v5, v5, v6
	v_lshlrev_b64 v[3:4], v5, v[3:4]
	v_min_u32_e32 v3, 1, v3
	v_or_b32_e32 v3, v4, v3
	v_cvt_f32_i32_e32 v3, v3
	v_sub_u32_e32 v4, 32, v5
	v_ldexp_f32 v3, v3, v4
	s_branch .LBB102_665
.LBB102_662:
	s_mov_b64 s[0:1], -1
                                        ; implicit-def: $vgpr3
	s_branch .LBB102_671
.LBB102_663:
	s_mov_b64 s[0:1], -1
                                        ; implicit-def: $vgpr3
	s_branch .LBB102_668
.LBB102_664:
	s_mov_b64 s[0:1], -1
                                        ; implicit-def: $vgpr3
.LBB102_665:
	s_andn2_b64 vcc, exec, s[0:1]
	s_cbranch_vccnz .LBB102_667
; %bb.666:
	global_load_dword v3, v[0:1], off
	s_waitcnt vmcnt(0)
	v_cvt_f32_i32_e32 v3, v3
.LBB102_667:
	s_mov_b64 s[0:1], 0
.LBB102_668:
	s_andn2_b64 vcc, exec, s[0:1]
	s_cbranch_vccnz .LBB102_670
; %bb.669:
	global_load_sshort v3, v[0:1], off
	s_waitcnt vmcnt(0)
	v_cvt_f32_i32_e32 v3, v3
.LBB102_670:
	s_mov_b64 s[0:1], 0
.LBB102_671:
	s_andn2_b64 vcc, exec, s[0:1]
	s_cbranch_vccnz .LBB102_677
; %bb.672:
	s_cmp_gt_i32 s36, 0
	s_cbranch_scc0 .LBB102_674
; %bb.673:
	global_load_sbyte v3, v[0:1], off
	s_mov_b64 s[0:1], 0
	s_waitcnt vmcnt(0)
	v_cvt_f32_i32_e32 v3, v3
	s_branch .LBB102_675
.LBB102_674:
	s_mov_b64 s[0:1], -1
                                        ; implicit-def: $vgpr3
.LBB102_675:
	s_andn2_b64 vcc, exec, s[0:1]
	s_cbranch_vccnz .LBB102_677
; %bb.676:
	global_load_ubyte v0, v[0:1], off
	s_waitcnt vmcnt(0)
	v_cvt_f32_ubyte0_e32 v3, v0
.LBB102_677:
	s_mov_b64 s[0:1], -1
.LBB102_678:
	s_andn2_b64 vcc, exec, s[0:1]
	s_cbranch_vccnz .LBB102_683
; %bb.679:
	s_cmp_lt_i32 s14, 1
	s_mov_b64 s[0:1], 0
	s_cbranch_scc1 .LBB102_684
; %bb.680:
	s_cmp_gt_i32 s14, 1
	s_cbranch_scc0 .LBB102_685
; %bb.681:
	s_cmp_eq_u32 s14, 2
	s_cbranch_scc0 .LBB102_686
; %bb.682:
	s_waitcnt vmcnt(0)
	v_cmp_ge_f32_e64 s[30:31], s15, v3
	s_mov_b64 s[34:35], 0
	s_branch .LBB102_687
.LBB102_683:
	s_mov_b64 s[34:35], 0
                                        ; implicit-def: $vgpr2
	s_mov_b64 s[0:1], s[22:23]
	s_branch .LBB102_820
.LBB102_684:
	s_mov_b64 s[36:37], -1
                                        ; implicit-def: $sgpr30_sgpr31
	s_mov_b64 s[34:35], 0
	s_branch .LBB102_691
.LBB102_685:
	s_mov_b64 s[36:37], -1
	s_mov_b64 s[34:35], 0
                                        ; implicit-def: $sgpr30_sgpr31
	s_branch .LBB102_688
.LBB102_686:
	s_mov_b64 s[34:35], -1
                                        ; implicit-def: $sgpr30_sgpr31
.LBB102_687:
	s_mov_b64 s[36:37], 0
.LBB102_688:
	s_and_b64 vcc, exec, s[36:37]
	s_cbranch_vccz .LBB102_690
; %bb.689:
	s_waitcnt vmcnt(0)
	v_cmp_lt_f32_e32 vcc, s15, v3
	s_andn2_b64 s[30:31], s[30:31], exec
	s_and_b64 s[36:37], vcc, exec
	s_or_b64 s[30:31], s[30:31], s[36:37]
.LBB102_690:
	s_mov_b64 s[36:37], 0
.LBB102_691:
	s_and_b64 vcc, exec, s[36:37]
	s_cbranch_vccz .LBB102_702
; %bb.692:
	s_cmp_lg_u32 s14, 0
	s_mov_b64 s[0:1], -1
	s_cselect_b64 s[34:35], -1, 0
	s_andn2_b64 vcc, exec, s[34:35]
	s_cbranch_vccz .LBB102_703
.LBB102_693:
	s_andn2_b64 vcc, exec, s[0:1]
	s_cbranch_vccnz .LBB102_695
.LBB102_694:
	s_waitcnt vmcnt(0)
	v_cmp_le_f32_e32 vcc, s15, v3
	s_andn2_b64 s[0:1], s[30:31], exec
	s_and_b64 s[30:31], vcc, exec
	s_or_b64 s[30:31], s[0:1], s[30:31]
.LBB102_695:
	v_mul_lo_u32 v0, v2, s12
	v_mov_b32_e32 v1, s9
	s_and_b32 s41, s33, 0xff
	s_cmp_lt_i32 s41, 11
	s_waitcnt vmcnt(0)
	v_ashrrev_i32_e32 v3, 31, v0
	v_add_co_u32_e32 v0, vcc, s8, v0
	v_addc_co_u32_e32 v1, vcc, v1, v3, vcc
	s_cbranch_scc1 .LBB102_704
; %bb.696:
	s_and_b32 s42, 0xffff, s41
	s_cmp_gt_i32 s42, 25
	s_cbranch_scc0 .LBB102_705
; %bb.697:
	s_cmp_gt_i32 s42, 28
	s_cbranch_scc0 .LBB102_706
; %bb.698:
	;; [unrolled: 3-line block ×4, first 2 shown]
	s_mov_b64 s[36:37], 0
	s_mov_b64 s[0:1], -1
	s_cmp_eq_u32 s42, 46
	s_mov_b64 s[34:35], 0
	s_cbranch_scc0 .LBB102_709
; %bb.701:
	v_cndmask_b32_e64 v3, 0, 1.0, s[30:31]
	v_bfe_u32 v4, v3, 16, 1
	s_movk_i32 s0, 0x7fff
	v_add3_u32 v3, v3, v4, s0
	v_lshrrev_b32_e32 v3, 16, v3
	global_store_dword v[0:1], v3, off
	s_mov_b64 s[34:35], -1
	s_mov_b64 s[0:1], 0
	s_branch .LBB102_709
.LBB102_702:
	s_andn2_b64 vcc, exec, s[34:35]
	s_cbranch_vccnz .LBB102_693
.LBB102_703:
	s_waitcnt vmcnt(0)
	v_cmp_gt_f32_e32 vcc, s15, v3
	s_andn2_b64 s[30:31], s[30:31], exec
	s_and_b64 s[34:35], vcc, exec
	s_or_b64 s[30:31], s[30:31], s[34:35]
	s_cbranch_execz .LBB102_694
	s_branch .LBB102_695
.LBB102_704:
	s_mov_b64 s[36:37], -1
	s_mov_b64 s[34:35], 0
	s_mov_b64 s[0:1], s[22:23]
	s_branch .LBB102_778
.LBB102_705:
	s_mov_b64 s[36:37], -1
	s_mov_b64 s[34:35], 0
	s_mov_b64 s[0:1], s[22:23]
	s_branch .LBB102_736
.LBB102_706:
	s_mov_b64 s[36:37], -1
	s_mov_b64 s[34:35], 0
	s_mov_b64 s[0:1], s[22:23]
	s_branch .LBB102_719
.LBB102_707:
	s_mov_b64 s[36:37], -1
	s_mov_b64 s[34:35], 0
	s_mov_b64 s[0:1], s[22:23]
	s_branch .LBB102_715
.LBB102_708:
	s_mov_b64 s[36:37], -1
	s_mov_b64 s[34:35], 0
	s_mov_b64 s[0:1], s[22:23]
.LBB102_709:
	s_and_b64 vcc, exec, s[36:37]
	s_cbranch_vccz .LBB102_714
; %bb.710:
	s_cmp_eq_u32 s42, 44
	s_mov_b64 s[0:1], -1
	s_cbranch_scc0 .LBB102_714
; %bb.711:
	v_cndmask_b32_e64 v4, 0, 1.0, s[30:31]
	v_lshrrev_b32_e32 v3, 23, v4
	s_movk_i32 s0, 0xff
	v_cmp_ne_u32_e32 vcc, s0, v3
	v_mov_b32_e32 v5, 0xff
	s_and_saveexec_b64 s[34:35], vcc
; %bb.712:
	s_mov_b32 s0, 0x3fffff
	v_and_b32_e32 v5, 0x400000, v4
	v_and_or_b32 v4, v4, s0, v3
	v_cmp_ne_u32_e32 vcc, 0, v5
	v_cmp_ne_u32_e64 s[0:1], 0, v4
	s_and_b64 s[0:1], vcc, s[0:1]
	v_cndmask_b32_e64 v4, 0, 1, s[0:1]
	v_add_u32_e32 v5, v3, v4
; %bb.713:
	s_or_b64 exec, exec, s[34:35]
	s_mov_b64 s[34:35], -1
	s_mov_b64 s[0:1], 0
	global_store_byte v[0:1], v5, off
.LBB102_714:
	s_mov_b64 s[36:37], 0
.LBB102_715:
	s_and_b64 vcc, exec, s[36:37]
	s_cbranch_vccz .LBB102_718
; %bb.716:
	s_cmp_eq_u32 s42, 29
	s_mov_b64 s[0:1], -1
	s_cbranch_scc0 .LBB102_718
; %bb.717:
	s_mov_b32 s0, 0
	v_cndmask_b32_e64 v3, 0, 1, s[30:31]
	v_mov_b32_e32 v4, s0
	global_store_dwordx2 v[0:1], v[3:4], off
	s_mov_b64 s[34:35], -1
	s_mov_b64 s[0:1], 0
.LBB102_718:
	s_mov_b64 s[36:37], 0
.LBB102_719:
	s_and_b64 vcc, exec, s[36:37]
	s_cbranch_vccz .LBB102_735
; %bb.720:
	s_cmp_lt_i32 s42, 27
	s_mov_b64 s[34:35], -1
	s_cbranch_scc1 .LBB102_726
; %bb.721:
	s_cmp_gt_i32 s42, 27
	s_cbranch_scc0 .LBB102_723
; %bb.722:
	v_cndmask_b32_e64 v3, 0, 1, s[30:31]
	s_mov_b64 s[34:35], 0
	global_store_dword v[0:1], v3, off
.LBB102_723:
	s_andn2_b64 vcc, exec, s[34:35]
	s_cbranch_vccnz .LBB102_725
; %bb.724:
	v_cndmask_b32_e64 v3, 0, 1, s[30:31]
	global_store_short v[0:1], v3, off
.LBB102_725:
	s_mov_b64 s[34:35], 0
.LBB102_726:
	s_andn2_b64 vcc, exec, s[34:35]
	s_cbranch_vccnz .LBB102_734
; %bb.727:
	v_cndmask_b32_e64 v4, 0, 1.0, s[30:31]
	s_mov_b32 s34, 0x43800000
	v_cmp_gt_u32_e32 vcc, s34, v4
	v_mov_b32_e32 v5, 0x80
	s_and_saveexec_b64 s[34:35], vcc
	s_cbranch_execz .LBB102_733
; %bb.728:
	s_mov_b32 s36, 0x3bffffff
	v_cmp_lt_u32_e32 vcc, s36, v4
	s_mov_b64 s[36:37], 0
                                        ; implicit-def: $vgpr3
	s_and_saveexec_b64 s[38:39], vcc
	s_xor_b64 s[38:39], exec, s[38:39]
	s_cbranch_execz .LBB102_834
; %bb.729:
	v_bfe_u32 v3, v4, 20, 1
	s_mov_b32 s43, 0x487ffff
	v_add3_u32 v3, v4, v3, s43
	s_mov_b64 s[36:37], exec
	v_lshrrev_b32_e32 v3, 20, v3
                                        ; implicit-def: $vgpr4
	s_andn2_saveexec_b64 s[38:39], s[38:39]
	s_cbranch_execnz .LBB102_835
.LBB102_730:
	s_or_b64 exec, exec, s[38:39]
	v_mov_b32_e32 v5, 0
	s_and_saveexec_b64 s[38:39], s[36:37]
.LBB102_731:
	v_mov_b32_e32 v5, v3
.LBB102_732:
	s_or_b64 exec, exec, s[38:39]
.LBB102_733:
	s_or_b64 exec, exec, s[34:35]
	global_store_byte v[0:1], v5, off
.LBB102_734:
	s_mov_b64 s[34:35], -1
.LBB102_735:
	s_mov_b64 s[36:37], 0
.LBB102_736:
	s_and_b64 vcc, exec, s[36:37]
	s_cbranch_vccz .LBB102_777
; %bb.737:
	s_cmp_gt_i32 s42, 22
	s_mov_b64 s[36:37], -1
	s_cbranch_scc0 .LBB102_769
; %bb.738:
	s_cmp_lt_i32 s42, 24
	s_mov_b64 s[34:35], -1
	s_cbranch_scc1 .LBB102_758
; %bb.739:
	s_cmp_gt_i32 s42, 24
	s_cbranch_scc0 .LBB102_747
; %bb.740:
	v_cndmask_b32_e64 v4, 0, 1.0, s[30:31]
	s_mov_b32 s34, 0x47800000
	v_cmp_gt_u32_e32 vcc, s34, v4
	v_mov_b32_e32 v5, 0x80
	s_and_saveexec_b64 s[34:35], vcc
	s_cbranch_execz .LBB102_746
; %bb.741:
	s_mov_b32 s36, 0x37ffffff
	v_cmp_lt_u32_e32 vcc, s36, v4
	s_mov_b64 s[36:37], 0
                                        ; implicit-def: $vgpr3
	s_and_saveexec_b64 s[38:39], vcc
	s_xor_b64 s[38:39], exec, s[38:39]
	s_cbranch_execz .LBB102_837
; %bb.742:
	v_bfe_u32 v3, v4, 21, 1
	s_mov_b32 s43, 0x88fffff
	v_add3_u32 v3, v4, v3, s43
	s_mov_b64 s[36:37], exec
	v_lshrrev_b32_e32 v3, 21, v3
                                        ; implicit-def: $vgpr4
	s_andn2_saveexec_b64 s[38:39], s[38:39]
	s_cbranch_execnz .LBB102_838
.LBB102_743:
	s_or_b64 exec, exec, s[38:39]
	v_mov_b32_e32 v5, 0
	s_and_saveexec_b64 s[38:39], s[36:37]
.LBB102_744:
	v_mov_b32_e32 v5, v3
.LBB102_745:
	s_or_b64 exec, exec, s[38:39]
.LBB102_746:
	s_or_b64 exec, exec, s[34:35]
	s_mov_b64 s[34:35], 0
	global_store_byte v[0:1], v5, off
.LBB102_747:
	s_and_b64 vcc, exec, s[34:35]
	s_cbranch_vccz .LBB102_757
; %bb.748:
	v_cndmask_b32_e64 v3, 0, 1.0, s[30:31]
	s_mov_b32 s34, 0x43f00000
	v_cmp_gt_u32_e32 vcc, s34, v3
                                        ; implicit-def: $vgpr4
	s_and_saveexec_b64 s[34:35], vcc
	s_xor_b64 s[34:35], exec, s[34:35]
	s_cbranch_execz .LBB102_754
; %bb.749:
	s_mov_b32 s36, 0x3c7fffff
	v_cmp_lt_u32_e32 vcc, s36, v3
                                        ; implicit-def: $vgpr4
	s_and_saveexec_b64 s[36:37], vcc
	s_xor_b64 s[36:37], exec, s[36:37]
; %bb.750:
	v_bfe_u32 v4, v3, 20, 1
	s_mov_b32 s38, 0x407ffff
	v_add3_u32 v3, v3, v4, s38
	v_lshrrev_b32_e32 v4, 20, v3
	v_and_b32_e32 v3, 0xff00000, v3
	s_mov_b32 s38, 0x7f00000
	v_mov_b32_e32 v5, 0x7e
	v_cmp_ne_u32_e32 vcc, s38, v3
	v_cndmask_b32_e32 v4, v5, v4, vcc
                                        ; implicit-def: $vgpr3
; %bb.751:
	s_andn2_saveexec_b64 s[36:37], s[36:37]
; %bb.752:
	v_add_f32_e32 v4, 0x46800000, v3
; %bb.753:
	s_or_b64 exec, exec, s[36:37]
                                        ; implicit-def: $vgpr3
.LBB102_754:
	s_andn2_saveexec_b64 s[34:35], s[34:35]
; %bb.755:
	s_mov_b32 s36, 0x7f800000
	v_mov_b32_e32 v4, 0x7e
	v_mov_b32_e32 v5, 0x7f
	v_cmp_lt_u32_e32 vcc, s36, v3
	v_cndmask_b32_e32 v4, v4, v5, vcc
; %bb.756:
	s_or_b64 exec, exec, s[34:35]
	global_store_byte v[0:1], v4, off
.LBB102_757:
	s_mov_b64 s[34:35], 0
.LBB102_758:
	s_andn2_b64 vcc, exec, s[34:35]
	s_cbranch_vccnz .LBB102_768
; %bb.759:
	v_cndmask_b32_e64 v3, 0, 1.0, s[30:31]
	s_mov_b32 s34, 0x47800000
	v_cmp_gt_u32_e32 vcc, s34, v3
                                        ; implicit-def: $vgpr4
	s_and_saveexec_b64 s[34:35], vcc
	s_xor_b64 s[34:35], exec, s[34:35]
	s_cbranch_execz .LBB102_765
; %bb.760:
	s_mov_b32 s36, 0x387fffff
	v_cmp_lt_u32_e32 vcc, s36, v3
                                        ; implicit-def: $vgpr4
	s_and_saveexec_b64 s[36:37], vcc
	s_xor_b64 s[36:37], exec, s[36:37]
; %bb.761:
	v_bfe_u32 v4, v3, 21, 1
	s_mov_b32 s38, 0x80fffff
	v_add3_u32 v3, v3, v4, s38
	v_lshrrev_b32_e32 v4, 21, v3
                                        ; implicit-def: $vgpr3
; %bb.762:
	s_andn2_saveexec_b64 s[36:37], s[36:37]
; %bb.763:
	v_add_f32_e32 v4, 0x43000000, v3
; %bb.764:
	s_or_b64 exec, exec, s[36:37]
                                        ; implicit-def: $vgpr3
.LBB102_765:
	s_andn2_saveexec_b64 s[34:35], s[34:35]
; %bb.766:
	s_mov_b32 s36, 0x7f800000
	v_mov_b32_e32 v4, 0x7c
	v_mov_b32_e32 v5, 0x7f
	v_cmp_lt_u32_e32 vcc, s36, v3
	v_cndmask_b32_e32 v4, v4, v5, vcc
; %bb.767:
	s_or_b64 exec, exec, s[34:35]
	global_store_byte v[0:1], v4, off
.LBB102_768:
	s_mov_b64 s[36:37], 0
	s_mov_b64 s[34:35], -1
.LBB102_769:
	s_andn2_b64 vcc, exec, s[36:37]
	s_cbranch_vccnz .LBB102_777
; %bb.770:
	s_cmp_gt_i32 s42, 14
	s_mov_b64 s[36:37], -1
	s_cbranch_scc0 .LBB102_774
; %bb.771:
	s_cmp_eq_u32 s42, 15
	s_mov_b64 s[0:1], -1
	s_cbranch_scc0 .LBB102_773
; %bb.772:
	v_cndmask_b32_e64 v3, 0, 1.0, s[30:31]
	v_bfe_u32 v4, v3, 16, 1
	s_movk_i32 s0, 0x7fff
	v_add3_u32 v3, v3, v4, s0
	global_store_short_d16_hi v[0:1], v3, off
	s_mov_b64 s[34:35], -1
	s_mov_b64 s[0:1], 0
.LBB102_773:
	s_mov_b64 s[36:37], 0
.LBB102_774:
	s_and_b64 vcc, exec, s[36:37]
	s_cbranch_vccz .LBB102_777
; %bb.775:
	s_cmp_eq_u32 s42, 11
	s_mov_b64 s[0:1], -1
	s_cbranch_scc0 .LBB102_777
; %bb.776:
	v_cndmask_b32_e64 v3, 0, 1, s[30:31]
	s_mov_b64 s[34:35], -1
	s_mov_b64 s[0:1], 0
	global_store_byte v[0:1], v3, off
.LBB102_777:
	s_mov_b64 s[36:37], 0
.LBB102_778:
	s_and_b64 vcc, exec, s[36:37]
	s_cbranch_vccz .LBB102_817
; %bb.779:
	s_and_b32 s36, 0xffff, s41
	s_cmp_lt_i32 s36, 5
	s_mov_b64 s[34:35], -1
	s_cbranch_scc1 .LBB102_800
; %bb.780:
	s_cmp_lt_i32 s36, 8
	s_cbranch_scc1 .LBB102_790
; %bb.781:
	s_cmp_lt_i32 s36, 9
	s_cbranch_scc1 .LBB102_787
; %bb.782:
	s_cmp_gt_i32 s36, 9
	s_cbranch_scc0 .LBB102_784
; %bb.783:
	v_cndmask_b32_e64 v3, 0, 1, s[30:31]
	v_cvt_f64_u32_e32 v[3:4], v3
	v_mov_b32_e32 v5, 0
	v_mov_b32_e32 v6, v5
	s_mov_b64 s[34:35], 0
	global_store_dwordx4 v[0:1], v[3:6], off
.LBB102_784:
	s_andn2_b64 vcc, exec, s[34:35]
	s_cbranch_vccnz .LBB102_786
; %bb.785:
	v_cndmask_b32_e64 v3, 0, 1.0, s[30:31]
	v_mov_b32_e32 v4, 0
	global_store_dwordx2 v[0:1], v[3:4], off
.LBB102_786:
	s_mov_b64 s[34:35], 0
.LBB102_787:
	s_andn2_b64 vcc, exec, s[34:35]
	s_cbranch_vccnz .LBB102_789
; %bb.788:
	v_cndmask_b32_e64 v3, 0, 1.0, s[30:31]
	v_cvt_f16_f32_e32 v3, v3
	global_store_dword v[0:1], v3, off
.LBB102_789:
	s_mov_b64 s[34:35], 0
.LBB102_790:
	s_andn2_b64 vcc, exec, s[34:35]
	s_cbranch_vccnz .LBB102_799
; %bb.791:
	s_cmp_lt_i32 s36, 6
	s_mov_b64 s[34:35], -1
	s_cbranch_scc1 .LBB102_797
; %bb.792:
	s_cmp_gt_i32 s36, 6
	s_cbranch_scc0 .LBB102_794
; %bb.793:
	v_cndmask_b32_e64 v3, 0, 1, s[30:31]
	v_cvt_f64_u32_e32 v[3:4], v3
	s_mov_b64 s[34:35], 0
	global_store_dwordx2 v[0:1], v[3:4], off
.LBB102_794:
	s_andn2_b64 vcc, exec, s[34:35]
	s_cbranch_vccnz .LBB102_796
; %bb.795:
	v_cndmask_b32_e64 v3, 0, 1.0, s[30:31]
	global_store_dword v[0:1], v3, off
.LBB102_796:
	s_mov_b64 s[34:35], 0
.LBB102_797:
	s_andn2_b64 vcc, exec, s[34:35]
	s_cbranch_vccnz .LBB102_799
; %bb.798:
	v_cndmask_b32_e64 v3, 0, 1.0, s[30:31]
	v_cvt_f16_f32_e32 v3, v3
	global_store_short v[0:1], v3, off
.LBB102_799:
	s_mov_b64 s[34:35], 0
.LBB102_800:
	s_andn2_b64 vcc, exec, s[34:35]
	s_cbranch_vccnz .LBB102_816
; %bb.801:
	s_cmp_lt_i32 s36, 2
	s_mov_b64 s[34:35], -1
	s_cbranch_scc1 .LBB102_811
; %bb.802:
	s_cmp_lt_i32 s36, 3
	s_cbranch_scc1 .LBB102_808
; %bb.803:
	s_cmp_gt_i32 s36, 3
	s_cbranch_scc0 .LBB102_805
; %bb.804:
	s_mov_b32 s34, 0
	v_cndmask_b32_e64 v3, 0, 1, s[30:31]
	v_mov_b32_e32 v4, s34
	s_mov_b64 s[34:35], 0
	global_store_dwordx2 v[0:1], v[3:4], off
.LBB102_805:
	s_andn2_b64 vcc, exec, s[34:35]
	s_cbranch_vccnz .LBB102_807
; %bb.806:
	v_cndmask_b32_e64 v3, 0, 1, s[30:31]
	global_store_dword v[0:1], v3, off
.LBB102_807:
	s_mov_b64 s[34:35], 0
.LBB102_808:
	s_andn2_b64 vcc, exec, s[34:35]
	s_cbranch_vccnz .LBB102_810
; %bb.809:
	v_cndmask_b32_e64 v3, 0, 1, s[30:31]
	global_store_short v[0:1], v3, off
.LBB102_810:
	s_mov_b64 s[34:35], 0
.LBB102_811:
	s_andn2_b64 vcc, exec, s[34:35]
	s_cbranch_vccnz .LBB102_816
; %bb.812:
	s_mov_b64 s[34:35], -1
	s_cmp_gt_i32 s36, 0
	v_cndmask_b32_e64 v3, 0, 1, s[30:31]
	s_cbranch_scc0 .LBB102_814
; %bb.813:
	s_mov_b64 s[34:35], 0
	global_store_byte v[0:1], v3, off
.LBB102_814:
	s_andn2_b64 vcc, exec, s[34:35]
	s_cbranch_vccnz .LBB102_816
; %bb.815:
	global_store_byte v[0:1], v3, off
.LBB102_816:
	s_mov_b64 s[34:35], -1
.LBB102_817:
	s_andn2_b64 vcc, exec, s[34:35]
	s_cbranch_vccnz .LBB102_819
; %bb.818:
	v_add_u32_e32 v2, 0x80, v2
	s_mov_b64 s[34:35], -1
	s_branch .LBB102_820
.LBB102_819:
	s_mov_b64 s[34:35], 0
                                        ; implicit-def: $vgpr2
.LBB102_820:
	s_andn2_b64 s[30:31], s[22:23], exec
	s_and_b64 s[0:1], s[0:1], exec
	s_or_b64 s[30:31], s[30:31], s[0:1]
	s_andn2_b64 s[0:1], s[20:21], exec
	s_and_b64 s[28:29], s[28:29], exec
	s_or_b64 s[0:1], s[0:1], s[28:29]
	s_orn2_b64 s[36:37], s[34:35], exec
.LBB102_821:
	s_or_b64 exec, exec, s[26:27]
	s_mov_b64 s[34:35], 0
	s_mov_b64 s[28:29], 0
	;; [unrolled: 1-line block ×3, first 2 shown]
                                        ; implicit-def: $vgpr0_vgpr1
                                        ; implicit-def: $vgpr3
	s_and_saveexec_b64 s[26:27], s[36:37]
	s_cbranch_execz .LBB102_906
; %bb.822:
	v_cmp_gt_i32_e32 vcc, s40, v2
	s_mov_b64 s[36:37], 0
	s_mov_b64 s[40:41], s[0:1]
	;; [unrolled: 1-line block ×3, first 2 shown]
                                        ; implicit-def: $vgpr0_vgpr1
                                        ; implicit-def: $vgpr3
	s_and_saveexec_b64 s[28:29], vcc
	s_cbranch_execz .LBB102_905
; %bb.823:
	v_mul_lo_u32 v0, v2, s13
	v_mov_b32_e32 v1, s11
	s_and_b32 s45, 0xffff, s44
	s_cmp_lt_i32 s45, 11
	s_waitcnt vmcnt(0)
	v_ashrrev_i32_e32 v3, 31, v0
	v_add_co_u32_e32 v0, vcc, s10, v0
	v_addc_co_u32_e32 v1, vcc, v1, v3, vcc
	s_cbranch_scc1 .LBB102_830
; %bb.824:
	s_cmp_gt_i32 s45, 25
	s_cbranch_scc0 .LBB102_831
; %bb.825:
	s_cmp_gt_i32 s45, 28
	s_cbranch_scc0 .LBB102_832
	;; [unrolled: 3-line block ×4, first 2 shown]
; %bb.828:
	s_cmp_eq_u32 s45, 46
	s_mov_b64 s[40:41], 0
	s_cbranch_scc0 .LBB102_839
; %bb.829:
	global_load_dword v3, v[0:1], off
	s_mov_b64 s[38:39], -1
	s_waitcnt vmcnt(0)
	v_lshlrev_b32_e32 v3, 16, v3
	s_branch .LBB102_841
.LBB102_830:
	s_mov_b64 s[40:41], -1
                                        ; implicit-def: $vgpr3
	s_mov_b64 s[34:35], s[0:1]
	s_branch .LBB102_904
.LBB102_831:
	s_mov_b64 s[40:41], -1
	s_mov_b64 s[34:35], s[0:1]
                                        ; implicit-def: $vgpr3
	s_branch .LBB102_870
.LBB102_832:
	s_mov_b64 s[40:41], -1
	s_mov_b64 s[34:35], s[0:1]
                                        ; implicit-def: $vgpr3
	s_branch .LBB102_851
.LBB102_833:
	s_mov_b64 s[40:41], -1
	s_mov_b64 s[34:35], s[0:1]
                                        ; implicit-def: $vgpr3
	s_branch .LBB102_846
.LBB102_834:
	s_andn2_saveexec_b64 s[38:39], s[38:39]
	s_cbranch_execz .LBB102_730
.LBB102_835:
	v_add_f32_e32 v3, 0x46000000, v4
	v_and_b32_e32 v3, 0xff, v3
	v_cmp_ne_u32_e32 vcc, 0, v3
	s_andn2_b64 s[36:37], s[36:37], exec
	s_and_b64 s[46:47], vcc, exec
	s_or_b64 s[36:37], s[36:37], s[46:47]
	s_or_b64 exec, exec, s[38:39]
	v_mov_b32_e32 v5, 0
	s_and_saveexec_b64 s[38:39], s[36:37]
	s_cbranch_execnz .LBB102_731
	s_branch .LBB102_732
.LBB102_836:
	s_mov_b64 s[40:41], -1
	s_mov_b64 s[34:35], s[0:1]
	s_branch .LBB102_840
.LBB102_837:
	s_andn2_saveexec_b64 s[38:39], s[38:39]
	s_cbranch_execz .LBB102_743
.LBB102_838:
	v_add_f32_e32 v3, 0x42800000, v4
	v_and_b32_e32 v3, 0xff, v3
	v_cmp_ne_u32_e32 vcc, 0, v3
	s_andn2_b64 s[36:37], s[36:37], exec
	s_and_b64 s[46:47], vcc, exec
	s_or_b64 s[36:37], s[36:37], s[46:47]
	s_or_b64 exec, exec, s[38:39]
	v_mov_b32_e32 v5, 0
	s_and_saveexec_b64 s[38:39], s[36:37]
	s_cbranch_execnz .LBB102_744
	s_branch .LBB102_745
.LBB102_839:
	s_mov_b64 s[34:35], -1
.LBB102_840:
                                        ; implicit-def: $vgpr3
.LBB102_841:
	s_and_b64 vcc, exec, s[40:41]
	s_cbranch_vccz .LBB102_845
; %bb.842:
	s_cmp_eq_u32 s45, 44
	s_cbranch_scc0 .LBB102_844
; %bb.843:
	global_load_ubyte v3, v[0:1], off
	s_movk_i32 s38, 0xff
	v_mov_b32_e32 v4, 0x7f800001
	v_mov_b32_e32 v5, 0x400000
	s_mov_b64 s[34:35], 0
	s_waitcnt vmcnt(0)
	v_lshlrev_b32_e32 v6, 23, v3
	v_cmp_ne_u32_e32 vcc, s38, v3
	v_cndmask_b32_e32 v4, v4, v6, vcc
	v_cmp_ne_u32_e32 vcc, 0, v3
	v_cndmask_b32_e32 v3, v5, v4, vcc
	s_mov_b64 s[38:39], -1
	s_branch .LBB102_845
.LBB102_844:
	s_mov_b64 s[34:35], -1
                                        ; implicit-def: $vgpr3
.LBB102_845:
	s_mov_b64 s[40:41], 0
.LBB102_846:
	s_and_b64 vcc, exec, s[40:41]
	s_cbranch_vccz .LBB102_850
; %bb.847:
	s_cmp_eq_u32 s45, 29
	s_cbranch_scc0 .LBB102_849
; %bb.848:
	global_load_dwordx2 v[3:4], v[0:1], off
	s_mov_b64 s[34:35], 0
	s_mov_b64 s[38:39], -1
	s_mov_b64 s[40:41], 0
	s_waitcnt vmcnt(0)
	v_ffbh_u32_e32 v5, v4
	v_min_u32_e32 v5, 32, v5
	v_lshlrev_b64 v[3:4], v5, v[3:4]
	v_min_u32_e32 v3, 1, v3
	v_or_b32_e32 v3, v4, v3
	v_cvt_f32_u32_e32 v3, v3
	v_sub_u32_e32 v4, 32, v5
	v_ldexp_f32 v3, v3, v4
	s_branch .LBB102_851
.LBB102_849:
	s_mov_b64 s[34:35], -1
                                        ; implicit-def: $vgpr3
.LBB102_850:
	s_mov_b64 s[40:41], 0
.LBB102_851:
	s_and_b64 vcc, exec, s[40:41]
	s_cbranch_vccz .LBB102_869
; %bb.852:
	s_cmp_lt_i32 s45, 27
	s_cbranch_scc1 .LBB102_855
; %bb.853:
	s_cmp_gt_i32 s45, 27
	s_cbranch_scc0 .LBB102_856
; %bb.854:
	global_load_dword v3, v[0:1], off
	s_mov_b64 s[38:39], 0
	s_waitcnt vmcnt(0)
	v_cvt_f32_u32_e32 v3, v3
	s_branch .LBB102_857
.LBB102_855:
	s_mov_b64 s[38:39], -1
                                        ; implicit-def: $vgpr3
	s_branch .LBB102_860
.LBB102_856:
	s_mov_b64 s[38:39], -1
                                        ; implicit-def: $vgpr3
.LBB102_857:
	s_andn2_b64 vcc, exec, s[38:39]
	s_cbranch_vccnz .LBB102_859
; %bb.858:
	global_load_ushort v3, v[0:1], off
	s_waitcnt vmcnt(0)
	v_cvt_f32_u32_e32 v3, v3
.LBB102_859:
	s_mov_b64 s[38:39], 0
.LBB102_860:
	s_andn2_b64 vcc, exec, s[38:39]
	s_cbranch_vccnz .LBB102_868
; %bb.861:
	global_load_ubyte v4, v[0:1], off
	s_movk_i32 s38, 0x7f
	s_waitcnt vmcnt(0)
	v_cmp_lt_i16_e32 vcc, s38, v4
	s_mov_b64 s[38:39], 0
	s_and_saveexec_b64 s[40:41], vcc
	s_xor_b64 s[40:41], exec, s[40:41]
	s_cbranch_execz .LBB102_882
; %bb.862:
	s_movk_i32 s38, 0x80
	v_cmp_eq_u16_e32 vcc, s38, v4
	s_mov_b64 s[38:39], -1
	s_and_saveexec_b64 s[42:43], vcc
; %bb.863:
	s_xor_b64 s[38:39], exec, -1
; %bb.864:
	s_or_b64 exec, exec, s[42:43]
	s_and_b64 s[38:39], s[38:39], exec
	s_or_saveexec_b64 s[40:41], s[40:41]
	v_mov_b32_e32 v3, 0x7f800001
	s_xor_b64 exec, exec, s[40:41]
	s_cbranch_execnz .LBB102_883
.LBB102_865:
	s_or_b64 exec, exec, s[40:41]
	s_and_saveexec_b64 s[40:41], s[38:39]
	s_cbranch_execz .LBB102_867
.LBB102_866:
	v_lshlrev_b32_e32 v3, 24, v4
	v_and_b32_e32 v4, 0xffff, v4
	v_and_b32_e32 v5, 7, v4
	v_ffbh_u32_e32 v7, v5
	v_min_u32_e32 v7, 32, v7
	v_subrev_u32_e32 v8, 28, v7
	v_bfe_u32 v6, v4, 3, 4
	v_lshlrev_b32_e32 v4, v8, v4
	v_sub_u32_e32 v7, 29, v7
	v_and_b32_e32 v4, 7, v4
	v_cmp_eq_u32_e32 vcc, 0, v6
	v_cndmask_b32_e32 v6, v6, v7, vcc
	v_cndmask_b32_e32 v4, v5, v4, vcc
	v_mov_b32_e32 v5, 0x3b800000
	v_lshlrev_b32_e32 v4, 20, v4
	v_and_b32_e32 v3, 0x80000000, v3
	v_lshl_add_u32 v5, v6, 23, v5
	v_or3_b32 v3, v3, v5, v4
.LBB102_867:
	s_or_b64 exec, exec, s[40:41]
.LBB102_868:
	s_mov_b64 s[38:39], -1
.LBB102_869:
	s_mov_b64 s[40:41], 0
.LBB102_870:
	s_and_b64 vcc, exec, s[40:41]
	s_cbranch_vccz .LBB102_903
; %bb.871:
	s_cmp_gt_i32 s45, 22
	s_cbranch_scc0 .LBB102_881
; %bb.872:
	s_cmp_lt_i32 s45, 24
	s_cbranch_scc1 .LBB102_884
; %bb.873:
	s_cmp_gt_i32 s45, 24
	s_cbranch_scc0 .LBB102_885
; %bb.874:
	global_load_ubyte v4, v[0:1], off
	s_movk_i32 s36, 0x7f
	s_waitcnt vmcnt(0)
	v_cmp_lt_i16_e32 vcc, s36, v4
	s_mov_b64 s[36:37], 0
	s_and_saveexec_b64 s[38:39], vcc
	s_xor_b64 s[38:39], exec, s[38:39]
	s_cbranch_execz .LBB102_897
; %bb.875:
	s_movk_i32 s36, 0x80
	v_cmp_eq_u16_e32 vcc, s36, v4
	s_mov_b64 s[36:37], -1
	s_and_saveexec_b64 s[40:41], vcc
; %bb.876:
	s_xor_b64 s[36:37], exec, -1
; %bb.877:
	s_or_b64 exec, exec, s[40:41]
	s_and_b64 s[36:37], s[36:37], exec
	s_or_saveexec_b64 s[38:39], s[38:39]
	v_mov_b32_e32 v3, 0x7f800001
	s_xor_b64 exec, exec, s[38:39]
	s_cbranch_execnz .LBB102_898
.LBB102_878:
	s_or_b64 exec, exec, s[38:39]
	s_and_saveexec_b64 s[38:39], s[36:37]
	s_cbranch_execz .LBB102_880
.LBB102_879:
	v_lshlrev_b32_e32 v3, 24, v4
	v_and_b32_e32 v4, 0xffff, v4
	v_and_b32_e32 v5, 3, v4
	v_ffbh_u32_e32 v7, v5
	v_min_u32_e32 v7, 32, v7
	v_subrev_u32_e32 v8, 29, v7
	v_bfe_u32 v6, v4, 2, 5
	v_lshlrev_b32_e32 v4, v8, v4
	v_sub_u32_e32 v7, 30, v7
	v_and_b32_e32 v4, 3, v4
	v_cmp_eq_u32_e32 vcc, 0, v6
	v_cndmask_b32_e32 v6, v6, v7, vcc
	v_cndmask_b32_e32 v4, v5, v4, vcc
	v_mov_b32_e32 v5, 0x37800000
	v_lshlrev_b32_e32 v4, 21, v4
	v_and_b32_e32 v3, 0x80000000, v3
	v_lshl_add_u32 v5, v6, 23, v5
	v_or3_b32 v3, v3, v5, v4
.LBB102_880:
	s_or_b64 exec, exec, s[38:39]
	s_mov_b64 s[36:37], 0
	s_branch .LBB102_886
.LBB102_881:
	s_mov_b64 s[36:37], -1
                                        ; implicit-def: $vgpr3
	s_branch .LBB102_892
.LBB102_882:
	s_or_saveexec_b64 s[40:41], s[40:41]
	v_mov_b32_e32 v3, 0x7f800001
	s_xor_b64 exec, exec, s[40:41]
	s_cbranch_execz .LBB102_865
.LBB102_883:
	v_cmp_ne_u16_e32 vcc, 0, v4
	s_andn2_b64 s[38:39], s[38:39], exec
	s_and_b64 s[42:43], vcc, exec
	v_mov_b32_e32 v3, 0
	s_or_b64 s[38:39], s[38:39], s[42:43]
	s_or_b64 exec, exec, s[40:41]
	s_and_saveexec_b64 s[40:41], s[38:39]
	s_cbranch_execnz .LBB102_866
	s_branch .LBB102_867
.LBB102_884:
	s_mov_b64 s[36:37], -1
                                        ; implicit-def: $vgpr3
	s_branch .LBB102_889
.LBB102_885:
	s_mov_b64 s[36:37], -1
                                        ; implicit-def: $vgpr3
.LBB102_886:
	s_and_b64 vcc, exec, s[36:37]
	s_cbranch_vccz .LBB102_888
; %bb.887:
	global_load_ubyte v3, v[0:1], off
	s_mov_b32 s36, 0x7f800000
	s_waitcnt vmcnt(0)
	v_lshlrev_b32_e32 v3, 24, v3
	v_and_b32_e32 v4, 0x7f000000, v3
	v_ffbh_u32_e32 v5, v4
	v_min_u32_e32 v5, 32, v5
	v_sub_u32_e64 v5, v5, 4 clamp
	v_lshlrev_b32_e32 v7, v5, v4
	v_lshlrev_b32_e32 v5, 23, v5
	v_lshrrev_b32_e32 v7, 4, v7
	v_add_u32_e32 v6, 0x1000000, v4
	v_sub_u32_e32 v5, v7, v5
	v_ashrrev_i32_e32 v6, 8, v6
	v_add_u32_e32 v5, 0x3c000000, v5
	v_and_or_b32 v5, v6, s36, v5
	v_cmp_ne_u32_e32 vcc, 0, v4
	v_cndmask_b32_e32 v4, 0, v5, vcc
	s_brev_b32 s36, 1
	v_and_or_b32 v3, v3, s36, v4
.LBB102_888:
	s_mov_b64 s[36:37], 0
.LBB102_889:
	s_andn2_b64 vcc, exec, s[36:37]
	s_cbranch_vccnz .LBB102_891
; %bb.890:
	global_load_ubyte v3, v[0:1], off
	s_movk_i32 s36, 0x7f00
	s_brev_b32 s37, 16
	s_waitcnt vmcnt(0)
	v_lshlrev_b16_e32 v4, 8, v3
	v_lshlrev_b32_e32 v3, 25, v3
	v_lshrrev_b32_e32 v5, 4, v3
	v_and_or_b32 v6, v4, s36, 0.5
	v_or_b32_e32 v5, 0x70000000, v5
	v_add_f32_e32 v6, -0.5, v6
	v_mul_f32_e32 v5, 0x7800000, v5
	v_cmp_gt_u32_e32 vcc, s37, v3
	v_bfe_i32 v4, v4, 0, 16
	v_cndmask_b32_e32 v3, v5, v6, vcc
	s_brev_b32 s36, 1
	v_and_or_b32 v3, v4, s36, v3
.LBB102_891:
	s_mov_b64 s[36:37], 0
	s_mov_b64 s[38:39], -1
.LBB102_892:
	s_andn2_b64 vcc, exec, s[36:37]
	s_mov_b64 s[36:37], 0
	s_cbranch_vccnz .LBB102_903
; %bb.893:
	s_cmp_gt_i32 s45, 14
	s_cbranch_scc0 .LBB102_896
; %bb.894:
	s_cmp_eq_u32 s45, 15
	s_cbranch_scc0 .LBB102_899
; %bb.895:
	global_load_ushort v3, v[0:1], off
	s_mov_b64 s[34:35], 0
	s_mov_b64 s[38:39], -1
	s_waitcnt vmcnt(0)
	v_lshlrev_b32_e32 v3, 16, v3
	s_branch .LBB102_900
.LBB102_896:
	s_mov_b64 s[40:41], -1
                                        ; implicit-def: $vgpr3
	s_branch .LBB102_901
.LBB102_897:
	s_or_saveexec_b64 s[38:39], s[38:39]
	v_mov_b32_e32 v3, 0x7f800001
	s_xor_b64 exec, exec, s[38:39]
	s_cbranch_execz .LBB102_878
.LBB102_898:
	v_cmp_ne_u16_e32 vcc, 0, v4
	s_andn2_b64 s[36:37], s[36:37], exec
	s_and_b64 s[40:41], vcc, exec
	v_mov_b32_e32 v3, 0
	s_or_b64 s[36:37], s[36:37], s[40:41]
	s_or_b64 exec, exec, s[38:39]
	s_and_saveexec_b64 s[38:39], s[36:37]
	s_cbranch_execnz .LBB102_879
	s_branch .LBB102_880
.LBB102_899:
	s_mov_b64 s[34:35], -1
                                        ; implicit-def: $vgpr3
.LBB102_900:
	s_mov_b64 s[40:41], 0
.LBB102_901:
	s_and_b64 vcc, exec, s[40:41]
	s_cbranch_vccz .LBB102_903
; %bb.902:
	s_cmp_lg_u32 s45, 11
	s_cselect_b64 s[40:41], -1, 0
	s_andn2_b64 s[34:35], s[34:35], exec
	s_and_b64 s[40:41], s[40:41], exec
	s_mov_b64 s[36:37], -1
	s_or_b64 s[34:35], s[34:35], s[40:41]
.LBB102_903:
	s_mov_b64 s[40:41], 0
.LBB102_904:
	s_and_b64 s[42:43], s[40:41], exec
	s_andn2_b64 s[40:41], s[0:1], exec
	s_and_b64 s[34:35], s[34:35], exec
	s_and_b64 s[38:39], s[38:39], exec
	;; [unrolled: 1-line block ×3, first 2 shown]
	s_or_b64 s[40:41], s[40:41], s[34:35]
.LBB102_905:
	s_or_b64 exec, exec, s[28:29]
	s_and_b64 s[34:35], s[36:37], exec
	s_andn2_b64 s[0:1], s[0:1], exec
	s_and_b64 s[36:37], s[40:41], exec
	s_and_b64 s[38:39], s[38:39], exec
	;; [unrolled: 1-line block ×3, first 2 shown]
	s_or_b64 s[0:1], s[0:1], s[36:37]
.LBB102_906:
	s_or_b64 exec, exec, s[26:27]
	s_andn2_b64 s[22:23], s[22:23], exec
	s_and_b64 s[26:27], s[30:31], exec
	s_andn2_b64 s[20:21], s[20:21], exec
	s_and_b64 s[0:1], s[0:1], exec
	s_or_b64 s[22:23], s[22:23], s[26:27]
	s_and_b64 s[30:31], s[38:39], exec
	s_and_b64 s[28:29], s[28:29], exec
	;; [unrolled: 1-line block ×3, first 2 shown]
	s_or_b64 s[20:21], s[20:21], s[0:1]
.LBB102_907:
	s_or_b64 exec, exec, s[24:25]
	s_andn2_b64 s[0:1], s[6:7], exec
	s_and_b64 s[6:7], s[22:23], exec
	s_andn2_b64 s[16:17], s[16:17], exec
	s_and_b64 s[20:21], s[20:21], exec
	s_or_b64 s[6:7], s[0:1], s[6:7]
	s_and_b64 s[0:1], s[30:31], exec
	s_and_b64 s[24:25], s[28:29], exec
	;; [unrolled: 1-line block ×3, first 2 shown]
	s_or_b64 s[16:17], s[16:17], s[20:21]
	s_or_b64 exec, exec, s[18:19]
	s_mov_b64 s[18:19], 0
	s_and_saveexec_b64 s[20:21], s[16:17]
	s_cbranch_execz .LBB102_278
.LBB102_908:
	s_mov_b64 s[18:19], exec
	s_andn2_b64 s[22:23], s[22:23], exec
	s_trap 2
	s_or_b64 exec, exec, s[20:21]
	s_and_saveexec_b64 s[16:17], s[22:23]
	s_xor_b64 s[16:17], exec, s[16:17]
	s_cbranch_execnz .LBB102_279
.LBB102_909:
	s_or_b64 exec, exec, s[16:17]
	s_and_saveexec_b64 s[16:17], s[24:25]
	s_cbranch_execz .LBB102_955
.LBB102_910:
	s_sext_i32_i16 s20, s44
	s_cmp_lt_i32 s20, 5
	s_cbranch_scc1 .LBB102_915
; %bb.911:
	s_cmp_lt_i32 s20, 8
	s_cbranch_scc1 .LBB102_916
; %bb.912:
	;; [unrolled: 3-line block ×3, first 2 shown]
	s_cmp_gt_i32 s20, 9
	s_cbranch_scc0 .LBB102_918
; %bb.914:
	global_load_dwordx2 v[3:4], v[0:1], off
	s_mov_b64 s[20:21], 0
	s_waitcnt vmcnt(0)
	v_cvt_f32_f64_e32 v3, v[3:4]
	s_branch .LBB102_919
.LBB102_915:
                                        ; implicit-def: $vgpr3
	s_branch .LBB102_936
.LBB102_916:
                                        ; implicit-def: $vgpr3
	s_branch .LBB102_925
.LBB102_917:
	s_mov_b64 s[20:21], -1
                                        ; implicit-def: $vgpr3
	s_branch .LBB102_922
.LBB102_918:
	s_mov_b64 s[20:21], -1
                                        ; implicit-def: $vgpr3
.LBB102_919:
	s_andn2_b64 vcc, exec, s[20:21]
	s_cbranch_vccnz .LBB102_921
; %bb.920:
	global_load_dword v3, v[0:1], off
.LBB102_921:
	s_mov_b64 s[20:21], 0
.LBB102_922:
	s_andn2_b64 vcc, exec, s[20:21]
	s_cbranch_vccnz .LBB102_924
; %bb.923:
	global_load_dword v3, v[0:1], off
	s_waitcnt vmcnt(0)
	v_cvt_f32_f16_e32 v3, v3
.LBB102_924:
	s_cbranch_execnz .LBB102_935
.LBB102_925:
	s_sext_i32_i16 s20, s44
	s_cmp_lt_i32 s20, 6
	s_cbranch_scc1 .LBB102_928
; %bb.926:
	s_cmp_gt_i32 s20, 6
	s_cbranch_scc0 .LBB102_929
; %bb.927:
	global_load_dwordx2 v[3:4], v[0:1], off
	s_mov_b64 s[20:21], 0
	s_waitcnt vmcnt(0)
	v_cvt_f32_f64_e32 v3, v[3:4]
	s_branch .LBB102_930
.LBB102_928:
	s_mov_b64 s[20:21], -1
                                        ; implicit-def: $vgpr3
	s_branch .LBB102_933
.LBB102_929:
	s_mov_b64 s[20:21], -1
                                        ; implicit-def: $vgpr3
.LBB102_930:
	s_andn2_b64 vcc, exec, s[20:21]
	s_cbranch_vccnz .LBB102_932
; %bb.931:
	global_load_dword v3, v[0:1], off
.LBB102_932:
	s_mov_b64 s[20:21], 0
.LBB102_933:
	s_andn2_b64 vcc, exec, s[20:21]
	s_cbranch_vccnz .LBB102_935
; %bb.934:
	global_load_ushort v3, v[0:1], off
	s_waitcnt vmcnt(0)
	v_cvt_f32_f16_e32 v3, v3
.LBB102_935:
	s_cbranch_execnz .LBB102_954
.LBB102_936:
	s_sext_i32_i16 s20, s44
	s_cmp_lt_i32 s20, 2
	s_cbranch_scc1 .LBB102_940
; %bb.937:
	s_cmp_lt_i32 s20, 3
	s_cbranch_scc1 .LBB102_941
; %bb.938:
	s_cmp_gt_i32 s20, 3
	s_cbranch_scc0 .LBB102_942
; %bb.939:
	global_load_dwordx2 v[3:4], v[0:1], off
	s_mov_b64 s[20:21], 0
	s_waitcnt vmcnt(0)
	v_xor_b32_e32 v6, v3, v4
	v_ffbh_i32_e32 v5, v4
	v_ashrrev_i32_e32 v6, 31, v6
	v_add_u32_e32 v5, -1, v5
	v_add_u32_e32 v6, 32, v6
	v_min_u32_e32 v5, v5, v6
	v_lshlrev_b64 v[3:4], v5, v[3:4]
	v_min_u32_e32 v3, 1, v3
	v_or_b32_e32 v3, v4, v3
	v_cvt_f32_i32_e32 v3, v3
	v_sub_u32_e32 v4, 32, v5
	v_ldexp_f32 v3, v3, v4
	s_branch .LBB102_943
.LBB102_940:
                                        ; implicit-def: $vgpr3
	s_branch .LBB102_949
.LBB102_941:
	s_mov_b64 s[20:21], -1
                                        ; implicit-def: $vgpr3
	s_branch .LBB102_946
.LBB102_942:
	s_mov_b64 s[20:21], -1
                                        ; implicit-def: $vgpr3
.LBB102_943:
	s_andn2_b64 vcc, exec, s[20:21]
	s_cbranch_vccnz .LBB102_945
; %bb.944:
	global_load_dword v3, v[0:1], off
	s_waitcnt vmcnt(0)
	v_cvt_f32_i32_e32 v3, v3
.LBB102_945:
	s_mov_b64 s[20:21], 0
.LBB102_946:
	s_andn2_b64 vcc, exec, s[20:21]
	s_cbranch_vccnz .LBB102_948
; %bb.947:
	global_load_sshort v3, v[0:1], off
	s_waitcnt vmcnt(0)
	v_cvt_f32_i32_e32 v3, v3
.LBB102_948:
	s_cbranch_execnz .LBB102_954
.LBB102_949:
	s_sext_i32_i16 s20, s44
	s_cmp_gt_i32 s20, 0
	s_cbranch_scc0 .LBB102_951
; %bb.950:
	global_load_sbyte v3, v[0:1], off
	s_mov_b64 s[20:21], 0
	s_waitcnt vmcnt(0)
	v_cvt_f32_i32_e32 v3, v3
	s_branch .LBB102_952
.LBB102_951:
	s_mov_b64 s[20:21], -1
                                        ; implicit-def: $vgpr3
.LBB102_952:
	s_andn2_b64 vcc, exec, s[20:21]
	s_cbranch_vccnz .LBB102_954
; %bb.953:
	global_load_ubyte v0, v[0:1], off
	s_waitcnt vmcnt(0)
	v_cvt_f32_ubyte0_e32 v3, v0
.LBB102_954:
	s_or_b64 s[0:1], s[0:1], exec
.LBB102_955:
	s_or_b64 exec, exec, s[16:17]
	s_mov_b64 s[24:25], 0
	s_mov_b64 s[22:23], 0
                                        ; implicit-def: $sgpr16_sgpr17
                                        ; implicit-def: $sgpr30
                                        ; implicit-def: $vgpr0_vgpr1
	s_and_saveexec_b64 s[20:21], s[0:1]
	s_cbranch_execz .LBB102_960
; %bb.956:
	s_cmp_lt_i32 s14, 1
	s_mov_b64 s[0:1], 0
	s_cbranch_scc1 .LBB102_963
; %bb.957:
	s_cmp_gt_i32 s14, 1
	s_cbranch_scc0 .LBB102_964
; %bb.958:
	s_cmp_eq_u32 s14, 2
	s_cbranch_scc0 .LBB102_965
; %bb.959:
	s_waitcnt vmcnt(0)
	v_cmp_ge_f32_e64 s[16:17], s15, v3
	s_branch .LBB102_967
.LBB102_960:
	s_or_b64 exec, exec, s[20:21]
	s_and_saveexec_b64 s[0:1], s[6:7]
	s_cbranch_execnz .LBB102_1052
.LBB102_961:
	s_or_b64 exec, exec, s[0:1]
	s_and_saveexec_b64 s[0:1], s[24:25]
	s_xor_b64 s[0:1], exec, s[0:1]
	s_cbranch_execz .LBB102_1053
.LBB102_962:
	v_cndmask_b32_e64 v2, 0, 1, s[16:17]
	global_store_byte v[0:1], v2, off
	s_or_b64 exec, exec, s[0:1]
	s_and_saveexec_b64 s[0:1], s[22:23]
	s_xor_b64 s[0:1], exec, s[0:1]
	s_cbranch_execz .LBB102_1091
	s_branch .LBB102_1054
.LBB102_963:
                                        ; implicit-def: $sgpr16_sgpr17
	s_cbranch_execnz .LBB102_970
	s_branch .LBB102_971
.LBB102_964:
	s_mov_b64 s[24:25], -1
	s_branch .LBB102_966
.LBB102_965:
	s_mov_b64 s[22:23], -1
.LBB102_966:
                                        ; implicit-def: $sgpr16_sgpr17
.LBB102_967:
	s_and_b64 vcc, exec, s[24:25]
	s_cbranch_vccz .LBB102_969
; %bb.968:
	s_waitcnt vmcnt(0)
	v_cmp_lt_f32_e32 vcc, s15, v3
	s_andn2_b64 s[16:17], s[16:17], exec
	s_and_b64 s[24:25], vcc, exec
	s_or_b64 s[16:17], s[16:17], s[24:25]
.LBB102_969:
	s_branch .LBB102_971
.LBB102_970:
	s_cmp_lg_u32 s14, 0
	s_mov_b64 s[0:1], -1
	s_cselect_b64 s[22:23], -1, 0
.LBB102_971:
	s_andn2_b64 vcc, exec, s[22:23]
	s_cbranch_vccnz .LBB102_973
; %bb.972:
	s_waitcnt vmcnt(0)
	v_cmp_gt_f32_e32 vcc, s15, v3
	s_andn2_b64 s[16:17], s[16:17], exec
	s_and_b64 s[22:23], vcc, exec
	s_or_b64 s[16:17], s[16:17], s[22:23]
	s_cbranch_execz .LBB102_974
	s_branch .LBB102_975
.LBB102_973:
	s_andn2_b64 vcc, exec, s[0:1]
	s_cbranch_vccnz .LBB102_975
.LBB102_974:
	s_waitcnt vmcnt(0)
	v_cmp_le_f32_e32 vcc, s15, v3
	s_andn2_b64 s[0:1], s[16:17], exec
	s_and_b64 s[16:17], vcc, exec
	s_or_b64 s[16:17], s[0:1], s[16:17]
.LBB102_975:
	v_mul_lo_u32 v0, v2, s12
	v_mov_b32_e32 v1, s9
	s_and_b32 s30, s33, 0xff
	s_cmp_lt_i32 s30, 11
	v_ashrrev_i32_e32 v2, 31, v0
	v_add_co_u32_e32 v0, vcc, s8, v0
	v_addc_co_u32_e32 v1, vcc, v1, v2, vcc
	s_cbranch_scc1 .LBB102_1049
; %bb.976:
	s_and_b32 s31, 0xffff, s30
	s_mov_b64 s[24:25], -1
	s_cmp_gt_i32 s31, 25
	s_mov_b64 s[0:1], s[6:7]
	s_cbranch_scc0 .LBB102_1009
; %bb.977:
	s_mov_b64 s[22:23], -1
	s_cmp_gt_i32 s31, 28
	s_mov_b64 s[0:1], s[6:7]
	s_cbranch_scc0 .LBB102_993
; %bb.978:
	s_cmp_gt_i32 s31, 43
	s_mov_b64 s[0:1], s[6:7]
	s_cbranch_scc0 .LBB102_989
; %bb.979:
	;; [unrolled: 4-line block ×3, first 2 shown]
	s_cmp_eq_u32 s31, 46
	s_mov_b64 s[0:1], -1
	s_cbranch_scc0 .LBB102_982
; %bb.981:
	v_cndmask_b32_e64 v2, 0, 1.0, s[16:17]
	s_waitcnt vmcnt(0)
	v_bfe_u32 v3, v2, 16, 1
	s_movk_i32 s0, 0x7fff
	v_add3_u32 v2, v2, v3, s0
	v_lshrrev_b32_e32 v2, 16, v2
	global_store_dword v[0:1], v2, off
	s_mov_b64 s[0:1], 0
.LBB102_982:
	s_mov_b64 s[22:23], 0
.LBB102_983:
	s_and_b64 vcc, exec, s[22:23]
	s_cbranch_vccz .LBB102_988
; %bb.984:
	s_cmp_eq_u32 s31, 44
	s_mov_b64 s[0:1], -1
	s_cbranch_scc0 .LBB102_988
; %bb.985:
	s_waitcnt vmcnt(0)
	v_cndmask_b32_e64 v3, 0, 1.0, s[16:17]
	v_lshrrev_b32_e32 v2, 23, v3
	s_movk_i32 s0, 0xff
	v_cmp_ne_u32_e32 vcc, s0, v2
	v_mov_b32_e32 v4, 0xff
	s_and_saveexec_b64 s[22:23], vcc
; %bb.986:
	s_mov_b32 s0, 0x3fffff
	v_and_b32_e32 v4, 0x400000, v3
	v_and_or_b32 v3, v3, s0, v2
	v_cmp_ne_u32_e32 vcc, 0, v4
	v_cmp_ne_u32_e64 s[0:1], 0, v3
	s_and_b64 s[0:1], vcc, s[0:1]
	v_cndmask_b32_e64 v3, 0, 1, s[0:1]
	v_add_u32_e32 v4, v2, v3
; %bb.987:
	s_or_b64 exec, exec, s[22:23]
	s_mov_b64 s[0:1], 0
	global_store_byte v[0:1], v4, off
.LBB102_988:
	s_mov_b64 s[22:23], 0
.LBB102_989:
	s_and_b64 vcc, exec, s[22:23]
	s_cbranch_vccz .LBB102_992
; %bb.990:
	s_cmp_eq_u32 s31, 29
	s_mov_b64 s[0:1], -1
	s_cbranch_scc0 .LBB102_992
; %bb.991:
	s_mov_b32 s0, 0
	v_cndmask_b32_e64 v2, 0, 1, s[16:17]
	s_waitcnt vmcnt(0)
	v_mov_b32_e32 v3, s0
	global_store_dwordx2 v[0:1], v[2:3], off
	s_mov_b64 s[0:1], 0
.LBB102_992:
	s_mov_b64 s[22:23], 0
.LBB102_993:
	s_and_b64 vcc, exec, s[22:23]
	s_cbranch_vccz .LBB102_1008
; %bb.994:
	s_cmp_lt_i32 s31, 27
	s_mov_b64 s[22:23], -1
	s_cbranch_scc1 .LBB102_1000
; %bb.995:
	s_cmp_gt_i32 s31, 27
	v_cndmask_b32_e64 v2, 0, 1, s[16:17]
	s_cbranch_scc0 .LBB102_997
; %bb.996:
	s_mov_b64 s[22:23], 0
	global_store_dword v[0:1], v2, off
.LBB102_997:
	s_andn2_b64 vcc, exec, s[22:23]
	s_cbranch_vccnz .LBB102_999
; %bb.998:
	global_store_short v[0:1], v2, off
.LBB102_999:
	s_mov_b64 s[22:23], 0
.LBB102_1000:
	s_andn2_b64 vcc, exec, s[22:23]
	s_cbranch_vccnz .LBB102_1008
; %bb.1001:
	s_waitcnt vmcnt(0)
	v_cndmask_b32_e64 v3, 0, 1.0, s[16:17]
	s_mov_b32 s22, 0x43800000
	v_cmp_gt_u32_e32 vcc, s22, v3
	v_mov_b32_e32 v4, 0x80
	s_and_saveexec_b64 s[22:23], vcc
	s_cbranch_execz .LBB102_1007
; %bb.1002:
	s_mov_b32 s24, 0x3bffffff
	v_cmp_lt_u32_e32 vcc, s24, v3
	s_mov_b64 s[24:25], 0
                                        ; implicit-def: $vgpr2
	s_and_saveexec_b64 s[26:27], vcc
	s_xor_b64 s[26:27], exec, s[26:27]
	s_cbranch_execz .LBB102_1106
; %bb.1003:
	v_bfe_u32 v2, v3, 20, 1
	s_mov_b32 s28, 0x487ffff
	v_add3_u32 v2, v3, v2, s28
	s_mov_b64 s[24:25], exec
	v_lshrrev_b32_e32 v2, 20, v2
                                        ; implicit-def: $vgpr3
	s_andn2_saveexec_b64 s[26:27], s[26:27]
	s_cbranch_execnz .LBB102_1107
.LBB102_1004:
	s_or_b64 exec, exec, s[26:27]
	v_mov_b32_e32 v4, 0
	s_and_saveexec_b64 s[26:27], s[24:25]
.LBB102_1005:
	v_mov_b32_e32 v4, v2
.LBB102_1006:
	s_or_b64 exec, exec, s[26:27]
.LBB102_1007:
	s_or_b64 exec, exec, s[22:23]
	global_store_byte v[0:1], v4, off
.LBB102_1008:
	s_mov_b64 s[24:25], 0
.LBB102_1009:
	s_mov_b64 s[22:23], 0
	s_and_b64 vcc, exec, s[24:25]
	s_cbranch_vccz .LBB102_1050
; %bb.1010:
	s_cmp_gt_i32 s31, 22
	s_mov_b64 s[24:25], -1
	s_cbranch_scc0 .LBB102_1042
; %bb.1011:
	s_cmp_lt_i32 s31, 24
	s_cbranch_scc1 .LBB102_1031
; %bb.1012:
	s_cmp_gt_i32 s31, 24
	s_cbranch_scc0 .LBB102_1020
; %bb.1013:
	s_waitcnt vmcnt(0)
	v_cndmask_b32_e64 v3, 0, 1.0, s[16:17]
	s_mov_b32 s24, 0x47800000
	v_cmp_gt_u32_e32 vcc, s24, v3
	v_mov_b32_e32 v4, 0x80
	s_and_saveexec_b64 s[24:25], vcc
	s_cbranch_execz .LBB102_1019
; %bb.1014:
	s_mov_b32 s26, 0x37ffffff
	v_cmp_lt_u32_e32 vcc, s26, v3
	s_mov_b64 s[26:27], 0
                                        ; implicit-def: $vgpr2
	s_and_saveexec_b64 s[28:29], vcc
	s_xor_b64 s[28:29], exec, s[28:29]
	s_cbranch_execz .LBB102_1246
; %bb.1015:
	v_bfe_u32 v2, v3, 21, 1
	s_mov_b32 s34, 0x88fffff
	v_add3_u32 v2, v3, v2, s34
	s_mov_b64 s[26:27], exec
	v_lshrrev_b32_e32 v2, 21, v2
                                        ; implicit-def: $vgpr3
	s_andn2_saveexec_b64 s[28:29], s[28:29]
	s_cbranch_execnz .LBB102_1247
.LBB102_1016:
	s_or_b64 exec, exec, s[28:29]
	v_mov_b32_e32 v4, 0
	s_and_saveexec_b64 s[28:29], s[26:27]
.LBB102_1017:
	v_mov_b32_e32 v4, v2
.LBB102_1018:
	s_or_b64 exec, exec, s[28:29]
.LBB102_1019:
	s_or_b64 exec, exec, s[24:25]
	s_mov_b64 s[24:25], 0
	global_store_byte v[0:1], v4, off
.LBB102_1020:
	s_and_b64 vcc, exec, s[24:25]
	s_cbranch_vccz .LBB102_1030
; %bb.1021:
	v_cndmask_b32_e64 v2, 0, 1.0, s[16:17]
	s_mov_b32 s24, 0x43f00000
	v_cmp_gt_u32_e32 vcc, s24, v2
                                        ; implicit-def: $vgpr3
	s_and_saveexec_b64 s[24:25], vcc
	s_xor_b64 s[24:25], exec, s[24:25]
	s_cbranch_execz .LBB102_1027
; %bb.1022:
	s_mov_b32 s26, 0x3c7fffff
	v_cmp_lt_u32_e32 vcc, s26, v2
                                        ; implicit-def: $vgpr3
	s_and_saveexec_b64 s[26:27], vcc
	s_xor_b64 s[26:27], exec, s[26:27]
	s_cbranch_execz .LBB102_1024
; %bb.1023:
	s_waitcnt vmcnt(0)
	v_bfe_u32 v3, v2, 20, 1
	s_mov_b32 s28, 0x407ffff
	v_add3_u32 v2, v2, v3, s28
	v_lshrrev_b32_e32 v3, 20, v2
	v_and_b32_e32 v2, 0xff00000, v2
	s_mov_b32 s28, 0x7f00000
	v_mov_b32_e32 v4, 0x7e
	v_cmp_ne_u32_e32 vcc, s28, v2
	v_cndmask_b32_e32 v3, v4, v3, vcc
                                        ; implicit-def: $vgpr2
.LBB102_1024:
	s_andn2_saveexec_b64 s[26:27], s[26:27]
	s_cbranch_execz .LBB102_1026
; %bb.1025:
	s_waitcnt vmcnt(0)
	v_add_f32_e32 v3, 0x46800000, v2
.LBB102_1026:
	s_or_b64 exec, exec, s[26:27]
                                        ; implicit-def: $vgpr2
.LBB102_1027:
	s_andn2_saveexec_b64 s[24:25], s[24:25]
	s_cbranch_execz .LBB102_1029
; %bb.1028:
	s_mov_b32 s26, 0x7f800000
	s_waitcnt vmcnt(0)
	v_mov_b32_e32 v3, 0x7e
	v_mov_b32_e32 v4, 0x7f
	v_cmp_lt_u32_e32 vcc, s26, v2
	v_cndmask_b32_e32 v3, v3, v4, vcc
.LBB102_1029:
	s_or_b64 exec, exec, s[24:25]
	s_waitcnt vmcnt(0)
	global_store_byte v[0:1], v3, off
.LBB102_1030:
	s_mov_b64 s[24:25], 0
.LBB102_1031:
	s_andn2_b64 vcc, exec, s[24:25]
	s_cbranch_vccnz .LBB102_1041
; %bb.1032:
	v_cndmask_b32_e64 v2, 0, 1.0, s[16:17]
	s_mov_b32 s24, 0x47800000
	v_cmp_gt_u32_e32 vcc, s24, v2
                                        ; implicit-def: $vgpr3
	s_and_saveexec_b64 s[24:25], vcc
	s_xor_b64 s[24:25], exec, s[24:25]
	s_cbranch_execz .LBB102_1038
; %bb.1033:
	s_mov_b32 s26, 0x387fffff
	v_cmp_lt_u32_e32 vcc, s26, v2
                                        ; implicit-def: $vgpr3
	s_and_saveexec_b64 s[26:27], vcc
	s_xor_b64 s[26:27], exec, s[26:27]
	s_cbranch_execz .LBB102_1035
; %bb.1034:
	s_waitcnt vmcnt(0)
	v_bfe_u32 v3, v2, 21, 1
	s_mov_b32 s28, 0x80fffff
	v_add3_u32 v2, v2, v3, s28
	v_lshrrev_b32_e32 v3, 21, v2
                                        ; implicit-def: $vgpr2
.LBB102_1035:
	s_andn2_saveexec_b64 s[26:27], s[26:27]
	s_cbranch_execz .LBB102_1037
; %bb.1036:
	s_waitcnt vmcnt(0)
	v_add_f32_e32 v3, 0x43000000, v2
.LBB102_1037:
	s_or_b64 exec, exec, s[26:27]
                                        ; implicit-def: $vgpr2
.LBB102_1038:
	s_andn2_saveexec_b64 s[24:25], s[24:25]
	s_cbranch_execz .LBB102_1040
; %bb.1039:
	s_mov_b32 s26, 0x7f800000
	s_waitcnt vmcnt(0)
	v_mov_b32_e32 v3, 0x7c
	v_mov_b32_e32 v4, 0x7f
	v_cmp_lt_u32_e32 vcc, s26, v2
	v_cndmask_b32_e32 v3, v3, v4, vcc
.LBB102_1040:
	s_or_b64 exec, exec, s[24:25]
	s_waitcnt vmcnt(0)
	global_store_byte v[0:1], v3, off
.LBB102_1041:
	s_mov_b64 s[24:25], 0
.LBB102_1042:
	s_andn2_b64 vcc, exec, s[24:25]
	s_mov_b64 s[24:25], 0
	s_cbranch_vccnz .LBB102_1051
; %bb.1043:
	s_cmp_gt_i32 s31, 14
	s_mov_b64 s[26:27], -1
	s_cbranch_scc0 .LBB102_1047
; %bb.1044:
	s_cmp_eq_u32 s31, 15
	s_mov_b64 s[0:1], -1
	s_cbranch_scc0 .LBB102_1046
; %bb.1045:
	v_cndmask_b32_e64 v2, 0, 1.0, s[16:17]
	s_waitcnt vmcnt(0)
	v_bfe_u32 v3, v2, 16, 1
	s_movk_i32 s0, 0x7fff
	v_add3_u32 v2, v2, v3, s0
	global_store_short_d16_hi v[0:1], v2, off
	s_mov_b64 s[0:1], 0
.LBB102_1046:
	s_mov_b64 s[26:27], 0
.LBB102_1047:
	s_and_b64 vcc, exec, s[26:27]
	s_cbranch_vccz .LBB102_1051
; %bb.1048:
	s_cmp_lg_u32 s31, 11
	s_cselect_b64 s[26:27], -1, 0
	s_andn2_b64 s[0:1], s[0:1], exec
	s_and_b64 s[26:27], s[26:27], exec
	s_mov_b64 s[24:25], -1
	s_or_b64 s[0:1], s[0:1], s[26:27]
	s_branch .LBB102_1051
.LBB102_1049:
	s_mov_b64 s[24:25], 0
	s_mov_b64 s[22:23], -1
	s_mov_b64 s[0:1], s[6:7]
	s_branch .LBB102_1051
.LBB102_1050:
	s_mov_b64 s[24:25], 0
.LBB102_1051:
	s_andn2_b64 s[6:7], s[6:7], exec
	s_and_b64 s[0:1], s[0:1], exec
	s_and_b64 s[22:23], s[22:23], exec
	;; [unrolled: 1-line block ×3, first 2 shown]
	s_or_b64 s[6:7], s[6:7], s[0:1]
	s_or_b64 exec, exec, s[20:21]
	s_and_saveexec_b64 s[0:1], s[6:7]
	s_cbranch_execz .LBB102_961
.LBB102_1052:
	s_or_b64 s[18:19], s[18:19], exec
	s_andn2_b64 s[24:25], s[24:25], exec
	s_trap 2
	s_or_b64 exec, exec, s[0:1]
	s_and_saveexec_b64 s[0:1], s[24:25]
	s_xor_b64 s[0:1], exec, s[0:1]
	s_cbranch_execnz .LBB102_962
.LBB102_1053:
	s_or_b64 exec, exec, s[0:1]
	s_and_saveexec_b64 s[0:1], s[22:23]
	s_xor_b64 s[0:1], exec, s[0:1]
	s_cbranch_execz .LBB102_1091
.LBB102_1054:
	s_sext_i32_i16 s20, s30
	s_cmp_lt_i32 s20, 5
	s_mov_b64 s[6:7], -1
	s_cbranch_scc1 .LBB102_1075
; %bb.1055:
	s_cmp_lt_i32 s20, 8
	s_cbranch_scc1 .LBB102_1065
; %bb.1056:
	s_cmp_lt_i32 s20, 9
	s_cbranch_scc1 .LBB102_1062
; %bb.1057:
	s_cmp_gt_i32 s20, 9
	s_cbranch_scc0 .LBB102_1059
; %bb.1058:
	v_cndmask_b32_e64 v2, 0, 1, s[16:17]
	s_waitcnt vmcnt(0)
	v_cvt_f64_u32_e32 v[2:3], v2
	v_mov_b32_e32 v4, 0
	v_mov_b32_e32 v5, v4
	s_mov_b64 s[6:7], 0
	global_store_dwordx4 v[0:1], v[2:5], off
.LBB102_1059:
	s_andn2_b64 vcc, exec, s[6:7]
	s_cbranch_vccnz .LBB102_1061
; %bb.1060:
	v_cndmask_b32_e64 v2, 0, 1.0, s[16:17]
	s_waitcnt vmcnt(0)
	v_mov_b32_e32 v3, 0
	global_store_dwordx2 v[0:1], v[2:3], off
.LBB102_1061:
	s_mov_b64 s[6:7], 0
.LBB102_1062:
	s_andn2_b64 vcc, exec, s[6:7]
	s_cbranch_vccnz .LBB102_1064
; %bb.1063:
	v_cndmask_b32_e64 v2, 0, 1.0, s[16:17]
	v_cvt_f16_f32_e32 v2, v2
	global_store_dword v[0:1], v2, off
.LBB102_1064:
	s_mov_b64 s[6:7], 0
.LBB102_1065:
	s_andn2_b64 vcc, exec, s[6:7]
	s_cbranch_vccnz .LBB102_1074
; %bb.1066:
	s_sext_i32_i16 s20, s30
	s_cmp_lt_i32 s20, 6
	s_mov_b64 s[6:7], -1
	s_cbranch_scc1 .LBB102_1072
; %bb.1067:
	s_cmp_gt_i32 s20, 6
	s_cbranch_scc0 .LBB102_1069
; %bb.1068:
	v_cndmask_b32_e64 v2, 0, 1, s[16:17]
	s_waitcnt vmcnt(0)
	v_cvt_f64_u32_e32 v[2:3], v2
	s_mov_b64 s[6:7], 0
	global_store_dwordx2 v[0:1], v[2:3], off
.LBB102_1069:
	s_andn2_b64 vcc, exec, s[6:7]
	s_cbranch_vccnz .LBB102_1071
; %bb.1070:
	v_cndmask_b32_e64 v2, 0, 1.0, s[16:17]
	global_store_dword v[0:1], v2, off
.LBB102_1071:
	s_mov_b64 s[6:7], 0
.LBB102_1072:
	s_andn2_b64 vcc, exec, s[6:7]
	s_cbranch_vccnz .LBB102_1074
; %bb.1073:
	v_cndmask_b32_e64 v2, 0, 1.0, s[16:17]
	v_cvt_f16_f32_e32 v2, v2
	global_store_short v[0:1], v2, off
.LBB102_1074:
	s_mov_b64 s[6:7], 0
.LBB102_1075:
	s_andn2_b64 vcc, exec, s[6:7]
	s_cbranch_vccnz .LBB102_1091
; %bb.1076:
	s_sext_i32_i16 s20, s30
	s_cmp_lt_i32 s20, 2
	s_mov_b64 s[6:7], -1
	s_cbranch_scc1 .LBB102_1086
; %bb.1077:
	s_cmp_lt_i32 s20, 3
	s_cbranch_scc1 .LBB102_1083
; %bb.1078:
	s_cmp_gt_i32 s20, 3
	s_cbranch_scc0 .LBB102_1080
; %bb.1079:
	s_mov_b32 s6, 0
	v_cndmask_b32_e64 v2, 0, 1, s[16:17]
	s_waitcnt vmcnt(0)
	v_mov_b32_e32 v3, s6
	s_mov_b64 s[6:7], 0
	global_store_dwordx2 v[0:1], v[2:3], off
.LBB102_1080:
	s_andn2_b64 vcc, exec, s[6:7]
	s_cbranch_vccnz .LBB102_1082
; %bb.1081:
	v_cndmask_b32_e64 v2, 0, 1, s[16:17]
	global_store_dword v[0:1], v2, off
.LBB102_1082:
	s_mov_b64 s[6:7], 0
.LBB102_1083:
	s_andn2_b64 vcc, exec, s[6:7]
	s_cbranch_vccnz .LBB102_1085
; %bb.1084:
	v_cndmask_b32_e64 v2, 0, 1, s[16:17]
	global_store_short v[0:1], v2, off
.LBB102_1085:
	s_mov_b64 s[6:7], 0
.LBB102_1086:
	s_andn2_b64 vcc, exec, s[6:7]
	s_cbranch_vccnz .LBB102_1091
; %bb.1087:
	s_sext_i32_i16 s20, s30
	s_mov_b64 s[6:7], -1
	s_cmp_gt_i32 s20, 0
	v_cndmask_b32_e64 v2, 0, 1, s[16:17]
	s_cbranch_scc0 .LBB102_1089
; %bb.1088:
	s_mov_b64 s[6:7], 0
	global_store_byte v[0:1], v2, off
.LBB102_1089:
	s_andn2_b64 vcc, exec, s[6:7]
	s_cbranch_vccnz .LBB102_1091
; %bb.1090:
	global_store_byte v[0:1], v2, off
.LBB102_1091:
	s_or_b64 exec, exec, s[0:1]
	s_and_b64 s[6:7], s[18:19], exec
                                        ; implicit-def: $vgpr2
.LBB102_1092:
	s_or_saveexec_b64 s[4:5], s[4:5]
	s_mov_b64 s[0:1], 0
                                        ; implicit-def: $sgpr22_sgpr23
                                        ; implicit-def: $sgpr28
                                        ; implicit-def: $vgpr0_vgpr1
	s_xor_b64 exec, exec, s[4:5]
	s_cbranch_execz .LBB102_1659
; %bb.1093:
	s_waitcnt vmcnt(0)
	v_mul_lo_u32 v3, s13, v2
	v_mov_b32_e32 v1, s11
	s_and_b32 s28, 0xffff, s44
	s_cmp_lt_i32 s28, 11
	v_ashrrev_i32_e32 v4, 31, v3
	v_add_co_u32_e32 v0, vcc, s10, v3
	v_addc_co_u32_e32 v1, vcc, v1, v4, vcc
	s_cbranch_scc1 .LBB102_1100
; %bb.1094:
	s_cmp_gt_i32 s28, 25
	s_cbranch_scc0 .LBB102_1102
; %bb.1095:
	s_cmp_gt_i32 s28, 28
	s_cbranch_scc0 .LBB102_1103
	;; [unrolled: 3-line block ×4, first 2 shown]
; %bb.1098:
	s_cmp_eq_u32 s28, 46
	s_mov_b64 s[16:17], 0
	s_cbranch_scc0 .LBB102_1108
; %bb.1099:
	global_load_dword v4, v[0:1], off
	s_mov_b64 s[18:19], -1
	s_waitcnt vmcnt(0)
	v_lshlrev_b32_e32 v4, 16, v4
	s_branch .LBB102_1109
.LBB102_1100:
	s_mov_b64 s[18:19], 0
                                        ; implicit-def: $vgpr4
	s_mov_b64 s[16:17], s[6:7]
	s_cbranch_execnz .LBB102_1172
.LBB102_1101:
	s_andn2_b64 vcc, exec, s[18:19]
	s_cbranch_vccz .LBB102_1217
	s_branch .LBB102_1656
.LBB102_1102:
	s_mov_b64 s[18:19], 0
                                        ; implicit-def: $vgpr4
	s_cbranch_execnz .LBB102_1137
	s_branch .LBB102_1168
.LBB102_1103:
	s_mov_b64 s[16:17], -1
	s_mov_b64 s[18:19], 0
                                        ; implicit-def: $vgpr4
	s_branch .LBB102_1118
.LBB102_1104:
	s_mov_b64 s[18:19], 0
                                        ; implicit-def: $vgpr4
	s_cbranch_execnz .LBB102_1114
	s_branch .LBB102_1117
.LBB102_1105:
	s_mov_b64 s[16:17], -1
	s_mov_b64 s[18:19], 0
                                        ; implicit-def: $vgpr4
	s_branch .LBB102_1109
.LBB102_1106:
	s_andn2_saveexec_b64 s[26:27], s[26:27]
	s_cbranch_execz .LBB102_1004
.LBB102_1107:
	v_add_f32_e32 v2, 0x46000000, v3
	v_and_b32_e32 v2, 0xff, v2
	v_cmp_ne_u32_e32 vcc, 0, v2
	s_andn2_b64 s[24:25], s[24:25], exec
	s_and_b64 s[28:29], vcc, exec
	s_or_b64 s[24:25], s[24:25], s[28:29]
	s_or_b64 exec, exec, s[26:27]
	v_mov_b32_e32 v4, 0
	s_and_saveexec_b64 s[26:27], s[24:25]
	s_cbranch_execnz .LBB102_1005
	s_branch .LBB102_1006
.LBB102_1108:
	s_mov_b64 s[0:1], -1
                                        ; implicit-def: $vgpr4
	s_mov_b64 s[18:19], 0
.LBB102_1109:
	s_and_b64 vcc, exec, s[16:17]
	s_cbranch_vccz .LBB102_1112
; %bb.1110:
	s_cmp_eq_u32 s28, 44
	s_cbranch_scc0 .LBB102_1113
; %bb.1111:
	global_load_ubyte v4, v[0:1], off
	s_movk_i32 s16, 0xff
	v_mov_b32_e32 v5, 0x7f800001
	v_mov_b32_e32 v6, 0x400000
	s_mov_b64 s[0:1], 0
	s_mov_b64 s[18:19], -1
	s_waitcnt vmcnt(0)
	v_lshlrev_b32_e32 v7, 23, v4
	v_cmp_ne_u32_e32 vcc, s16, v4
	v_cndmask_b32_e32 v5, v5, v7, vcc
	v_cmp_ne_u32_e32 vcc, 0, v4
	v_cndmask_b32_e32 v4, v6, v5, vcc
.LBB102_1112:
	s_branch .LBB102_1117
.LBB102_1113:
	s_mov_b64 s[0:1], -1
                                        ; implicit-def: $vgpr4
	s_branch .LBB102_1117
.LBB102_1114:
	s_cmp_eq_u32 s28, 29
	s_cbranch_scc0 .LBB102_1116
; %bb.1115:
	global_load_dwordx2 v[4:5], v[0:1], off
	s_mov_b64 s[0:1], 0
	s_mov_b64 s[18:19], -1
	s_mov_b64 s[16:17], 0
	s_waitcnt vmcnt(0)
	v_ffbh_u32_e32 v6, v5
	v_min_u32_e32 v6, 32, v6
	v_lshlrev_b64 v[4:5], v6, v[4:5]
	v_min_u32_e32 v4, 1, v4
	v_or_b32_e32 v4, v5, v4
	v_cvt_f32_u32_e32 v4, v4
	v_sub_u32_e32 v5, 32, v6
	v_ldexp_f32 v4, v4, v5
	s_branch .LBB102_1118
.LBB102_1116:
	s_mov_b64 s[0:1], -1
                                        ; implicit-def: $vgpr4
.LBB102_1117:
	s_mov_b64 s[16:17], 0
.LBB102_1118:
	s_and_b64 vcc, exec, s[16:17]
	s_cbranch_vccz .LBB102_1136
; %bb.1119:
	s_cmp_lt_i32 s28, 27
	s_cbranch_scc1 .LBB102_1122
; %bb.1120:
	s_cmp_gt_i32 s28, 27
	s_cbranch_scc0 .LBB102_1123
; %bb.1121:
	global_load_dword v4, v[0:1], off
	s_mov_b64 s[16:17], 0
	s_waitcnt vmcnt(0)
	v_cvt_f32_u32_e32 v4, v4
	s_branch .LBB102_1124
.LBB102_1122:
	s_mov_b64 s[16:17], -1
                                        ; implicit-def: $vgpr4
	s_branch .LBB102_1127
.LBB102_1123:
	s_mov_b64 s[16:17], -1
                                        ; implicit-def: $vgpr4
.LBB102_1124:
	s_andn2_b64 vcc, exec, s[16:17]
	s_cbranch_vccnz .LBB102_1126
; %bb.1125:
	global_load_ushort v4, v[0:1], off
	s_waitcnt vmcnt(0)
	v_cvt_f32_u32_e32 v4, v4
.LBB102_1126:
	s_mov_b64 s[16:17], 0
.LBB102_1127:
	s_andn2_b64 vcc, exec, s[16:17]
	s_cbranch_vccnz .LBB102_1135
; %bb.1128:
	global_load_ubyte v5, v[0:1], off
	s_movk_i32 s16, 0x7f
	s_waitcnt vmcnt(0)
	v_cmp_lt_i16_e32 vcc, s16, v5
	s_mov_b64 s[16:17], 0
	s_and_saveexec_b64 s[18:19], vcc
	s_xor_b64 s[18:19], exec, s[18:19]
	s_cbranch_execz .LBB102_1148
; %bb.1129:
	s_movk_i32 s16, 0x80
	v_cmp_eq_u16_e32 vcc, s16, v5
	s_mov_b64 s[16:17], -1
	s_and_saveexec_b64 s[20:21], vcc
; %bb.1130:
	s_xor_b64 s[16:17], exec, -1
; %bb.1131:
	s_or_b64 exec, exec, s[20:21]
	s_and_b64 s[16:17], s[16:17], exec
	s_or_saveexec_b64 s[18:19], s[18:19]
	v_mov_b32_e32 v4, 0x7f800001
	s_xor_b64 exec, exec, s[18:19]
	s_cbranch_execnz .LBB102_1149
.LBB102_1132:
	s_or_b64 exec, exec, s[18:19]
	s_and_saveexec_b64 s[18:19], s[16:17]
	s_cbranch_execz .LBB102_1134
.LBB102_1133:
	v_lshlrev_b32_e32 v4, 24, v5
	v_and_b32_e32 v5, 0xffff, v5
	v_and_b32_e32 v6, 7, v5
	v_ffbh_u32_e32 v8, v6
	v_min_u32_e32 v8, 32, v8
	v_subrev_u32_e32 v9, 28, v8
	v_bfe_u32 v7, v5, 3, 4
	v_lshlrev_b32_e32 v5, v9, v5
	v_sub_u32_e32 v8, 29, v8
	v_and_b32_e32 v5, 7, v5
	v_cmp_eq_u32_e32 vcc, 0, v7
	v_cndmask_b32_e32 v7, v7, v8, vcc
	v_cndmask_b32_e32 v5, v6, v5, vcc
	v_mov_b32_e32 v6, 0x3b800000
	v_lshlrev_b32_e32 v5, 20, v5
	v_and_b32_e32 v4, 0x80000000, v4
	v_lshl_add_u32 v6, v7, 23, v6
	v_or3_b32 v4, v4, v6, v5
.LBB102_1134:
	s_or_b64 exec, exec, s[18:19]
.LBB102_1135:
	s_mov_b64 s[18:19], -1
.LBB102_1136:
	s_branch .LBB102_1168
.LBB102_1137:
	s_cmp_gt_i32 s28, 22
	s_cbranch_scc0 .LBB102_1147
; %bb.1138:
	s_cmp_lt_i32 s28, 24
	s_cbranch_scc1 .LBB102_1150
; %bb.1139:
	s_cmp_gt_i32 s28, 24
	s_cbranch_scc0 .LBB102_1151
; %bb.1140:
	global_load_ubyte v5, v[0:1], off
	s_movk_i32 s2, 0x7f
	s_waitcnt vmcnt(0)
	v_cmp_lt_i16_e32 vcc, s2, v5
	s_mov_b64 s[2:3], 0
	s_and_saveexec_b64 s[16:17], vcc
	s_xor_b64 s[16:17], exec, s[16:17]
	s_cbranch_execz .LBB102_1162
; %bb.1141:
	s_movk_i32 s2, 0x80
	v_cmp_eq_u16_e32 vcc, s2, v5
	s_mov_b64 s[2:3], -1
	s_and_saveexec_b64 s[18:19], vcc
; %bb.1142:
	s_xor_b64 s[2:3], exec, -1
; %bb.1143:
	s_or_b64 exec, exec, s[18:19]
	s_and_b64 s[2:3], s[2:3], exec
	s_or_saveexec_b64 s[16:17], s[16:17]
	v_mov_b32_e32 v4, 0x7f800001
	s_xor_b64 exec, exec, s[16:17]
	s_cbranch_execnz .LBB102_1163
.LBB102_1144:
	s_or_b64 exec, exec, s[16:17]
	s_and_saveexec_b64 s[16:17], s[2:3]
	s_cbranch_execz .LBB102_1146
.LBB102_1145:
	v_lshlrev_b32_e32 v4, 24, v5
	v_and_b32_e32 v5, 0xffff, v5
	v_and_b32_e32 v6, 3, v5
	v_ffbh_u32_e32 v8, v6
	v_min_u32_e32 v8, 32, v8
	v_subrev_u32_e32 v9, 29, v8
	v_bfe_u32 v7, v5, 2, 5
	v_lshlrev_b32_e32 v5, v9, v5
	v_sub_u32_e32 v8, 30, v8
	v_and_b32_e32 v5, 3, v5
	v_cmp_eq_u32_e32 vcc, 0, v7
	v_cndmask_b32_e32 v7, v7, v8, vcc
	v_cndmask_b32_e32 v5, v6, v5, vcc
	v_mov_b32_e32 v6, 0x37800000
	v_lshlrev_b32_e32 v5, 21, v5
	v_and_b32_e32 v4, 0x80000000, v4
	v_lshl_add_u32 v6, v7, 23, v6
	v_or3_b32 v4, v4, v6, v5
.LBB102_1146:
	s_or_b64 exec, exec, s[16:17]
	s_mov_b64 s[2:3], 0
	s_branch .LBB102_1152
.LBB102_1147:
                                        ; implicit-def: $vgpr4
	s_mov_b64 s[2:3], 0
	s_branch .LBB102_1158
.LBB102_1148:
	s_or_saveexec_b64 s[18:19], s[18:19]
	v_mov_b32_e32 v4, 0x7f800001
	s_xor_b64 exec, exec, s[18:19]
	s_cbranch_execz .LBB102_1132
.LBB102_1149:
	v_cmp_ne_u16_e32 vcc, 0, v5
	s_andn2_b64 s[16:17], s[16:17], exec
	s_and_b64 s[20:21], vcc, exec
	v_mov_b32_e32 v4, 0
	s_or_b64 s[16:17], s[16:17], s[20:21]
	s_or_b64 exec, exec, s[18:19]
	s_and_saveexec_b64 s[18:19], s[16:17]
	s_cbranch_execnz .LBB102_1133
	s_branch .LBB102_1134
.LBB102_1150:
	s_mov_b64 s[2:3], -1
                                        ; implicit-def: $vgpr4
	s_branch .LBB102_1155
.LBB102_1151:
	s_mov_b64 s[2:3], -1
                                        ; implicit-def: $vgpr4
.LBB102_1152:
	s_and_b64 vcc, exec, s[2:3]
	s_cbranch_vccz .LBB102_1154
; %bb.1153:
	global_load_ubyte v4, v[0:1], off
	s_mov_b32 s2, 0x7f800000
	s_waitcnt vmcnt(0)
	v_lshlrev_b32_e32 v4, 24, v4
	v_and_b32_e32 v5, 0x7f000000, v4
	v_ffbh_u32_e32 v6, v5
	v_min_u32_e32 v6, 32, v6
	v_sub_u32_e64 v6, v6, 4 clamp
	v_lshlrev_b32_e32 v8, v6, v5
	v_lshlrev_b32_e32 v6, 23, v6
	v_lshrrev_b32_e32 v8, 4, v8
	v_add_u32_e32 v7, 0x1000000, v5
	v_sub_u32_e32 v6, v8, v6
	v_ashrrev_i32_e32 v7, 8, v7
	v_add_u32_e32 v6, 0x3c000000, v6
	v_and_or_b32 v6, v7, s2, v6
	v_cmp_ne_u32_e32 vcc, 0, v5
	v_cndmask_b32_e32 v5, 0, v6, vcc
	s_brev_b32 s2, 1
	v_and_or_b32 v4, v4, s2, v5
.LBB102_1154:
	s_mov_b64 s[2:3], 0
.LBB102_1155:
	s_andn2_b64 vcc, exec, s[2:3]
	s_cbranch_vccnz .LBB102_1157
; %bb.1156:
	global_load_ubyte v4, v[0:1], off
	s_movk_i32 s2, 0x7f00
	s_brev_b32 s3, 16
	s_waitcnt vmcnt(0)
	v_lshlrev_b16_e32 v5, 8, v4
	v_lshlrev_b32_e32 v4, 25, v4
	v_lshrrev_b32_e32 v6, 4, v4
	v_and_or_b32 v7, v5, s2, 0.5
	v_or_b32_e32 v6, 0x70000000, v6
	v_add_f32_e32 v7, -0.5, v7
	v_mul_f32_e32 v6, 0x7800000, v6
	v_cmp_gt_u32_e32 vcc, s3, v4
	v_bfe_i32 v5, v5, 0, 16
	v_cndmask_b32_e32 v4, v6, v7, vcc
	s_brev_b32 s2, 1
	v_and_or_b32 v4, v5, s2, v4
.LBB102_1157:
	s_mov_b64 s[18:19], -1
	s_mov_b64 s[2:3], 0
	s_cbranch_execnz .LBB102_1168
.LBB102_1158:
	s_cmp_gt_i32 s28, 14
	s_cbranch_scc0 .LBB102_1161
; %bb.1159:
	s_cmp_eq_u32 s28, 15
	s_cbranch_scc0 .LBB102_1164
; %bb.1160:
	global_load_ushort v4, v[0:1], off
	s_mov_b64 s[0:1], 0
	s_mov_b64 s[18:19], -1
	s_waitcnt vmcnt(0)
	v_lshlrev_b32_e32 v4, 16, v4
	s_branch .LBB102_1165
.LBB102_1161:
	s_mov_b64 s[16:17], -1
                                        ; implicit-def: $vgpr4
	s_branch .LBB102_1166
.LBB102_1162:
	s_or_saveexec_b64 s[16:17], s[16:17]
	v_mov_b32_e32 v4, 0x7f800001
	s_xor_b64 exec, exec, s[16:17]
	s_cbranch_execz .LBB102_1144
.LBB102_1163:
	v_cmp_ne_u16_e32 vcc, 0, v5
	s_andn2_b64 s[2:3], s[2:3], exec
	s_and_b64 s[18:19], vcc, exec
	v_mov_b32_e32 v4, 0
	s_or_b64 s[2:3], s[2:3], s[18:19]
	s_or_b64 exec, exec, s[16:17]
	s_and_saveexec_b64 s[16:17], s[2:3]
	s_cbranch_execnz .LBB102_1145
	s_branch .LBB102_1146
.LBB102_1164:
	s_mov_b64 s[0:1], -1
                                        ; implicit-def: $vgpr4
.LBB102_1165:
	s_mov_b64 s[16:17], 0
.LBB102_1166:
	s_and_b64 vcc, exec, s[16:17]
	s_cbranch_vccz .LBB102_1168
; %bb.1167:
	s_cmp_lg_u32 s28, 11
	s_mov_b64 s[2:3], -1
	s_cselect_b64 s[0:1], -1, 0
.LBB102_1168:
	s_and_b64 vcc, exec, s[0:1]
	s_mov_b64 s[16:17], s[6:7]
	s_cbranch_vccnz .LBB102_1244
; %bb.1169:
	s_andn2_b64 vcc, exec, s[2:3]
	s_cbranch_vccnz .LBB102_1171
.LBB102_1170:
	global_load_ubyte v4, v[0:1], off
	s_mov_b64 s[18:19], -1
	s_waitcnt vmcnt(0)
	v_cmp_ne_u16_e32 vcc, 0, v4
	v_cndmask_b32_e64 v4, 0, 1.0, vcc
.LBB102_1171:
	s_branch .LBB102_1101
.LBB102_1172:
	s_cmp_lt_i32 s28, 5
	s_cbranch_scc1 .LBB102_1177
; %bb.1173:
	s_cmp_lt_i32 s28, 8
	s_cbranch_scc1 .LBB102_1178
; %bb.1174:
	;; [unrolled: 3-line block ×3, first 2 shown]
	s_cmp_gt_i32 s28, 9
	s_cbranch_scc0 .LBB102_1180
; %bb.1176:
	global_load_dwordx2 v[4:5], v[0:1], off
	s_mov_b64 s[0:1], 0
	s_waitcnt vmcnt(0)
	v_cvt_f32_f64_e32 v4, v[4:5]
	s_branch .LBB102_1181
.LBB102_1177:
                                        ; implicit-def: $vgpr4
	s_branch .LBB102_1198
.LBB102_1178:
                                        ; implicit-def: $vgpr4
	s_branch .LBB102_1187
.LBB102_1179:
	s_mov_b64 s[0:1], -1
                                        ; implicit-def: $vgpr4
	s_branch .LBB102_1184
.LBB102_1180:
	s_mov_b64 s[0:1], -1
                                        ; implicit-def: $vgpr4
.LBB102_1181:
	s_andn2_b64 vcc, exec, s[0:1]
	s_cbranch_vccnz .LBB102_1183
; %bb.1182:
	global_load_dword v4, v[0:1], off
.LBB102_1183:
	s_mov_b64 s[0:1], 0
.LBB102_1184:
	s_andn2_b64 vcc, exec, s[0:1]
	s_cbranch_vccnz .LBB102_1186
; %bb.1185:
	global_load_dword v4, v[0:1], off
	s_waitcnt vmcnt(0)
	v_cvt_f32_f16_e32 v4, v4
.LBB102_1186:
	s_cbranch_execnz .LBB102_1197
.LBB102_1187:
	s_cmp_lt_i32 s28, 6
	s_cbranch_scc1 .LBB102_1190
; %bb.1188:
	s_cmp_gt_i32 s28, 6
	s_cbranch_scc0 .LBB102_1191
; %bb.1189:
	global_load_dwordx2 v[4:5], v[0:1], off
	s_mov_b64 s[0:1], 0
	s_waitcnt vmcnt(0)
	v_cvt_f32_f64_e32 v4, v[4:5]
	s_branch .LBB102_1192
.LBB102_1190:
	s_mov_b64 s[0:1], -1
                                        ; implicit-def: $vgpr4
	s_branch .LBB102_1195
.LBB102_1191:
	s_mov_b64 s[0:1], -1
                                        ; implicit-def: $vgpr4
.LBB102_1192:
	s_andn2_b64 vcc, exec, s[0:1]
	s_cbranch_vccnz .LBB102_1194
; %bb.1193:
	global_load_dword v4, v[0:1], off
.LBB102_1194:
	s_mov_b64 s[0:1], 0
.LBB102_1195:
	s_andn2_b64 vcc, exec, s[0:1]
	s_cbranch_vccnz .LBB102_1197
; %bb.1196:
	global_load_ushort v4, v[0:1], off
	s_waitcnt vmcnt(0)
	v_cvt_f32_f16_e32 v4, v4
.LBB102_1197:
	s_cbranch_execnz .LBB102_1216
.LBB102_1198:
	s_cmp_lt_i32 s28, 2
	s_cbranch_scc1 .LBB102_1202
; %bb.1199:
	s_cmp_lt_i32 s28, 3
	s_cbranch_scc1 .LBB102_1203
; %bb.1200:
	s_cmp_gt_i32 s28, 3
	s_cbranch_scc0 .LBB102_1204
; %bb.1201:
	global_load_dwordx2 v[4:5], v[0:1], off
	s_mov_b64 s[0:1], 0
	s_waitcnt vmcnt(0)
	v_xor_b32_e32 v7, v4, v5
	v_ffbh_i32_e32 v6, v5
	v_ashrrev_i32_e32 v7, 31, v7
	v_add_u32_e32 v6, -1, v6
	v_add_u32_e32 v7, 32, v7
	v_min_u32_e32 v6, v6, v7
	v_lshlrev_b64 v[4:5], v6, v[4:5]
	v_min_u32_e32 v4, 1, v4
	v_or_b32_e32 v4, v5, v4
	v_cvt_f32_i32_e32 v4, v4
	v_sub_u32_e32 v5, 32, v6
	v_ldexp_f32 v4, v4, v5
	s_branch .LBB102_1205
.LBB102_1202:
                                        ; implicit-def: $vgpr4
	s_branch .LBB102_1211
.LBB102_1203:
	s_mov_b64 s[0:1], -1
                                        ; implicit-def: $vgpr4
	s_branch .LBB102_1208
.LBB102_1204:
	s_mov_b64 s[0:1], -1
                                        ; implicit-def: $vgpr4
.LBB102_1205:
	s_andn2_b64 vcc, exec, s[0:1]
	s_cbranch_vccnz .LBB102_1207
; %bb.1206:
	global_load_dword v4, v[0:1], off
	s_waitcnt vmcnt(0)
	v_cvt_f32_i32_e32 v4, v4
.LBB102_1207:
	s_mov_b64 s[0:1], 0
.LBB102_1208:
	s_andn2_b64 vcc, exec, s[0:1]
	s_cbranch_vccnz .LBB102_1210
; %bb.1209:
	global_load_sshort v4, v[0:1], off
	s_waitcnt vmcnt(0)
	v_cvt_f32_i32_e32 v4, v4
.LBB102_1210:
	s_cbranch_execnz .LBB102_1216
.LBB102_1211:
	s_cmp_gt_i32 s28, 0
	s_cbranch_scc0 .LBB102_1213
; %bb.1212:
	global_load_sbyte v4, v[0:1], off
	s_mov_b64 s[0:1], 0
	s_waitcnt vmcnt(0)
	v_cvt_f32_i32_e32 v4, v4
	s_branch .LBB102_1214
.LBB102_1213:
	s_mov_b64 s[0:1], -1
                                        ; implicit-def: $vgpr4
.LBB102_1214:
	s_andn2_b64 vcc, exec, s[0:1]
	s_cbranch_vccnz .LBB102_1216
; %bb.1215:
	global_load_ubyte v0, v[0:1], off
	s_waitcnt vmcnt(0)
	v_cvt_f32_ubyte0_e32 v4, v0
.LBB102_1216:
.LBB102_1217:
	s_cmp_lt_i32 s14, 1
	s_mov_b64 s[0:1], 0
	s_cbranch_scc1 .LBB102_1221
; %bb.1218:
	s_cmp_gt_i32 s14, 1
	s_cbranch_scc0 .LBB102_1222
; %bb.1219:
	s_cmp_eq_u32 s14, 2
	s_cbranch_scc0 .LBB102_1223
; %bb.1220:
	s_waitcnt vmcnt(0)
	v_cmp_ge_f32_e64 s[2:3], s15, v4
	s_mov_b64 s[18:19], 0
	s_branch .LBB102_1224
.LBB102_1221:
                                        ; implicit-def: $sgpr2_sgpr3
	s_mov_b64 s[18:19], 0
	s_cbranch_execnz .LBB102_1227
	s_branch .LBB102_1228
.LBB102_1222:
	s_mov_b64 s[18:19], 0
                                        ; implicit-def: $sgpr2_sgpr3
	s_cbranch_execnz .LBB102_1225
	s_branch .LBB102_1226
.LBB102_1223:
	s_mov_b64 s[18:19], -1
                                        ; implicit-def: $sgpr2_sgpr3
.LBB102_1224:
	s_branch .LBB102_1226
.LBB102_1225:
	s_waitcnt vmcnt(0)
	v_cmp_lt_f32_e32 vcc, s15, v4
	s_andn2_b64 s[2:3], s[2:3], exec
	s_and_b64 s[20:21], vcc, exec
	s_or_b64 s[2:3], s[2:3], s[20:21]
.LBB102_1226:
	s_branch .LBB102_1228
.LBB102_1227:
	s_cmp_lg_u32 s14, 0
	s_mov_b64 s[0:1], -1
	s_cselect_b64 s[18:19], -1, 0
.LBB102_1228:
	s_andn2_b64 vcc, exec, s[18:19]
	s_cbranch_vccnz .LBB102_1230
; %bb.1229:
	s_waitcnt vmcnt(0)
	v_cmp_gt_f32_e32 vcc, s15, v4
	s_andn2_b64 s[2:3], s[2:3], exec
	s_and_b64 s[18:19], vcc, exec
	s_or_b64 s[2:3], s[2:3], s[18:19]
	s_cbranch_execz .LBB102_1231
	s_branch .LBB102_1232
.LBB102_1230:
	s_andn2_b64 vcc, exec, s[0:1]
	s_cbranch_vccnz .LBB102_1232
.LBB102_1231:
	s_waitcnt vmcnt(0)
	v_cmp_le_f32_e32 vcc, s15, v4
	s_andn2_b64 s[0:1], s[2:3], exec
	s_and_b64 s[2:3], vcc, exec
	s_or_b64 s[2:3], s[0:1], s[2:3]
.LBB102_1232:
	s_lshl_b32 s13, s13, 7
	v_add_u32_e32 v3, s13, v3
	v_ashrrev_i32_e32 v1, 31, v3
	s_waitcnt vmcnt(0)
	v_mov_b32_e32 v4, s11
	v_add_co_u32_e32 v0, vcc, s10, v3
	s_cmp_lt_i32 s28, 11
	v_addc_co_u32_e32 v1, vcc, v4, v1, vcc
	s_cbranch_scc1 .LBB102_1239
; %bb.1233:
	s_cmp_gt_i32 s28, 25
	s_mov_b64 s[18:19], 0
	s_cbranch_scc0 .LBB102_1241
; %bb.1234:
	s_cmp_gt_i32 s28, 28
	s_cbranch_scc0 .LBB102_1242
; %bb.1235:
	s_cmp_gt_i32 s28, 43
	;; [unrolled: 3-line block ×3, first 2 shown]
	s_cbranch_scc0 .LBB102_1245
; %bb.1237:
	s_cmp_eq_u32 s28, 46
	s_mov_b64 s[22:23], 0
	s_cbranch_scc0 .LBB102_1248
; %bb.1238:
	global_load_dword v4, v[0:1], off
	s_mov_b64 s[0:1], 0
	s_mov_b64 s[20:21], -1
	s_waitcnt vmcnt(0)
	v_lshlrev_b32_e32 v4, 16, v4
	s_branch .LBB102_1249
.LBB102_1239:
	s_mov_b64 s[20:21], 0
                                        ; implicit-def: $vgpr4
	s_cbranch_execnz .LBB102_1314
.LBB102_1240:
	s_andn2_b64 vcc, exec, s[20:21]
	s_cbranch_vccnz .LBB102_1656
	s_branch .LBB102_1361
.LBB102_1241:
	s_mov_b64 s[20:21], 0
	s_mov_b64 s[0:1], 0
                                        ; implicit-def: $vgpr4
	s_cbranch_execnz .LBB102_1278
	s_branch .LBB102_1310
.LBB102_1242:
	s_mov_b64 s[22:23], -1
	s_mov_b64 s[20:21], 0
	s_mov_b64 s[0:1], 0
                                        ; implicit-def: $vgpr4
	s_branch .LBB102_1259
.LBB102_1243:
	s_mov_b64 s[22:23], -1
	s_mov_b64 s[20:21], 0
	s_mov_b64 s[0:1], 0
                                        ; implicit-def: $vgpr4
	s_branch .LBB102_1254
.LBB102_1244:
	s_or_b64 s[16:17], s[6:7], exec
	s_trap 2
	s_cbranch_execz .LBB102_1170
	s_branch .LBB102_1171
.LBB102_1245:
	s_mov_b64 s[22:23], -1
	s_mov_b64 s[20:21], 0
	s_mov_b64 s[0:1], 0
                                        ; implicit-def: $vgpr4
	s_branch .LBB102_1249
.LBB102_1246:
	s_andn2_saveexec_b64 s[28:29], s[28:29]
	s_cbranch_execz .LBB102_1016
.LBB102_1247:
	v_add_f32_e32 v2, 0x42800000, v3
	v_and_b32_e32 v2, 0xff, v2
	v_cmp_ne_u32_e32 vcc, 0, v2
	s_andn2_b64 s[26:27], s[26:27], exec
	s_and_b64 s[34:35], vcc, exec
	s_or_b64 s[26:27], s[26:27], s[34:35]
	s_or_b64 exec, exec, s[28:29]
	v_mov_b32_e32 v4, 0
	s_and_saveexec_b64 s[28:29], s[26:27]
	s_cbranch_execnz .LBB102_1017
	s_branch .LBB102_1018
.LBB102_1248:
	s_mov_b64 s[0:1], -1
                                        ; implicit-def: $vgpr4
	s_mov_b64 s[20:21], 0
.LBB102_1249:
	s_and_b64 vcc, exec, s[22:23]
	s_cbranch_vccz .LBB102_1253
; %bb.1250:
	s_cmp_eq_u32 s28, 44
	s_cbranch_scc0 .LBB102_1252
; %bb.1251:
	global_load_ubyte v4, v[0:1], off
	s_movk_i32 s20, 0xff
	v_mov_b32_e32 v5, 0x7f800001
	v_mov_b32_e32 v6, 0x400000
	s_mov_b64 s[0:1], 0
	s_waitcnt vmcnt(0)
	v_lshlrev_b32_e32 v7, 23, v4
	v_cmp_ne_u32_e32 vcc, s20, v4
	v_cndmask_b32_e32 v5, v5, v7, vcc
	v_cmp_ne_u32_e32 vcc, 0, v4
	v_cndmask_b32_e32 v4, v6, v5, vcc
	s_mov_b64 s[20:21], -1
	s_branch .LBB102_1253
.LBB102_1252:
	s_mov_b64 s[0:1], -1
                                        ; implicit-def: $vgpr4
.LBB102_1253:
	s_mov_b64 s[22:23], 0
.LBB102_1254:
	s_and_b64 vcc, exec, s[22:23]
	s_cbranch_vccz .LBB102_1258
; %bb.1255:
	s_cmp_eq_u32 s28, 29
	s_cbranch_scc0 .LBB102_1257
; %bb.1256:
	global_load_dwordx2 v[4:5], v[0:1], off
	s_mov_b64 s[0:1], 0
	s_mov_b64 s[20:21], -1
	s_mov_b64 s[22:23], 0
	s_waitcnt vmcnt(0)
	v_ffbh_u32_e32 v6, v5
	v_min_u32_e32 v6, 32, v6
	v_lshlrev_b64 v[4:5], v6, v[4:5]
	v_min_u32_e32 v4, 1, v4
	v_or_b32_e32 v4, v5, v4
	v_cvt_f32_u32_e32 v4, v4
	v_sub_u32_e32 v5, 32, v6
	v_ldexp_f32 v4, v4, v5
	s_branch .LBB102_1259
.LBB102_1257:
	s_mov_b64 s[0:1], -1
                                        ; implicit-def: $vgpr4
.LBB102_1258:
	s_mov_b64 s[22:23], 0
.LBB102_1259:
	s_and_b64 vcc, exec, s[22:23]
	s_cbranch_vccz .LBB102_1277
; %bb.1260:
	s_cmp_lt_i32 s28, 27
	s_cbranch_scc1 .LBB102_1263
; %bb.1261:
	s_cmp_gt_i32 s28, 27
	s_cbranch_scc0 .LBB102_1264
; %bb.1262:
	global_load_dword v4, v[0:1], off
	s_mov_b64 s[20:21], 0
	s_waitcnt vmcnt(0)
	v_cvt_f32_u32_e32 v4, v4
	s_branch .LBB102_1265
.LBB102_1263:
	s_mov_b64 s[20:21], -1
                                        ; implicit-def: $vgpr4
	s_branch .LBB102_1268
.LBB102_1264:
	s_mov_b64 s[20:21], -1
                                        ; implicit-def: $vgpr4
.LBB102_1265:
	s_andn2_b64 vcc, exec, s[20:21]
	s_cbranch_vccnz .LBB102_1267
; %bb.1266:
	global_load_ushort v4, v[0:1], off
	s_waitcnt vmcnt(0)
	v_cvt_f32_u32_e32 v4, v4
.LBB102_1267:
	s_mov_b64 s[20:21], 0
.LBB102_1268:
	s_andn2_b64 vcc, exec, s[20:21]
	s_cbranch_vccnz .LBB102_1276
; %bb.1269:
	global_load_ubyte v5, v[0:1], off
	s_movk_i32 s20, 0x7f
	s_waitcnt vmcnt(0)
	v_cmp_lt_i16_e32 vcc, s20, v5
	s_mov_b64 s[20:21], 0
	s_and_saveexec_b64 s[22:23], vcc
	s_xor_b64 s[22:23], exec, s[22:23]
	s_cbranch_execz .LBB102_1289
; %bb.1270:
	s_movk_i32 s20, 0x80
	v_cmp_eq_u16_e32 vcc, s20, v5
	s_mov_b64 s[20:21], -1
	s_and_saveexec_b64 s[24:25], vcc
; %bb.1271:
	s_xor_b64 s[20:21], exec, -1
; %bb.1272:
	s_or_b64 exec, exec, s[24:25]
	s_and_b64 s[20:21], s[20:21], exec
	s_or_saveexec_b64 s[22:23], s[22:23]
	v_mov_b32_e32 v4, 0x7f800001
	s_xor_b64 exec, exec, s[22:23]
	s_cbranch_execnz .LBB102_1290
.LBB102_1273:
	s_or_b64 exec, exec, s[22:23]
	s_and_saveexec_b64 s[22:23], s[20:21]
	s_cbranch_execz .LBB102_1275
.LBB102_1274:
	v_lshlrev_b32_e32 v4, 24, v5
	v_and_b32_e32 v5, 0xffff, v5
	v_and_b32_e32 v6, 7, v5
	v_ffbh_u32_e32 v8, v6
	v_min_u32_e32 v8, 32, v8
	v_subrev_u32_e32 v9, 28, v8
	v_bfe_u32 v7, v5, 3, 4
	v_lshlrev_b32_e32 v5, v9, v5
	v_sub_u32_e32 v8, 29, v8
	v_and_b32_e32 v5, 7, v5
	v_cmp_eq_u32_e32 vcc, 0, v7
	v_cndmask_b32_e32 v7, v7, v8, vcc
	v_cndmask_b32_e32 v5, v6, v5, vcc
	v_mov_b32_e32 v6, 0x3b800000
	v_lshlrev_b32_e32 v5, 20, v5
	v_and_b32_e32 v4, 0x80000000, v4
	v_lshl_add_u32 v6, v7, 23, v6
	v_or3_b32 v4, v4, v6, v5
.LBB102_1275:
	s_or_b64 exec, exec, s[22:23]
.LBB102_1276:
	s_mov_b64 s[20:21], -1
.LBB102_1277:
	s_branch .LBB102_1310
.LBB102_1278:
	s_cmp_gt_i32 s28, 22
	s_cbranch_scc0 .LBB102_1288
; %bb.1279:
	s_cmp_lt_i32 s28, 24
	s_cbranch_scc1 .LBB102_1291
; %bb.1280:
	s_cmp_gt_i32 s28, 24
	s_cbranch_scc0 .LBB102_1292
; %bb.1281:
	global_load_ubyte v5, v[0:1], off
	s_movk_i32 s18, 0x7f
	s_waitcnt vmcnt(0)
	v_cmp_lt_i16_e32 vcc, s18, v5
	s_mov_b64 s[18:19], 0
	s_and_saveexec_b64 s[20:21], vcc
	s_xor_b64 s[20:21], exec, s[20:21]
	s_cbranch_execz .LBB102_1304
; %bb.1282:
	s_movk_i32 s18, 0x80
	v_cmp_eq_u16_e32 vcc, s18, v5
	s_mov_b64 s[18:19], -1
	s_and_saveexec_b64 s[22:23], vcc
; %bb.1283:
	s_xor_b64 s[18:19], exec, -1
; %bb.1284:
	s_or_b64 exec, exec, s[22:23]
	s_and_b64 s[18:19], s[18:19], exec
	s_or_saveexec_b64 s[20:21], s[20:21]
	v_mov_b32_e32 v4, 0x7f800001
	s_xor_b64 exec, exec, s[20:21]
	s_cbranch_execnz .LBB102_1305
.LBB102_1285:
	s_or_b64 exec, exec, s[20:21]
	s_and_saveexec_b64 s[20:21], s[18:19]
	s_cbranch_execz .LBB102_1287
.LBB102_1286:
	v_lshlrev_b32_e32 v4, 24, v5
	v_and_b32_e32 v5, 0xffff, v5
	v_and_b32_e32 v6, 3, v5
	v_ffbh_u32_e32 v8, v6
	v_min_u32_e32 v8, 32, v8
	v_subrev_u32_e32 v9, 29, v8
	v_bfe_u32 v7, v5, 2, 5
	v_lshlrev_b32_e32 v5, v9, v5
	v_sub_u32_e32 v8, 30, v8
	v_and_b32_e32 v5, 3, v5
	v_cmp_eq_u32_e32 vcc, 0, v7
	v_cndmask_b32_e32 v7, v7, v8, vcc
	v_cndmask_b32_e32 v5, v6, v5, vcc
	v_mov_b32_e32 v6, 0x37800000
	v_lshlrev_b32_e32 v5, 21, v5
	v_and_b32_e32 v4, 0x80000000, v4
	v_lshl_add_u32 v6, v7, 23, v6
	v_or3_b32 v4, v4, v6, v5
.LBB102_1287:
	s_or_b64 exec, exec, s[20:21]
	s_mov_b64 s[18:19], 0
	s_branch .LBB102_1293
.LBB102_1288:
	s_mov_b64 s[18:19], -1
                                        ; implicit-def: $vgpr4
	s_branch .LBB102_1299
.LBB102_1289:
	s_or_saveexec_b64 s[22:23], s[22:23]
	v_mov_b32_e32 v4, 0x7f800001
	s_xor_b64 exec, exec, s[22:23]
	s_cbranch_execz .LBB102_1273
.LBB102_1290:
	v_cmp_ne_u16_e32 vcc, 0, v5
	s_andn2_b64 s[20:21], s[20:21], exec
	s_and_b64 s[24:25], vcc, exec
	v_mov_b32_e32 v4, 0
	s_or_b64 s[20:21], s[20:21], s[24:25]
	s_or_b64 exec, exec, s[22:23]
	s_and_saveexec_b64 s[22:23], s[20:21]
	s_cbranch_execnz .LBB102_1274
	s_branch .LBB102_1275
.LBB102_1291:
	s_mov_b64 s[18:19], -1
                                        ; implicit-def: $vgpr4
	s_branch .LBB102_1296
.LBB102_1292:
	s_mov_b64 s[18:19], -1
                                        ; implicit-def: $vgpr4
.LBB102_1293:
	s_and_b64 vcc, exec, s[18:19]
	s_cbranch_vccz .LBB102_1295
; %bb.1294:
	global_load_ubyte v4, v[0:1], off
	s_mov_b32 s18, 0x7f800000
	s_waitcnt vmcnt(0)
	v_lshlrev_b32_e32 v4, 24, v4
	v_and_b32_e32 v5, 0x7f000000, v4
	v_ffbh_u32_e32 v6, v5
	v_min_u32_e32 v6, 32, v6
	v_sub_u32_e64 v6, v6, 4 clamp
	v_lshlrev_b32_e32 v8, v6, v5
	v_lshlrev_b32_e32 v6, 23, v6
	v_lshrrev_b32_e32 v8, 4, v8
	v_add_u32_e32 v7, 0x1000000, v5
	v_sub_u32_e32 v6, v8, v6
	v_ashrrev_i32_e32 v7, 8, v7
	v_add_u32_e32 v6, 0x3c000000, v6
	v_and_or_b32 v6, v7, s18, v6
	v_cmp_ne_u32_e32 vcc, 0, v5
	v_cndmask_b32_e32 v5, 0, v6, vcc
	s_brev_b32 s18, 1
	v_and_or_b32 v4, v4, s18, v5
.LBB102_1295:
	s_mov_b64 s[18:19], 0
.LBB102_1296:
	s_andn2_b64 vcc, exec, s[18:19]
	s_cbranch_vccnz .LBB102_1298
; %bb.1297:
	global_load_ubyte v4, v[0:1], off
	s_movk_i32 s18, 0x7f00
	s_brev_b32 s19, 16
	s_waitcnt vmcnt(0)
	v_lshlrev_b16_e32 v5, 8, v4
	v_lshlrev_b32_e32 v4, 25, v4
	v_lshrrev_b32_e32 v6, 4, v4
	v_and_or_b32 v7, v5, s18, 0.5
	v_or_b32_e32 v6, 0x70000000, v6
	v_add_f32_e32 v7, -0.5, v7
	v_mul_f32_e32 v6, 0x7800000, v6
	v_cmp_gt_u32_e32 vcc, s19, v4
	v_bfe_i32 v5, v5, 0, 16
	v_cndmask_b32_e32 v4, v6, v7, vcc
	s_brev_b32 s18, 1
	v_and_or_b32 v4, v5, s18, v4
.LBB102_1298:
	s_mov_b64 s[18:19], 0
	s_mov_b64 s[20:21], -1
.LBB102_1299:
	s_andn2_b64 vcc, exec, s[18:19]
	s_mov_b64 s[18:19], 0
	s_cbranch_vccnz .LBB102_1310
; %bb.1300:
	s_cmp_gt_i32 s28, 14
	s_cbranch_scc0 .LBB102_1303
; %bb.1301:
	s_cmp_eq_u32 s28, 15
	s_cbranch_scc0 .LBB102_1306
; %bb.1302:
	global_load_ushort v4, v[0:1], off
	s_mov_b64 s[0:1], 0
	s_mov_b64 s[20:21], -1
	s_waitcnt vmcnt(0)
	v_lshlrev_b32_e32 v4, 16, v4
	s_branch .LBB102_1307
.LBB102_1303:
	s_mov_b64 s[22:23], -1
                                        ; implicit-def: $vgpr4
	s_branch .LBB102_1308
.LBB102_1304:
	s_or_saveexec_b64 s[20:21], s[20:21]
	v_mov_b32_e32 v4, 0x7f800001
	s_xor_b64 exec, exec, s[20:21]
	s_cbranch_execz .LBB102_1285
.LBB102_1305:
	v_cmp_ne_u16_e32 vcc, 0, v5
	s_andn2_b64 s[18:19], s[18:19], exec
	s_and_b64 s[22:23], vcc, exec
	v_mov_b32_e32 v4, 0
	s_or_b64 s[18:19], s[18:19], s[22:23]
	s_or_b64 exec, exec, s[20:21]
	s_and_saveexec_b64 s[20:21], s[18:19]
	s_cbranch_execnz .LBB102_1286
	s_branch .LBB102_1287
.LBB102_1306:
	s_mov_b64 s[0:1], -1
                                        ; implicit-def: $vgpr4
.LBB102_1307:
	s_mov_b64 s[22:23], 0
.LBB102_1308:
	s_and_b64 vcc, exec, s[22:23]
	s_cbranch_vccz .LBB102_1310
; %bb.1309:
	s_cmp_lg_u32 s28, 11
	s_mov_b64 s[18:19], -1
	s_cselect_b64 s[0:1], -1, 0
.LBB102_1310:
	s_and_b64 vcc, exec, s[0:1]
	s_cbranch_vccnz .LBB102_1389
; %bb.1311:
	s_andn2_b64 vcc, exec, s[18:19]
	s_cbranch_vccnz .LBB102_1313
.LBB102_1312:
	global_load_ubyte v4, v[0:1], off
	s_mov_b64 s[20:21], -1
	s_waitcnt vmcnt(0)
	v_cmp_ne_u16_e32 vcc, 0, v4
	v_cndmask_b32_e64 v4, 0, 1.0, vcc
.LBB102_1313:
	s_branch .LBB102_1240
.LBB102_1314:
	s_cmp_lt_i32 s28, 5
	s_cbranch_scc1 .LBB102_1319
; %bb.1315:
	s_cmp_lt_i32 s28, 8
	s_cbranch_scc1 .LBB102_1320
; %bb.1316:
	;; [unrolled: 3-line block ×3, first 2 shown]
	s_cmp_gt_i32 s28, 9
	s_cbranch_scc0 .LBB102_1322
; %bb.1318:
	global_load_dwordx2 v[4:5], v[0:1], off
	s_mov_b64 s[0:1], 0
	s_waitcnt vmcnt(0)
	v_cvt_f32_f64_e32 v4, v[4:5]
	s_branch .LBB102_1323
.LBB102_1319:
                                        ; implicit-def: $vgpr4
	s_branch .LBB102_1341
.LBB102_1320:
	s_mov_b64 s[0:1], -1
                                        ; implicit-def: $vgpr4
	s_branch .LBB102_1329
.LBB102_1321:
	s_mov_b64 s[0:1], -1
                                        ; implicit-def: $vgpr4
	s_branch .LBB102_1326
.LBB102_1322:
	s_mov_b64 s[0:1], -1
                                        ; implicit-def: $vgpr4
.LBB102_1323:
	s_andn2_b64 vcc, exec, s[0:1]
	s_cbranch_vccnz .LBB102_1325
; %bb.1324:
	global_load_dword v4, v[0:1], off
.LBB102_1325:
	s_mov_b64 s[0:1], 0
.LBB102_1326:
	s_andn2_b64 vcc, exec, s[0:1]
	s_cbranch_vccnz .LBB102_1328
; %bb.1327:
	global_load_dword v4, v[0:1], off
	s_waitcnt vmcnt(0)
	v_cvt_f32_f16_e32 v4, v4
.LBB102_1328:
	s_mov_b64 s[0:1], 0
.LBB102_1329:
	s_andn2_b64 vcc, exec, s[0:1]
	s_cbranch_vccnz .LBB102_1340
; %bb.1330:
	s_cmp_lt_i32 s28, 6
	s_cbranch_scc1 .LBB102_1333
; %bb.1331:
	s_cmp_gt_i32 s28, 6
	s_cbranch_scc0 .LBB102_1334
; %bb.1332:
	global_load_dwordx2 v[4:5], v[0:1], off
	s_mov_b64 s[0:1], 0
	s_waitcnt vmcnt(0)
	v_cvt_f32_f64_e32 v4, v[4:5]
	s_branch .LBB102_1335
.LBB102_1333:
	s_mov_b64 s[0:1], -1
                                        ; implicit-def: $vgpr4
	s_branch .LBB102_1338
.LBB102_1334:
	s_mov_b64 s[0:1], -1
                                        ; implicit-def: $vgpr4
.LBB102_1335:
	s_andn2_b64 vcc, exec, s[0:1]
	s_cbranch_vccnz .LBB102_1337
; %bb.1336:
	global_load_dword v4, v[0:1], off
.LBB102_1337:
	s_mov_b64 s[0:1], 0
.LBB102_1338:
	s_andn2_b64 vcc, exec, s[0:1]
	s_cbranch_vccnz .LBB102_1340
; %bb.1339:
	global_load_ushort v4, v[0:1], off
	s_waitcnt vmcnt(0)
	v_cvt_f32_f16_e32 v4, v4
.LBB102_1340:
	s_cbranch_execnz .LBB102_1360
.LBB102_1341:
	s_cmp_lt_i32 s28, 2
	s_cbranch_scc1 .LBB102_1345
; %bb.1342:
	s_cmp_lt_i32 s28, 3
	s_cbranch_scc1 .LBB102_1346
; %bb.1343:
	s_cmp_gt_i32 s28, 3
	s_cbranch_scc0 .LBB102_1347
; %bb.1344:
	global_load_dwordx2 v[4:5], v[0:1], off
	s_mov_b64 s[0:1], 0
	s_waitcnt vmcnt(0)
	v_xor_b32_e32 v7, v4, v5
	v_ffbh_i32_e32 v6, v5
	v_ashrrev_i32_e32 v7, 31, v7
	v_add_u32_e32 v6, -1, v6
	v_add_u32_e32 v7, 32, v7
	v_min_u32_e32 v6, v6, v7
	v_lshlrev_b64 v[4:5], v6, v[4:5]
	v_min_u32_e32 v4, 1, v4
	v_or_b32_e32 v4, v5, v4
	v_cvt_f32_i32_e32 v4, v4
	v_sub_u32_e32 v5, 32, v6
	v_ldexp_f32 v4, v4, v5
	s_branch .LBB102_1348
.LBB102_1345:
	s_mov_b64 s[0:1], -1
                                        ; implicit-def: $vgpr4
	s_branch .LBB102_1354
.LBB102_1346:
	s_mov_b64 s[0:1], -1
                                        ; implicit-def: $vgpr4
	s_branch .LBB102_1351
.LBB102_1347:
	s_mov_b64 s[0:1], -1
                                        ; implicit-def: $vgpr4
.LBB102_1348:
	s_andn2_b64 vcc, exec, s[0:1]
	s_cbranch_vccnz .LBB102_1350
; %bb.1349:
	global_load_dword v4, v[0:1], off
	s_waitcnt vmcnt(0)
	v_cvt_f32_i32_e32 v4, v4
.LBB102_1350:
	s_mov_b64 s[0:1], 0
.LBB102_1351:
	s_andn2_b64 vcc, exec, s[0:1]
	s_cbranch_vccnz .LBB102_1353
; %bb.1352:
	global_load_sshort v4, v[0:1], off
	s_waitcnt vmcnt(0)
	v_cvt_f32_i32_e32 v4, v4
.LBB102_1353:
	s_mov_b64 s[0:1], 0
.LBB102_1354:
	s_andn2_b64 vcc, exec, s[0:1]
	s_cbranch_vccnz .LBB102_1360
; %bb.1355:
	s_cmp_gt_i32 s28, 0
	s_cbranch_scc0 .LBB102_1357
; %bb.1356:
	global_load_sbyte v4, v[0:1], off
	s_mov_b64 s[0:1], 0
	s_waitcnt vmcnt(0)
	v_cvt_f32_i32_e32 v4, v4
	s_branch .LBB102_1358
.LBB102_1357:
	s_mov_b64 s[0:1], -1
                                        ; implicit-def: $vgpr4
.LBB102_1358:
	s_andn2_b64 vcc, exec, s[0:1]
	s_cbranch_vccnz .LBB102_1360
; %bb.1359:
	global_load_ubyte v0, v[0:1], off
	s_waitcnt vmcnt(0)
	v_cvt_f32_ubyte0_e32 v4, v0
.LBB102_1360:
.LBB102_1361:
	s_cmp_lt_i32 s14, 1
	s_mov_b64 s[0:1], 0
	s_cbranch_scc1 .LBB102_1365
; %bb.1362:
	s_cmp_gt_i32 s14, 1
	s_cbranch_scc0 .LBB102_1366
; %bb.1363:
	s_cmp_eq_u32 s14, 2
	s_cbranch_scc0 .LBB102_1367
; %bb.1364:
	s_waitcnt vmcnt(0)
	v_cmp_ge_f32_e64 s[18:19], s15, v4
	s_mov_b64 s[20:21], 0
	s_branch .LBB102_1368
.LBB102_1365:
                                        ; implicit-def: $sgpr18_sgpr19
	s_mov_b64 s[20:21], 0
	s_cbranch_execnz .LBB102_1372
	s_branch .LBB102_1373
.LBB102_1366:
	s_mov_b64 s[22:23], -1
	s_mov_b64 s[20:21], 0
                                        ; implicit-def: $sgpr18_sgpr19
	s_branch .LBB102_1369
.LBB102_1367:
	s_mov_b64 s[20:21], -1
                                        ; implicit-def: $sgpr18_sgpr19
.LBB102_1368:
	s_mov_b64 s[22:23], 0
.LBB102_1369:
	s_and_b64 vcc, exec, s[22:23]
	s_cbranch_vccz .LBB102_1371
; %bb.1370:
	s_waitcnt vmcnt(0)
	v_cmp_lt_f32_e32 vcc, s15, v4
	s_andn2_b64 s[18:19], s[18:19], exec
	s_and_b64 s[22:23], vcc, exec
	s_or_b64 s[18:19], s[18:19], s[22:23]
.LBB102_1371:
	s_branch .LBB102_1373
.LBB102_1372:
	s_cmp_lg_u32 s14, 0
	s_mov_b64 s[0:1], -1
	s_cselect_b64 s[20:21], -1, 0
.LBB102_1373:
	s_andn2_b64 vcc, exec, s[20:21]
	s_cbranch_vccnz .LBB102_1375
; %bb.1374:
	s_waitcnt vmcnt(0)
	v_cmp_gt_f32_e32 vcc, s15, v4
	s_andn2_b64 s[18:19], s[18:19], exec
	s_and_b64 s[20:21], vcc, exec
	s_or_b64 s[18:19], s[18:19], s[20:21]
	s_cbranch_execz .LBB102_1376
	s_branch .LBB102_1377
.LBB102_1375:
	s_andn2_b64 vcc, exec, s[0:1]
	s_cbranch_vccnz .LBB102_1377
.LBB102_1376:
	s_waitcnt vmcnt(0)
	v_cmp_le_f32_e32 vcc, s15, v4
	s_andn2_b64 s[0:1], s[18:19], exec
	s_and_b64 s[18:19], vcc, exec
	s_or_b64 s[18:19], s[0:1], s[18:19]
.LBB102_1377:
	v_add_u32_e32 v3, s13, v3
	v_ashrrev_i32_e32 v1, 31, v3
	s_waitcnt vmcnt(0)
	v_mov_b32_e32 v4, s11
	v_add_co_u32_e32 v0, vcc, s10, v3
	s_cmp_lt_i32 s28, 11
	v_addc_co_u32_e32 v1, vcc, v4, v1, vcc
	s_cbranch_scc1 .LBB102_1384
; %bb.1378:
	s_cmp_gt_i32 s28, 25
	s_mov_b64 s[20:21], 0
	s_cbranch_scc0 .LBB102_1386
; %bb.1379:
	s_cmp_gt_i32 s28, 28
	s_cbranch_scc0 .LBB102_1387
; %bb.1380:
	s_cmp_gt_i32 s28, 43
	;; [unrolled: 3-line block ×3, first 2 shown]
	s_cbranch_scc0 .LBB102_1390
; %bb.1382:
	s_cmp_eq_u32 s28, 46
	s_mov_b64 s[24:25], 0
	s_cbranch_scc0 .LBB102_1391
; %bb.1383:
	global_load_dword v4, v[0:1], off
	s_mov_b64 s[0:1], 0
	s_mov_b64 s[22:23], -1
	s_waitcnt vmcnt(0)
	v_lshlrev_b32_e32 v4, 16, v4
	s_branch .LBB102_1392
.LBB102_1384:
	s_mov_b64 s[22:23], 0
                                        ; implicit-def: $vgpr4
	s_cbranch_execnz .LBB102_1458
.LBB102_1385:
	s_andn2_b64 vcc, exec, s[22:23]
	s_cbranch_vccnz .LBB102_1656
	s_branch .LBB102_1506
.LBB102_1386:
	s_mov_b64 s[24:25], -1
	s_mov_b64 s[22:23], 0
	s_mov_b64 s[0:1], 0
                                        ; implicit-def: $vgpr4
	s_branch .LBB102_1421
.LBB102_1387:
	s_mov_b64 s[24:25], -1
	s_mov_b64 s[22:23], 0
	s_mov_b64 s[0:1], 0
                                        ; implicit-def: $vgpr4
	s_branch .LBB102_1402
.LBB102_1388:
	s_mov_b64 s[24:25], -1
	s_mov_b64 s[22:23], 0
	s_mov_b64 s[0:1], 0
                                        ; implicit-def: $vgpr4
	s_branch .LBB102_1397
.LBB102_1389:
	s_trap 2
	s_or_b64 s[16:17], s[16:17], exec
	s_cbranch_execz .LBB102_1312
	s_branch .LBB102_1313
.LBB102_1390:
	s_mov_b64 s[24:25], -1
	s_mov_b64 s[22:23], 0
	s_mov_b64 s[0:1], 0
                                        ; implicit-def: $vgpr4
	s_branch .LBB102_1392
.LBB102_1391:
	s_mov_b64 s[0:1], -1
                                        ; implicit-def: $vgpr4
	s_mov_b64 s[22:23], 0
.LBB102_1392:
	s_and_b64 vcc, exec, s[24:25]
	s_cbranch_vccz .LBB102_1396
; %bb.1393:
	s_cmp_eq_u32 s28, 44
	s_cbranch_scc0 .LBB102_1395
; %bb.1394:
	global_load_ubyte v4, v[0:1], off
	s_movk_i32 s22, 0xff
	v_mov_b32_e32 v5, 0x7f800001
	v_mov_b32_e32 v6, 0x400000
	s_mov_b64 s[0:1], 0
	s_waitcnt vmcnt(0)
	v_lshlrev_b32_e32 v7, 23, v4
	v_cmp_ne_u32_e32 vcc, s22, v4
	v_cndmask_b32_e32 v5, v5, v7, vcc
	v_cmp_ne_u32_e32 vcc, 0, v4
	v_cndmask_b32_e32 v4, v6, v5, vcc
	s_mov_b64 s[22:23], -1
	s_branch .LBB102_1396
.LBB102_1395:
	s_mov_b64 s[0:1], -1
                                        ; implicit-def: $vgpr4
.LBB102_1396:
	s_mov_b64 s[24:25], 0
.LBB102_1397:
	s_and_b64 vcc, exec, s[24:25]
	s_cbranch_vccz .LBB102_1401
; %bb.1398:
	s_cmp_eq_u32 s28, 29
	s_cbranch_scc0 .LBB102_1400
; %bb.1399:
	global_load_dwordx2 v[4:5], v[0:1], off
	s_mov_b64 s[0:1], 0
	s_mov_b64 s[22:23], -1
	s_mov_b64 s[24:25], 0
	s_waitcnt vmcnt(0)
	v_ffbh_u32_e32 v6, v5
	v_min_u32_e32 v6, 32, v6
	v_lshlrev_b64 v[4:5], v6, v[4:5]
	v_min_u32_e32 v4, 1, v4
	v_or_b32_e32 v4, v5, v4
	v_cvt_f32_u32_e32 v4, v4
	v_sub_u32_e32 v5, 32, v6
	v_ldexp_f32 v4, v4, v5
	s_branch .LBB102_1402
.LBB102_1400:
	s_mov_b64 s[0:1], -1
                                        ; implicit-def: $vgpr4
.LBB102_1401:
	s_mov_b64 s[24:25], 0
.LBB102_1402:
	s_and_b64 vcc, exec, s[24:25]
	s_cbranch_vccz .LBB102_1420
; %bb.1403:
	s_cmp_lt_i32 s28, 27
	s_cbranch_scc1 .LBB102_1406
; %bb.1404:
	s_cmp_gt_i32 s28, 27
	s_cbranch_scc0 .LBB102_1407
; %bb.1405:
	global_load_dword v4, v[0:1], off
	s_mov_b64 s[22:23], 0
	s_waitcnt vmcnt(0)
	v_cvt_f32_u32_e32 v4, v4
	s_branch .LBB102_1408
.LBB102_1406:
	s_mov_b64 s[22:23], -1
                                        ; implicit-def: $vgpr4
	s_branch .LBB102_1411
.LBB102_1407:
	s_mov_b64 s[22:23], -1
                                        ; implicit-def: $vgpr4
.LBB102_1408:
	s_andn2_b64 vcc, exec, s[22:23]
	s_cbranch_vccnz .LBB102_1410
; %bb.1409:
	global_load_ushort v4, v[0:1], off
	s_waitcnt vmcnt(0)
	v_cvt_f32_u32_e32 v4, v4
.LBB102_1410:
	s_mov_b64 s[22:23], 0
.LBB102_1411:
	s_andn2_b64 vcc, exec, s[22:23]
	s_cbranch_vccnz .LBB102_1419
; %bb.1412:
	global_load_ubyte v5, v[0:1], off
	s_movk_i32 s22, 0x7f
	s_waitcnt vmcnt(0)
	v_cmp_lt_i16_e32 vcc, s22, v5
	s_mov_b64 s[22:23], 0
	s_and_saveexec_b64 s[24:25], vcc
	s_xor_b64 s[24:25], exec, s[24:25]
	s_cbranch_execz .LBB102_1433
; %bb.1413:
	s_movk_i32 s22, 0x80
	v_cmp_eq_u16_e32 vcc, s22, v5
	s_mov_b64 s[22:23], -1
	s_and_saveexec_b64 s[26:27], vcc
; %bb.1414:
	s_xor_b64 s[22:23], exec, -1
; %bb.1415:
	s_or_b64 exec, exec, s[26:27]
	s_and_b64 s[22:23], s[22:23], exec
	s_or_saveexec_b64 s[24:25], s[24:25]
	v_mov_b32_e32 v4, 0x7f800001
	s_xor_b64 exec, exec, s[24:25]
	s_cbranch_execnz .LBB102_1434
.LBB102_1416:
	s_or_b64 exec, exec, s[24:25]
	s_and_saveexec_b64 s[24:25], s[22:23]
	s_cbranch_execz .LBB102_1418
.LBB102_1417:
	v_lshlrev_b32_e32 v4, 24, v5
	v_and_b32_e32 v5, 0xffff, v5
	v_and_b32_e32 v6, 7, v5
	v_ffbh_u32_e32 v8, v6
	v_min_u32_e32 v8, 32, v8
	v_subrev_u32_e32 v9, 28, v8
	v_bfe_u32 v7, v5, 3, 4
	v_lshlrev_b32_e32 v5, v9, v5
	v_sub_u32_e32 v8, 29, v8
	v_and_b32_e32 v5, 7, v5
	v_cmp_eq_u32_e32 vcc, 0, v7
	v_cndmask_b32_e32 v7, v7, v8, vcc
	v_cndmask_b32_e32 v5, v6, v5, vcc
	v_mov_b32_e32 v6, 0x3b800000
	v_lshlrev_b32_e32 v5, 20, v5
	v_and_b32_e32 v4, 0x80000000, v4
	v_lshl_add_u32 v6, v7, 23, v6
	v_or3_b32 v4, v4, v6, v5
.LBB102_1418:
	s_or_b64 exec, exec, s[24:25]
.LBB102_1419:
	s_mov_b64 s[22:23], -1
.LBB102_1420:
	s_mov_b64 s[24:25], 0
.LBB102_1421:
	s_and_b64 vcc, exec, s[24:25]
	s_cbranch_vccz .LBB102_1454
; %bb.1422:
	s_cmp_gt_i32 s28, 22
	s_cbranch_scc0 .LBB102_1432
; %bb.1423:
	s_cmp_lt_i32 s28, 24
	s_cbranch_scc1 .LBB102_1435
; %bb.1424:
	s_cmp_gt_i32 s28, 24
	s_cbranch_scc0 .LBB102_1436
; %bb.1425:
	global_load_ubyte v5, v[0:1], off
	s_movk_i32 s20, 0x7f
	s_waitcnt vmcnt(0)
	v_cmp_lt_i16_e32 vcc, s20, v5
	s_mov_b64 s[20:21], 0
	s_and_saveexec_b64 s[22:23], vcc
	s_xor_b64 s[22:23], exec, s[22:23]
	s_cbranch_execz .LBB102_1448
; %bb.1426:
	s_movk_i32 s20, 0x80
	v_cmp_eq_u16_e32 vcc, s20, v5
	s_mov_b64 s[20:21], -1
	s_and_saveexec_b64 s[24:25], vcc
; %bb.1427:
	s_xor_b64 s[20:21], exec, -1
; %bb.1428:
	s_or_b64 exec, exec, s[24:25]
	s_and_b64 s[20:21], s[20:21], exec
	s_or_saveexec_b64 s[22:23], s[22:23]
	v_mov_b32_e32 v4, 0x7f800001
	s_xor_b64 exec, exec, s[22:23]
	s_cbranch_execnz .LBB102_1449
.LBB102_1429:
	s_or_b64 exec, exec, s[22:23]
	s_and_saveexec_b64 s[22:23], s[20:21]
	s_cbranch_execz .LBB102_1431
.LBB102_1430:
	v_lshlrev_b32_e32 v4, 24, v5
	v_and_b32_e32 v5, 0xffff, v5
	v_and_b32_e32 v6, 3, v5
	v_ffbh_u32_e32 v8, v6
	v_min_u32_e32 v8, 32, v8
	v_subrev_u32_e32 v9, 29, v8
	v_bfe_u32 v7, v5, 2, 5
	v_lshlrev_b32_e32 v5, v9, v5
	v_sub_u32_e32 v8, 30, v8
	v_and_b32_e32 v5, 3, v5
	v_cmp_eq_u32_e32 vcc, 0, v7
	v_cndmask_b32_e32 v7, v7, v8, vcc
	v_cndmask_b32_e32 v5, v6, v5, vcc
	v_mov_b32_e32 v6, 0x37800000
	v_lshlrev_b32_e32 v5, 21, v5
	v_and_b32_e32 v4, 0x80000000, v4
	v_lshl_add_u32 v6, v7, 23, v6
	v_or3_b32 v4, v4, v6, v5
.LBB102_1431:
	s_or_b64 exec, exec, s[22:23]
	s_mov_b64 s[20:21], 0
	s_branch .LBB102_1437
.LBB102_1432:
	s_mov_b64 s[20:21], -1
                                        ; implicit-def: $vgpr4
	s_branch .LBB102_1443
.LBB102_1433:
	s_or_saveexec_b64 s[24:25], s[24:25]
	v_mov_b32_e32 v4, 0x7f800001
	s_xor_b64 exec, exec, s[24:25]
	s_cbranch_execz .LBB102_1416
.LBB102_1434:
	v_cmp_ne_u16_e32 vcc, 0, v5
	s_andn2_b64 s[22:23], s[22:23], exec
	s_and_b64 s[26:27], vcc, exec
	v_mov_b32_e32 v4, 0
	s_or_b64 s[22:23], s[22:23], s[26:27]
	s_or_b64 exec, exec, s[24:25]
	s_and_saveexec_b64 s[24:25], s[22:23]
	s_cbranch_execnz .LBB102_1417
	s_branch .LBB102_1418
.LBB102_1435:
	s_mov_b64 s[20:21], -1
                                        ; implicit-def: $vgpr4
	s_branch .LBB102_1440
.LBB102_1436:
	s_mov_b64 s[20:21], -1
                                        ; implicit-def: $vgpr4
.LBB102_1437:
	s_and_b64 vcc, exec, s[20:21]
	s_cbranch_vccz .LBB102_1439
; %bb.1438:
	global_load_ubyte v4, v[0:1], off
	s_mov_b32 s20, 0x7f800000
	s_waitcnt vmcnt(0)
	v_lshlrev_b32_e32 v4, 24, v4
	v_and_b32_e32 v5, 0x7f000000, v4
	v_ffbh_u32_e32 v6, v5
	v_min_u32_e32 v6, 32, v6
	v_sub_u32_e64 v6, v6, 4 clamp
	v_lshlrev_b32_e32 v8, v6, v5
	v_lshlrev_b32_e32 v6, 23, v6
	v_lshrrev_b32_e32 v8, 4, v8
	v_add_u32_e32 v7, 0x1000000, v5
	v_sub_u32_e32 v6, v8, v6
	v_ashrrev_i32_e32 v7, 8, v7
	v_add_u32_e32 v6, 0x3c000000, v6
	v_and_or_b32 v6, v7, s20, v6
	v_cmp_ne_u32_e32 vcc, 0, v5
	v_cndmask_b32_e32 v5, 0, v6, vcc
	s_brev_b32 s20, 1
	v_and_or_b32 v4, v4, s20, v5
.LBB102_1439:
	s_mov_b64 s[20:21], 0
.LBB102_1440:
	s_andn2_b64 vcc, exec, s[20:21]
	s_cbranch_vccnz .LBB102_1442
; %bb.1441:
	global_load_ubyte v4, v[0:1], off
	s_movk_i32 s20, 0x7f00
	s_brev_b32 s21, 16
	s_waitcnt vmcnt(0)
	v_lshlrev_b16_e32 v5, 8, v4
	v_lshlrev_b32_e32 v4, 25, v4
	v_lshrrev_b32_e32 v6, 4, v4
	v_and_or_b32 v7, v5, s20, 0.5
	v_or_b32_e32 v6, 0x70000000, v6
	v_add_f32_e32 v7, -0.5, v7
	v_mul_f32_e32 v6, 0x7800000, v6
	v_cmp_gt_u32_e32 vcc, s21, v4
	v_bfe_i32 v5, v5, 0, 16
	v_cndmask_b32_e32 v4, v6, v7, vcc
	s_brev_b32 s20, 1
	v_and_or_b32 v4, v5, s20, v4
.LBB102_1442:
	s_mov_b64 s[20:21], 0
	s_mov_b64 s[22:23], -1
.LBB102_1443:
	s_andn2_b64 vcc, exec, s[20:21]
	s_mov_b64 s[20:21], 0
	s_cbranch_vccnz .LBB102_1454
; %bb.1444:
	s_cmp_gt_i32 s28, 14
	s_cbranch_scc0 .LBB102_1447
; %bb.1445:
	s_cmp_eq_u32 s28, 15
	s_cbranch_scc0 .LBB102_1450
; %bb.1446:
	global_load_ushort v4, v[0:1], off
	s_mov_b64 s[0:1], 0
	s_mov_b64 s[22:23], -1
	s_waitcnt vmcnt(0)
	v_lshlrev_b32_e32 v4, 16, v4
	s_branch .LBB102_1451
.LBB102_1447:
	s_mov_b64 s[24:25], -1
                                        ; implicit-def: $vgpr4
	s_branch .LBB102_1452
.LBB102_1448:
	s_or_saveexec_b64 s[22:23], s[22:23]
	v_mov_b32_e32 v4, 0x7f800001
	s_xor_b64 exec, exec, s[22:23]
	s_cbranch_execz .LBB102_1429
.LBB102_1449:
	v_cmp_ne_u16_e32 vcc, 0, v5
	s_andn2_b64 s[20:21], s[20:21], exec
	s_and_b64 s[24:25], vcc, exec
	v_mov_b32_e32 v4, 0
	s_or_b64 s[20:21], s[20:21], s[24:25]
	s_or_b64 exec, exec, s[22:23]
	s_and_saveexec_b64 s[22:23], s[20:21]
	s_cbranch_execnz .LBB102_1430
	s_branch .LBB102_1431
.LBB102_1450:
	s_mov_b64 s[0:1], -1
                                        ; implicit-def: $vgpr4
.LBB102_1451:
	s_mov_b64 s[24:25], 0
.LBB102_1452:
	s_and_b64 vcc, exec, s[24:25]
	s_cbranch_vccz .LBB102_1454
; %bb.1453:
	s_cmp_lg_u32 s28, 11
	s_mov_b64 s[20:21], -1
	s_cselect_b64 s[0:1], -1, 0
.LBB102_1454:
	s_and_b64 vcc, exec, s[0:1]
	s_cbranch_vccnz .LBB102_1533
; %bb.1455:
	s_andn2_b64 vcc, exec, s[20:21]
	s_cbranch_vccnz .LBB102_1457
.LBB102_1456:
	global_load_ubyte v4, v[0:1], off
	s_mov_b64 s[22:23], -1
	s_waitcnt vmcnt(0)
	v_cmp_ne_u16_e32 vcc, 0, v4
	v_cndmask_b32_e64 v4, 0, 1.0, vcc
.LBB102_1457:
	s_branch .LBB102_1385
.LBB102_1458:
	s_cmp_lt_i32 s28, 5
	s_cbranch_scc1 .LBB102_1463
; %bb.1459:
	s_cmp_lt_i32 s28, 8
	s_cbranch_scc1 .LBB102_1464
; %bb.1460:
	;; [unrolled: 3-line block ×3, first 2 shown]
	s_cmp_gt_i32 s28, 9
	s_cbranch_scc0 .LBB102_1466
; %bb.1462:
	global_load_dwordx2 v[4:5], v[0:1], off
	s_mov_b64 s[0:1], 0
	s_waitcnt vmcnt(0)
	v_cvt_f32_f64_e32 v4, v[4:5]
	s_branch .LBB102_1467
.LBB102_1463:
	s_mov_b64 s[0:1], -1
                                        ; implicit-def: $vgpr4
	s_branch .LBB102_1485
.LBB102_1464:
	s_mov_b64 s[0:1], -1
                                        ; implicit-def: $vgpr4
	s_branch .LBB102_1473
.LBB102_1465:
	s_mov_b64 s[0:1], -1
                                        ; implicit-def: $vgpr4
	s_branch .LBB102_1470
.LBB102_1466:
	s_mov_b64 s[0:1], -1
                                        ; implicit-def: $vgpr4
.LBB102_1467:
	s_andn2_b64 vcc, exec, s[0:1]
	s_cbranch_vccnz .LBB102_1469
; %bb.1468:
	global_load_dword v4, v[0:1], off
.LBB102_1469:
	s_mov_b64 s[0:1], 0
.LBB102_1470:
	s_andn2_b64 vcc, exec, s[0:1]
	s_cbranch_vccnz .LBB102_1472
; %bb.1471:
	global_load_dword v4, v[0:1], off
	s_waitcnt vmcnt(0)
	v_cvt_f32_f16_e32 v4, v4
.LBB102_1472:
	s_mov_b64 s[0:1], 0
.LBB102_1473:
	s_andn2_b64 vcc, exec, s[0:1]
	s_cbranch_vccnz .LBB102_1484
; %bb.1474:
	s_cmp_lt_i32 s28, 6
	s_cbranch_scc1 .LBB102_1477
; %bb.1475:
	s_cmp_gt_i32 s28, 6
	s_cbranch_scc0 .LBB102_1478
; %bb.1476:
	global_load_dwordx2 v[4:5], v[0:1], off
	s_mov_b64 s[0:1], 0
	s_waitcnt vmcnt(0)
	v_cvt_f32_f64_e32 v4, v[4:5]
	s_branch .LBB102_1479
.LBB102_1477:
	s_mov_b64 s[0:1], -1
                                        ; implicit-def: $vgpr4
	s_branch .LBB102_1482
.LBB102_1478:
	s_mov_b64 s[0:1], -1
                                        ; implicit-def: $vgpr4
.LBB102_1479:
	s_andn2_b64 vcc, exec, s[0:1]
	s_cbranch_vccnz .LBB102_1481
; %bb.1480:
	global_load_dword v4, v[0:1], off
.LBB102_1481:
	s_mov_b64 s[0:1], 0
.LBB102_1482:
	s_andn2_b64 vcc, exec, s[0:1]
	s_cbranch_vccnz .LBB102_1484
; %bb.1483:
	global_load_ushort v4, v[0:1], off
	s_waitcnt vmcnt(0)
	v_cvt_f32_f16_e32 v4, v4
.LBB102_1484:
	s_mov_b64 s[0:1], 0
.LBB102_1485:
	s_andn2_b64 vcc, exec, s[0:1]
	s_cbranch_vccnz .LBB102_1505
; %bb.1486:
	s_cmp_lt_i32 s28, 2
	s_cbranch_scc1 .LBB102_1490
; %bb.1487:
	s_cmp_lt_i32 s28, 3
	s_cbranch_scc1 .LBB102_1491
; %bb.1488:
	s_cmp_gt_i32 s28, 3
	s_cbranch_scc0 .LBB102_1492
; %bb.1489:
	global_load_dwordx2 v[4:5], v[0:1], off
	s_mov_b64 s[0:1], 0
	s_waitcnt vmcnt(0)
	v_xor_b32_e32 v7, v4, v5
	v_ffbh_i32_e32 v6, v5
	v_ashrrev_i32_e32 v7, 31, v7
	v_add_u32_e32 v6, -1, v6
	v_add_u32_e32 v7, 32, v7
	v_min_u32_e32 v6, v6, v7
	v_lshlrev_b64 v[4:5], v6, v[4:5]
	v_min_u32_e32 v4, 1, v4
	v_or_b32_e32 v4, v5, v4
	v_cvt_f32_i32_e32 v4, v4
	v_sub_u32_e32 v5, 32, v6
	v_ldexp_f32 v4, v4, v5
	s_branch .LBB102_1493
.LBB102_1490:
	s_mov_b64 s[0:1], -1
                                        ; implicit-def: $vgpr4
	s_branch .LBB102_1499
.LBB102_1491:
	s_mov_b64 s[0:1], -1
                                        ; implicit-def: $vgpr4
	s_branch .LBB102_1496
.LBB102_1492:
	s_mov_b64 s[0:1], -1
                                        ; implicit-def: $vgpr4
.LBB102_1493:
	s_andn2_b64 vcc, exec, s[0:1]
	s_cbranch_vccnz .LBB102_1495
; %bb.1494:
	global_load_dword v4, v[0:1], off
	s_waitcnt vmcnt(0)
	v_cvt_f32_i32_e32 v4, v4
.LBB102_1495:
	s_mov_b64 s[0:1], 0
.LBB102_1496:
	s_andn2_b64 vcc, exec, s[0:1]
	s_cbranch_vccnz .LBB102_1498
; %bb.1497:
	global_load_sshort v4, v[0:1], off
	s_waitcnt vmcnt(0)
	v_cvt_f32_i32_e32 v4, v4
.LBB102_1498:
	s_mov_b64 s[0:1], 0
.LBB102_1499:
	s_andn2_b64 vcc, exec, s[0:1]
	s_cbranch_vccnz .LBB102_1505
; %bb.1500:
	s_cmp_gt_i32 s28, 0
	s_cbranch_scc0 .LBB102_1502
; %bb.1501:
	global_load_sbyte v4, v[0:1], off
	s_mov_b64 s[0:1], 0
	s_waitcnt vmcnt(0)
	v_cvt_f32_i32_e32 v4, v4
	s_branch .LBB102_1503
.LBB102_1502:
	s_mov_b64 s[0:1], -1
                                        ; implicit-def: $vgpr4
.LBB102_1503:
	s_andn2_b64 vcc, exec, s[0:1]
	s_cbranch_vccnz .LBB102_1505
; %bb.1504:
	global_load_ubyte v0, v[0:1], off
	s_waitcnt vmcnt(0)
	v_cvt_f32_ubyte0_e32 v4, v0
.LBB102_1505:
.LBB102_1506:
	s_cmp_lt_i32 s14, 1
	s_mov_b64 s[0:1], 0
	s_cbranch_scc1 .LBB102_1510
; %bb.1507:
	s_cmp_gt_i32 s14, 1
	s_cbranch_scc0 .LBB102_1513
; %bb.1508:
	s_cmp_eq_u32 s14, 2
	s_cbranch_scc0 .LBB102_1514
; %bb.1509:
	s_waitcnt vmcnt(0)
	v_cmp_ge_f32_e64 s[20:21], s15, v4
	s_mov_b64 s[22:23], 0
	s_branch .LBB102_1515
.LBB102_1510:
                                        ; implicit-def: $sgpr20_sgpr21
	s_mov_b64 s[22:23], 0
	s_cbranch_execnz .LBB102_1519
.LBB102_1511:
	s_andn2_b64 vcc, exec, s[22:23]
	s_cbranch_vccnz .LBB102_1520
.LBB102_1512:
	s_waitcnt vmcnt(0)
	v_cmp_gt_f32_e32 vcc, s15, v4
	s_andn2_b64 s[20:21], s[20:21], exec
	s_and_b64 s[22:23], vcc, exec
	s_or_b64 s[20:21], s[20:21], s[22:23]
	s_cbranch_execz .LBB102_1521
	s_branch .LBB102_1522
.LBB102_1513:
	s_mov_b64 s[24:25], -1
	s_mov_b64 s[22:23], 0
                                        ; implicit-def: $sgpr20_sgpr21
	s_branch .LBB102_1516
.LBB102_1514:
	s_mov_b64 s[22:23], -1
                                        ; implicit-def: $sgpr20_sgpr21
.LBB102_1515:
	s_mov_b64 s[24:25], 0
.LBB102_1516:
	s_and_b64 vcc, exec, s[24:25]
	s_cbranch_vccz .LBB102_1518
; %bb.1517:
	s_waitcnt vmcnt(0)
	v_cmp_lt_f32_e32 vcc, s15, v4
	s_andn2_b64 s[20:21], s[20:21], exec
	s_and_b64 s[24:25], vcc, exec
	s_or_b64 s[20:21], s[20:21], s[24:25]
.LBB102_1518:
	s_branch .LBB102_1511
.LBB102_1519:
	s_cmp_lg_u32 s14, 0
	s_mov_b64 s[0:1], -1
	s_cselect_b64 s[22:23], -1, 0
	s_andn2_b64 vcc, exec, s[22:23]
	s_cbranch_vccz .LBB102_1512
.LBB102_1520:
	s_andn2_b64 vcc, exec, s[0:1]
	s_cbranch_vccnz .LBB102_1522
.LBB102_1521:
	s_waitcnt vmcnt(0)
	v_cmp_le_f32_e32 vcc, s15, v4
	s_andn2_b64 s[0:1], s[20:21], exec
	s_and_b64 s[20:21], vcc, exec
	s_or_b64 s[20:21], s[0:1], s[20:21]
.LBB102_1522:
	v_add_u32_e32 v0, s13, v3
	v_ashrrev_i32_e32 v1, 31, v0
	v_mov_b32_e32 v3, s11
	v_add_co_u32_e32 v0, vcc, s10, v0
	s_cmp_lt_i32 s28, 11
	v_addc_co_u32_e32 v1, vcc, v3, v1, vcc
	s_cbranch_scc1 .LBB102_1529
; %bb.1523:
	s_cmp_gt_i32 s28, 25
	s_mov_b64 s[10:11], 0
	s_cbranch_scc0 .LBB102_1530
; %bb.1524:
	s_cmp_gt_i32 s28, 28
	s_cbranch_scc0 .LBB102_1531
; %bb.1525:
	s_cmp_gt_i32 s28, 43
	;; [unrolled: 3-line block ×3, first 2 shown]
	s_cbranch_scc0 .LBB102_1534
; %bb.1527:
	s_cmp_eq_u32 s28, 46
	s_mov_b64 s[24:25], 0
	s_cbranch_scc0 .LBB102_1535
; %bb.1528:
	global_load_dword v3, v[0:1], off
	s_mov_b64 s[0:1], 0
	s_mov_b64 s[22:23], -1
	s_waitcnt vmcnt(0)
	v_lshlrev_b32_e32 v3, 16, v3
	s_branch .LBB102_1536
.LBB102_1529:
	s_mov_b64 s[0:1], -1
	s_mov_b64 s[22:23], 0
                                        ; implicit-def: $vgpr3
	s_branch .LBB102_1602
.LBB102_1530:
	s_mov_b64 s[24:25], -1
	s_mov_b64 s[22:23], 0
	s_mov_b64 s[0:1], 0
                                        ; implicit-def: $vgpr3
	s_branch .LBB102_1565
.LBB102_1531:
	s_mov_b64 s[24:25], -1
	s_mov_b64 s[22:23], 0
	s_mov_b64 s[0:1], 0
                                        ; implicit-def: $vgpr3
	s_branch .LBB102_1546
.LBB102_1532:
	s_mov_b64 s[24:25], -1
	s_mov_b64 s[22:23], 0
	s_mov_b64 s[0:1], 0
                                        ; implicit-def: $vgpr3
	s_branch .LBB102_1541
.LBB102_1533:
	s_trap 2
	s_or_b64 s[16:17], s[16:17], exec
	s_cbranch_execz .LBB102_1456
	s_branch .LBB102_1457
.LBB102_1534:
	s_mov_b64 s[24:25], -1
	s_mov_b64 s[22:23], 0
	s_mov_b64 s[0:1], 0
                                        ; implicit-def: $vgpr3
	s_branch .LBB102_1536
.LBB102_1535:
	s_mov_b64 s[0:1], -1
                                        ; implicit-def: $vgpr3
	s_mov_b64 s[22:23], 0
.LBB102_1536:
	s_and_b64 vcc, exec, s[24:25]
	s_cbranch_vccz .LBB102_1540
; %bb.1537:
	s_cmp_eq_u32 s28, 44
	s_cbranch_scc0 .LBB102_1539
; %bb.1538:
	global_load_ubyte v3, v[0:1], off
	s_movk_i32 s13, 0xff
	s_waitcnt vmcnt(1)
	v_mov_b32_e32 v4, 0x7f800001
	v_mov_b32_e32 v5, 0x400000
	s_mov_b64 s[0:1], 0
	s_mov_b64 s[22:23], -1
	s_waitcnt vmcnt(0)
	v_lshlrev_b32_e32 v6, 23, v3
	v_cmp_ne_u32_e32 vcc, s13, v3
	v_cndmask_b32_e32 v4, v4, v6, vcc
	v_cmp_ne_u32_e32 vcc, 0, v3
	v_cndmask_b32_e32 v3, v5, v4, vcc
	s_branch .LBB102_1540
.LBB102_1539:
	s_mov_b64 s[0:1], -1
                                        ; implicit-def: $vgpr3
.LBB102_1540:
	s_mov_b64 s[24:25], 0
.LBB102_1541:
	s_and_b64 vcc, exec, s[24:25]
	s_cbranch_vccz .LBB102_1545
; %bb.1542:
	s_cmp_eq_u32 s28, 29
	s_cbranch_scc0 .LBB102_1544
; %bb.1543:
	global_load_dwordx2 v[3:4], v[0:1], off
	s_mov_b64 s[0:1], 0
	s_mov_b64 s[22:23], -1
	s_mov_b64 s[24:25], 0
	s_waitcnt vmcnt(0)
	v_ffbh_u32_e32 v5, v4
	v_min_u32_e32 v5, 32, v5
	v_lshlrev_b64 v[3:4], v5, v[3:4]
	v_min_u32_e32 v3, 1, v3
	v_or_b32_e32 v3, v4, v3
	v_cvt_f32_u32_e32 v3, v3
	v_sub_u32_e32 v4, 32, v5
	v_ldexp_f32 v3, v3, v4
	s_branch .LBB102_1546
.LBB102_1544:
	s_mov_b64 s[0:1], -1
                                        ; implicit-def: $vgpr3
.LBB102_1545:
	s_mov_b64 s[24:25], 0
.LBB102_1546:
	s_and_b64 vcc, exec, s[24:25]
	s_cbranch_vccz .LBB102_1564
; %bb.1547:
	s_cmp_lt_i32 s28, 27
	s_cbranch_scc1 .LBB102_1550
; %bb.1548:
	s_cmp_gt_i32 s28, 27
	s_cbranch_scc0 .LBB102_1551
; %bb.1549:
	global_load_dword v3, v[0:1], off
	s_mov_b64 s[22:23], 0
	s_waitcnt vmcnt(0)
	v_cvt_f32_u32_e32 v3, v3
	s_branch .LBB102_1552
.LBB102_1550:
	s_mov_b64 s[22:23], -1
                                        ; implicit-def: $vgpr3
	s_branch .LBB102_1555
.LBB102_1551:
	s_mov_b64 s[22:23], -1
                                        ; implicit-def: $vgpr3
.LBB102_1552:
	s_andn2_b64 vcc, exec, s[22:23]
	s_cbranch_vccnz .LBB102_1554
; %bb.1553:
	global_load_ushort v3, v[0:1], off
	s_waitcnt vmcnt(0)
	v_cvt_f32_u32_e32 v3, v3
.LBB102_1554:
	s_mov_b64 s[22:23], 0
.LBB102_1555:
	s_andn2_b64 vcc, exec, s[22:23]
	s_cbranch_vccnz .LBB102_1563
; %bb.1556:
	global_load_ubyte v4, v[0:1], off
	s_movk_i32 s13, 0x7f
	s_mov_b64 s[22:23], 0
	s_waitcnt vmcnt(0)
	v_cmp_lt_i16_e32 vcc, s13, v4
	s_and_saveexec_b64 s[24:25], vcc
	s_xor_b64 s[24:25], exec, s[24:25]
	s_cbranch_execz .LBB102_1577
; %bb.1557:
	s_movk_i32 s13, 0x80
	v_cmp_eq_u16_e32 vcc, s13, v4
	s_mov_b64 s[22:23], -1
	s_and_saveexec_b64 s[26:27], vcc
; %bb.1558:
	s_xor_b64 s[22:23], exec, -1
; %bb.1559:
	s_or_b64 exec, exec, s[26:27]
	s_and_b64 s[22:23], s[22:23], exec
	s_or_saveexec_b64 s[24:25], s[24:25]
	v_mov_b32_e32 v3, 0x7f800001
	s_xor_b64 exec, exec, s[24:25]
	s_cbranch_execnz .LBB102_1578
.LBB102_1560:
	s_or_b64 exec, exec, s[24:25]
	s_and_saveexec_b64 s[24:25], s[22:23]
	s_cbranch_execz .LBB102_1562
.LBB102_1561:
	v_lshlrev_b32_e32 v3, 24, v4
	v_and_b32_e32 v4, 0xffff, v4
	v_and_b32_e32 v5, 7, v4
	v_ffbh_u32_e32 v7, v5
	v_min_u32_e32 v7, 32, v7
	v_subrev_u32_e32 v8, 28, v7
	v_bfe_u32 v6, v4, 3, 4
	v_lshlrev_b32_e32 v4, v8, v4
	v_sub_u32_e32 v7, 29, v7
	v_and_b32_e32 v4, 7, v4
	v_cmp_eq_u32_e32 vcc, 0, v6
	v_cndmask_b32_e32 v6, v6, v7, vcc
	v_cndmask_b32_e32 v4, v5, v4, vcc
	v_mov_b32_e32 v5, 0x3b800000
	v_lshlrev_b32_e32 v4, 20, v4
	v_and_b32_e32 v3, 0x80000000, v3
	v_lshl_add_u32 v5, v6, 23, v5
	v_or3_b32 v3, v3, v5, v4
.LBB102_1562:
	s_or_b64 exec, exec, s[24:25]
.LBB102_1563:
	s_mov_b64 s[22:23], -1
.LBB102_1564:
	s_mov_b64 s[24:25], 0
.LBB102_1565:
	s_and_b64 vcc, exec, s[24:25]
	s_cbranch_vccz .LBB102_1598
; %bb.1566:
	s_cmp_gt_i32 s28, 22
	s_cbranch_scc0 .LBB102_1576
; %bb.1567:
	s_cmp_lt_i32 s28, 24
	s_cbranch_scc1 .LBB102_1579
; %bb.1568:
	s_cmp_gt_i32 s28, 24
	s_cbranch_scc0 .LBB102_1580
; %bb.1569:
	global_load_ubyte v4, v[0:1], off
	s_movk_i32 s10, 0x7f
	s_waitcnt vmcnt(0)
	v_cmp_lt_i16_e32 vcc, s10, v4
	s_mov_b64 s[10:11], 0
	s_and_saveexec_b64 s[22:23], vcc
	s_xor_b64 s[22:23], exec, s[22:23]
	s_cbranch_execz .LBB102_1592
; %bb.1570:
	s_movk_i32 s10, 0x80
	v_cmp_eq_u16_e32 vcc, s10, v4
	s_mov_b64 s[10:11], -1
	s_and_saveexec_b64 s[24:25], vcc
; %bb.1571:
	s_xor_b64 s[10:11], exec, -1
; %bb.1572:
	s_or_b64 exec, exec, s[24:25]
	s_and_b64 s[10:11], s[10:11], exec
	s_or_saveexec_b64 s[22:23], s[22:23]
	v_mov_b32_e32 v3, 0x7f800001
	s_xor_b64 exec, exec, s[22:23]
	s_cbranch_execnz .LBB102_1593
.LBB102_1573:
	s_or_b64 exec, exec, s[22:23]
	s_and_saveexec_b64 s[22:23], s[10:11]
	s_cbranch_execz .LBB102_1575
.LBB102_1574:
	v_lshlrev_b32_e32 v3, 24, v4
	v_and_b32_e32 v4, 0xffff, v4
	v_and_b32_e32 v5, 3, v4
	v_ffbh_u32_e32 v7, v5
	v_min_u32_e32 v7, 32, v7
	v_subrev_u32_e32 v8, 29, v7
	v_bfe_u32 v6, v4, 2, 5
	v_lshlrev_b32_e32 v4, v8, v4
	v_sub_u32_e32 v7, 30, v7
	v_and_b32_e32 v4, 3, v4
	v_cmp_eq_u32_e32 vcc, 0, v6
	v_cndmask_b32_e32 v6, v6, v7, vcc
	v_cndmask_b32_e32 v4, v5, v4, vcc
	v_mov_b32_e32 v5, 0x37800000
	v_lshlrev_b32_e32 v4, 21, v4
	v_and_b32_e32 v3, 0x80000000, v3
	v_lshl_add_u32 v5, v6, 23, v5
	v_or3_b32 v3, v3, v5, v4
.LBB102_1575:
	s_or_b64 exec, exec, s[22:23]
	s_mov_b64 s[10:11], 0
	s_branch .LBB102_1581
.LBB102_1576:
	s_mov_b64 s[10:11], -1
                                        ; implicit-def: $vgpr3
	s_branch .LBB102_1587
.LBB102_1577:
	s_or_saveexec_b64 s[24:25], s[24:25]
	v_mov_b32_e32 v3, 0x7f800001
	s_xor_b64 exec, exec, s[24:25]
	s_cbranch_execz .LBB102_1560
.LBB102_1578:
	v_cmp_ne_u16_e32 vcc, 0, v4
	s_andn2_b64 s[22:23], s[22:23], exec
	s_and_b64 s[26:27], vcc, exec
	v_mov_b32_e32 v3, 0
	s_or_b64 s[22:23], s[22:23], s[26:27]
	s_or_b64 exec, exec, s[24:25]
	s_and_saveexec_b64 s[24:25], s[22:23]
	s_cbranch_execnz .LBB102_1561
	s_branch .LBB102_1562
.LBB102_1579:
	s_mov_b64 s[10:11], -1
                                        ; implicit-def: $vgpr3
	s_branch .LBB102_1584
.LBB102_1580:
	s_mov_b64 s[10:11], -1
                                        ; implicit-def: $vgpr3
.LBB102_1581:
	s_and_b64 vcc, exec, s[10:11]
	s_cbranch_vccz .LBB102_1583
; %bb.1582:
	global_load_ubyte v3, v[0:1], off
	s_mov_b32 s10, 0x7f800000
	s_waitcnt vmcnt(0)
	v_lshlrev_b32_e32 v3, 24, v3
	v_and_b32_e32 v4, 0x7f000000, v3
	v_ffbh_u32_e32 v5, v4
	v_min_u32_e32 v5, 32, v5
	v_sub_u32_e64 v5, v5, 4 clamp
	v_lshlrev_b32_e32 v7, v5, v4
	v_lshlrev_b32_e32 v5, 23, v5
	v_lshrrev_b32_e32 v7, 4, v7
	v_add_u32_e32 v6, 0x1000000, v4
	v_sub_u32_e32 v5, v7, v5
	v_ashrrev_i32_e32 v6, 8, v6
	v_add_u32_e32 v5, 0x3c000000, v5
	v_and_or_b32 v5, v6, s10, v5
	v_cmp_ne_u32_e32 vcc, 0, v4
	v_cndmask_b32_e32 v4, 0, v5, vcc
	s_brev_b32 s10, 1
	v_and_or_b32 v3, v3, s10, v4
.LBB102_1583:
	s_mov_b64 s[10:11], 0
.LBB102_1584:
	s_andn2_b64 vcc, exec, s[10:11]
	s_cbranch_vccnz .LBB102_1586
; %bb.1585:
	global_load_ubyte v3, v[0:1], off
	s_movk_i32 s10, 0x7f00
	s_brev_b32 s11, 16
	s_waitcnt vmcnt(0)
	v_lshlrev_b16_e32 v4, 8, v3
	v_lshlrev_b32_e32 v3, 25, v3
	v_lshrrev_b32_e32 v5, 4, v3
	v_and_or_b32 v6, v4, s10, 0.5
	v_or_b32_e32 v5, 0x70000000, v5
	v_add_f32_e32 v6, -0.5, v6
	v_mul_f32_e32 v5, 0x7800000, v5
	v_cmp_gt_u32_e32 vcc, s11, v3
	v_bfe_i32 v4, v4, 0, 16
	v_cndmask_b32_e32 v3, v5, v6, vcc
	s_brev_b32 s10, 1
	v_and_or_b32 v3, v4, s10, v3
.LBB102_1586:
	s_mov_b64 s[10:11], 0
	s_mov_b64 s[22:23], -1
.LBB102_1587:
	s_andn2_b64 vcc, exec, s[10:11]
	s_mov_b64 s[10:11], 0
	s_cbranch_vccnz .LBB102_1598
; %bb.1588:
	s_cmp_gt_i32 s28, 14
	s_cbranch_scc0 .LBB102_1591
; %bb.1589:
	s_cmp_eq_u32 s28, 15
	s_cbranch_scc0 .LBB102_1594
; %bb.1590:
	global_load_ushort v3, v[0:1], off
	s_mov_b64 s[0:1], 0
	s_mov_b64 s[22:23], -1
	s_waitcnt vmcnt(0)
	v_lshlrev_b32_e32 v3, 16, v3
	s_branch .LBB102_1595
.LBB102_1591:
	s_mov_b64 s[24:25], -1
                                        ; implicit-def: $vgpr3
	s_branch .LBB102_1596
.LBB102_1592:
	s_or_saveexec_b64 s[22:23], s[22:23]
	v_mov_b32_e32 v3, 0x7f800001
	s_xor_b64 exec, exec, s[22:23]
	s_cbranch_execz .LBB102_1573
.LBB102_1593:
	v_cmp_ne_u16_e32 vcc, 0, v4
	s_andn2_b64 s[10:11], s[10:11], exec
	s_and_b64 s[24:25], vcc, exec
	v_mov_b32_e32 v3, 0
	s_or_b64 s[10:11], s[10:11], s[24:25]
	s_or_b64 exec, exec, s[22:23]
	s_and_saveexec_b64 s[22:23], s[10:11]
	s_cbranch_execnz .LBB102_1574
	s_branch .LBB102_1575
.LBB102_1594:
	s_mov_b64 s[0:1], -1
                                        ; implicit-def: $vgpr3
.LBB102_1595:
	s_mov_b64 s[24:25], 0
.LBB102_1596:
	s_and_b64 vcc, exec, s[24:25]
	s_cbranch_vccz .LBB102_1598
; %bb.1597:
	s_cmp_lg_u32 s28, 11
	s_mov_b64 s[10:11], -1
	s_cselect_b64 s[0:1], -1, 0
.LBB102_1598:
	s_and_b64 vcc, exec, s[0:1]
	s_cbranch_vccnz .LBB102_2150
; %bb.1599:
	s_andn2_b64 vcc, exec, s[10:11]
	s_cbranch_vccnz .LBB102_1601
.LBB102_1600:
	global_load_ubyte v3, v[0:1], off
	s_mov_b64 s[22:23], -1
	s_waitcnt vmcnt(0)
	v_cmp_ne_u16_e32 vcc, 0, v3
	v_cndmask_b32_e64 v3, 0, 1.0, vcc
.LBB102_1601:
	s_mov_b64 s[0:1], 0
.LBB102_1602:
	s_and_b64 vcc, exec, s[0:1]
	s_cbranch_vccz .LBB102_1651
; %bb.1603:
	s_cmp_lt_i32 s28, 5
	s_cbranch_scc1 .LBB102_1608
; %bb.1604:
	s_cmp_lt_i32 s28, 8
	s_cbranch_scc1 .LBB102_1609
	;; [unrolled: 3-line block ×3, first 2 shown]
; %bb.1606:
	s_cmp_gt_i32 s28, 9
	s_cbranch_scc0 .LBB102_1611
; %bb.1607:
	global_load_dwordx2 v[3:4], v[0:1], off
	s_mov_b64 s[0:1], 0
	s_waitcnt vmcnt(0)
	v_cvt_f32_f64_e32 v3, v[3:4]
	s_branch .LBB102_1612
.LBB102_1608:
	s_mov_b64 s[0:1], -1
                                        ; implicit-def: $vgpr3
	s_branch .LBB102_1630
.LBB102_1609:
	s_mov_b64 s[0:1], -1
                                        ; implicit-def: $vgpr3
	s_branch .LBB102_1618
.LBB102_1610:
	s_mov_b64 s[0:1], -1
                                        ; implicit-def: $vgpr3
	s_branch .LBB102_1615
.LBB102_1611:
	s_mov_b64 s[0:1], -1
                                        ; implicit-def: $vgpr3
.LBB102_1612:
	s_andn2_b64 vcc, exec, s[0:1]
	s_cbranch_vccnz .LBB102_1614
; %bb.1613:
	global_load_dword v3, v[0:1], off
.LBB102_1614:
	s_mov_b64 s[0:1], 0
.LBB102_1615:
	s_andn2_b64 vcc, exec, s[0:1]
	s_cbranch_vccnz .LBB102_1617
; %bb.1616:
	global_load_dword v3, v[0:1], off
	s_waitcnt vmcnt(0)
	v_cvt_f32_f16_e32 v3, v3
.LBB102_1617:
	s_mov_b64 s[0:1], 0
.LBB102_1618:
	s_andn2_b64 vcc, exec, s[0:1]
	s_cbranch_vccnz .LBB102_1629
; %bb.1619:
	s_cmp_lt_i32 s28, 6
	s_cbranch_scc1 .LBB102_1622
; %bb.1620:
	s_cmp_gt_i32 s28, 6
	s_cbranch_scc0 .LBB102_1623
; %bb.1621:
	global_load_dwordx2 v[3:4], v[0:1], off
	s_mov_b64 s[0:1], 0
	s_waitcnt vmcnt(0)
	v_cvt_f32_f64_e32 v3, v[3:4]
	s_branch .LBB102_1624
.LBB102_1622:
	s_mov_b64 s[0:1], -1
                                        ; implicit-def: $vgpr3
	s_branch .LBB102_1627
.LBB102_1623:
	s_mov_b64 s[0:1], -1
                                        ; implicit-def: $vgpr3
.LBB102_1624:
	s_andn2_b64 vcc, exec, s[0:1]
	s_cbranch_vccnz .LBB102_1626
; %bb.1625:
	global_load_dword v3, v[0:1], off
.LBB102_1626:
	s_mov_b64 s[0:1], 0
.LBB102_1627:
	s_andn2_b64 vcc, exec, s[0:1]
	s_cbranch_vccnz .LBB102_1629
; %bb.1628:
	global_load_ushort v3, v[0:1], off
	s_waitcnt vmcnt(0)
	v_cvt_f32_f16_e32 v3, v3
.LBB102_1629:
	s_mov_b64 s[0:1], 0
.LBB102_1630:
	s_andn2_b64 vcc, exec, s[0:1]
	s_cbranch_vccnz .LBB102_1650
; %bb.1631:
	s_cmp_lt_i32 s28, 2
	s_cbranch_scc1 .LBB102_1635
; %bb.1632:
	s_cmp_lt_i32 s28, 3
	s_cbranch_scc1 .LBB102_1636
; %bb.1633:
	s_cmp_gt_i32 s28, 3
	s_cbranch_scc0 .LBB102_1637
; %bb.1634:
	global_load_dwordx2 v[3:4], v[0:1], off
	s_mov_b64 s[0:1], 0
	s_waitcnt vmcnt(0)
	v_xor_b32_e32 v6, v3, v4
	v_ffbh_i32_e32 v5, v4
	v_ashrrev_i32_e32 v6, 31, v6
	v_add_u32_e32 v5, -1, v5
	v_add_u32_e32 v6, 32, v6
	v_min_u32_e32 v5, v5, v6
	v_lshlrev_b64 v[3:4], v5, v[3:4]
	v_min_u32_e32 v3, 1, v3
	v_or_b32_e32 v3, v4, v3
	v_cvt_f32_i32_e32 v3, v3
	v_sub_u32_e32 v4, 32, v5
	v_ldexp_f32 v3, v3, v4
	s_branch .LBB102_1638
.LBB102_1635:
	s_mov_b64 s[0:1], -1
                                        ; implicit-def: $vgpr3
	s_branch .LBB102_1644
.LBB102_1636:
	s_mov_b64 s[0:1], -1
                                        ; implicit-def: $vgpr3
	s_branch .LBB102_1641
.LBB102_1637:
	s_mov_b64 s[0:1], -1
                                        ; implicit-def: $vgpr3
.LBB102_1638:
	s_andn2_b64 vcc, exec, s[0:1]
	s_cbranch_vccnz .LBB102_1640
; %bb.1639:
	global_load_dword v3, v[0:1], off
	s_waitcnt vmcnt(0)
	v_cvt_f32_i32_e32 v3, v3
.LBB102_1640:
	s_mov_b64 s[0:1], 0
.LBB102_1641:
	s_andn2_b64 vcc, exec, s[0:1]
	s_cbranch_vccnz .LBB102_1643
; %bb.1642:
	global_load_sshort v3, v[0:1], off
	s_waitcnt vmcnt(0)
	v_cvt_f32_i32_e32 v3, v3
.LBB102_1643:
	s_mov_b64 s[0:1], 0
.LBB102_1644:
	s_andn2_b64 vcc, exec, s[0:1]
	s_cbranch_vccnz .LBB102_1650
; %bb.1645:
	s_cmp_gt_i32 s28, 0
	s_cbranch_scc0 .LBB102_1647
; %bb.1646:
	global_load_sbyte v3, v[0:1], off
	s_mov_b64 s[0:1], 0
	s_waitcnt vmcnt(0)
	v_cvt_f32_i32_e32 v3, v3
	s_branch .LBB102_1648
.LBB102_1647:
	s_mov_b64 s[0:1], -1
                                        ; implicit-def: $vgpr3
.LBB102_1648:
	s_andn2_b64 vcc, exec, s[0:1]
	s_cbranch_vccnz .LBB102_1650
; %bb.1649:
	global_load_ubyte v0, v[0:1], off
	s_waitcnt vmcnt(0)
	v_cvt_f32_ubyte0_e32 v3, v0
.LBB102_1650:
	s_mov_b64 s[22:23], -1
.LBB102_1651:
	s_andn2_b64 vcc, exec, s[22:23]
	s_cbranch_vccnz .LBB102_1656
; %bb.1652:
	s_cmp_lt_i32 s14, 1
	s_mov_b64 s[0:1], 0
	s_cbranch_scc1 .LBB102_1702
; %bb.1653:
	s_cmp_gt_i32 s14, 1
	s_cbranch_scc0 .LBB102_1703
; %bb.1654:
	s_cmp_eq_u32 s14, 2
	s_cbranch_scc0 .LBB102_1704
; %bb.1655:
	s_waitcnt vmcnt(0)
	v_cmp_ge_f32_e64 s[22:23], s15, v3
	s_mov_b64 s[10:11], 0
	s_branch .LBB102_1705
.LBB102_1656:
	s_mov_b64 s[0:1], 0
                                        ; implicit-def: $sgpr22_sgpr23
.LBB102_1657:
	s_mov_b64 s[2:3], 0
                                        ; implicit-def: $sgpr28
                                        ; implicit-def: $vgpr0_vgpr1
.LBB102_1658:
	s_andn2_b64 s[6:7], s[6:7], exec
	s_and_b64 s[8:9], s[16:17], exec
	s_and_b64 s[0:1], s[0:1], exec
	;; [unrolled: 1-line block ×3, first 2 shown]
	s_or_b64 s[6:7], s[6:7], s[8:9]
.LBB102_1659:
	s_or_b64 exec, exec, s[4:5]
	s_and_saveexec_b64 s[4:5], s[6:7]
	s_cbranch_execz .LBB102_1662
; %bb.1660:
	; divergent unreachable
	s_or_b64 exec, exec, s[4:5]
	s_and_saveexec_b64 s[4:5], s[2:3]
	s_xor_b64 s[2:3], exec, s[4:5]
	s_cbranch_execnz .LBB102_1663
.LBB102_1661:
	s_or_b64 exec, exec, s[2:3]
	s_and_saveexec_b64 s[2:3], s[0:1]
	s_cbranch_execnz .LBB102_1664
	s_branch .LBB102_1701
.LBB102_1662:
	s_or_b64 exec, exec, s[4:5]
	s_and_saveexec_b64 s[4:5], s[2:3]
	s_xor_b64 s[2:3], exec, s[4:5]
	s_cbranch_execz .LBB102_1661
.LBB102_1663:
	v_cndmask_b32_e64 v2, 0, 1, s[22:23]
	global_store_byte v[0:1], v2, off
	s_or_b64 exec, exec, s[2:3]
	s_and_saveexec_b64 s[2:3], s[0:1]
	s_cbranch_execz .LBB102_1701
.LBB102_1664:
	s_sext_i32_i16 s2, s28
	s_cmp_lt_i32 s2, 5
	s_mov_b64 s[0:1], -1
	s_cbranch_scc1 .LBB102_1685
; %bb.1665:
	s_cmp_lt_i32 s2, 8
	s_cbranch_scc1 .LBB102_1675
; %bb.1666:
	s_cmp_lt_i32 s2, 9
	s_cbranch_scc1 .LBB102_1672
; %bb.1667:
	s_cmp_gt_i32 s2, 9
	s_cbranch_scc0 .LBB102_1669
; %bb.1668:
	v_cndmask_b32_e64 v2, 0, 1, s[22:23]
	s_waitcnt vmcnt(0)
	v_cvt_f64_u32_e32 v[2:3], v2
	v_mov_b32_e32 v4, 0
	v_mov_b32_e32 v5, v4
	s_mov_b64 s[0:1], 0
	global_store_dwordx4 v[0:1], v[2:5], off
.LBB102_1669:
	s_andn2_b64 vcc, exec, s[0:1]
	s_cbranch_vccnz .LBB102_1671
; %bb.1670:
	v_cndmask_b32_e64 v2, 0, 1.0, s[22:23]
	s_waitcnt vmcnt(0)
	v_mov_b32_e32 v3, 0
	global_store_dwordx2 v[0:1], v[2:3], off
.LBB102_1671:
	s_mov_b64 s[0:1], 0
.LBB102_1672:
	s_andn2_b64 vcc, exec, s[0:1]
	s_cbranch_vccnz .LBB102_1674
; %bb.1673:
	v_cndmask_b32_e64 v2, 0, 1.0, s[22:23]
	v_cvt_f16_f32_e32 v2, v2
	global_store_dword v[0:1], v2, off
.LBB102_1674:
	s_mov_b64 s[0:1], 0
.LBB102_1675:
	s_andn2_b64 vcc, exec, s[0:1]
	s_cbranch_vccnz .LBB102_1684
; %bb.1676:
	s_sext_i32_i16 s2, s28
	s_cmp_lt_i32 s2, 6
	s_mov_b64 s[0:1], -1
	s_cbranch_scc1 .LBB102_1682
; %bb.1677:
	s_cmp_gt_i32 s2, 6
	s_cbranch_scc0 .LBB102_1679
; %bb.1678:
	v_cndmask_b32_e64 v2, 0, 1, s[22:23]
	s_waitcnt vmcnt(0)
	v_cvt_f64_u32_e32 v[2:3], v2
	s_mov_b64 s[0:1], 0
	global_store_dwordx2 v[0:1], v[2:3], off
.LBB102_1679:
	s_andn2_b64 vcc, exec, s[0:1]
	s_cbranch_vccnz .LBB102_1681
; %bb.1680:
	v_cndmask_b32_e64 v2, 0, 1.0, s[22:23]
	global_store_dword v[0:1], v2, off
.LBB102_1681:
	s_mov_b64 s[0:1], 0
.LBB102_1682:
	s_andn2_b64 vcc, exec, s[0:1]
	s_cbranch_vccnz .LBB102_1684
; %bb.1683:
	v_cndmask_b32_e64 v2, 0, 1.0, s[22:23]
	v_cvt_f16_f32_e32 v2, v2
	global_store_short v[0:1], v2, off
.LBB102_1684:
	s_mov_b64 s[0:1], 0
.LBB102_1685:
	s_andn2_b64 vcc, exec, s[0:1]
	s_cbranch_vccnz .LBB102_1701
; %bb.1686:
	s_sext_i32_i16 s2, s28
	s_cmp_lt_i32 s2, 2
	s_mov_b64 s[0:1], -1
	s_cbranch_scc1 .LBB102_1696
; %bb.1687:
	s_cmp_lt_i32 s2, 3
	s_cbranch_scc1 .LBB102_1693
; %bb.1688:
	s_cmp_gt_i32 s2, 3
	s_cbranch_scc0 .LBB102_1690
; %bb.1689:
	s_mov_b32 s0, 0
	v_cndmask_b32_e64 v2, 0, 1, s[22:23]
	s_waitcnt vmcnt(0)
	v_mov_b32_e32 v3, s0
	global_store_dwordx2 v[0:1], v[2:3], off
	s_mov_b64 s[0:1], 0
.LBB102_1690:
	s_andn2_b64 vcc, exec, s[0:1]
	s_cbranch_vccnz .LBB102_1692
; %bb.1691:
	v_cndmask_b32_e64 v2, 0, 1, s[22:23]
	global_store_dword v[0:1], v2, off
.LBB102_1692:
	s_mov_b64 s[0:1], 0
.LBB102_1693:
	s_andn2_b64 vcc, exec, s[0:1]
	s_cbranch_vccnz .LBB102_1695
; %bb.1694:
	v_cndmask_b32_e64 v2, 0, 1, s[22:23]
	global_store_short v[0:1], v2, off
.LBB102_1695:
	s_mov_b64 s[0:1], 0
.LBB102_1696:
	s_andn2_b64 vcc, exec, s[0:1]
	s_cbranch_vccnz .LBB102_1701
; %bb.1697:
	s_sext_i32_i16 s2, s28
	s_mov_b64 s[0:1], -1
	s_cmp_gt_i32 s2, 0
	v_cndmask_b32_e64 v2, 0, 1, s[22:23]
	s_cbranch_scc0 .LBB102_1699
; %bb.1698:
	global_store_byte v[0:1], v2, off
	s_mov_b64 s[0:1], 0
.LBB102_1699:
	s_andn2_b64 vcc, exec, s[0:1]
	s_cbranch_vccnz .LBB102_1701
; %bb.1700:
	global_store_byte v[0:1], v2, off
	s_endpgm
.LBB102_1701:
	s_endpgm
.LBB102_1702:
	s_mov_b64 s[24:25], -1
                                        ; implicit-def: $sgpr22_sgpr23
	s_mov_b64 s[10:11], 0
	s_branch .LBB102_1709
.LBB102_1703:
	s_mov_b64 s[24:25], -1
	s_mov_b64 s[10:11], 0
                                        ; implicit-def: $sgpr22_sgpr23
	s_branch .LBB102_1706
.LBB102_1704:
	s_mov_b64 s[10:11], -1
                                        ; implicit-def: $sgpr22_sgpr23
.LBB102_1705:
	s_mov_b64 s[24:25], 0
.LBB102_1706:
	s_and_b64 vcc, exec, s[24:25]
	s_cbranch_vccz .LBB102_1708
; %bb.1707:
	s_waitcnt vmcnt(0)
	v_cmp_lt_f32_e32 vcc, s15, v3
	s_andn2_b64 s[22:23], s[22:23], exec
	s_and_b64 s[24:25], vcc, exec
	s_or_b64 s[22:23], s[22:23], s[24:25]
.LBB102_1708:
	s_mov_b64 s[24:25], 0
.LBB102_1709:
	s_and_b64 vcc, exec, s[24:25]
	s_cbranch_vccz .LBB102_1791
; %bb.1710:
	s_cmp_lg_u32 s14, 0
	s_mov_b64 s[0:1], -1
	s_cselect_b64 s[10:11], -1, 0
	s_andn2_b64 vcc, exec, s[10:11]
	s_cbranch_vccz .LBB102_1792
.LBB102_1711:
	s_andn2_b64 vcc, exec, s[0:1]
	s_cbranch_vccnz .LBB102_1713
.LBB102_1712:
	s_waitcnt vmcnt(0)
	v_cmp_le_f32_e32 vcc, s15, v3
	s_andn2_b64 s[0:1], s[22:23], exec
	s_and_b64 s[10:11], vcc, exec
	s_or_b64 s[22:23], s[0:1], s[10:11]
.LBB102_1713:
	v_mul_lo_u32 v2, s12, v2
	v_mov_b32_e32 v1, s9
	s_and_b32 s28, s33, 0xff
	s_cmp_lt_i32 s28, 11
	s_waitcnt vmcnt(0)
	v_ashrrev_i32_e32 v3, 31, v2
	v_add_co_u32_e32 v0, vcc, s8, v2
	v_addc_co_u32_e32 v1, vcc, v1, v3, vcc
	s_cbranch_scc1 .LBB102_1793
; %bb.1714:
	s_and_b32 s13, 0xffff, s28
	s_mov_b64 s[24:25], -1
	s_mov_b64 s[10:11], 0
	s_cmp_gt_i32 s13, 25
	s_mov_b64 s[14:15], 0
	s_mov_b64 s[0:1], 0
	s_cbranch_scc0 .LBB102_1747
; %bb.1715:
	s_cmp_gt_i32 s13, 28
	s_cbranch_scc0 .LBB102_1730
; %bb.1716:
	s_cmp_gt_i32 s13, 43
	;; [unrolled: 3-line block ×3, first 2 shown]
	s_cbranch_scc0 .LBB102_1720
; %bb.1718:
	s_mov_b64 s[0:1], -1
	s_mov_b64 s[24:25], 0
	s_cmp_eq_u32 s13, 46
	s_cbranch_scc0 .LBB102_1720
; %bb.1719:
	v_cndmask_b32_e64 v3, 0, 1.0, s[2:3]
	v_bfe_u32 v4, v3, 16, 1
	s_movk_i32 s0, 0x7fff
	v_add3_u32 v3, v3, v4, s0
	v_lshrrev_b32_e32 v3, 16, v3
	global_store_dword v[0:1], v3, off
	s_mov_b64 s[0:1], 0
	s_mov_b64 s[14:15], -1
.LBB102_1720:
	s_and_b64 vcc, exec, s[24:25]
	s_cbranch_vccz .LBB102_1725
; %bb.1721:
	s_cmp_eq_u32 s13, 44
	s_mov_b64 s[0:1], -1
	s_cbranch_scc0 .LBB102_1725
; %bb.1722:
	v_cndmask_b32_e64 v4, 0, 1.0, s[2:3]
	v_lshrrev_b32_e32 v3, 23, v4
	s_movk_i32 s0, 0xff
	v_cmp_ne_u32_e32 vcc, s0, v3
	v_mov_b32_e32 v5, 0xff
	s_and_saveexec_b64 s[14:15], vcc
; %bb.1723:
	s_mov_b32 s0, 0x3fffff
	v_and_b32_e32 v5, 0x400000, v4
	v_and_or_b32 v4, v4, s0, v3
	v_cmp_ne_u32_e32 vcc, 0, v5
	v_cmp_ne_u32_e64 s[0:1], 0, v4
	s_and_b64 s[0:1], vcc, s[0:1]
	v_cndmask_b32_e64 v4, 0, 1, s[0:1]
	v_add_u32_e32 v5, v3, v4
; %bb.1724:
	s_or_b64 exec, exec, s[14:15]
	s_mov_b64 s[0:1], 0
	s_mov_b64 s[14:15], -1
	global_store_byte v[0:1], v5, off
.LBB102_1725:
	s_mov_b64 s[24:25], 0
.LBB102_1726:
	s_and_b64 vcc, exec, s[24:25]
	s_cbranch_vccz .LBB102_1729
; %bb.1727:
	s_cmp_eq_u32 s13, 29
	s_mov_b64 s[0:1], -1
	s_cbranch_scc0 .LBB102_1729
; %bb.1728:
	s_mov_b32 s0, 0
	v_cndmask_b32_e64 v3, 0, 1, s[2:3]
	v_mov_b32_e32 v4, s0
	global_store_dwordx2 v[0:1], v[3:4], off
	s_mov_b64 s[0:1], 0
	s_mov_b64 s[14:15], -1
.LBB102_1729:
	s_mov_b64 s[24:25], 0
.LBB102_1730:
	s_and_b64 vcc, exec, s[24:25]
	s_cbranch_vccz .LBB102_1746
; %bb.1731:
	s_cmp_lt_i32 s13, 27
	s_mov_b64 s[14:15], -1
	s_cbranch_scc1 .LBB102_1737
; %bb.1732:
	s_cmp_gt_i32 s13, 27
	s_cbranch_scc0 .LBB102_1734
; %bb.1733:
	v_cndmask_b32_e64 v3, 0, 1, s[2:3]
	s_mov_b64 s[14:15], 0
	global_store_dword v[0:1], v3, off
.LBB102_1734:
	s_andn2_b64 vcc, exec, s[14:15]
	s_cbranch_vccnz .LBB102_1736
; %bb.1735:
	v_cndmask_b32_e64 v3, 0, 1, s[2:3]
	global_store_short v[0:1], v3, off
.LBB102_1736:
	s_mov_b64 s[14:15], 0
.LBB102_1737:
	s_andn2_b64 vcc, exec, s[14:15]
	s_cbranch_vccnz .LBB102_1745
; %bb.1738:
	v_cndmask_b32_e64 v4, 0, 1.0, s[2:3]
	s_mov_b32 s14, 0x43800000
	v_cmp_gt_u32_e32 vcc, s14, v4
	v_mov_b32_e32 v5, 0x80
	s_and_saveexec_b64 s[14:15], vcc
	s_cbranch_execz .LBB102_1744
; %bb.1739:
	s_mov_b32 s24, 0x3bffffff
	v_cmp_lt_u32_e32 vcc, s24, v4
	s_mov_b64 s[24:25], 0
                                        ; implicit-def: $vgpr3
	s_and_saveexec_b64 s[26:27], vcc
	s_xor_b64 s[26:27], exec, s[26:27]
	s_cbranch_execz .LBB102_2151
; %bb.1740:
	v_bfe_u32 v3, v4, 20, 1
	s_mov_b32 s29, 0x487ffff
	v_add3_u32 v3, v4, v3, s29
	s_mov_b64 s[24:25], exec
	v_lshrrev_b32_e32 v3, 20, v3
                                        ; implicit-def: $vgpr4
	s_andn2_saveexec_b64 s[26:27], s[26:27]
	s_cbranch_execnz .LBB102_2152
.LBB102_1741:
	s_or_b64 exec, exec, s[26:27]
	v_mov_b32_e32 v5, 0
	s_and_saveexec_b64 s[26:27], s[24:25]
.LBB102_1742:
	v_mov_b32_e32 v5, v3
.LBB102_1743:
	s_or_b64 exec, exec, s[26:27]
.LBB102_1744:
	s_or_b64 exec, exec, s[14:15]
	global_store_byte v[0:1], v5, off
.LBB102_1745:
	s_mov_b64 s[14:15], -1
.LBB102_1746:
	s_mov_b64 s[24:25], 0
.LBB102_1747:
	s_and_b64 vcc, exec, s[24:25]
	s_cbranch_vccz .LBB102_1787
; %bb.1748:
	s_cmp_gt_i32 s13, 22
	s_mov_b64 s[10:11], -1
	s_cbranch_scc0 .LBB102_1780
; %bb.1749:
	s_cmp_lt_i32 s13, 24
	s_cbranch_scc1 .LBB102_1769
; %bb.1750:
	s_cmp_gt_i32 s13, 24
	s_cbranch_scc0 .LBB102_1758
; %bb.1751:
	v_cndmask_b32_e64 v4, 0, 1.0, s[2:3]
	s_mov_b32 s10, 0x47800000
	v_cmp_gt_u32_e32 vcc, s10, v4
	v_mov_b32_e32 v5, 0x80
	s_and_saveexec_b64 s[10:11], vcc
	s_cbranch_execz .LBB102_1757
; %bb.1752:
	s_mov_b32 s14, 0x37ffffff
	v_cmp_lt_u32_e32 vcc, s14, v4
	s_mov_b64 s[14:15], 0
                                        ; implicit-def: $vgpr3
	s_and_saveexec_b64 s[24:25], vcc
	s_xor_b64 s[24:25], exec, s[24:25]
	s_cbranch_execz .LBB102_2154
; %bb.1753:
	v_bfe_u32 v3, v4, 21, 1
	s_mov_b32 s26, 0x88fffff
	v_add3_u32 v3, v4, v3, s26
	s_mov_b64 s[14:15], exec
	v_lshrrev_b32_e32 v3, 21, v3
                                        ; implicit-def: $vgpr4
	s_andn2_saveexec_b64 s[24:25], s[24:25]
	s_cbranch_execnz .LBB102_2155
.LBB102_1754:
	s_or_b64 exec, exec, s[24:25]
	v_mov_b32_e32 v5, 0
	s_and_saveexec_b64 s[24:25], s[14:15]
.LBB102_1755:
	v_mov_b32_e32 v5, v3
.LBB102_1756:
	s_or_b64 exec, exec, s[24:25]
.LBB102_1757:
	s_or_b64 exec, exec, s[10:11]
	s_mov_b64 s[10:11], 0
	global_store_byte v[0:1], v5, off
.LBB102_1758:
	s_and_b64 vcc, exec, s[10:11]
	s_cbranch_vccz .LBB102_1768
; %bb.1759:
	v_cndmask_b32_e64 v3, 0, 1.0, s[2:3]
	s_mov_b32 s10, 0x43f00000
	v_cmp_gt_u32_e32 vcc, s10, v3
                                        ; implicit-def: $vgpr4
	s_and_saveexec_b64 s[10:11], vcc
	s_xor_b64 s[10:11], exec, s[10:11]
	s_cbranch_execz .LBB102_1765
; %bb.1760:
	s_mov_b32 s14, 0x3c7fffff
	v_cmp_lt_u32_e32 vcc, s14, v3
                                        ; implicit-def: $vgpr4
	s_and_saveexec_b64 s[14:15], vcc
	s_xor_b64 s[14:15], exec, s[14:15]
; %bb.1761:
	v_bfe_u32 v4, v3, 20, 1
	s_mov_b32 s24, 0x407ffff
	v_add3_u32 v3, v3, v4, s24
	v_lshrrev_b32_e32 v4, 20, v3
	v_and_b32_e32 v3, 0xff00000, v3
	s_mov_b32 s24, 0x7f00000
	v_mov_b32_e32 v5, 0x7e
	v_cmp_ne_u32_e32 vcc, s24, v3
	v_cndmask_b32_e32 v4, v5, v4, vcc
                                        ; implicit-def: $vgpr3
; %bb.1762:
	s_andn2_saveexec_b64 s[14:15], s[14:15]
; %bb.1763:
	v_add_f32_e32 v4, 0x46800000, v3
; %bb.1764:
	s_or_b64 exec, exec, s[14:15]
                                        ; implicit-def: $vgpr3
.LBB102_1765:
	s_andn2_saveexec_b64 s[10:11], s[10:11]
; %bb.1766:
	s_mov_b32 s14, 0x7f800000
	v_mov_b32_e32 v4, 0x7e
	v_mov_b32_e32 v5, 0x7f
	v_cmp_lt_u32_e32 vcc, s14, v3
	v_cndmask_b32_e32 v4, v4, v5, vcc
; %bb.1767:
	s_or_b64 exec, exec, s[10:11]
	global_store_byte v[0:1], v4, off
.LBB102_1768:
	s_mov_b64 s[10:11], 0
.LBB102_1769:
	s_andn2_b64 vcc, exec, s[10:11]
	s_cbranch_vccnz .LBB102_1779
; %bb.1770:
	v_cndmask_b32_e64 v3, 0, 1.0, s[2:3]
	s_mov_b32 s10, 0x47800000
	v_cmp_gt_u32_e32 vcc, s10, v3
                                        ; implicit-def: $vgpr4
	s_and_saveexec_b64 s[10:11], vcc
	s_xor_b64 s[10:11], exec, s[10:11]
	s_cbranch_execz .LBB102_1776
; %bb.1771:
	s_mov_b32 s14, 0x387fffff
	v_cmp_lt_u32_e32 vcc, s14, v3
                                        ; implicit-def: $vgpr4
	s_and_saveexec_b64 s[14:15], vcc
	s_xor_b64 s[14:15], exec, s[14:15]
; %bb.1772:
	v_bfe_u32 v4, v3, 21, 1
	s_mov_b32 s24, 0x80fffff
	v_add3_u32 v3, v3, v4, s24
	v_lshrrev_b32_e32 v4, 21, v3
                                        ; implicit-def: $vgpr3
; %bb.1773:
	s_andn2_saveexec_b64 s[14:15], s[14:15]
; %bb.1774:
	v_add_f32_e32 v4, 0x43000000, v3
; %bb.1775:
	s_or_b64 exec, exec, s[14:15]
                                        ; implicit-def: $vgpr3
.LBB102_1776:
	s_andn2_saveexec_b64 s[10:11], s[10:11]
; %bb.1777:
	s_mov_b32 s14, 0x7f800000
	v_mov_b32_e32 v4, 0x7c
	v_mov_b32_e32 v5, 0x7f
	v_cmp_lt_u32_e32 vcc, s14, v3
	v_cndmask_b32_e32 v4, v4, v5, vcc
; %bb.1778:
	s_or_b64 exec, exec, s[10:11]
	global_store_byte v[0:1], v4, off
.LBB102_1779:
	s_mov_b64 s[10:11], 0
	s_mov_b64 s[14:15], -1
.LBB102_1780:
	s_andn2_b64 vcc, exec, s[10:11]
	s_mov_b64 s[10:11], 0
	s_cbranch_vccnz .LBB102_1787
; %bb.1781:
	s_cmp_gt_i32 s13, 14
	s_mov_b64 s[24:25], -1
	s_cbranch_scc0 .LBB102_1785
; %bb.1782:
	s_cmp_eq_u32 s13, 15
	s_mov_b64 s[0:1], -1
	s_cbranch_scc0 .LBB102_1784
; %bb.1783:
	v_cndmask_b32_e64 v3, 0, 1.0, s[2:3]
	v_bfe_u32 v4, v3, 16, 1
	s_movk_i32 s0, 0x7fff
	v_add3_u32 v3, v3, v4, s0
	global_store_short_d16_hi v[0:1], v3, off
	s_mov_b64 s[0:1], 0
	s_mov_b64 s[14:15], -1
.LBB102_1784:
	s_mov_b64 s[24:25], 0
.LBB102_1785:
	s_and_b64 vcc, exec, s[24:25]
	s_cbranch_vccz .LBB102_1787
; %bb.1786:
	s_cmp_lg_u32 s13, 11
	s_mov_b64 s[10:11], -1
	s_cselect_b64 s[0:1], -1, 0
.LBB102_1787:
	s_and_b64 vcc, exec, s[0:1]
	s_cbranch_vccnz .LBB102_2153
; %bb.1788:
	s_andn2_b64 vcc, exec, s[10:11]
	s_cbranch_vccnz .LBB102_1790
.LBB102_1789:
	v_cndmask_b32_e64 v3, 0, 1, s[2:3]
	s_mov_b64 s[14:15], -1
	global_store_byte v[0:1], v3, off
.LBB102_1790:
	s_mov_b64 s[0:1], 0
	s_branch .LBB102_1794
.LBB102_1791:
	s_andn2_b64 vcc, exec, s[10:11]
	s_cbranch_vccnz .LBB102_1711
.LBB102_1792:
	s_waitcnt vmcnt(0)
	v_cmp_gt_f32_e32 vcc, s15, v3
	s_andn2_b64 s[10:11], s[22:23], exec
	s_and_b64 s[22:23], vcc, exec
	s_or_b64 s[22:23], s[10:11], s[22:23]
	s_cbranch_execz .LBB102_1712
	s_branch .LBB102_1713
.LBB102_1793:
	s_mov_b64 s[0:1], -1
	s_mov_b64 s[14:15], 0
.LBB102_1794:
	s_and_b64 vcc, exec, s[0:1]
	s_cbranch_vccz .LBB102_1833
; %bb.1795:
	s_and_b32 s10, 0xffff, s28
	s_cmp_lt_i32 s10, 5
	s_mov_b64 s[0:1], -1
	s_cbranch_scc1 .LBB102_1816
; %bb.1796:
	s_cmp_lt_i32 s10, 8
	s_cbranch_scc1 .LBB102_1806
; %bb.1797:
	s_cmp_lt_i32 s10, 9
	s_cbranch_scc1 .LBB102_1803
; %bb.1798:
	s_cmp_gt_i32 s10, 9
	s_cbranch_scc0 .LBB102_1800
; %bb.1799:
	v_cndmask_b32_e64 v3, 0, 1, s[2:3]
	v_cvt_f64_u32_e32 v[3:4], v3
	v_mov_b32_e32 v5, 0
	v_mov_b32_e32 v6, v5
	s_mov_b64 s[0:1], 0
	global_store_dwordx4 v[0:1], v[3:6], off
.LBB102_1800:
	s_andn2_b64 vcc, exec, s[0:1]
	s_cbranch_vccnz .LBB102_1802
; %bb.1801:
	v_cndmask_b32_e64 v3, 0, 1.0, s[2:3]
	v_mov_b32_e32 v4, 0
	global_store_dwordx2 v[0:1], v[3:4], off
.LBB102_1802:
	s_mov_b64 s[0:1], 0
.LBB102_1803:
	s_andn2_b64 vcc, exec, s[0:1]
	s_cbranch_vccnz .LBB102_1805
; %bb.1804:
	v_cndmask_b32_e64 v3, 0, 1.0, s[2:3]
	v_cvt_f16_f32_e32 v3, v3
	global_store_dword v[0:1], v3, off
.LBB102_1805:
	s_mov_b64 s[0:1], 0
.LBB102_1806:
	s_andn2_b64 vcc, exec, s[0:1]
	s_cbranch_vccnz .LBB102_1815
; %bb.1807:
	s_cmp_lt_i32 s10, 6
	s_mov_b64 s[0:1], -1
	s_cbranch_scc1 .LBB102_1813
; %bb.1808:
	s_cmp_gt_i32 s10, 6
	s_cbranch_scc0 .LBB102_1810
; %bb.1809:
	v_cndmask_b32_e64 v3, 0, 1, s[2:3]
	v_cvt_f64_u32_e32 v[3:4], v3
	s_mov_b64 s[0:1], 0
	global_store_dwordx2 v[0:1], v[3:4], off
.LBB102_1810:
	s_andn2_b64 vcc, exec, s[0:1]
	s_cbranch_vccnz .LBB102_1812
; %bb.1811:
	v_cndmask_b32_e64 v3, 0, 1.0, s[2:3]
	global_store_dword v[0:1], v3, off
.LBB102_1812:
	s_mov_b64 s[0:1], 0
.LBB102_1813:
	s_andn2_b64 vcc, exec, s[0:1]
	s_cbranch_vccnz .LBB102_1815
; %bb.1814:
	v_cndmask_b32_e64 v3, 0, 1.0, s[2:3]
	v_cvt_f16_f32_e32 v3, v3
	global_store_short v[0:1], v3, off
.LBB102_1815:
	s_mov_b64 s[0:1], 0
.LBB102_1816:
	s_andn2_b64 vcc, exec, s[0:1]
	s_cbranch_vccnz .LBB102_1832
; %bb.1817:
	s_cmp_lt_i32 s10, 2
	s_mov_b64 s[0:1], -1
	s_cbranch_scc1 .LBB102_1827
; %bb.1818:
	s_cmp_lt_i32 s10, 3
	s_cbranch_scc1 .LBB102_1824
; %bb.1819:
	s_cmp_gt_i32 s10, 3
	s_cbranch_scc0 .LBB102_1821
; %bb.1820:
	s_mov_b32 s0, 0
	v_cndmask_b32_e64 v3, 0, 1, s[2:3]
	v_mov_b32_e32 v4, s0
	global_store_dwordx2 v[0:1], v[3:4], off
	s_mov_b64 s[0:1], 0
.LBB102_1821:
	s_andn2_b64 vcc, exec, s[0:1]
	s_cbranch_vccnz .LBB102_1823
; %bb.1822:
	v_cndmask_b32_e64 v3, 0, 1, s[2:3]
	global_store_dword v[0:1], v3, off
.LBB102_1823:
	s_mov_b64 s[0:1], 0
.LBB102_1824:
	s_andn2_b64 vcc, exec, s[0:1]
	s_cbranch_vccnz .LBB102_1826
; %bb.1825:
	v_cndmask_b32_e64 v3, 0, 1, s[2:3]
	global_store_short v[0:1], v3, off
.LBB102_1826:
	s_mov_b64 s[0:1], 0
.LBB102_1827:
	s_andn2_b64 vcc, exec, s[0:1]
	s_cbranch_vccnz .LBB102_1832
; %bb.1828:
	s_mov_b64 s[0:1], -1
	s_cmp_gt_i32 s10, 0
	v_cndmask_b32_e64 v3, 0, 1, s[2:3]
	s_cbranch_scc0 .LBB102_1830
; %bb.1829:
	global_store_byte v[0:1], v3, off
	s_mov_b64 s[0:1], 0
.LBB102_1830:
	s_andn2_b64 vcc, exec, s[0:1]
	s_cbranch_vccnz .LBB102_1832
; %bb.1831:
	global_store_byte v[0:1], v3, off
.LBB102_1832:
	s_mov_b64 s[14:15], -1
.LBB102_1833:
	s_andn2_b64 vcc, exec, s[14:15]
	s_cbranch_vccnz .LBB102_2148
; %bb.1834:
	s_lshl_b32 s24, s12, 7
	v_add_u32_e32 v2, s24, v2
	v_ashrrev_i32_e32 v1, 31, v2
	v_mov_b32_e32 v3, s9
	v_add_co_u32_e32 v0, vcc, s8, v2
	s_cmp_lt_i32 s28, 11
	v_addc_co_u32_e32 v1, vcc, v3, v1, vcc
	s_cbranch_scc1 .LBB102_1912
; %bb.1835:
	s_and_b32 s25, 0xffff, s28
	s_mov_b64 s[12:13], -1
	s_mov_b64 s[2:3], 0
	s_cmp_gt_i32 s25, 25
	s_mov_b64 s[10:11], 0
	s_mov_b64 s[0:1], 0
	s_cbranch_scc0 .LBB102_1868
; %bb.1836:
	s_cmp_gt_i32 s25, 28
	s_cbranch_scc0 .LBB102_1851
; %bb.1837:
	s_cmp_gt_i32 s25, 43
	;; [unrolled: 3-line block ×3, first 2 shown]
	s_cbranch_scc0 .LBB102_1841
; %bb.1839:
	s_mov_b64 s[0:1], -1
	s_mov_b64 s[12:13], 0
	s_cmp_eq_u32 s25, 46
	s_cbranch_scc0 .LBB102_1841
; %bb.1840:
	v_cndmask_b32_e64 v3, 0, 1.0, s[18:19]
	v_bfe_u32 v4, v3, 16, 1
	s_movk_i32 s0, 0x7fff
	v_add3_u32 v3, v3, v4, s0
	v_lshrrev_b32_e32 v3, 16, v3
	global_store_dword v[0:1], v3, off
	s_mov_b64 s[0:1], 0
	s_mov_b64 s[10:11], -1
.LBB102_1841:
	s_and_b64 vcc, exec, s[12:13]
	s_cbranch_vccz .LBB102_1846
; %bb.1842:
	s_cmp_eq_u32 s25, 44
	s_mov_b64 s[0:1], -1
	s_cbranch_scc0 .LBB102_1846
; %bb.1843:
	v_cndmask_b32_e64 v4, 0, 1.0, s[18:19]
	v_lshrrev_b32_e32 v3, 23, v4
	s_movk_i32 s0, 0xff
	v_cmp_ne_u32_e32 vcc, s0, v3
	v_mov_b32_e32 v5, 0xff
	s_and_saveexec_b64 s[10:11], vcc
; %bb.1844:
	s_mov_b32 s0, 0x3fffff
	v_and_b32_e32 v5, 0x400000, v4
	v_and_or_b32 v4, v4, s0, v3
	v_cmp_ne_u32_e32 vcc, 0, v5
	v_cmp_ne_u32_e64 s[0:1], 0, v4
	s_and_b64 s[0:1], vcc, s[0:1]
	v_cndmask_b32_e64 v4, 0, 1, s[0:1]
	v_add_u32_e32 v5, v3, v4
; %bb.1845:
	s_or_b64 exec, exec, s[10:11]
	s_mov_b64 s[0:1], 0
	s_mov_b64 s[10:11], -1
	global_store_byte v[0:1], v5, off
.LBB102_1846:
	s_mov_b64 s[12:13], 0
.LBB102_1847:
	s_and_b64 vcc, exec, s[12:13]
	s_cbranch_vccz .LBB102_1850
; %bb.1848:
	s_cmp_eq_u32 s25, 29
	s_mov_b64 s[0:1], -1
	s_cbranch_scc0 .LBB102_1850
; %bb.1849:
	s_mov_b32 s0, 0
	v_cndmask_b32_e64 v3, 0, 1, s[18:19]
	v_mov_b32_e32 v4, s0
	global_store_dwordx2 v[0:1], v[3:4], off
	s_mov_b64 s[0:1], 0
	s_mov_b64 s[10:11], -1
.LBB102_1850:
	s_mov_b64 s[12:13], 0
.LBB102_1851:
	s_and_b64 vcc, exec, s[12:13]
	s_cbranch_vccz .LBB102_1867
; %bb.1852:
	s_cmp_lt_i32 s25, 27
	s_mov_b64 s[10:11], -1
	s_cbranch_scc1 .LBB102_1858
; %bb.1853:
	s_cmp_gt_i32 s25, 27
	s_cbranch_scc0 .LBB102_1855
; %bb.1854:
	v_cndmask_b32_e64 v3, 0, 1, s[18:19]
	s_mov_b64 s[10:11], 0
	global_store_dword v[0:1], v3, off
.LBB102_1855:
	s_andn2_b64 vcc, exec, s[10:11]
	s_cbranch_vccnz .LBB102_1857
; %bb.1856:
	v_cndmask_b32_e64 v3, 0, 1, s[18:19]
	global_store_short v[0:1], v3, off
.LBB102_1857:
	s_mov_b64 s[10:11], 0
.LBB102_1858:
	s_andn2_b64 vcc, exec, s[10:11]
	s_cbranch_vccnz .LBB102_1866
; %bb.1859:
	v_cndmask_b32_e64 v4, 0, 1.0, s[18:19]
	s_mov_b32 s10, 0x43800000
	v_cmp_gt_u32_e32 vcc, s10, v4
	v_mov_b32_e32 v5, 0x80
	s_and_saveexec_b64 s[10:11], vcc
	s_cbranch_execz .LBB102_1865
; %bb.1860:
	s_mov_b32 s12, 0x3bffffff
	v_cmp_lt_u32_e32 vcc, s12, v4
	s_mov_b64 s[12:13], 0
                                        ; implicit-def: $vgpr3
	s_and_saveexec_b64 s[14:15], vcc
	s_xor_b64 s[14:15], exec, s[14:15]
	s_cbranch_execz .LBB102_2156
; %bb.1861:
	v_bfe_u32 v3, v4, 20, 1
	s_mov_b32 s26, 0x487ffff
	v_add3_u32 v3, v4, v3, s26
	s_mov_b64 s[12:13], exec
	v_lshrrev_b32_e32 v3, 20, v3
                                        ; implicit-def: $vgpr4
	s_andn2_saveexec_b64 s[14:15], s[14:15]
	s_cbranch_execnz .LBB102_2157
.LBB102_1862:
	s_or_b64 exec, exec, s[14:15]
	v_mov_b32_e32 v5, 0
	s_and_saveexec_b64 s[14:15], s[12:13]
.LBB102_1863:
	v_mov_b32_e32 v5, v3
.LBB102_1864:
	s_or_b64 exec, exec, s[14:15]
.LBB102_1865:
	s_or_b64 exec, exec, s[10:11]
	global_store_byte v[0:1], v5, off
.LBB102_1866:
	s_mov_b64 s[10:11], -1
.LBB102_1867:
	s_mov_b64 s[12:13], 0
.LBB102_1868:
	s_and_b64 vcc, exec, s[12:13]
	s_cbranch_vccz .LBB102_1908
; %bb.1869:
	s_cmp_gt_i32 s25, 22
	s_mov_b64 s[2:3], -1
	s_cbranch_scc0 .LBB102_1901
; %bb.1870:
	s_cmp_lt_i32 s25, 24
	s_cbranch_scc1 .LBB102_1890
; %bb.1871:
	s_cmp_gt_i32 s25, 24
	s_cbranch_scc0 .LBB102_1879
; %bb.1872:
	v_cndmask_b32_e64 v4, 0, 1.0, s[18:19]
	s_mov_b32 s2, 0x47800000
	v_cmp_gt_u32_e32 vcc, s2, v4
	v_mov_b32_e32 v5, 0x80
	s_and_saveexec_b64 s[2:3], vcc
	s_cbranch_execz .LBB102_1878
; %bb.1873:
	s_mov_b32 s10, 0x37ffffff
	v_cmp_lt_u32_e32 vcc, s10, v4
	s_mov_b64 s[10:11], 0
                                        ; implicit-def: $vgpr3
	s_and_saveexec_b64 s[12:13], vcc
	s_xor_b64 s[12:13], exec, s[12:13]
	s_cbranch_execz .LBB102_2159
; %bb.1874:
	v_bfe_u32 v3, v4, 21, 1
	s_mov_b32 s14, 0x88fffff
	v_add3_u32 v3, v4, v3, s14
	s_mov_b64 s[10:11], exec
	v_lshrrev_b32_e32 v3, 21, v3
                                        ; implicit-def: $vgpr4
	s_andn2_saveexec_b64 s[12:13], s[12:13]
	s_cbranch_execnz .LBB102_2160
.LBB102_1875:
	s_or_b64 exec, exec, s[12:13]
	v_mov_b32_e32 v5, 0
	s_and_saveexec_b64 s[12:13], s[10:11]
.LBB102_1876:
	v_mov_b32_e32 v5, v3
.LBB102_1877:
	s_or_b64 exec, exec, s[12:13]
.LBB102_1878:
	s_or_b64 exec, exec, s[2:3]
	s_mov_b64 s[2:3], 0
	global_store_byte v[0:1], v5, off
.LBB102_1879:
	s_and_b64 vcc, exec, s[2:3]
	s_cbranch_vccz .LBB102_1889
; %bb.1880:
	v_cndmask_b32_e64 v3, 0, 1.0, s[18:19]
	s_mov_b32 s2, 0x43f00000
	v_cmp_gt_u32_e32 vcc, s2, v3
                                        ; implicit-def: $vgpr4
	s_and_saveexec_b64 s[2:3], vcc
	s_xor_b64 s[2:3], exec, s[2:3]
	s_cbranch_execz .LBB102_1886
; %bb.1881:
	s_mov_b32 s10, 0x3c7fffff
	v_cmp_lt_u32_e32 vcc, s10, v3
                                        ; implicit-def: $vgpr4
	s_and_saveexec_b64 s[10:11], vcc
	s_xor_b64 s[10:11], exec, s[10:11]
; %bb.1882:
	v_bfe_u32 v4, v3, 20, 1
	s_mov_b32 s12, 0x407ffff
	v_add3_u32 v3, v3, v4, s12
	v_lshrrev_b32_e32 v4, 20, v3
	v_and_b32_e32 v3, 0xff00000, v3
	s_mov_b32 s12, 0x7f00000
	v_mov_b32_e32 v5, 0x7e
	v_cmp_ne_u32_e32 vcc, s12, v3
	v_cndmask_b32_e32 v4, v5, v4, vcc
                                        ; implicit-def: $vgpr3
; %bb.1883:
	s_andn2_saveexec_b64 s[10:11], s[10:11]
; %bb.1884:
	v_add_f32_e32 v4, 0x46800000, v3
; %bb.1885:
	s_or_b64 exec, exec, s[10:11]
                                        ; implicit-def: $vgpr3
.LBB102_1886:
	s_andn2_saveexec_b64 s[2:3], s[2:3]
; %bb.1887:
	s_mov_b32 s10, 0x7f800000
	v_mov_b32_e32 v4, 0x7e
	v_mov_b32_e32 v5, 0x7f
	v_cmp_lt_u32_e32 vcc, s10, v3
	v_cndmask_b32_e32 v4, v4, v5, vcc
; %bb.1888:
	s_or_b64 exec, exec, s[2:3]
	global_store_byte v[0:1], v4, off
.LBB102_1889:
	s_mov_b64 s[2:3], 0
.LBB102_1890:
	s_andn2_b64 vcc, exec, s[2:3]
	s_cbranch_vccnz .LBB102_1900
; %bb.1891:
	v_cndmask_b32_e64 v3, 0, 1.0, s[18:19]
	s_mov_b32 s2, 0x47800000
	v_cmp_gt_u32_e32 vcc, s2, v3
                                        ; implicit-def: $vgpr4
	s_and_saveexec_b64 s[2:3], vcc
	s_xor_b64 s[2:3], exec, s[2:3]
	s_cbranch_execz .LBB102_1897
; %bb.1892:
	s_mov_b32 s10, 0x387fffff
	v_cmp_lt_u32_e32 vcc, s10, v3
                                        ; implicit-def: $vgpr4
	s_and_saveexec_b64 s[10:11], vcc
	s_xor_b64 s[10:11], exec, s[10:11]
; %bb.1893:
	v_bfe_u32 v4, v3, 21, 1
	s_mov_b32 s12, 0x80fffff
	v_add3_u32 v3, v3, v4, s12
	v_lshrrev_b32_e32 v4, 21, v3
                                        ; implicit-def: $vgpr3
; %bb.1894:
	s_andn2_saveexec_b64 s[10:11], s[10:11]
; %bb.1895:
	v_add_f32_e32 v4, 0x43000000, v3
; %bb.1896:
	s_or_b64 exec, exec, s[10:11]
                                        ; implicit-def: $vgpr3
.LBB102_1897:
	s_andn2_saveexec_b64 s[2:3], s[2:3]
; %bb.1898:
	s_mov_b32 s10, 0x7f800000
	v_mov_b32_e32 v4, 0x7c
	v_mov_b32_e32 v5, 0x7f
	v_cmp_lt_u32_e32 vcc, s10, v3
	v_cndmask_b32_e32 v4, v4, v5, vcc
; %bb.1899:
	s_or_b64 exec, exec, s[2:3]
	global_store_byte v[0:1], v4, off
.LBB102_1900:
	s_mov_b64 s[2:3], 0
	s_mov_b64 s[10:11], -1
.LBB102_1901:
	s_andn2_b64 vcc, exec, s[2:3]
	s_mov_b64 s[2:3], 0
	s_cbranch_vccnz .LBB102_1908
; %bb.1902:
	s_cmp_gt_i32 s25, 14
	s_mov_b64 s[12:13], -1
	s_cbranch_scc0 .LBB102_1906
; %bb.1903:
	s_cmp_eq_u32 s25, 15
	s_mov_b64 s[0:1], -1
	s_cbranch_scc0 .LBB102_1905
; %bb.1904:
	v_cndmask_b32_e64 v3, 0, 1.0, s[18:19]
	v_bfe_u32 v4, v3, 16, 1
	s_movk_i32 s0, 0x7fff
	v_add3_u32 v3, v3, v4, s0
	global_store_short_d16_hi v[0:1], v3, off
	s_mov_b64 s[0:1], 0
	s_mov_b64 s[10:11], -1
.LBB102_1905:
	s_mov_b64 s[12:13], 0
.LBB102_1906:
	s_and_b64 vcc, exec, s[12:13]
	s_cbranch_vccz .LBB102_1908
; %bb.1907:
	s_cmp_lg_u32 s25, 11
	s_mov_b64 s[2:3], -1
	s_cselect_b64 s[0:1], -1, 0
.LBB102_1908:
	s_and_b64 vcc, exec, s[0:1]
	s_cbranch_vccnz .LBB102_2158
; %bb.1909:
	s_andn2_b64 vcc, exec, s[2:3]
	s_cbranch_vccnz .LBB102_1911
.LBB102_1910:
	v_cndmask_b32_e64 v3, 0, 1, s[18:19]
	s_mov_b64 s[10:11], -1
	global_store_byte v[0:1], v3, off
.LBB102_1911:
	s_mov_b64 s[0:1], 0
	s_branch .LBB102_1913
.LBB102_1912:
	s_mov_b64 s[0:1], -1
	s_mov_b64 s[10:11], 0
.LBB102_1913:
	s_and_b64 vcc, exec, s[0:1]
	s_cbranch_vccz .LBB102_1952
; %bb.1914:
	s_and_b32 s2, 0xffff, s28
	s_cmp_lt_i32 s2, 5
	s_mov_b64 s[0:1], -1
	s_cbranch_scc1 .LBB102_1935
; %bb.1915:
	s_cmp_lt_i32 s2, 8
	s_cbranch_scc1 .LBB102_1925
; %bb.1916:
	s_cmp_lt_i32 s2, 9
	s_cbranch_scc1 .LBB102_1922
; %bb.1917:
	s_cmp_gt_i32 s2, 9
	s_cbranch_scc0 .LBB102_1919
; %bb.1918:
	v_cndmask_b32_e64 v3, 0, 1, s[18:19]
	v_cvt_f64_u32_e32 v[3:4], v3
	v_mov_b32_e32 v5, 0
	v_mov_b32_e32 v6, v5
	s_mov_b64 s[0:1], 0
	global_store_dwordx4 v[0:1], v[3:6], off
.LBB102_1919:
	s_andn2_b64 vcc, exec, s[0:1]
	s_cbranch_vccnz .LBB102_1921
; %bb.1920:
	v_cndmask_b32_e64 v3, 0, 1.0, s[18:19]
	v_mov_b32_e32 v4, 0
	global_store_dwordx2 v[0:1], v[3:4], off
.LBB102_1921:
	s_mov_b64 s[0:1], 0
.LBB102_1922:
	s_andn2_b64 vcc, exec, s[0:1]
	s_cbranch_vccnz .LBB102_1924
; %bb.1923:
	v_cndmask_b32_e64 v3, 0, 1.0, s[18:19]
	v_cvt_f16_f32_e32 v3, v3
	global_store_dword v[0:1], v3, off
.LBB102_1924:
	s_mov_b64 s[0:1], 0
.LBB102_1925:
	s_andn2_b64 vcc, exec, s[0:1]
	s_cbranch_vccnz .LBB102_1934
; %bb.1926:
	s_cmp_lt_i32 s2, 6
	s_mov_b64 s[0:1], -1
	s_cbranch_scc1 .LBB102_1932
; %bb.1927:
	s_cmp_gt_i32 s2, 6
	s_cbranch_scc0 .LBB102_1929
; %bb.1928:
	v_cndmask_b32_e64 v3, 0, 1, s[18:19]
	v_cvt_f64_u32_e32 v[3:4], v3
	s_mov_b64 s[0:1], 0
	global_store_dwordx2 v[0:1], v[3:4], off
.LBB102_1929:
	s_andn2_b64 vcc, exec, s[0:1]
	s_cbranch_vccnz .LBB102_1931
; %bb.1930:
	v_cndmask_b32_e64 v3, 0, 1.0, s[18:19]
	global_store_dword v[0:1], v3, off
.LBB102_1931:
	s_mov_b64 s[0:1], 0
.LBB102_1932:
	s_andn2_b64 vcc, exec, s[0:1]
	s_cbranch_vccnz .LBB102_1934
; %bb.1933:
	v_cndmask_b32_e64 v3, 0, 1.0, s[18:19]
	v_cvt_f16_f32_e32 v3, v3
	global_store_short v[0:1], v3, off
.LBB102_1934:
	s_mov_b64 s[0:1], 0
.LBB102_1935:
	s_andn2_b64 vcc, exec, s[0:1]
	s_cbranch_vccnz .LBB102_1951
; %bb.1936:
	s_cmp_lt_i32 s2, 2
	s_mov_b64 s[0:1], -1
	s_cbranch_scc1 .LBB102_1946
; %bb.1937:
	s_cmp_lt_i32 s2, 3
	s_cbranch_scc1 .LBB102_1943
; %bb.1938:
	s_cmp_gt_i32 s2, 3
	s_cbranch_scc0 .LBB102_1940
; %bb.1939:
	s_mov_b32 s0, 0
	v_cndmask_b32_e64 v3, 0, 1, s[18:19]
	v_mov_b32_e32 v4, s0
	global_store_dwordx2 v[0:1], v[3:4], off
	s_mov_b64 s[0:1], 0
.LBB102_1940:
	s_andn2_b64 vcc, exec, s[0:1]
	s_cbranch_vccnz .LBB102_1942
; %bb.1941:
	v_cndmask_b32_e64 v3, 0, 1, s[18:19]
	global_store_dword v[0:1], v3, off
.LBB102_1942:
	s_mov_b64 s[0:1], 0
.LBB102_1943:
	s_andn2_b64 vcc, exec, s[0:1]
	s_cbranch_vccnz .LBB102_1945
; %bb.1944:
	v_cndmask_b32_e64 v3, 0, 1, s[18:19]
	global_store_short v[0:1], v3, off
.LBB102_1945:
	s_mov_b64 s[0:1], 0
.LBB102_1946:
	s_andn2_b64 vcc, exec, s[0:1]
	s_cbranch_vccnz .LBB102_1951
; %bb.1947:
	s_mov_b64 s[0:1], -1
	s_cmp_gt_i32 s2, 0
	v_cndmask_b32_e64 v3, 0, 1, s[18:19]
	s_cbranch_scc0 .LBB102_1949
; %bb.1948:
	global_store_byte v[0:1], v3, off
	s_mov_b64 s[0:1], 0
.LBB102_1949:
	s_andn2_b64 vcc, exec, s[0:1]
	s_cbranch_vccnz .LBB102_1951
; %bb.1950:
	global_store_byte v[0:1], v3, off
.LBB102_1951:
	s_mov_b64 s[10:11], -1
.LBB102_1952:
	s_andn2_b64 vcc, exec, s[10:11]
	s_cbranch_vccnz .LBB102_2148
; %bb.1953:
	v_add_u32_e32 v2, s24, v2
	v_ashrrev_i32_e32 v1, 31, v2
	v_mov_b32_e32 v3, s9
	v_add_co_u32_e32 v0, vcc, s8, v2
	s_cmp_lt_i32 s28, 11
	v_addc_co_u32_e32 v1, vcc, v3, v1, vcc
	s_cbranch_scc1 .LBB102_2031
; %bb.1954:
	s_and_b32 s18, 0xffff, s28
	s_mov_b64 s[12:13], -1
	s_mov_b64 s[2:3], 0
	s_cmp_gt_i32 s18, 25
	s_mov_b64 s[10:11], 0
	s_mov_b64 s[0:1], 0
	s_cbranch_scc0 .LBB102_1987
; %bb.1955:
	s_cmp_gt_i32 s18, 28
	s_cbranch_scc0 .LBB102_1970
; %bb.1956:
	s_cmp_gt_i32 s18, 43
	;; [unrolled: 3-line block ×3, first 2 shown]
	s_cbranch_scc0 .LBB102_1960
; %bb.1958:
	s_mov_b64 s[0:1], -1
	s_mov_b64 s[12:13], 0
	s_cmp_eq_u32 s18, 46
	s_cbranch_scc0 .LBB102_1960
; %bb.1959:
	v_cndmask_b32_e64 v3, 0, 1.0, s[20:21]
	v_bfe_u32 v4, v3, 16, 1
	s_movk_i32 s0, 0x7fff
	v_add3_u32 v3, v3, v4, s0
	v_lshrrev_b32_e32 v3, 16, v3
	global_store_dword v[0:1], v3, off
	s_mov_b64 s[0:1], 0
	s_mov_b64 s[10:11], -1
.LBB102_1960:
	s_and_b64 vcc, exec, s[12:13]
	s_cbranch_vccz .LBB102_1965
; %bb.1961:
	s_cmp_eq_u32 s18, 44
	s_mov_b64 s[0:1], -1
	s_cbranch_scc0 .LBB102_1965
; %bb.1962:
	v_cndmask_b32_e64 v4, 0, 1.0, s[20:21]
	v_lshrrev_b32_e32 v3, 23, v4
	s_movk_i32 s0, 0xff
	v_cmp_ne_u32_e32 vcc, s0, v3
	v_mov_b32_e32 v5, 0xff
	s_and_saveexec_b64 s[10:11], vcc
; %bb.1963:
	s_mov_b32 s0, 0x3fffff
	v_and_b32_e32 v5, 0x400000, v4
	v_and_or_b32 v4, v4, s0, v3
	v_cmp_ne_u32_e32 vcc, 0, v5
	v_cmp_ne_u32_e64 s[0:1], 0, v4
	s_and_b64 s[0:1], vcc, s[0:1]
	v_cndmask_b32_e64 v4, 0, 1, s[0:1]
	v_add_u32_e32 v5, v3, v4
; %bb.1964:
	s_or_b64 exec, exec, s[10:11]
	s_mov_b64 s[0:1], 0
	s_mov_b64 s[10:11], -1
	global_store_byte v[0:1], v5, off
.LBB102_1965:
	s_mov_b64 s[12:13], 0
.LBB102_1966:
	s_and_b64 vcc, exec, s[12:13]
	s_cbranch_vccz .LBB102_1969
; %bb.1967:
	s_cmp_eq_u32 s18, 29
	s_mov_b64 s[0:1], -1
	s_cbranch_scc0 .LBB102_1969
; %bb.1968:
	s_mov_b32 s0, 0
	v_cndmask_b32_e64 v3, 0, 1, s[20:21]
	v_mov_b32_e32 v4, s0
	global_store_dwordx2 v[0:1], v[3:4], off
	s_mov_b64 s[0:1], 0
	s_mov_b64 s[10:11], -1
.LBB102_1969:
	s_mov_b64 s[12:13], 0
.LBB102_1970:
	s_and_b64 vcc, exec, s[12:13]
	s_cbranch_vccz .LBB102_1986
; %bb.1971:
	s_cmp_lt_i32 s18, 27
	s_mov_b64 s[10:11], -1
	s_cbranch_scc1 .LBB102_1977
; %bb.1972:
	s_cmp_gt_i32 s18, 27
	s_cbranch_scc0 .LBB102_1974
; %bb.1973:
	v_cndmask_b32_e64 v3, 0, 1, s[20:21]
	s_mov_b64 s[10:11], 0
	global_store_dword v[0:1], v3, off
.LBB102_1974:
	s_andn2_b64 vcc, exec, s[10:11]
	s_cbranch_vccnz .LBB102_1976
; %bb.1975:
	v_cndmask_b32_e64 v3, 0, 1, s[20:21]
	global_store_short v[0:1], v3, off
.LBB102_1976:
	s_mov_b64 s[10:11], 0
.LBB102_1977:
	s_andn2_b64 vcc, exec, s[10:11]
	s_cbranch_vccnz .LBB102_1985
; %bb.1978:
	v_cndmask_b32_e64 v4, 0, 1.0, s[20:21]
	s_mov_b32 s10, 0x43800000
	v_cmp_gt_u32_e32 vcc, s10, v4
	v_mov_b32_e32 v5, 0x80
	s_and_saveexec_b64 s[10:11], vcc
	s_cbranch_execz .LBB102_1984
; %bb.1979:
	s_mov_b32 s12, 0x3bffffff
	v_cmp_lt_u32_e32 vcc, s12, v4
	s_mov_b64 s[12:13], 0
                                        ; implicit-def: $vgpr3
	s_and_saveexec_b64 s[14:15], vcc
	s_xor_b64 s[14:15], exec, s[14:15]
	s_cbranch_execz .LBB102_2161
; %bb.1980:
	v_bfe_u32 v3, v4, 20, 1
	s_mov_b32 s19, 0x487ffff
	v_add3_u32 v3, v4, v3, s19
	s_mov_b64 s[12:13], exec
	v_lshrrev_b32_e32 v3, 20, v3
                                        ; implicit-def: $vgpr4
	s_andn2_saveexec_b64 s[14:15], s[14:15]
	s_cbranch_execnz .LBB102_2162
.LBB102_1981:
	s_or_b64 exec, exec, s[14:15]
	v_mov_b32_e32 v5, 0
	s_and_saveexec_b64 s[14:15], s[12:13]
.LBB102_1982:
	v_mov_b32_e32 v5, v3
.LBB102_1983:
	s_or_b64 exec, exec, s[14:15]
.LBB102_1984:
	s_or_b64 exec, exec, s[10:11]
	global_store_byte v[0:1], v5, off
.LBB102_1985:
	s_mov_b64 s[10:11], -1
.LBB102_1986:
	s_mov_b64 s[12:13], 0
.LBB102_1987:
	s_and_b64 vcc, exec, s[12:13]
	s_cbranch_vccz .LBB102_2027
; %bb.1988:
	s_cmp_gt_i32 s18, 22
	s_mov_b64 s[2:3], -1
	s_cbranch_scc0 .LBB102_2020
; %bb.1989:
	s_cmp_lt_i32 s18, 24
	s_cbranch_scc1 .LBB102_2009
; %bb.1990:
	s_cmp_gt_i32 s18, 24
	s_cbranch_scc0 .LBB102_1998
; %bb.1991:
	v_cndmask_b32_e64 v4, 0, 1.0, s[20:21]
	s_mov_b32 s2, 0x47800000
	v_cmp_gt_u32_e32 vcc, s2, v4
	v_mov_b32_e32 v5, 0x80
	s_and_saveexec_b64 s[2:3], vcc
	s_cbranch_execz .LBB102_1997
; %bb.1992:
	s_mov_b32 s10, 0x37ffffff
	v_cmp_lt_u32_e32 vcc, s10, v4
	s_mov_b64 s[10:11], 0
                                        ; implicit-def: $vgpr3
	s_and_saveexec_b64 s[12:13], vcc
	s_xor_b64 s[12:13], exec, s[12:13]
	s_cbranch_execz .LBB102_2164
; %bb.1993:
	v_bfe_u32 v3, v4, 21, 1
	s_mov_b32 s14, 0x88fffff
	v_add3_u32 v3, v4, v3, s14
	s_mov_b64 s[10:11], exec
	v_lshrrev_b32_e32 v3, 21, v3
                                        ; implicit-def: $vgpr4
	s_andn2_saveexec_b64 s[12:13], s[12:13]
	s_cbranch_execnz .LBB102_2165
.LBB102_1994:
	s_or_b64 exec, exec, s[12:13]
	v_mov_b32_e32 v5, 0
	s_and_saveexec_b64 s[12:13], s[10:11]
.LBB102_1995:
	v_mov_b32_e32 v5, v3
.LBB102_1996:
	s_or_b64 exec, exec, s[12:13]
.LBB102_1997:
	s_or_b64 exec, exec, s[2:3]
	s_mov_b64 s[2:3], 0
	global_store_byte v[0:1], v5, off
.LBB102_1998:
	s_and_b64 vcc, exec, s[2:3]
	s_cbranch_vccz .LBB102_2008
; %bb.1999:
	v_cndmask_b32_e64 v3, 0, 1.0, s[20:21]
	s_mov_b32 s2, 0x43f00000
	v_cmp_gt_u32_e32 vcc, s2, v3
                                        ; implicit-def: $vgpr4
	s_and_saveexec_b64 s[2:3], vcc
	s_xor_b64 s[2:3], exec, s[2:3]
	s_cbranch_execz .LBB102_2005
; %bb.2000:
	s_mov_b32 s10, 0x3c7fffff
	v_cmp_lt_u32_e32 vcc, s10, v3
                                        ; implicit-def: $vgpr4
	s_and_saveexec_b64 s[10:11], vcc
	s_xor_b64 s[10:11], exec, s[10:11]
; %bb.2001:
	v_bfe_u32 v4, v3, 20, 1
	s_mov_b32 s12, 0x407ffff
	v_add3_u32 v3, v3, v4, s12
	v_lshrrev_b32_e32 v4, 20, v3
	v_and_b32_e32 v3, 0xff00000, v3
	s_mov_b32 s12, 0x7f00000
	v_mov_b32_e32 v5, 0x7e
	v_cmp_ne_u32_e32 vcc, s12, v3
	v_cndmask_b32_e32 v4, v5, v4, vcc
                                        ; implicit-def: $vgpr3
; %bb.2002:
	s_andn2_saveexec_b64 s[10:11], s[10:11]
; %bb.2003:
	v_add_f32_e32 v4, 0x46800000, v3
; %bb.2004:
	s_or_b64 exec, exec, s[10:11]
                                        ; implicit-def: $vgpr3
.LBB102_2005:
	s_andn2_saveexec_b64 s[2:3], s[2:3]
; %bb.2006:
	s_mov_b32 s10, 0x7f800000
	v_mov_b32_e32 v4, 0x7e
	v_mov_b32_e32 v5, 0x7f
	v_cmp_lt_u32_e32 vcc, s10, v3
	v_cndmask_b32_e32 v4, v4, v5, vcc
; %bb.2007:
	s_or_b64 exec, exec, s[2:3]
	global_store_byte v[0:1], v4, off
.LBB102_2008:
	s_mov_b64 s[2:3], 0
.LBB102_2009:
	s_andn2_b64 vcc, exec, s[2:3]
	s_cbranch_vccnz .LBB102_2019
; %bb.2010:
	v_cndmask_b32_e64 v3, 0, 1.0, s[20:21]
	s_mov_b32 s2, 0x47800000
	v_cmp_gt_u32_e32 vcc, s2, v3
                                        ; implicit-def: $vgpr4
	s_and_saveexec_b64 s[2:3], vcc
	s_xor_b64 s[2:3], exec, s[2:3]
	s_cbranch_execz .LBB102_2016
; %bb.2011:
	s_mov_b32 s10, 0x387fffff
	v_cmp_lt_u32_e32 vcc, s10, v3
                                        ; implicit-def: $vgpr4
	s_and_saveexec_b64 s[10:11], vcc
	s_xor_b64 s[10:11], exec, s[10:11]
; %bb.2012:
	v_bfe_u32 v4, v3, 21, 1
	s_mov_b32 s12, 0x80fffff
	v_add3_u32 v3, v3, v4, s12
	v_lshrrev_b32_e32 v4, 21, v3
                                        ; implicit-def: $vgpr3
; %bb.2013:
	s_andn2_saveexec_b64 s[10:11], s[10:11]
; %bb.2014:
	v_add_f32_e32 v4, 0x43000000, v3
; %bb.2015:
	s_or_b64 exec, exec, s[10:11]
                                        ; implicit-def: $vgpr3
.LBB102_2016:
	s_andn2_saveexec_b64 s[2:3], s[2:3]
; %bb.2017:
	s_mov_b32 s10, 0x7f800000
	v_mov_b32_e32 v4, 0x7c
	v_mov_b32_e32 v5, 0x7f
	v_cmp_lt_u32_e32 vcc, s10, v3
	v_cndmask_b32_e32 v4, v4, v5, vcc
; %bb.2018:
	s_or_b64 exec, exec, s[2:3]
	global_store_byte v[0:1], v4, off
.LBB102_2019:
	s_mov_b64 s[2:3], 0
	s_mov_b64 s[10:11], -1
.LBB102_2020:
	s_andn2_b64 vcc, exec, s[2:3]
	s_mov_b64 s[2:3], 0
	s_cbranch_vccnz .LBB102_2027
; %bb.2021:
	s_cmp_gt_i32 s18, 14
	s_mov_b64 s[12:13], -1
	s_cbranch_scc0 .LBB102_2025
; %bb.2022:
	s_cmp_eq_u32 s18, 15
	s_mov_b64 s[0:1], -1
	s_cbranch_scc0 .LBB102_2024
; %bb.2023:
	v_cndmask_b32_e64 v3, 0, 1.0, s[20:21]
	v_bfe_u32 v4, v3, 16, 1
	s_movk_i32 s0, 0x7fff
	v_add3_u32 v3, v3, v4, s0
	global_store_short_d16_hi v[0:1], v3, off
	s_mov_b64 s[0:1], 0
	s_mov_b64 s[10:11], -1
.LBB102_2024:
	s_mov_b64 s[12:13], 0
.LBB102_2025:
	s_and_b64 vcc, exec, s[12:13]
	s_cbranch_vccz .LBB102_2027
; %bb.2026:
	s_cmp_lg_u32 s18, 11
	s_mov_b64 s[2:3], -1
	s_cselect_b64 s[0:1], -1, 0
.LBB102_2027:
	s_and_b64 vcc, exec, s[0:1]
	s_cbranch_vccnz .LBB102_2163
; %bb.2028:
	s_andn2_b64 vcc, exec, s[2:3]
	s_cbranch_vccnz .LBB102_2030
.LBB102_2029:
	v_cndmask_b32_e64 v3, 0, 1, s[20:21]
	s_mov_b64 s[10:11], -1
	global_store_byte v[0:1], v3, off
.LBB102_2030:
	s_mov_b64 s[0:1], 0
	s_branch .LBB102_2032
.LBB102_2031:
	s_mov_b64 s[0:1], -1
	s_mov_b64 s[10:11], 0
.LBB102_2032:
	s_and_b64 vcc, exec, s[0:1]
	s_cbranch_vccz .LBB102_2071
; %bb.2033:
	s_and_b32 s2, 0xffff, s28
	s_cmp_lt_i32 s2, 5
	s_mov_b64 s[0:1], -1
	s_cbranch_scc1 .LBB102_2054
; %bb.2034:
	s_cmp_lt_i32 s2, 8
	s_cbranch_scc1 .LBB102_2044
; %bb.2035:
	s_cmp_lt_i32 s2, 9
	s_cbranch_scc1 .LBB102_2041
; %bb.2036:
	s_cmp_gt_i32 s2, 9
	s_cbranch_scc0 .LBB102_2038
; %bb.2037:
	v_cndmask_b32_e64 v3, 0, 1, s[20:21]
	v_cvt_f64_u32_e32 v[3:4], v3
	v_mov_b32_e32 v5, 0
	v_mov_b32_e32 v6, v5
	s_mov_b64 s[0:1], 0
	global_store_dwordx4 v[0:1], v[3:6], off
.LBB102_2038:
	s_andn2_b64 vcc, exec, s[0:1]
	s_cbranch_vccnz .LBB102_2040
; %bb.2039:
	v_cndmask_b32_e64 v3, 0, 1.0, s[20:21]
	v_mov_b32_e32 v4, 0
	global_store_dwordx2 v[0:1], v[3:4], off
.LBB102_2040:
	s_mov_b64 s[0:1], 0
.LBB102_2041:
	s_andn2_b64 vcc, exec, s[0:1]
	s_cbranch_vccnz .LBB102_2043
; %bb.2042:
	v_cndmask_b32_e64 v3, 0, 1.0, s[20:21]
	v_cvt_f16_f32_e32 v3, v3
	global_store_dword v[0:1], v3, off
.LBB102_2043:
	s_mov_b64 s[0:1], 0
.LBB102_2044:
	s_andn2_b64 vcc, exec, s[0:1]
	s_cbranch_vccnz .LBB102_2053
; %bb.2045:
	s_cmp_lt_i32 s2, 6
	s_mov_b64 s[0:1], -1
	s_cbranch_scc1 .LBB102_2051
; %bb.2046:
	s_cmp_gt_i32 s2, 6
	s_cbranch_scc0 .LBB102_2048
; %bb.2047:
	v_cndmask_b32_e64 v3, 0, 1, s[20:21]
	v_cvt_f64_u32_e32 v[3:4], v3
	s_mov_b64 s[0:1], 0
	global_store_dwordx2 v[0:1], v[3:4], off
.LBB102_2048:
	s_andn2_b64 vcc, exec, s[0:1]
	s_cbranch_vccnz .LBB102_2050
; %bb.2049:
	v_cndmask_b32_e64 v3, 0, 1.0, s[20:21]
	global_store_dword v[0:1], v3, off
.LBB102_2050:
	s_mov_b64 s[0:1], 0
.LBB102_2051:
	s_andn2_b64 vcc, exec, s[0:1]
	s_cbranch_vccnz .LBB102_2053
; %bb.2052:
	v_cndmask_b32_e64 v3, 0, 1.0, s[20:21]
	v_cvt_f16_f32_e32 v3, v3
	global_store_short v[0:1], v3, off
.LBB102_2053:
	s_mov_b64 s[0:1], 0
.LBB102_2054:
	s_andn2_b64 vcc, exec, s[0:1]
	s_cbranch_vccnz .LBB102_2070
; %bb.2055:
	s_cmp_lt_i32 s2, 2
	s_mov_b64 s[0:1], -1
	s_cbranch_scc1 .LBB102_2065
; %bb.2056:
	s_cmp_lt_i32 s2, 3
	s_cbranch_scc1 .LBB102_2062
; %bb.2057:
	s_cmp_gt_i32 s2, 3
	s_cbranch_scc0 .LBB102_2059
; %bb.2058:
	s_mov_b32 s0, 0
	v_cndmask_b32_e64 v3, 0, 1, s[20:21]
	v_mov_b32_e32 v4, s0
	global_store_dwordx2 v[0:1], v[3:4], off
	s_mov_b64 s[0:1], 0
.LBB102_2059:
	s_andn2_b64 vcc, exec, s[0:1]
	s_cbranch_vccnz .LBB102_2061
; %bb.2060:
	v_cndmask_b32_e64 v3, 0, 1, s[20:21]
	global_store_dword v[0:1], v3, off
.LBB102_2061:
	s_mov_b64 s[0:1], 0
.LBB102_2062:
	s_andn2_b64 vcc, exec, s[0:1]
	s_cbranch_vccnz .LBB102_2064
; %bb.2063:
	v_cndmask_b32_e64 v3, 0, 1, s[20:21]
	global_store_short v[0:1], v3, off
.LBB102_2064:
	s_mov_b64 s[0:1], 0
.LBB102_2065:
	s_andn2_b64 vcc, exec, s[0:1]
	s_cbranch_vccnz .LBB102_2070
; %bb.2066:
	s_mov_b64 s[0:1], -1
	s_cmp_gt_i32 s2, 0
	v_cndmask_b32_e64 v3, 0, 1, s[20:21]
	s_cbranch_scc0 .LBB102_2068
; %bb.2067:
	global_store_byte v[0:1], v3, off
	s_mov_b64 s[0:1], 0
.LBB102_2068:
	s_andn2_b64 vcc, exec, s[0:1]
	s_cbranch_vccnz .LBB102_2070
; %bb.2069:
	global_store_byte v[0:1], v3, off
.LBB102_2070:
	s_mov_b64 s[10:11], -1
.LBB102_2071:
	s_andn2_b64 vcc, exec, s[10:11]
	s_cbranch_vccnz .LBB102_2148
; %bb.2072:
	v_add_u32_e32 v0, s24, v2
	v_ashrrev_i32_e32 v1, 31, v0
	v_mov_b32_e32 v2, s9
	v_add_co_u32_e32 v0, vcc, s8, v0
	s_cmp_lt_i32 s28, 11
	v_addc_co_u32_e32 v1, vcc, v2, v1, vcc
	s_cbranch_scc1 .LBB102_2149
; %bb.2073:
	s_and_b32 s14, 0xffff, s28
	s_mov_b64 s[8:9], -1
	s_mov_b64 s[2:3], 0
	s_cmp_gt_i32 s14, 25
	s_mov_b64 s[0:1], 0
	s_cbranch_scc0 .LBB102_2106
; %bb.2074:
	s_cmp_gt_i32 s14, 28
	s_cbranch_scc0 .LBB102_2090
; %bb.2075:
	s_cmp_gt_i32 s14, 43
	s_cbranch_scc0 .LBB102_2086
; %bb.2076:
	s_cmp_gt_i32 s14, 45
	s_cbranch_scc0 .LBB102_2080
; %bb.2077:
	s_cmp_eq_u32 s14, 46
	s_mov_b64 s[0:1], -1
	s_cbranch_scc0 .LBB102_2079
; %bb.2078:
	v_cndmask_b32_e64 v2, 0, 1.0, s[22:23]
	v_bfe_u32 v3, v2, 16, 1
	s_movk_i32 s0, 0x7fff
	v_add3_u32 v2, v2, v3, s0
	v_lshrrev_b32_e32 v2, 16, v2
	global_store_dword v[0:1], v2, off
	s_mov_b64 s[0:1], 0
.LBB102_2079:
	s_mov_b64 s[8:9], 0
.LBB102_2080:
	s_and_b64 vcc, exec, s[8:9]
	s_cbranch_vccz .LBB102_2085
; %bb.2081:
	s_cmp_eq_u32 s14, 44
	s_mov_b64 s[0:1], -1
	s_cbranch_scc0 .LBB102_2085
; %bb.2082:
	v_cndmask_b32_e64 v3, 0, 1.0, s[22:23]
	v_lshrrev_b32_e32 v2, 23, v3
	s_movk_i32 s0, 0xff
	v_cmp_ne_u32_e32 vcc, s0, v2
	v_mov_b32_e32 v4, 0xff
	s_and_saveexec_b64 s[8:9], vcc
; %bb.2083:
	s_mov_b32 s0, 0x3fffff
	v_and_b32_e32 v4, 0x400000, v3
	v_and_or_b32 v3, v3, s0, v2
	v_cmp_ne_u32_e32 vcc, 0, v4
	v_cmp_ne_u32_e64 s[0:1], 0, v3
	s_and_b64 s[0:1], vcc, s[0:1]
	v_cndmask_b32_e64 v3, 0, 1, s[0:1]
	v_add_u32_e32 v4, v2, v3
; %bb.2084:
	s_or_b64 exec, exec, s[8:9]
	s_mov_b64 s[0:1], 0
	global_store_byte v[0:1], v4, off
.LBB102_2085:
	s_mov_b64 s[8:9], 0
.LBB102_2086:
	s_and_b64 vcc, exec, s[8:9]
	s_cbranch_vccz .LBB102_2089
; %bb.2087:
	s_cmp_eq_u32 s14, 29
	s_mov_b64 s[0:1], -1
	s_cbranch_scc0 .LBB102_2089
; %bb.2088:
	s_mov_b32 s0, 0
	v_cndmask_b32_e64 v2, 0, 1, s[22:23]
	v_mov_b32_e32 v3, s0
	global_store_dwordx2 v[0:1], v[2:3], off
	s_mov_b64 s[0:1], 0
.LBB102_2089:
	s_mov_b64 s[8:9], 0
.LBB102_2090:
	s_and_b64 vcc, exec, s[8:9]
	s_cbranch_vccz .LBB102_2105
; %bb.2091:
	s_cmp_lt_i32 s14, 27
	s_mov_b64 s[8:9], -1
	s_cbranch_scc1 .LBB102_2097
; %bb.2092:
	s_cmp_gt_i32 s14, 27
	v_cndmask_b32_e64 v2, 0, 1, s[22:23]
	s_cbranch_scc0 .LBB102_2094
; %bb.2093:
	global_store_dword v[0:1], v2, off
	s_mov_b64 s[8:9], 0
.LBB102_2094:
	s_andn2_b64 vcc, exec, s[8:9]
	s_cbranch_vccnz .LBB102_2096
; %bb.2095:
	global_store_short v[0:1], v2, off
.LBB102_2096:
	s_mov_b64 s[8:9], 0
.LBB102_2097:
	s_andn2_b64 vcc, exec, s[8:9]
	s_cbranch_vccnz .LBB102_2105
; %bb.2098:
	v_cndmask_b32_e64 v3, 0, 1.0, s[22:23]
	s_mov_b32 s8, 0x43800000
	v_cmp_gt_u32_e32 vcc, s8, v3
	v_mov_b32_e32 v4, 0x80
	s_and_saveexec_b64 s[8:9], vcc
	s_cbranch_execz .LBB102_2104
; %bb.2099:
	s_mov_b32 s10, 0x3bffffff
	v_cmp_lt_u32_e32 vcc, s10, v3
	s_mov_b64 s[10:11], 0
                                        ; implicit-def: $vgpr2
	s_and_saveexec_b64 s[12:13], vcc
	s_xor_b64 s[12:13], exec, s[12:13]
	s_cbranch_execz .LBB102_2166
; %bb.2100:
	v_bfe_u32 v2, v3, 20, 1
	s_mov_b32 s15, 0x487ffff
	v_add3_u32 v2, v3, v2, s15
	s_mov_b64 s[10:11], exec
	v_lshrrev_b32_e32 v2, 20, v2
                                        ; implicit-def: $vgpr3
	s_andn2_saveexec_b64 s[12:13], s[12:13]
	s_cbranch_execnz .LBB102_2167
.LBB102_2101:
	s_or_b64 exec, exec, s[12:13]
	v_mov_b32_e32 v4, 0
	s_and_saveexec_b64 s[12:13], s[10:11]
.LBB102_2102:
	v_mov_b32_e32 v4, v2
.LBB102_2103:
	s_or_b64 exec, exec, s[12:13]
.LBB102_2104:
	s_or_b64 exec, exec, s[8:9]
	global_store_byte v[0:1], v4, off
.LBB102_2105:
	s_mov_b64 s[8:9], 0
.LBB102_2106:
	s_and_b64 vcc, exec, s[8:9]
	s_cbranch_vccz .LBB102_2146
; %bb.2107:
	s_cmp_gt_i32 s14, 22
	s_mov_b64 s[2:3], -1
	s_cbranch_scc0 .LBB102_2139
; %bb.2108:
	s_cmp_lt_i32 s14, 24
	s_cbranch_scc1 .LBB102_2128
; %bb.2109:
	s_cmp_gt_i32 s14, 24
	s_cbranch_scc0 .LBB102_2117
; %bb.2110:
	v_cndmask_b32_e64 v3, 0, 1.0, s[22:23]
	s_mov_b32 s2, 0x47800000
	v_cmp_gt_u32_e32 vcc, s2, v3
	v_mov_b32_e32 v4, 0x80
	s_and_saveexec_b64 s[2:3], vcc
	s_cbranch_execz .LBB102_2116
; %bb.2111:
	s_mov_b32 s8, 0x37ffffff
	v_cmp_lt_u32_e32 vcc, s8, v3
	s_mov_b64 s[8:9], 0
                                        ; implicit-def: $vgpr2
	s_and_saveexec_b64 s[10:11], vcc
	s_xor_b64 s[10:11], exec, s[10:11]
	s_cbranch_execz .LBB102_2169
; %bb.2112:
	v_bfe_u32 v2, v3, 21, 1
	s_mov_b32 s12, 0x88fffff
	v_add3_u32 v2, v3, v2, s12
	s_mov_b64 s[8:9], exec
	v_lshrrev_b32_e32 v2, 21, v2
                                        ; implicit-def: $vgpr3
	s_andn2_saveexec_b64 s[10:11], s[10:11]
	s_cbranch_execnz .LBB102_2170
.LBB102_2113:
	s_or_b64 exec, exec, s[10:11]
	v_mov_b32_e32 v4, 0
	s_and_saveexec_b64 s[10:11], s[8:9]
.LBB102_2114:
	v_mov_b32_e32 v4, v2
.LBB102_2115:
	s_or_b64 exec, exec, s[10:11]
.LBB102_2116:
	s_or_b64 exec, exec, s[2:3]
	s_mov_b64 s[2:3], 0
	global_store_byte v[0:1], v4, off
.LBB102_2117:
	s_and_b64 vcc, exec, s[2:3]
	s_cbranch_vccz .LBB102_2127
; %bb.2118:
	v_cndmask_b32_e64 v2, 0, 1.0, s[22:23]
	s_mov_b32 s2, 0x43f00000
	v_cmp_gt_u32_e32 vcc, s2, v2
                                        ; implicit-def: $vgpr3
	s_and_saveexec_b64 s[2:3], vcc
	s_xor_b64 s[2:3], exec, s[2:3]
	s_cbranch_execz .LBB102_2124
; %bb.2119:
	s_mov_b32 s8, 0x3c7fffff
	v_cmp_lt_u32_e32 vcc, s8, v2
                                        ; implicit-def: $vgpr3
	s_and_saveexec_b64 s[8:9], vcc
	s_xor_b64 s[8:9], exec, s[8:9]
; %bb.2120:
	v_bfe_u32 v3, v2, 20, 1
	s_mov_b32 s10, 0x407ffff
	v_add3_u32 v2, v2, v3, s10
	v_lshrrev_b32_e32 v3, 20, v2
	v_and_b32_e32 v2, 0xff00000, v2
	s_mov_b32 s10, 0x7f00000
	v_mov_b32_e32 v4, 0x7e
	v_cmp_ne_u32_e32 vcc, s10, v2
	v_cndmask_b32_e32 v3, v4, v3, vcc
                                        ; implicit-def: $vgpr2
; %bb.2121:
	s_andn2_saveexec_b64 s[8:9], s[8:9]
; %bb.2122:
	v_add_f32_e32 v3, 0x46800000, v2
; %bb.2123:
	s_or_b64 exec, exec, s[8:9]
                                        ; implicit-def: $vgpr2
.LBB102_2124:
	s_andn2_saveexec_b64 s[2:3], s[2:3]
; %bb.2125:
	s_mov_b32 s8, 0x7f800000
	v_mov_b32_e32 v3, 0x7e
	v_mov_b32_e32 v4, 0x7f
	v_cmp_lt_u32_e32 vcc, s8, v2
	v_cndmask_b32_e32 v3, v3, v4, vcc
; %bb.2126:
	s_or_b64 exec, exec, s[2:3]
	global_store_byte v[0:1], v3, off
.LBB102_2127:
	s_mov_b64 s[2:3], 0
.LBB102_2128:
	s_andn2_b64 vcc, exec, s[2:3]
	s_cbranch_vccnz .LBB102_2138
; %bb.2129:
	v_cndmask_b32_e64 v2, 0, 1.0, s[22:23]
	s_mov_b32 s2, 0x47800000
	v_cmp_gt_u32_e32 vcc, s2, v2
                                        ; implicit-def: $vgpr3
	s_and_saveexec_b64 s[2:3], vcc
	s_xor_b64 s[2:3], exec, s[2:3]
	s_cbranch_execz .LBB102_2135
; %bb.2130:
	s_mov_b32 s8, 0x387fffff
	v_cmp_lt_u32_e32 vcc, s8, v2
                                        ; implicit-def: $vgpr3
	s_and_saveexec_b64 s[8:9], vcc
	s_xor_b64 s[8:9], exec, s[8:9]
; %bb.2131:
	v_bfe_u32 v3, v2, 21, 1
	s_mov_b32 s10, 0x80fffff
	v_add3_u32 v2, v2, v3, s10
	v_lshrrev_b32_e32 v3, 21, v2
                                        ; implicit-def: $vgpr2
; %bb.2132:
	s_andn2_saveexec_b64 s[8:9], s[8:9]
; %bb.2133:
	v_add_f32_e32 v3, 0x43000000, v2
; %bb.2134:
	s_or_b64 exec, exec, s[8:9]
                                        ; implicit-def: $vgpr2
.LBB102_2135:
	s_andn2_saveexec_b64 s[2:3], s[2:3]
; %bb.2136:
	s_mov_b32 s8, 0x7f800000
	v_mov_b32_e32 v3, 0x7c
	v_mov_b32_e32 v4, 0x7f
	v_cmp_lt_u32_e32 vcc, s8, v2
	v_cndmask_b32_e32 v3, v3, v4, vcc
; %bb.2137:
	s_or_b64 exec, exec, s[2:3]
	global_store_byte v[0:1], v3, off
.LBB102_2138:
	s_mov_b64 s[2:3], 0
.LBB102_2139:
	s_andn2_b64 vcc, exec, s[2:3]
	s_mov_b64 s[2:3], 0
	s_cbranch_vccnz .LBB102_2146
; %bb.2140:
	s_cmp_gt_i32 s14, 14
	s_mov_b64 s[8:9], -1
	s_cbranch_scc0 .LBB102_2144
; %bb.2141:
	s_cmp_eq_u32 s14, 15
	s_mov_b64 s[0:1], -1
	s_cbranch_scc0 .LBB102_2143
; %bb.2142:
	v_cndmask_b32_e64 v2, 0, 1.0, s[22:23]
	v_bfe_u32 v3, v2, 16, 1
	s_movk_i32 s0, 0x7fff
	v_add3_u32 v2, v2, v3, s0
	global_store_short_d16_hi v[0:1], v2, off
	s_mov_b64 s[0:1], 0
.LBB102_2143:
	s_mov_b64 s[8:9], 0
.LBB102_2144:
	s_and_b64 vcc, exec, s[8:9]
	s_cbranch_vccz .LBB102_2146
; %bb.2145:
	s_cmp_lg_u32 s14, 11
	s_mov_b64 s[2:3], -1
	s_cselect_b64 s[0:1], -1, 0
.LBB102_2146:
	s_and_b64 vcc, exec, s[0:1]
	s_cbranch_vccnz .LBB102_2168
.LBB102_2147:
	s_mov_b64 s[0:1], 0
	s_branch .LBB102_1658
.LBB102_2148:
	s_mov_b64 s[0:1], 0
	s_branch .LBB102_1657
.LBB102_2149:
	s_mov_b64 s[2:3], 0
	s_mov_b64 s[0:1], -1
	s_branch .LBB102_1658
.LBB102_2150:
	s_trap 2
	s_or_b64 s[16:17], s[16:17], exec
	s_cbranch_execz .LBB102_1600
	s_branch .LBB102_1601
.LBB102_2151:
	s_andn2_saveexec_b64 s[26:27], s[26:27]
	s_cbranch_execz .LBB102_1741
.LBB102_2152:
	v_add_f32_e32 v3, 0x46000000, v4
	v_and_b32_e32 v3, 0xff, v3
	v_cmp_ne_u32_e32 vcc, 0, v3
	s_andn2_b64 s[24:25], s[24:25], exec
	s_and_b64 s[30:31], vcc, exec
	s_or_b64 s[24:25], s[24:25], s[30:31]
	s_or_b64 exec, exec, s[26:27]
	v_mov_b32_e32 v5, 0
	s_and_saveexec_b64 s[26:27], s[24:25]
	s_cbranch_execnz .LBB102_1742
	s_branch .LBB102_1743
.LBB102_2153:
	s_trap 2
	s_or_b64 s[16:17], s[16:17], exec
	s_cbranch_execz .LBB102_1789
	s_branch .LBB102_1790
.LBB102_2154:
	s_andn2_saveexec_b64 s[24:25], s[24:25]
	s_cbranch_execz .LBB102_1754
.LBB102_2155:
	v_add_f32_e32 v3, 0x42800000, v4
	v_and_b32_e32 v3, 0xff, v3
	v_cmp_ne_u32_e32 vcc, 0, v3
	s_andn2_b64 s[14:15], s[14:15], exec
	s_and_b64 s[26:27], vcc, exec
	s_or_b64 s[14:15], s[14:15], s[26:27]
	s_or_b64 exec, exec, s[24:25]
	v_mov_b32_e32 v5, 0
	s_and_saveexec_b64 s[24:25], s[14:15]
	s_cbranch_execnz .LBB102_1755
	s_branch .LBB102_1756
.LBB102_2156:
	s_andn2_saveexec_b64 s[14:15], s[14:15]
	s_cbranch_execz .LBB102_1862
.LBB102_2157:
	v_add_f32_e32 v3, 0x46000000, v4
	v_and_b32_e32 v3, 0xff, v3
	v_cmp_ne_u32_e32 vcc, 0, v3
	s_andn2_b64 s[12:13], s[12:13], exec
	s_and_b64 s[26:27], vcc, exec
	s_or_b64 s[12:13], s[12:13], s[26:27]
	s_or_b64 exec, exec, s[14:15]
	v_mov_b32_e32 v5, 0
	s_and_saveexec_b64 s[14:15], s[12:13]
	s_cbranch_execnz .LBB102_1863
	s_branch .LBB102_1864
.LBB102_2158:
	s_trap 2
	s_or_b64 s[16:17], s[16:17], exec
	s_cbranch_execz .LBB102_1910
	s_branch .LBB102_1911
.LBB102_2159:
	s_andn2_saveexec_b64 s[12:13], s[12:13]
	s_cbranch_execz .LBB102_1875
.LBB102_2160:
	v_add_f32_e32 v3, 0x42800000, v4
	v_and_b32_e32 v3, 0xff, v3
	v_cmp_ne_u32_e32 vcc, 0, v3
	s_andn2_b64 s[10:11], s[10:11], exec
	s_and_b64 s[14:15], vcc, exec
	s_or_b64 s[10:11], s[10:11], s[14:15]
	s_or_b64 exec, exec, s[12:13]
	v_mov_b32_e32 v5, 0
	s_and_saveexec_b64 s[12:13], s[10:11]
	s_cbranch_execnz .LBB102_1876
	s_branch .LBB102_1877
.LBB102_2161:
	s_andn2_saveexec_b64 s[14:15], s[14:15]
	s_cbranch_execz .LBB102_1981
.LBB102_2162:
	v_add_f32_e32 v3, 0x46000000, v4
	v_and_b32_e32 v3, 0xff, v3
	v_cmp_ne_u32_e32 vcc, 0, v3
	s_andn2_b64 s[12:13], s[12:13], exec
	s_and_b64 s[26:27], vcc, exec
	s_or_b64 s[12:13], s[12:13], s[26:27]
	s_or_b64 exec, exec, s[14:15]
	v_mov_b32_e32 v5, 0
	s_and_saveexec_b64 s[14:15], s[12:13]
	s_cbranch_execnz .LBB102_1982
	s_branch .LBB102_1983
.LBB102_2163:
	s_trap 2
	s_or_b64 s[16:17], s[16:17], exec
	s_cbranch_execz .LBB102_2029
	s_branch .LBB102_2030
.LBB102_2164:
	s_andn2_saveexec_b64 s[12:13], s[12:13]
	s_cbranch_execz .LBB102_1994
.LBB102_2165:
	v_add_f32_e32 v3, 0x42800000, v4
	v_and_b32_e32 v3, 0xff, v3
	v_cmp_ne_u32_e32 vcc, 0, v3
	s_andn2_b64 s[10:11], s[10:11], exec
	s_and_b64 s[14:15], vcc, exec
	s_or_b64 s[10:11], s[10:11], s[14:15]
	s_or_b64 exec, exec, s[12:13]
	v_mov_b32_e32 v5, 0
	s_and_saveexec_b64 s[12:13], s[10:11]
	s_cbranch_execnz .LBB102_1995
	s_branch .LBB102_1996
.LBB102_2166:
	s_andn2_saveexec_b64 s[12:13], s[12:13]
	s_cbranch_execz .LBB102_2101
.LBB102_2167:
	v_add_f32_e32 v2, 0x46000000, v3
	v_and_b32_e32 v2, 0xff, v2
	v_cmp_ne_u32_e32 vcc, 0, v2
	s_andn2_b64 s[10:11], s[10:11], exec
	s_and_b64 s[18:19], vcc, exec
	s_or_b64 s[10:11], s[10:11], s[18:19]
	s_or_b64 exec, exec, s[12:13]
	v_mov_b32_e32 v4, 0
	s_and_saveexec_b64 s[12:13], s[10:11]
	s_cbranch_execnz .LBB102_2102
	s_branch .LBB102_2103
.LBB102_2168:
	s_mov_b64 s[2:3], 0
	s_or_b64 s[16:17], s[16:17], exec
	s_trap 2
	s_branch .LBB102_2147
.LBB102_2169:
	s_andn2_saveexec_b64 s[10:11], s[10:11]
	s_cbranch_execz .LBB102_2113
.LBB102_2170:
	v_add_f32_e32 v2, 0x42800000, v3
	v_and_b32_e32 v2, 0xff, v2
	v_cmp_ne_u32_e32 vcc, 0, v2
	s_andn2_b64 s[8:9], s[8:9], exec
	s_and_b64 s[12:13], vcc, exec
	s_or_b64 s[8:9], s[8:9], s[12:13]
	s_or_b64 exec, exec, s[10:11]
	v_mov_b32_e32 v4, 0
	s_and_saveexec_b64 s[10:11], s[8:9]
	s_cbranch_execnz .LBB102_2114
	s_branch .LBB102_2115
	.section	.rodata,"a",@progbits
	.p2align	6, 0x0
	.amdhsa_kernel _ZN2at6native32elementwise_kernel_manual_unrollILi128ELi4EZNS0_15gpu_kernel_implIZNS0_21compare_scalar_kernelIfEEvRNS_18TensorIteratorBaseENS0_12_GLOBAL__N_16OpTypeET_EUlfE_EEvS5_RKS8_EUlibE_EEviT1_
		.amdhsa_group_segment_fixed_size 0
		.amdhsa_private_segment_fixed_size 0
		.amdhsa_kernarg_size 48
		.amdhsa_user_sgpr_count 6
		.amdhsa_user_sgpr_private_segment_buffer 1
		.amdhsa_user_sgpr_dispatch_ptr 0
		.amdhsa_user_sgpr_queue_ptr 0
		.amdhsa_user_sgpr_kernarg_segment_ptr 1
		.amdhsa_user_sgpr_dispatch_id 0
		.amdhsa_user_sgpr_flat_scratch_init 0
		.amdhsa_user_sgpr_private_segment_size 0
		.amdhsa_uses_dynamic_stack 0
		.amdhsa_system_sgpr_private_segment_wavefront_offset 0
		.amdhsa_system_sgpr_workgroup_id_x 1
		.amdhsa_system_sgpr_workgroup_id_y 0
		.amdhsa_system_sgpr_workgroup_id_z 0
		.amdhsa_system_sgpr_workgroup_info 0
		.amdhsa_system_vgpr_workitem_id 0
		.amdhsa_next_free_vgpr 10
		.amdhsa_next_free_sgpr 48
		.amdhsa_reserve_vcc 1
		.amdhsa_reserve_flat_scratch 0
		.amdhsa_float_round_mode_32 0
		.amdhsa_float_round_mode_16_64 0
		.amdhsa_float_denorm_mode_32 3
		.amdhsa_float_denorm_mode_16_64 3
		.amdhsa_dx10_clamp 1
		.amdhsa_ieee_mode 1
		.amdhsa_fp16_overflow 0
		.amdhsa_exception_fp_ieee_invalid_op 0
		.amdhsa_exception_fp_denorm_src 0
		.amdhsa_exception_fp_ieee_div_zero 0
		.amdhsa_exception_fp_ieee_overflow 0
		.amdhsa_exception_fp_ieee_underflow 0
		.amdhsa_exception_fp_ieee_inexact 0
		.amdhsa_exception_int_div_zero 0
	.end_amdhsa_kernel
	.section	.text._ZN2at6native32elementwise_kernel_manual_unrollILi128ELi4EZNS0_15gpu_kernel_implIZNS0_21compare_scalar_kernelIfEEvRNS_18TensorIteratorBaseENS0_12_GLOBAL__N_16OpTypeET_EUlfE_EEvS5_RKS8_EUlibE_EEviT1_,"axG",@progbits,_ZN2at6native32elementwise_kernel_manual_unrollILi128ELi4EZNS0_15gpu_kernel_implIZNS0_21compare_scalar_kernelIfEEvRNS_18TensorIteratorBaseENS0_12_GLOBAL__N_16OpTypeET_EUlfE_EEvS5_RKS8_EUlibE_EEviT1_,comdat
.Lfunc_end102:
	.size	_ZN2at6native32elementwise_kernel_manual_unrollILi128ELi4EZNS0_15gpu_kernel_implIZNS0_21compare_scalar_kernelIfEEvRNS_18TensorIteratorBaseENS0_12_GLOBAL__N_16OpTypeET_EUlfE_EEvS5_RKS8_EUlibE_EEviT1_, .Lfunc_end102-_ZN2at6native32elementwise_kernel_manual_unrollILi128ELi4EZNS0_15gpu_kernel_implIZNS0_21compare_scalar_kernelIfEEvRNS_18TensorIteratorBaseENS0_12_GLOBAL__N_16OpTypeET_EUlfE_EEvS5_RKS8_EUlibE_EEviT1_
                                        ; -- End function
	.set _ZN2at6native32elementwise_kernel_manual_unrollILi128ELi4EZNS0_15gpu_kernel_implIZNS0_21compare_scalar_kernelIfEEvRNS_18TensorIteratorBaseENS0_12_GLOBAL__N_16OpTypeET_EUlfE_EEvS5_RKS8_EUlibE_EEviT1_.num_vgpr, 10
	.set _ZN2at6native32elementwise_kernel_manual_unrollILi128ELi4EZNS0_15gpu_kernel_implIZNS0_21compare_scalar_kernelIfEEvRNS_18TensorIteratorBaseENS0_12_GLOBAL__N_16OpTypeET_EUlfE_EEvS5_RKS8_EUlibE_EEviT1_.num_agpr, 0
	.set _ZN2at6native32elementwise_kernel_manual_unrollILi128ELi4EZNS0_15gpu_kernel_implIZNS0_21compare_scalar_kernelIfEEvRNS_18TensorIteratorBaseENS0_12_GLOBAL__N_16OpTypeET_EUlfE_EEvS5_RKS8_EUlibE_EEviT1_.numbered_sgpr, 48
	.set _ZN2at6native32elementwise_kernel_manual_unrollILi128ELi4EZNS0_15gpu_kernel_implIZNS0_21compare_scalar_kernelIfEEvRNS_18TensorIteratorBaseENS0_12_GLOBAL__N_16OpTypeET_EUlfE_EEvS5_RKS8_EUlibE_EEviT1_.num_named_barrier, 0
	.set _ZN2at6native32elementwise_kernel_manual_unrollILi128ELi4EZNS0_15gpu_kernel_implIZNS0_21compare_scalar_kernelIfEEvRNS_18TensorIteratorBaseENS0_12_GLOBAL__N_16OpTypeET_EUlfE_EEvS5_RKS8_EUlibE_EEviT1_.private_seg_size, 0
	.set _ZN2at6native32elementwise_kernel_manual_unrollILi128ELi4EZNS0_15gpu_kernel_implIZNS0_21compare_scalar_kernelIfEEvRNS_18TensorIteratorBaseENS0_12_GLOBAL__N_16OpTypeET_EUlfE_EEvS5_RKS8_EUlibE_EEviT1_.uses_vcc, 1
	.set _ZN2at6native32elementwise_kernel_manual_unrollILi128ELi4EZNS0_15gpu_kernel_implIZNS0_21compare_scalar_kernelIfEEvRNS_18TensorIteratorBaseENS0_12_GLOBAL__N_16OpTypeET_EUlfE_EEvS5_RKS8_EUlibE_EEviT1_.uses_flat_scratch, 0
	.set _ZN2at6native32elementwise_kernel_manual_unrollILi128ELi4EZNS0_15gpu_kernel_implIZNS0_21compare_scalar_kernelIfEEvRNS_18TensorIteratorBaseENS0_12_GLOBAL__N_16OpTypeET_EUlfE_EEvS5_RKS8_EUlibE_EEviT1_.has_dyn_sized_stack, 0
	.set _ZN2at6native32elementwise_kernel_manual_unrollILi128ELi4EZNS0_15gpu_kernel_implIZNS0_21compare_scalar_kernelIfEEvRNS_18TensorIteratorBaseENS0_12_GLOBAL__N_16OpTypeET_EUlfE_EEvS5_RKS8_EUlibE_EEviT1_.has_recursion, 0
	.set _ZN2at6native32elementwise_kernel_manual_unrollILi128ELi4EZNS0_15gpu_kernel_implIZNS0_21compare_scalar_kernelIfEEvRNS_18TensorIteratorBaseENS0_12_GLOBAL__N_16OpTypeET_EUlfE_EEvS5_RKS8_EUlibE_EEviT1_.has_indirect_call, 0
	.section	.AMDGPU.csdata,"",@progbits
; Kernel info:
; codeLenInByte = 32360
; TotalNumSgprs: 52
; NumVgprs: 10
; ScratchSize: 0
; MemoryBound: 1
; FloatMode: 240
; IeeeMode: 1
; LDSByteSize: 0 bytes/workgroup (compile time only)
; SGPRBlocks: 6
; VGPRBlocks: 2
; NumSGPRsForWavesPerEU: 52
; NumVGPRsForWavesPerEU: 10
; Occupancy: 10
; WaveLimiterHint : 0
; COMPUTE_PGM_RSRC2:SCRATCH_EN: 0
; COMPUTE_PGM_RSRC2:USER_SGPR: 6
; COMPUTE_PGM_RSRC2:TRAP_HANDLER: 0
; COMPUTE_PGM_RSRC2:TGID_X_EN: 1
; COMPUTE_PGM_RSRC2:TGID_Y_EN: 0
; COMPUTE_PGM_RSRC2:TGID_Z_EN: 0
; COMPUTE_PGM_RSRC2:TIDIG_COMP_CNT: 0
	.section	.text._ZN2at6native32elementwise_kernel_manual_unrollILi128ELi4EZNS0_15gpu_kernel_implIZNS0_21compare_scalar_kernelIfEEvRNS_18TensorIteratorBaseENS0_12_GLOBAL__N_16OpTypeET_EUlfE_EEvS5_RKS8_EUlibE0_EEviT1_,"axG",@progbits,_ZN2at6native32elementwise_kernel_manual_unrollILi128ELi4EZNS0_15gpu_kernel_implIZNS0_21compare_scalar_kernelIfEEvRNS_18TensorIteratorBaseENS0_12_GLOBAL__N_16OpTypeET_EUlfE_EEvS5_RKS8_EUlibE0_EEviT1_,comdat
	.globl	_ZN2at6native32elementwise_kernel_manual_unrollILi128ELi4EZNS0_15gpu_kernel_implIZNS0_21compare_scalar_kernelIfEEvRNS_18TensorIteratorBaseENS0_12_GLOBAL__N_16OpTypeET_EUlfE_EEvS5_RKS8_EUlibE0_EEviT1_ ; -- Begin function _ZN2at6native32elementwise_kernel_manual_unrollILi128ELi4EZNS0_15gpu_kernel_implIZNS0_21compare_scalar_kernelIfEEvRNS_18TensorIteratorBaseENS0_12_GLOBAL__N_16OpTypeET_EUlfE_EEvS5_RKS8_EUlibE0_EEviT1_
	.p2align	8
	.type	_ZN2at6native32elementwise_kernel_manual_unrollILi128ELi4EZNS0_15gpu_kernel_implIZNS0_21compare_scalar_kernelIfEEvRNS_18TensorIteratorBaseENS0_12_GLOBAL__N_16OpTypeET_EUlfE_EEvS5_RKS8_EUlibE0_EEviT1_,@function
_ZN2at6native32elementwise_kernel_manual_unrollILi128ELi4EZNS0_15gpu_kernel_implIZNS0_21compare_scalar_kernelIfEEvRNS_18TensorIteratorBaseENS0_12_GLOBAL__N_16OpTypeET_EUlfE_EEvS5_RKS8_EUlibE0_EEviT1_: ; @_ZN2at6native32elementwise_kernel_manual_unrollILi128ELi4EZNS0_15gpu_kernel_implIZNS0_21compare_scalar_kernelIfEEvRNS_18TensorIteratorBaseENS0_12_GLOBAL__N_16OpTypeET_EUlfE_EEvS5_RKS8_EUlibE0_EEviT1_
; %bb.0:
	s_load_dword s72, s[4:5], 0x0
	s_load_dword s33, s[4:5], 0x8
	s_add_u32 s34, s4, 8
	s_addc_u32 s35, s5, 0
	v_lshl_or_b32 v8, s6, 9, v0
	v_or_b32_e32 v15, 0x180, v8
	s_waitcnt lgkmcnt(0)
	s_add_i32 s74, s33, -1
	s_cmp_gt_u32 s74, 1
	v_cmp_le_i32_e32 vcc, s72, v15
	s_cselect_b64 s[40:41], -1, 0
	s_mov_b64 s[6:7], 0
	s_mov_b64 s[28:29], 0
	s_and_saveexec_b64 s[0:1], vcc
	s_xor_b64 s[42:43], exec, s[0:1]
	s_cbranch_execz .LBB103_1151
; %bb.1:
	s_load_dwordx4 s[28:31], s[34:35], 0x4
	s_load_dwordx2 s[46:47], s[34:35], 0x14
	s_load_dwordx2 s[44:45], s[34:35], 0x158
	s_load_dword s75, s[34:35], 0x160
	s_cmp_lg_u32 s33, 0
	s_load_dwordx4 s[36:39], s[34:35], 0xc4
	s_load_dwordx4 s[24:27], s[34:35], 0x148
	s_cselect_b64 s[52:53], -1, 0
	s_add_u32 s50, s34, 0xc4
	s_addc_u32 s51, s35, 0
	s_min_u32 s77, s74, 15
	s_cmp_gt_u32 s33, 1
	s_cselect_b64 s[48:49], -1, 0
	s_waitcnt lgkmcnt(0)
	s_bfe_u32 s76, s75, 0x80008
	v_cmp_gt_i32_e32 vcc, s72, v8
	s_mov_b64 s[2:3], -1
	s_mov_b64 s[62:63], 0
	s_mov_b64 s[56:57], 0
	;; [unrolled: 1-line block ×3, first 2 shown]
	s_and_saveexec_b64 s[58:59], vcc
	s_cbranch_execz .LBB103_282
; %bb.2:
	s_andn2_b64 vcc, exec, s[40:41]
	s_cbranch_vccnz .LBB103_7
; %bb.3:
	s_andn2_b64 vcc, exec, s[52:53]
	s_cbranch_vccnz .LBB103_8
; %bb.4:
	s_add_i32 s61, s77, 1
	s_cmp_eq_u32 s74, 2
	s_cbranch_scc1 .LBB103_9
; %bb.5:
	s_and_b32 s60, s61, 28
	v_mov_b32_e32 v2, 0
	s_mov_b32 s64, 0
	s_mov_b64 s[54:55], s[34:35]
	s_mov_b64 s[56:57], s[50:51]
	v_mov_b32_e32 v0, 0
	v_mov_b32_e32 v1, v8
.LBB103_6:                              ; =>This Inner Loop Header: Depth=1
	s_load_dwordx8 s[16:23], s[54:55], 0x4
	s_load_dwordx4 s[0:3], s[54:55], 0x24
	s_load_dwordx8 s[8:15], s[56:57], 0x0
	s_add_u32 s54, s54, 48
	s_addc_u32 s55, s55, 0
	s_waitcnt lgkmcnt(0)
	v_mul_hi_u32 v3, s17, v1
	s_add_i32 s64, s64, 4
	s_add_u32 s56, s56, 32
	s_addc_u32 s57, s57, 0
	v_add_u32_e32 v3, v1, v3
	v_lshrrev_b32_e32 v3, s18, v3
	v_mul_lo_u32 v4, v3, s16
	v_mul_hi_u32 v5, s20, v3
	s_cmp_lg_u32 s60, s64
	v_sub_u32_e32 v1, v1, v4
	v_add_u32_e32 v4, v3, v5
	v_mul_lo_u32 v5, v1, s8
	v_mul_lo_u32 v6, v1, s9
	v_lshrrev_b32_e32 v1, s21, v4
	v_mul_lo_u32 v4, v1, s19
	v_mul_hi_u32 v7, s23, v1
	v_sub_u32_e32 v3, v3, v4
	v_add_u32_e32 v4, v1, v7
	v_lshrrev_b32_e32 v4, s0, v4
	v_mul_hi_u32 v9, s2, v4
	v_mul_lo_u32 v10, v4, s22
	v_mul_lo_u32 v7, v3, s10
	;; [unrolled: 1-line block ×3, first 2 shown]
	v_sub_u32_e32 v10, v1, v10
	v_add_u32_e32 v1, v4, v9
	v_lshrrev_b32_e32 v1, s3, v1
	v_mul_lo_u32 v9, v1, s1
	v_mul_lo_u32 v11, v10, s12
	;; [unrolled: 1-line block ×3, first 2 shown]
	v_add3_u32 v0, v5, v0, v7
	v_sub_u32_e32 v4, v4, v9
	v_mul_lo_u32 v9, v4, s14
	v_mul_lo_u32 v4, v4, s15
	v_add3_u32 v2, v6, v2, v3
	v_add3_u32 v0, v11, v0, v9
	;; [unrolled: 1-line block ×3, first 2 shown]
	s_cbranch_scc1 .LBB103_6
	s_branch .LBB103_10
.LBB103_7:
                                        ; implicit-def: $vgpr0
                                        ; implicit-def: $vgpr2
	s_branch .LBB103_14
.LBB103_8:
	v_mov_b32_e32 v0, 0
	v_mov_b32_e32 v2, 0
	s_branch .LBB103_13
.LBB103_9:
	s_mov_b32 s60, 0
	v_mov_b32_e32 v0, 0
	v_mov_b32_e32 v2, 0
	;; [unrolled: 1-line block ×3, first 2 shown]
.LBB103_10:
	s_and_b32 s8, s61, 3
	s_cmp_eq_u32 s8, 0
	s_cbranch_scc1 .LBB103_13
; %bb.11:
	s_lshl_b32 s0, s60, 3
	s_add_u32 s0, s34, s0
	s_addc_u32 s1, s35, 0
	s_add_u32 s0, s0, 0xc4
	s_addc_u32 s1, s1, 0
	s_mul_i32 s2, s60, 12
	s_add_u32 s2, s34, s2
	s_addc_u32 s3, s35, 0
.LBB103_12:                             ; =>This Inner Loop Header: Depth=1
	s_load_dwordx2 s[10:11], s[2:3], 0x4
	s_load_dword s9, s[2:3], 0xc
	s_load_dwordx2 s[12:13], s[0:1], 0x0
	s_add_u32 s2, s2, 12
	s_addc_u32 s3, s3, 0
	s_waitcnt lgkmcnt(0)
	v_mul_hi_u32 v3, s11, v1
	s_add_u32 s0, s0, 8
	s_addc_u32 s1, s1, 0
	s_add_i32 s8, s8, -1
	v_add_u32_e32 v3, v1, v3
	v_lshrrev_b32_e32 v4, s9, v3
	v_mul_lo_u32 v3, v4, s10
	s_cmp_lg_u32 s8, 0
	v_sub_u32_e32 v3, v1, v3
	v_mad_u64_u32 v[0:1], s[10:11], v3, s12, v[0:1]
	v_mad_u64_u32 v[2:3], s[10:11], v3, s13, v[2:3]
	v_mov_b32_e32 v1, v4
	s_cbranch_scc1 .LBB103_12
.LBB103_13:
	s_cbranch_execnz .LBB103_16
.LBB103_14:
	v_mul_hi_u32 v0, s29, v8
	s_andn2_b64 vcc, exec, s[48:49]
	v_add_u32_e32 v0, v8, v0
	v_lshrrev_b32_e32 v1, s30, v0
	v_mul_lo_u32 v0, v1, s28
	v_sub_u32_e32 v2, v8, v0
	v_mul_lo_u32 v0, v2, s36
	v_mul_lo_u32 v2, v2, s37
	s_cbranch_vccnz .LBB103_16
; %bb.15:
	v_mul_hi_u32 v3, s46, v1
	v_add_u32_e32 v3, v1, v3
	v_lshrrev_b32_e32 v3, s47, v3
	v_mul_lo_u32 v3, v3, s31
	v_sub_u32_e32 v3, v1, v3
	v_mad_u64_u32 v[0:1], s[0:1], v3, s38, v[0:1]
	v_mad_u64_u32 v[2:3], s[0:1], v3, s39, v[2:3]
.LBB103_16:
	v_mov_b32_e32 v3, s27
	s_and_b32 s12, 0xffff, s76
	v_add_co_u32_e32 v1, vcc, s26, v2
	s_cmp_lt_i32 s12, 11
	v_addc_co_u32_e32 v2, vcc, 0, v3, vcc
	s_cbranch_scc1 .LBB103_23
; %bb.17:
	s_cmp_gt_i32 s12, 25
	s_cbranch_scc0 .LBB103_29
; %bb.18:
	s_cmp_gt_i32 s12, 28
	s_cbranch_scc0 .LBB103_31
	;; [unrolled: 3-line block ×4, first 2 shown]
; %bb.21:
	s_cmp_eq_u32 s12, 46
	s_mov_b64 s[8:9], 0
	s_cbranch_scc0 .LBB103_57
; %bb.22:
	global_load_dword v3, v[1:2], off
	s_mov_b64 s[0:1], -1
	s_mov_b64 s[2:3], 0
	s_waitcnt vmcnt(0)
	v_lshlrev_b32_e32 v3, 16, v3
	s_branch .LBB103_59
.LBB103_23:
	s_mov_b64 s[2:3], 0
                                        ; implicit-def: $vgpr3
	s_mov_b64 s[0:1], 0
	s_cbranch_execnz .LBB103_232
.LBB103_24:
	s_andn2_b64 vcc, exec, s[0:1]
	s_cbranch_vccnz .LBB103_279
.LBB103_25:
	s_cmp_lt_i32 s44, 1
	s_mov_b64 s[0:1], 0
	s_cbranch_scc1 .LBB103_30
; %bb.26:
	s_cmp_gt_i32 s44, 1
	s_cbranch_scc0 .LBB103_32
; %bb.27:
	s_cmp_eq_u32 s44, 2
	s_cbranch_scc0 .LBB103_34
; %bb.28:
	s_waitcnt vmcnt(0)
	v_cmp_ge_f32_e64 s[8:9], s45, v3
	s_mov_b64 s[10:11], 0
	s_branch .LBB103_35
.LBB103_29:
	s_mov_b64 s[2:3], 0
	s_mov_b64 s[0:1], 0
                                        ; implicit-def: $vgpr3
	s_cbranch_execnz .LBB103_197
	s_branch .LBB103_231
.LBB103_30:
                                        ; implicit-def: $sgpr8_sgpr9
	s_mov_b64 s[10:11], 0
	s_cbranch_execnz .LBB103_39
	s_branch .LBB103_40
.LBB103_31:
	s_mov_b64 s[8:9], -1
	s_mov_b64 s[2:3], 0
	s_mov_b64 s[0:1], 0
                                        ; implicit-def: $vgpr3
	s_branch .LBB103_178
.LBB103_32:
	s_mov_b64 s[12:13], -1
	s_mov_b64 s[10:11], 0
                                        ; implicit-def: $sgpr8_sgpr9
	s_branch .LBB103_36
.LBB103_33:
	s_mov_b64 s[8:9], -1
	s_mov_b64 s[2:3], 0
	s_mov_b64 s[0:1], 0
                                        ; implicit-def: $vgpr3
	s_branch .LBB103_173
.LBB103_34:
	s_mov_b64 s[10:11], -1
                                        ; implicit-def: $sgpr8_sgpr9
.LBB103_35:
	s_mov_b64 s[12:13], 0
.LBB103_36:
	s_and_b64 vcc, exec, s[12:13]
	s_cbranch_vccz .LBB103_38
; %bb.37:
	s_waitcnt vmcnt(0)
	v_cmp_lt_f32_e32 vcc, s45, v3
	s_andn2_b64 s[8:9], s[8:9], exec
	s_and_b64 s[12:13], vcc, exec
	s_or_b64 s[8:9], s[8:9], s[12:13]
.LBB103_38:
	s_branch .LBB103_40
.LBB103_39:
	s_cmp_lg_u32 s44, 0
	s_mov_b64 s[0:1], -1
	s_cselect_b64 s[10:11], -1, 0
.LBB103_40:
	s_andn2_b64 vcc, exec, s[10:11]
	s_cbranch_vccnz .LBB103_42
; %bb.41:
	s_waitcnt vmcnt(0)
	v_cmp_gt_f32_e32 vcc, s45, v3
	s_andn2_b64 s[8:9], s[8:9], exec
	s_and_b64 s[10:11], vcc, exec
	s_or_b64 s[8:9], s[8:9], s[10:11]
	s_cbranch_execz .LBB103_43
	s_branch .LBB103_44
.LBB103_42:
	s_andn2_b64 vcc, exec, s[0:1]
	s_cbranch_vccnz .LBB103_44
.LBB103_43:
	s_waitcnt vmcnt(0)
	v_cmp_le_f32_e32 vcc, s45, v3
	s_andn2_b64 s[0:1], s[8:9], exec
	s_and_b64 s[8:9], vcc, exec
	s_or_b64 s[8:9], s[0:1], s[8:9]
.LBB103_44:
	v_mov_b32_e32 v1, s25
	s_and_b32 s16, s75, 0xff
	v_add_co_u32_e32 v0, vcc, s24, v0
	s_cmp_lt_i32 s16, 11
	v_addc_co_u32_e32 v1, vcc, 0, v1, vcc
	s_cbranch_scc1 .LBB103_51
; %bb.45:
	s_and_b32 s17, 0xffff, s16
	s_cmp_gt_i32 s17, 25
	s_cbranch_scc0 .LBB103_53
; %bb.46:
	s_cmp_gt_i32 s17, 28
	s_cbranch_scc0 .LBB103_54
; %bb.47:
	;; [unrolled: 3-line block ×4, first 2 shown]
	s_mov_b64 s[12:13], 0
	s_mov_b64 s[0:1], -1
	s_cmp_eq_u32 s17, 46
	s_mov_b64 s[10:11], 0
	s_cbranch_scc0 .LBB103_63
; %bb.50:
	v_cndmask_b32_e64 v2, 0, 1.0, s[8:9]
	s_waitcnt vmcnt(0)
	v_bfe_u32 v3, v2, 16, 1
	s_movk_i32 s0, 0x7fff
	v_add3_u32 v2, v2, v3, s0
	v_lshrrev_b32_e32 v2, 16, v2
	global_store_dword v[0:1], v2, off
	s_mov_b64 s[10:11], -1
	s_mov_b64 s[0:1], 0
	s_branch .LBB103_63
.LBB103_51:
	s_mov_b64 s[0:1], 0
	s_mov_b64 s[10:11], 0
	s_cbranch_execnz .LBB103_132
.LBB103_52:
	s_andn2_b64 vcc, exec, s[10:11]
	s_cbranch_vccnz .LBB103_280
	s_branch .LBB103_170
.LBB103_53:
	s_mov_b64 s[12:13], -1
	s_mov_b64 s[0:1], 0
	s_mov_b64 s[10:11], 0
	s_branch .LBB103_90
.LBB103_54:
	s_mov_b64 s[12:13], -1
	s_mov_b64 s[0:1], 0
	s_mov_b64 s[10:11], 0
	s_branch .LBB103_73
.LBB103_55:
	s_mov_b64 s[8:9], -1
	s_mov_b64 s[2:3], 0
	s_branch .LBB103_58
.LBB103_56:
	s_mov_b64 s[12:13], -1
	s_mov_b64 s[0:1], 0
	s_mov_b64 s[10:11], 0
	s_branch .LBB103_69
.LBB103_57:
	s_mov_b64 s[2:3], -1
.LBB103_58:
	s_mov_b64 s[0:1], 0
                                        ; implicit-def: $vgpr3
.LBB103_59:
	s_and_b64 vcc, exec, s[8:9]
	s_cbranch_vccz .LBB103_172
; %bb.60:
	s_cmp_eq_u32 s12, 44
	s_cbranch_scc0 .LBB103_171
; %bb.61:
	global_load_ubyte v3, v[1:2], off
	s_movk_i32 s2, 0xff
	v_mov_b32_e32 v4, 0x7f800001
	v_mov_b32_e32 v5, 0x400000
	s_mov_b64 s[0:1], -1
	s_waitcnt vmcnt(0)
	v_lshlrev_b32_e32 v6, 23, v3
	v_cmp_ne_u32_e32 vcc, s2, v3
	v_cndmask_b32_e32 v4, v4, v6, vcc
	v_cmp_ne_u32_e32 vcc, 0, v3
	v_cndmask_b32_e32 v3, v5, v4, vcc
	s_mov_b64 s[2:3], 0
	s_branch .LBB103_172
.LBB103_62:
	s_mov_b64 s[12:13], -1
	s_mov_b64 s[0:1], 0
	s_mov_b64 s[10:11], 0
.LBB103_63:
	s_and_b64 vcc, exec, s[12:13]
	s_cbranch_vccz .LBB103_68
; %bb.64:
	s_cmp_eq_u32 s17, 44
	s_mov_b64 s[0:1], -1
	s_cbranch_scc0 .LBB103_68
; %bb.65:
	s_waitcnt vmcnt(0)
	v_cndmask_b32_e64 v3, 0, 1.0, s[8:9]
	v_lshrrev_b32_e32 v2, 23, v3
	s_movk_i32 s0, 0xff
	v_cmp_ne_u32_e32 vcc, s0, v2
	v_mov_b32_e32 v4, 0xff
	s_and_saveexec_b64 s[10:11], vcc
; %bb.66:
	s_mov_b32 s0, 0x3fffff
	v_and_b32_e32 v4, 0x400000, v3
	v_and_or_b32 v3, v3, s0, v2
	v_cmp_ne_u32_e32 vcc, 0, v4
	v_cmp_ne_u32_e64 s[0:1], 0, v3
	s_and_b64 s[0:1], vcc, s[0:1]
	v_cndmask_b32_e64 v3, 0, 1, s[0:1]
	v_add_u32_e32 v4, v2, v3
; %bb.67:
	s_or_b64 exec, exec, s[10:11]
	s_mov_b64 s[10:11], -1
	s_mov_b64 s[0:1], 0
	global_store_byte v[0:1], v4, off
.LBB103_68:
	s_mov_b64 s[12:13], 0
.LBB103_69:
	s_and_b64 vcc, exec, s[12:13]
	s_cbranch_vccz .LBB103_72
; %bb.70:
	s_cmp_eq_u32 s17, 29
	s_mov_b64 s[0:1], -1
	s_cbranch_scc0 .LBB103_72
; %bb.71:
	s_mov_b32 s0, 0
	v_cndmask_b32_e64 v2, 0, 1, s[8:9]
	s_waitcnt vmcnt(0)
	v_mov_b32_e32 v3, s0
	global_store_dwordx2 v[0:1], v[2:3], off
	s_mov_b64 s[10:11], -1
	s_mov_b64 s[0:1], 0
.LBB103_72:
	s_mov_b64 s[12:13], 0
.LBB103_73:
	s_and_b64 vcc, exec, s[12:13]
	s_cbranch_vccz .LBB103_89
; %bb.74:
	s_cmp_lt_i32 s17, 27
	s_mov_b64 s[10:11], -1
	s_cbranch_scc1 .LBB103_80
; %bb.75:
	s_cmp_gt_i32 s17, 27
	s_cbranch_scc0 .LBB103_77
; %bb.76:
	v_cndmask_b32_e64 v2, 0, 1, s[8:9]
	s_mov_b64 s[10:11], 0
	global_store_dword v[0:1], v2, off
.LBB103_77:
	s_andn2_b64 vcc, exec, s[10:11]
	s_cbranch_vccnz .LBB103_79
; %bb.78:
	v_cndmask_b32_e64 v2, 0, 1, s[8:9]
	global_store_short v[0:1], v2, off
.LBB103_79:
	s_mov_b64 s[10:11], 0
.LBB103_80:
	s_andn2_b64 vcc, exec, s[10:11]
	s_cbranch_vccnz .LBB103_88
; %bb.81:
	s_waitcnt vmcnt(0)
	v_cndmask_b32_e64 v3, 0, 1.0, s[8:9]
	s_mov_b32 s10, 0x43800000
	v_cmp_gt_u32_e32 vcc, s10, v3
	v_mov_b32_e32 v4, 0x80
	s_and_saveexec_b64 s[10:11], vcc
	s_cbranch_execz .LBB103_87
; %bb.82:
	s_mov_b32 s12, 0x3bffffff
	v_cmp_lt_u32_e32 vcc, s12, v3
	s_mov_b64 s[12:13], 0
                                        ; implicit-def: $vgpr2
	s_and_saveexec_b64 s[14:15], vcc
	s_xor_b64 s[14:15], exec, s[14:15]
	s_cbranch_execz .LBB103_339
; %bb.83:
	v_bfe_u32 v2, v3, 20, 1
	s_mov_b32 s18, 0x487ffff
	v_add3_u32 v2, v3, v2, s18
	s_mov_b64 s[12:13], exec
	v_lshrrev_b32_e32 v2, 20, v2
                                        ; implicit-def: $vgpr3
	s_andn2_saveexec_b64 s[14:15], s[14:15]
	s_cbranch_execnz .LBB103_340
.LBB103_84:
	s_or_b64 exec, exec, s[14:15]
	v_mov_b32_e32 v4, 0
	s_and_saveexec_b64 s[14:15], s[12:13]
.LBB103_85:
	v_mov_b32_e32 v4, v2
.LBB103_86:
	s_or_b64 exec, exec, s[14:15]
.LBB103_87:
	s_or_b64 exec, exec, s[10:11]
	global_store_byte v[0:1], v4, off
.LBB103_88:
	s_mov_b64 s[10:11], -1
.LBB103_89:
	s_mov_b64 s[12:13], 0
.LBB103_90:
	s_and_b64 vcc, exec, s[12:13]
	s_cbranch_vccz .LBB103_131
; %bb.91:
	s_cmp_gt_i32 s17, 22
	s_mov_b64 s[12:13], -1
	s_cbranch_scc0 .LBB103_123
; %bb.92:
	s_cmp_lt_i32 s17, 24
	s_mov_b64 s[10:11], -1
	s_cbranch_scc1 .LBB103_112
; %bb.93:
	s_cmp_gt_i32 s17, 24
	s_cbranch_scc0 .LBB103_101
; %bb.94:
	s_waitcnt vmcnt(0)
	v_cndmask_b32_e64 v3, 0, 1.0, s[8:9]
	s_mov_b32 s10, 0x47800000
	v_cmp_gt_u32_e32 vcc, s10, v3
	v_mov_b32_e32 v4, 0x80
	s_and_saveexec_b64 s[10:11], vcc
	s_cbranch_execz .LBB103_100
; %bb.95:
	s_mov_b32 s12, 0x37ffffff
	v_cmp_lt_u32_e32 vcc, s12, v3
	s_mov_b64 s[12:13], 0
                                        ; implicit-def: $vgpr2
	s_and_saveexec_b64 s[14:15], vcc
	s_xor_b64 s[14:15], exec, s[14:15]
	s_cbranch_execz .LBB103_343
; %bb.96:
	v_bfe_u32 v2, v3, 21, 1
	s_mov_b32 s18, 0x88fffff
	v_add3_u32 v2, v3, v2, s18
	s_mov_b64 s[12:13], exec
	v_lshrrev_b32_e32 v2, 21, v2
                                        ; implicit-def: $vgpr3
	s_andn2_saveexec_b64 s[14:15], s[14:15]
	s_cbranch_execnz .LBB103_344
.LBB103_97:
	s_or_b64 exec, exec, s[14:15]
	v_mov_b32_e32 v4, 0
	s_and_saveexec_b64 s[14:15], s[12:13]
.LBB103_98:
	v_mov_b32_e32 v4, v2
.LBB103_99:
	s_or_b64 exec, exec, s[14:15]
.LBB103_100:
	s_or_b64 exec, exec, s[10:11]
	s_mov_b64 s[10:11], 0
	global_store_byte v[0:1], v4, off
.LBB103_101:
	s_and_b64 vcc, exec, s[10:11]
	s_cbranch_vccz .LBB103_111
; %bb.102:
	v_cndmask_b32_e64 v2, 0, 1.0, s[8:9]
	s_mov_b32 s10, 0x43f00000
	v_cmp_gt_u32_e32 vcc, s10, v2
                                        ; implicit-def: $vgpr3
	s_and_saveexec_b64 s[10:11], vcc
	s_xor_b64 s[10:11], exec, s[10:11]
	s_cbranch_execz .LBB103_108
; %bb.103:
	s_mov_b32 s12, 0x3c7fffff
	v_cmp_lt_u32_e32 vcc, s12, v2
                                        ; implicit-def: $vgpr3
	s_and_saveexec_b64 s[12:13], vcc
	s_xor_b64 s[12:13], exec, s[12:13]
	s_cbranch_execz .LBB103_105
; %bb.104:
	s_waitcnt vmcnt(0)
	v_bfe_u32 v3, v2, 20, 1
	s_mov_b32 s14, 0x407ffff
	v_add3_u32 v2, v2, v3, s14
	v_lshrrev_b32_e32 v3, 20, v2
	v_and_b32_e32 v2, 0xff00000, v2
	s_mov_b32 s14, 0x7f00000
	v_mov_b32_e32 v4, 0x7e
	v_cmp_ne_u32_e32 vcc, s14, v2
	v_cndmask_b32_e32 v3, v4, v3, vcc
                                        ; implicit-def: $vgpr2
.LBB103_105:
	s_andn2_saveexec_b64 s[12:13], s[12:13]
	s_cbranch_execz .LBB103_107
; %bb.106:
	s_waitcnt vmcnt(0)
	v_add_f32_e32 v3, 0x46800000, v2
.LBB103_107:
	s_or_b64 exec, exec, s[12:13]
                                        ; implicit-def: $vgpr2
.LBB103_108:
	s_andn2_saveexec_b64 s[10:11], s[10:11]
	s_cbranch_execz .LBB103_110
; %bb.109:
	s_mov_b32 s12, 0x7f800000
	s_waitcnt vmcnt(0)
	v_mov_b32_e32 v3, 0x7e
	v_mov_b32_e32 v4, 0x7f
	v_cmp_lt_u32_e32 vcc, s12, v2
	v_cndmask_b32_e32 v3, v3, v4, vcc
.LBB103_110:
	s_or_b64 exec, exec, s[10:11]
	s_waitcnt vmcnt(0)
	global_store_byte v[0:1], v3, off
.LBB103_111:
	s_mov_b64 s[10:11], 0
.LBB103_112:
	s_andn2_b64 vcc, exec, s[10:11]
	s_cbranch_vccnz .LBB103_122
; %bb.113:
	v_cndmask_b32_e64 v2, 0, 1.0, s[8:9]
	s_mov_b32 s10, 0x47800000
	v_cmp_gt_u32_e32 vcc, s10, v2
                                        ; implicit-def: $vgpr3
	s_and_saveexec_b64 s[10:11], vcc
	s_xor_b64 s[10:11], exec, s[10:11]
	s_cbranch_execz .LBB103_119
; %bb.114:
	s_mov_b32 s12, 0x387fffff
	v_cmp_lt_u32_e32 vcc, s12, v2
                                        ; implicit-def: $vgpr3
	s_and_saveexec_b64 s[12:13], vcc
	s_xor_b64 s[12:13], exec, s[12:13]
	s_cbranch_execz .LBB103_116
; %bb.115:
	s_waitcnt vmcnt(0)
	v_bfe_u32 v3, v2, 21, 1
	s_mov_b32 s14, 0x80fffff
	v_add3_u32 v2, v2, v3, s14
	v_lshrrev_b32_e32 v3, 21, v2
                                        ; implicit-def: $vgpr2
.LBB103_116:
	s_andn2_saveexec_b64 s[12:13], s[12:13]
	s_cbranch_execz .LBB103_118
; %bb.117:
	s_waitcnt vmcnt(0)
	v_add_f32_e32 v3, 0x43000000, v2
.LBB103_118:
	s_or_b64 exec, exec, s[12:13]
                                        ; implicit-def: $vgpr2
.LBB103_119:
	s_andn2_saveexec_b64 s[10:11], s[10:11]
	s_cbranch_execz .LBB103_121
; %bb.120:
	s_mov_b32 s12, 0x7f800000
	s_waitcnt vmcnt(0)
	v_mov_b32_e32 v3, 0x7c
	v_mov_b32_e32 v4, 0x7f
	v_cmp_lt_u32_e32 vcc, s12, v2
	v_cndmask_b32_e32 v3, v3, v4, vcc
.LBB103_121:
	s_or_b64 exec, exec, s[10:11]
	s_waitcnt vmcnt(0)
	global_store_byte v[0:1], v3, off
.LBB103_122:
	s_mov_b64 s[12:13], 0
	s_mov_b64 s[10:11], -1
.LBB103_123:
	s_andn2_b64 vcc, exec, s[12:13]
	s_cbranch_vccnz .LBB103_131
; %bb.124:
	s_cmp_gt_i32 s17, 14
	s_mov_b64 s[12:13], -1
	s_cbranch_scc0 .LBB103_128
; %bb.125:
	s_cmp_eq_u32 s17, 15
	s_mov_b64 s[0:1], -1
	s_cbranch_scc0 .LBB103_127
; %bb.126:
	v_cndmask_b32_e64 v2, 0, 1.0, s[8:9]
	s_waitcnt vmcnt(0)
	v_bfe_u32 v3, v2, 16, 1
	s_movk_i32 s0, 0x7fff
	v_add3_u32 v2, v2, v3, s0
	global_store_short_d16_hi v[0:1], v2, off
	s_mov_b64 s[10:11], -1
	s_mov_b64 s[0:1], 0
.LBB103_127:
	s_mov_b64 s[12:13], 0
.LBB103_128:
	s_and_b64 vcc, exec, s[12:13]
	s_cbranch_vccz .LBB103_131
; %bb.129:
	s_cmp_eq_u32 s17, 11
	s_mov_b64 s[0:1], -1
	s_cbranch_scc0 .LBB103_131
; %bb.130:
	v_cndmask_b32_e64 v2, 0, 1, s[8:9]
	s_mov_b64 s[10:11], -1
	s_mov_b64 s[0:1], 0
	global_store_byte v[0:1], v2, off
.LBB103_131:
	s_branch .LBB103_52
.LBB103_132:
	s_and_b32 s12, 0xffff, s16
	s_cmp_lt_i32 s12, 5
	s_mov_b64 s[10:11], -1
	s_cbranch_scc1 .LBB103_153
; %bb.133:
	s_cmp_lt_i32 s12, 8
	s_cbranch_scc1 .LBB103_143
; %bb.134:
	s_cmp_lt_i32 s12, 9
	s_cbranch_scc1 .LBB103_140
; %bb.135:
	s_cmp_gt_i32 s12, 9
	s_cbranch_scc0 .LBB103_137
; %bb.136:
	v_cndmask_b32_e64 v2, 0, 1, s[8:9]
	s_waitcnt vmcnt(0)
	v_cvt_f64_u32_e32 v[2:3], v2
	v_mov_b32_e32 v4, 0
	v_mov_b32_e32 v5, v4
	s_mov_b64 s[10:11], 0
	global_store_dwordx4 v[0:1], v[2:5], off
.LBB103_137:
	s_andn2_b64 vcc, exec, s[10:11]
	s_cbranch_vccnz .LBB103_139
; %bb.138:
	v_cndmask_b32_e64 v2, 0, 1.0, s[8:9]
	s_waitcnt vmcnt(0)
	v_mov_b32_e32 v3, 0
	global_store_dwordx2 v[0:1], v[2:3], off
.LBB103_139:
	s_mov_b64 s[10:11], 0
.LBB103_140:
	s_andn2_b64 vcc, exec, s[10:11]
	s_cbranch_vccnz .LBB103_142
; %bb.141:
	v_cndmask_b32_e64 v2, 0, 1.0, s[8:9]
	v_cvt_f16_f32_e32 v2, v2
	global_store_dword v[0:1], v2, off
.LBB103_142:
	s_mov_b64 s[10:11], 0
.LBB103_143:
	s_andn2_b64 vcc, exec, s[10:11]
	s_cbranch_vccnz .LBB103_152
; %bb.144:
	s_cmp_lt_i32 s12, 6
	s_mov_b64 s[10:11], -1
	s_cbranch_scc1 .LBB103_150
; %bb.145:
	s_cmp_gt_i32 s12, 6
	s_cbranch_scc0 .LBB103_147
; %bb.146:
	v_cndmask_b32_e64 v2, 0, 1, s[8:9]
	s_waitcnt vmcnt(0)
	v_cvt_f64_u32_e32 v[2:3], v2
	s_mov_b64 s[10:11], 0
	global_store_dwordx2 v[0:1], v[2:3], off
.LBB103_147:
	s_andn2_b64 vcc, exec, s[10:11]
	s_cbranch_vccnz .LBB103_149
; %bb.148:
	v_cndmask_b32_e64 v2, 0, 1.0, s[8:9]
	global_store_dword v[0:1], v2, off
.LBB103_149:
	s_mov_b64 s[10:11], 0
.LBB103_150:
	s_andn2_b64 vcc, exec, s[10:11]
	s_cbranch_vccnz .LBB103_152
; %bb.151:
	v_cndmask_b32_e64 v2, 0, 1.0, s[8:9]
	v_cvt_f16_f32_e32 v2, v2
	global_store_short v[0:1], v2, off
.LBB103_152:
	s_mov_b64 s[10:11], 0
.LBB103_153:
	s_andn2_b64 vcc, exec, s[10:11]
	s_cbranch_vccnz .LBB103_169
; %bb.154:
	s_cmp_lt_i32 s12, 2
	s_mov_b64 s[10:11], -1
	s_cbranch_scc1 .LBB103_164
; %bb.155:
	s_cmp_lt_i32 s12, 3
	s_cbranch_scc1 .LBB103_161
; %bb.156:
	s_cmp_gt_i32 s12, 3
	s_cbranch_scc0 .LBB103_158
; %bb.157:
	s_mov_b32 s10, 0
	v_cndmask_b32_e64 v2, 0, 1, s[8:9]
	s_waitcnt vmcnt(0)
	v_mov_b32_e32 v3, s10
	global_store_dwordx2 v[0:1], v[2:3], off
	s_mov_b64 s[10:11], 0
.LBB103_158:
	s_andn2_b64 vcc, exec, s[10:11]
	s_cbranch_vccnz .LBB103_160
; %bb.159:
	v_cndmask_b32_e64 v2, 0, 1, s[8:9]
	global_store_dword v[0:1], v2, off
.LBB103_160:
	s_mov_b64 s[10:11], 0
.LBB103_161:
	s_andn2_b64 vcc, exec, s[10:11]
	s_cbranch_vccnz .LBB103_163
; %bb.162:
	v_cndmask_b32_e64 v2, 0, 1, s[8:9]
	global_store_short v[0:1], v2, off
.LBB103_163:
	s_mov_b64 s[10:11], 0
.LBB103_164:
	s_andn2_b64 vcc, exec, s[10:11]
	s_cbranch_vccnz .LBB103_169
; %bb.165:
	s_cmp_gt_i32 s12, 0
	s_mov_b64 s[10:11], -1
	s_cbranch_scc0 .LBB103_167
; %bb.166:
	v_cndmask_b32_e64 v2, 0, 1, s[8:9]
	global_store_byte v[0:1], v2, off
	s_mov_b64 s[10:11], 0
.LBB103_167:
	s_andn2_b64 vcc, exec, s[10:11]
	s_cbranch_vccnz .LBB103_169
; %bb.168:
	v_cndmask_b32_e64 v2, 0, 1, s[8:9]
	global_store_byte v[0:1], v2, off
.LBB103_169:
.LBB103_170:
	v_add_u32_e32 v8, 0x80, v8
	s_mov_b64 s[8:9], -1
	s_branch .LBB103_281
.LBB103_171:
	s_mov_b64 s[2:3], -1
                                        ; implicit-def: $vgpr3
.LBB103_172:
	s_mov_b64 s[8:9], 0
.LBB103_173:
	s_and_b64 vcc, exec, s[8:9]
	s_cbranch_vccz .LBB103_177
; %bb.174:
	s_cmp_eq_u32 s12, 29
	s_cbranch_scc0 .LBB103_176
; %bb.175:
	global_load_dwordx2 v[3:4], v[1:2], off
	s_mov_b64 s[0:1], -1
	s_mov_b64 s[2:3], 0
	s_mov_b64 s[8:9], 0
	s_waitcnt vmcnt(0)
	v_ffbh_u32_e32 v5, v4
	v_min_u32_e32 v5, 32, v5
	v_lshlrev_b64 v[3:4], v5, v[3:4]
	v_min_u32_e32 v3, 1, v3
	v_or_b32_e32 v3, v4, v3
	v_cvt_f32_u32_e32 v3, v3
	v_sub_u32_e32 v4, 32, v5
	v_ldexp_f32 v3, v3, v4
	s_branch .LBB103_178
.LBB103_176:
	s_mov_b64 s[2:3], -1
                                        ; implicit-def: $vgpr3
.LBB103_177:
	s_mov_b64 s[8:9], 0
.LBB103_178:
	s_and_b64 vcc, exec, s[8:9]
	s_cbranch_vccz .LBB103_196
; %bb.179:
	s_cmp_lt_i32 s12, 27
	s_cbranch_scc1 .LBB103_182
; %bb.180:
	s_cmp_gt_i32 s12, 27
	s_cbranch_scc0 .LBB103_183
; %bb.181:
	global_load_dword v3, v[1:2], off
	s_mov_b64 s[0:1], 0
	s_waitcnt vmcnt(0)
	v_cvt_f32_u32_e32 v3, v3
	s_branch .LBB103_184
.LBB103_182:
	s_mov_b64 s[0:1], -1
                                        ; implicit-def: $vgpr3
	s_branch .LBB103_187
.LBB103_183:
	s_mov_b64 s[0:1], -1
                                        ; implicit-def: $vgpr3
.LBB103_184:
	s_andn2_b64 vcc, exec, s[0:1]
	s_cbranch_vccnz .LBB103_186
; %bb.185:
	global_load_ushort v3, v[1:2], off
	s_waitcnt vmcnt(0)
	v_cvt_f32_u32_e32 v3, v3
.LBB103_186:
	s_mov_b64 s[0:1], 0
.LBB103_187:
	s_andn2_b64 vcc, exec, s[0:1]
	s_cbranch_vccnz .LBB103_195
; %bb.188:
	global_load_ubyte v4, v[1:2], off
	s_movk_i32 s0, 0x7f
	s_waitcnt vmcnt(0)
	v_cmp_lt_i16_e32 vcc, s0, v4
	s_mov_b64 s[0:1], 0
	s_and_saveexec_b64 s[8:9], vcc
	s_xor_b64 s[8:9], exec, s[8:9]
	s_cbranch_execz .LBB103_208
; %bb.189:
	s_movk_i32 s0, 0x80
	v_cmp_eq_u16_e32 vcc, s0, v4
	s_mov_b64 s[0:1], -1
	s_and_saveexec_b64 s[10:11], vcc
; %bb.190:
	s_xor_b64 s[0:1], exec, -1
; %bb.191:
	s_or_b64 exec, exec, s[10:11]
	s_and_b64 s[0:1], s[0:1], exec
	s_or_saveexec_b64 s[8:9], s[8:9]
	v_mov_b32_e32 v3, 0x7f800001
	s_xor_b64 exec, exec, s[8:9]
	s_cbranch_execnz .LBB103_209
.LBB103_192:
	s_or_b64 exec, exec, s[8:9]
	s_and_saveexec_b64 s[8:9], s[0:1]
	s_cbranch_execz .LBB103_194
.LBB103_193:
	v_lshlrev_b32_e32 v3, 24, v4
	v_and_b32_e32 v4, 0xffff, v4
	v_and_b32_e32 v5, 7, v4
	v_ffbh_u32_e32 v7, v5
	v_min_u32_e32 v7, 32, v7
	v_subrev_u32_e32 v9, 28, v7
	v_bfe_u32 v6, v4, 3, 4
	v_lshlrev_b32_e32 v4, v9, v4
	v_sub_u32_e32 v7, 29, v7
	v_and_b32_e32 v4, 7, v4
	v_cmp_eq_u32_e32 vcc, 0, v6
	v_cndmask_b32_e32 v6, v6, v7, vcc
	v_cndmask_b32_e32 v4, v5, v4, vcc
	v_mov_b32_e32 v5, 0x3b800000
	v_lshlrev_b32_e32 v4, 20, v4
	v_and_b32_e32 v3, 0x80000000, v3
	v_lshl_add_u32 v5, v6, 23, v5
	v_or3_b32 v3, v3, v5, v4
.LBB103_194:
	s_or_b64 exec, exec, s[8:9]
.LBB103_195:
	s_mov_b64 s[0:1], -1
.LBB103_196:
	s_branch .LBB103_231
.LBB103_197:
	s_cmp_gt_i32 s12, 22
	s_cbranch_scc0 .LBB103_207
; %bb.198:
	s_cmp_lt_i32 s12, 24
	s_cbranch_scc1 .LBB103_210
; %bb.199:
	s_cmp_gt_i32 s12, 24
	s_cbranch_scc0 .LBB103_211
; %bb.200:
	global_load_ubyte v4, v[1:2], off
	s_movk_i32 s0, 0x7f
	s_waitcnt vmcnt(0)
	v_cmp_lt_i16_e32 vcc, s0, v4
	s_mov_b64 s[0:1], 0
	s_and_saveexec_b64 s[8:9], vcc
	s_xor_b64 s[8:9], exec, s[8:9]
	s_cbranch_execz .LBB103_223
; %bb.201:
	s_movk_i32 s0, 0x80
	v_cmp_eq_u16_e32 vcc, s0, v4
	s_mov_b64 s[0:1], -1
	s_and_saveexec_b64 s[10:11], vcc
; %bb.202:
	s_xor_b64 s[0:1], exec, -1
; %bb.203:
	s_or_b64 exec, exec, s[10:11]
	s_and_b64 s[0:1], s[0:1], exec
	s_or_saveexec_b64 s[8:9], s[8:9]
	v_mov_b32_e32 v3, 0x7f800001
	s_xor_b64 exec, exec, s[8:9]
	s_cbranch_execnz .LBB103_224
.LBB103_204:
	s_or_b64 exec, exec, s[8:9]
	s_and_saveexec_b64 s[8:9], s[0:1]
	s_cbranch_execz .LBB103_206
.LBB103_205:
	v_lshlrev_b32_e32 v3, 24, v4
	v_and_b32_e32 v4, 0xffff, v4
	v_and_b32_e32 v5, 3, v4
	v_ffbh_u32_e32 v7, v5
	v_min_u32_e32 v7, 32, v7
	v_subrev_u32_e32 v9, 29, v7
	v_bfe_u32 v6, v4, 2, 5
	v_lshlrev_b32_e32 v4, v9, v4
	v_sub_u32_e32 v7, 30, v7
	v_and_b32_e32 v4, 3, v4
	v_cmp_eq_u32_e32 vcc, 0, v6
	v_cndmask_b32_e32 v6, v6, v7, vcc
	v_cndmask_b32_e32 v4, v5, v4, vcc
	v_mov_b32_e32 v5, 0x37800000
	v_lshlrev_b32_e32 v4, 21, v4
	v_and_b32_e32 v3, 0x80000000, v3
	v_lshl_add_u32 v5, v6, 23, v5
	v_or3_b32 v3, v3, v5, v4
.LBB103_206:
	s_or_b64 exec, exec, s[8:9]
	s_mov_b64 s[0:1], 0
	s_branch .LBB103_212
.LBB103_207:
	s_mov_b64 s[8:9], -1
                                        ; implicit-def: $vgpr3
	s_branch .LBB103_218
.LBB103_208:
	s_or_saveexec_b64 s[8:9], s[8:9]
	v_mov_b32_e32 v3, 0x7f800001
	s_xor_b64 exec, exec, s[8:9]
	s_cbranch_execz .LBB103_192
.LBB103_209:
	v_cmp_ne_u16_e32 vcc, 0, v4
	s_andn2_b64 s[0:1], s[0:1], exec
	s_and_b64 s[10:11], vcc, exec
	v_mov_b32_e32 v3, 0
	s_or_b64 s[0:1], s[0:1], s[10:11]
	s_or_b64 exec, exec, s[8:9]
	s_and_saveexec_b64 s[8:9], s[0:1]
	s_cbranch_execnz .LBB103_193
	s_branch .LBB103_194
.LBB103_210:
	s_mov_b64 s[0:1], -1
                                        ; implicit-def: $vgpr3
	s_branch .LBB103_215
.LBB103_211:
	s_mov_b64 s[0:1], -1
                                        ; implicit-def: $vgpr3
.LBB103_212:
	s_and_b64 vcc, exec, s[0:1]
	s_cbranch_vccz .LBB103_214
; %bb.213:
	global_load_ubyte v3, v[1:2], off
	s_mov_b32 s0, 0x7f800000
	s_waitcnt vmcnt(0)
	v_lshlrev_b32_e32 v3, 24, v3
	v_and_b32_e32 v4, 0x7f000000, v3
	v_ffbh_u32_e32 v5, v4
	v_min_u32_e32 v5, 32, v5
	v_sub_u32_e64 v5, v5, 4 clamp
	v_lshlrev_b32_e32 v7, v5, v4
	v_lshlrev_b32_e32 v5, 23, v5
	v_lshrrev_b32_e32 v7, 4, v7
	v_add_u32_e32 v6, 0x1000000, v4
	v_sub_u32_e32 v5, v7, v5
	v_ashrrev_i32_e32 v6, 8, v6
	v_add_u32_e32 v5, 0x3c000000, v5
	v_and_or_b32 v5, v6, s0, v5
	v_cmp_ne_u32_e32 vcc, 0, v4
	v_cndmask_b32_e32 v4, 0, v5, vcc
	s_brev_b32 s0, 1
	v_and_or_b32 v3, v3, s0, v4
.LBB103_214:
	s_mov_b64 s[0:1], 0
.LBB103_215:
	s_andn2_b64 vcc, exec, s[0:1]
	s_cbranch_vccnz .LBB103_217
; %bb.216:
	global_load_ubyte v3, v[1:2], off
	s_movk_i32 s0, 0x7f00
	s_brev_b32 s1, 16
	s_waitcnt vmcnt(0)
	v_lshlrev_b16_e32 v4, 8, v3
	v_lshlrev_b32_e32 v3, 25, v3
	v_lshrrev_b32_e32 v5, 4, v3
	v_and_or_b32 v6, v4, s0, 0.5
	v_or_b32_e32 v5, 0x70000000, v5
	v_add_f32_e32 v6, -0.5, v6
	v_mul_f32_e32 v5, 0x7800000, v5
	v_cmp_gt_u32_e32 vcc, s1, v3
	v_bfe_i32 v4, v4, 0, 16
	v_cndmask_b32_e32 v3, v5, v6, vcc
	s_brev_b32 s0, 1
	v_and_or_b32 v3, v4, s0, v3
.LBB103_217:
	s_mov_b64 s[8:9], 0
	s_mov_b64 s[0:1], -1
.LBB103_218:
	s_andn2_b64 vcc, exec, s[8:9]
	s_cbranch_vccnz .LBB103_231
; %bb.219:
	s_cmp_gt_i32 s12, 14
	s_cbranch_scc0 .LBB103_222
; %bb.220:
	s_cmp_eq_u32 s12, 15
	s_cbranch_scc0 .LBB103_225
; %bb.221:
	global_load_ushort v3, v[1:2], off
	s_mov_b64 s[0:1], -1
	s_mov_b64 s[2:3], 0
	s_waitcnt vmcnt(0)
	v_lshlrev_b32_e32 v3, 16, v3
	s_branch .LBB103_226
.LBB103_222:
	s_mov_b64 s[8:9], -1
                                        ; implicit-def: $vgpr3
	s_branch .LBB103_227
.LBB103_223:
	s_or_saveexec_b64 s[8:9], s[8:9]
	v_mov_b32_e32 v3, 0x7f800001
	s_xor_b64 exec, exec, s[8:9]
	s_cbranch_execz .LBB103_204
.LBB103_224:
	v_cmp_ne_u16_e32 vcc, 0, v4
	s_andn2_b64 s[0:1], s[0:1], exec
	s_and_b64 s[10:11], vcc, exec
	v_mov_b32_e32 v3, 0
	s_or_b64 s[0:1], s[0:1], s[10:11]
	s_or_b64 exec, exec, s[8:9]
	s_and_saveexec_b64 s[8:9], s[0:1]
	s_cbranch_execnz .LBB103_205
	s_branch .LBB103_206
.LBB103_225:
	s_mov_b64 s[2:3], -1
                                        ; implicit-def: $vgpr3
.LBB103_226:
	s_mov_b64 s[8:9], 0
.LBB103_227:
	s_and_b64 vcc, exec, s[8:9]
	s_cbranch_vccz .LBB103_231
; %bb.228:
	s_cmp_eq_u32 s12, 11
	s_cbranch_scc0 .LBB103_230
; %bb.229:
	global_load_ubyte v3, v[1:2], off
	s_mov_b64 s[0:1], -1
	s_mov_b64 s[2:3], 0
	s_waitcnt vmcnt(0)
	v_cmp_ne_u16_e32 vcc, 0, v3
	v_cndmask_b32_e64 v3, 0, 1.0, vcc
	s_branch .LBB103_231
.LBB103_230:
	s_mov_b64 s[2:3], -1
                                        ; implicit-def: $vgpr3
.LBB103_231:
	s_branch .LBB103_24
.LBB103_232:
	s_cmp_lt_i32 s12, 5
	s_cbranch_scc1 .LBB103_237
; %bb.233:
	s_cmp_lt_i32 s12, 8
	s_cbranch_scc1 .LBB103_238
; %bb.234:
	;; [unrolled: 3-line block ×3, first 2 shown]
	s_cmp_gt_i32 s12, 9
	s_cbranch_scc0 .LBB103_240
; %bb.236:
	global_load_dwordx2 v[3:4], v[1:2], off
	s_mov_b64 s[0:1], 0
	s_waitcnt vmcnt(0)
	v_cvt_f32_f64_e32 v3, v[3:4]
	s_branch .LBB103_241
.LBB103_237:
                                        ; implicit-def: $vgpr3
	s_branch .LBB103_259
.LBB103_238:
	s_mov_b64 s[0:1], -1
                                        ; implicit-def: $vgpr3
	s_branch .LBB103_247
.LBB103_239:
	s_mov_b64 s[0:1], -1
                                        ; implicit-def: $vgpr3
	s_branch .LBB103_244
.LBB103_240:
	s_mov_b64 s[0:1], -1
                                        ; implicit-def: $vgpr3
.LBB103_241:
	s_andn2_b64 vcc, exec, s[0:1]
	s_cbranch_vccnz .LBB103_243
; %bb.242:
	global_load_dword v3, v[1:2], off
.LBB103_243:
	s_mov_b64 s[0:1], 0
.LBB103_244:
	s_andn2_b64 vcc, exec, s[0:1]
	s_cbranch_vccnz .LBB103_246
; %bb.245:
	global_load_dword v3, v[1:2], off
	s_waitcnt vmcnt(0)
	v_cvt_f32_f16_e32 v3, v3
.LBB103_246:
	s_mov_b64 s[0:1], 0
.LBB103_247:
	s_andn2_b64 vcc, exec, s[0:1]
	s_cbranch_vccnz .LBB103_258
; %bb.248:
	s_cmp_lt_i32 s12, 6
	s_cbranch_scc1 .LBB103_251
; %bb.249:
	s_cmp_gt_i32 s12, 6
	s_cbranch_scc0 .LBB103_252
; %bb.250:
	global_load_dwordx2 v[3:4], v[1:2], off
	s_mov_b64 s[0:1], 0
	s_waitcnt vmcnt(0)
	v_cvt_f32_f64_e32 v3, v[3:4]
	s_branch .LBB103_253
.LBB103_251:
	s_mov_b64 s[0:1], -1
                                        ; implicit-def: $vgpr3
	s_branch .LBB103_256
.LBB103_252:
	s_mov_b64 s[0:1], -1
                                        ; implicit-def: $vgpr3
.LBB103_253:
	s_andn2_b64 vcc, exec, s[0:1]
	s_cbranch_vccnz .LBB103_255
; %bb.254:
	global_load_dword v3, v[1:2], off
.LBB103_255:
	s_mov_b64 s[0:1], 0
.LBB103_256:
	s_andn2_b64 vcc, exec, s[0:1]
	s_cbranch_vccnz .LBB103_258
; %bb.257:
	global_load_ushort v3, v[1:2], off
	s_waitcnt vmcnt(0)
	v_cvt_f32_f16_e32 v3, v3
.LBB103_258:
	s_cbranch_execnz .LBB103_278
.LBB103_259:
	s_cmp_lt_i32 s12, 2
	s_cbranch_scc1 .LBB103_263
; %bb.260:
	s_cmp_lt_i32 s12, 3
	s_cbranch_scc1 .LBB103_264
; %bb.261:
	s_cmp_gt_i32 s12, 3
	s_cbranch_scc0 .LBB103_265
; %bb.262:
	global_load_dwordx2 v[3:4], v[1:2], off
	s_mov_b64 s[0:1], 0
	s_waitcnt vmcnt(0)
	v_xor_b32_e32 v6, v3, v4
	v_ffbh_i32_e32 v5, v4
	v_ashrrev_i32_e32 v6, 31, v6
	v_add_u32_e32 v5, -1, v5
	v_add_u32_e32 v6, 32, v6
	v_min_u32_e32 v5, v5, v6
	v_lshlrev_b64 v[3:4], v5, v[3:4]
	v_min_u32_e32 v3, 1, v3
	v_or_b32_e32 v3, v4, v3
	v_cvt_f32_i32_e32 v3, v3
	v_sub_u32_e32 v4, 32, v5
	v_ldexp_f32 v3, v3, v4
	s_branch .LBB103_266
.LBB103_263:
	s_mov_b64 s[0:1], -1
                                        ; implicit-def: $vgpr3
	s_branch .LBB103_272
.LBB103_264:
	s_mov_b64 s[0:1], -1
                                        ; implicit-def: $vgpr3
	s_branch .LBB103_269
.LBB103_265:
	s_mov_b64 s[0:1], -1
                                        ; implicit-def: $vgpr3
.LBB103_266:
	s_andn2_b64 vcc, exec, s[0:1]
	s_cbranch_vccnz .LBB103_268
; %bb.267:
	global_load_dword v3, v[1:2], off
	s_waitcnt vmcnt(0)
	v_cvt_f32_i32_e32 v3, v3
.LBB103_268:
	s_mov_b64 s[0:1], 0
.LBB103_269:
	s_andn2_b64 vcc, exec, s[0:1]
	s_cbranch_vccnz .LBB103_271
; %bb.270:
	global_load_sshort v3, v[1:2], off
	s_waitcnt vmcnt(0)
	v_cvt_f32_i32_e32 v3, v3
.LBB103_271:
	s_mov_b64 s[0:1], 0
.LBB103_272:
	s_andn2_b64 vcc, exec, s[0:1]
	s_cbranch_vccnz .LBB103_278
; %bb.273:
	s_cmp_gt_i32 s12, 0
	s_cbranch_scc0 .LBB103_275
; %bb.274:
	global_load_sbyte v3, v[1:2], off
	s_mov_b64 s[0:1], 0
	s_waitcnt vmcnt(0)
	v_cvt_f32_i32_e32 v3, v3
	s_branch .LBB103_276
.LBB103_275:
	s_mov_b64 s[0:1], -1
                                        ; implicit-def: $vgpr3
.LBB103_276:
	s_andn2_b64 vcc, exec, s[0:1]
	s_cbranch_vccnz .LBB103_278
; %bb.277:
	global_load_ubyte v1, v[1:2], off
	s_waitcnt vmcnt(0)
	v_cvt_f32_ubyte0_e32 v3, v1
.LBB103_278:
	s_branch .LBB103_25
.LBB103_279:
	s_mov_b64 s[0:1], 0
.LBB103_280:
	s_mov_b64 s[8:9], 0
                                        ; implicit-def: $vgpr8
.LBB103_281:
	s_and_b64 s[54:55], s[0:1], exec
	s_and_b64 s[56:57], s[2:3], exec
	s_orn2_b64 s[2:3], s[8:9], exec
.LBB103_282:
	s_or_b64 exec, exec, s[58:59]
	s_mov_b64 s[10:11], 0
	s_mov_b64 s[0:1], 0
                                        ; implicit-def: $vgpr1_vgpr2
                                        ; implicit-def: $vgpr0
                                        ; implicit-def: $vgpr3
	s_and_saveexec_b64 s[58:59], s[2:3]
	s_cbranch_execz .LBB103_289
; %bb.283:
	v_cmp_gt_i32_e32 vcc, s72, v8
	s_mov_b64 s[0:1], -1
	s_mov_b64 s[60:61], s[56:57]
	s_mov_b64 s[62:63], s[54:55]
	s_and_saveexec_b64 s[64:65], vcc
	s_cbranch_execz .LBB103_574
; %bb.284:
	s_andn2_b64 vcc, exec, s[40:41]
	s_cbranch_vccnz .LBB103_292
; %bb.285:
	s_andn2_b64 vcc, exec, s[52:53]
	s_cbranch_vccnz .LBB103_293
; %bb.286:
	s_add_i32 s67, s77, 1
	s_cmp_eq_u32 s74, 2
	s_cbranch_scc1 .LBB103_294
; %bb.287:
	s_and_b32 s66, s67, 28
	v_mov_b32_e32 v2, 0
	s_mov_b32 s68, 0
	s_mov_b64 s[60:61], s[34:35]
	s_mov_b64 s[62:63], s[50:51]
	v_mov_b32_e32 v0, 0
	v_mov_b32_e32 v1, v8
.LBB103_288:                            ; =>This Inner Loop Header: Depth=1
	s_load_dwordx8 s[16:23], s[60:61], 0x4
	s_load_dwordx4 s[0:3], s[60:61], 0x24
	s_load_dwordx8 s[8:15], s[62:63], 0x0
	s_add_u32 s60, s60, 48
	s_addc_u32 s61, s61, 0
	s_waitcnt vmcnt(0) lgkmcnt(0)
	v_mul_hi_u32 v3, s17, v1
	s_add_i32 s68, s68, 4
	s_add_u32 s62, s62, 32
	s_addc_u32 s63, s63, 0
	v_add_u32_e32 v3, v1, v3
	v_lshrrev_b32_e32 v3, s18, v3
	v_mul_lo_u32 v4, v3, s16
	v_mul_hi_u32 v5, s20, v3
	s_cmp_eq_u32 s66, s68
	v_sub_u32_e32 v1, v1, v4
	v_add_u32_e32 v4, v3, v5
	v_mul_lo_u32 v5, v1, s8
	v_mul_lo_u32 v6, v1, s9
	v_lshrrev_b32_e32 v1, s21, v4
	v_mul_lo_u32 v4, v1, s19
	v_mul_hi_u32 v7, s23, v1
	v_sub_u32_e32 v3, v3, v4
	v_add_u32_e32 v4, v1, v7
	v_lshrrev_b32_e32 v4, s0, v4
	v_mul_hi_u32 v9, s2, v4
	v_mul_lo_u32 v10, v4, s22
	v_mul_lo_u32 v7, v3, s10
	;; [unrolled: 1-line block ×3, first 2 shown]
	v_sub_u32_e32 v10, v1, v10
	v_add_u32_e32 v1, v4, v9
	v_lshrrev_b32_e32 v1, s3, v1
	v_mul_lo_u32 v9, v1, s1
	v_mul_lo_u32 v11, v10, s12
	;; [unrolled: 1-line block ×3, first 2 shown]
	v_add3_u32 v0, v5, v0, v7
	v_sub_u32_e32 v4, v4, v9
	v_mul_lo_u32 v9, v4, s14
	v_mul_lo_u32 v4, v4, s15
	v_add3_u32 v2, v6, v2, v3
	v_add3_u32 v0, v11, v0, v9
	;; [unrolled: 1-line block ×3, first 2 shown]
	s_cbranch_scc0 .LBB103_288
	s_branch .LBB103_295
.LBB103_289:
	s_or_b64 exec, exec, s[58:59]
	s_mov_b64 s[2:3], 0
	s_and_saveexec_b64 s[8:9], s[56:57]
	s_cbranch_execnz .LBB103_967
.LBB103_290:
	s_or_b64 exec, exec, s[8:9]
	s_and_saveexec_b64 s[8:9], s[62:63]
	s_xor_b64 s[8:9], exec, s[8:9]
	s_cbranch_execz .LBB103_968
.LBB103_291:
	global_load_ubyte v3, v[1:2], off
	s_or_b64 s[0:1], s[0:1], exec
	s_waitcnt vmcnt(0)
	v_cmp_ne_u16_e32 vcc, 0, v3
	v_cndmask_b32_e64 v3, 0, 1.0, vcc
	s_or_b64 exec, exec, s[8:9]
	s_and_saveexec_b64 s[8:9], s[10:11]
	s_cbranch_execz .LBB103_1014
	s_branch .LBB103_969
.LBB103_292:
                                        ; implicit-def: $vgpr0
                                        ; implicit-def: $vgpr2
	s_andn2_b64 vcc, exec, s[0:1]
	s_cbranch_vccz .LBB103_299
	s_branch .LBB103_301
.LBB103_293:
	v_mov_b32_e32 v0, 0
	v_mov_b32_e32 v2, 0
	s_branch .LBB103_298
.LBB103_294:
	s_mov_b32 s66, 0
	v_mov_b32_e32 v0, 0
	v_mov_b32_e32 v2, 0
	;; [unrolled: 1-line block ×3, first 2 shown]
.LBB103_295:
	s_and_b32 s8, s67, 3
	s_cmp_eq_u32 s8, 0
	s_cbranch_scc1 .LBB103_298
; %bb.296:
	s_lshl_b32 s0, s66, 3
	s_add_u32 s0, s34, s0
	s_addc_u32 s1, s35, 0
	s_add_u32 s0, s0, 0xc4
	s_addc_u32 s1, s1, 0
	s_mul_i32 s2, s66, 12
	s_add_u32 s2, s34, s2
	s_addc_u32 s3, s35, 0
.LBB103_297:                            ; =>This Inner Loop Header: Depth=1
	s_load_dwordx2 s[10:11], s[2:3], 0x4
	s_load_dword s9, s[2:3], 0xc
	s_load_dwordx2 s[12:13], s[0:1], 0x0
	s_add_u32 s2, s2, 12
	s_addc_u32 s3, s3, 0
	s_waitcnt vmcnt(0) lgkmcnt(0)
	v_mul_hi_u32 v3, s11, v1
	s_add_u32 s0, s0, 8
	s_addc_u32 s1, s1, 0
	s_add_i32 s8, s8, -1
	v_add_u32_e32 v3, v1, v3
	v_lshrrev_b32_e32 v4, s9, v3
	v_mul_lo_u32 v3, v4, s10
	s_cmp_lg_u32 s8, 0
	v_sub_u32_e32 v3, v1, v3
	v_mad_u64_u32 v[0:1], s[10:11], v3, s12, v[0:1]
	v_mad_u64_u32 v[2:3], s[10:11], v3, s13, v[2:3]
	v_mov_b32_e32 v1, v4
	s_cbranch_scc1 .LBB103_297
.LBB103_298:
	s_cbranch_execnz .LBB103_301
.LBB103_299:
	v_mul_hi_u32 v0, s29, v8
	s_andn2_b64 vcc, exec, s[48:49]
	v_add_u32_e32 v0, v8, v0
	v_lshrrev_b32_e32 v1, s30, v0
	v_mul_lo_u32 v0, v1, s28
	v_sub_u32_e32 v2, v8, v0
	v_mul_lo_u32 v0, v2, s36
	v_mul_lo_u32 v2, v2, s37
	s_cbranch_vccnz .LBB103_301
; %bb.300:
	s_waitcnt vmcnt(0)
	v_mul_hi_u32 v3, s46, v1
	v_add_u32_e32 v3, v1, v3
	v_lshrrev_b32_e32 v3, s47, v3
	v_mul_lo_u32 v3, v3, s31
	v_sub_u32_e32 v3, v1, v3
	v_mad_u64_u32 v[0:1], s[0:1], v3, s38, v[0:1]
	v_mad_u64_u32 v[2:3], s[0:1], v3, s39, v[2:3]
.LBB103_301:
	s_waitcnt vmcnt(0)
	v_mov_b32_e32 v3, s27
	s_and_b32 s12, 0xffff, s76
	v_add_co_u32_e32 v1, vcc, s26, v2
	s_cmp_lt_i32 s12, 11
	v_addc_co_u32_e32 v2, vcc, 0, v3, vcc
	s_cbranch_scc1 .LBB103_308
; %bb.302:
	s_cmp_gt_i32 s12, 25
	s_cbranch_scc0 .LBB103_314
; %bb.303:
	s_cmp_gt_i32 s12, 28
	s_cbranch_scc0 .LBB103_318
	;; [unrolled: 3-line block ×4, first 2 shown]
; %bb.306:
	s_cmp_eq_u32 s12, 46
	s_mov_b64 s[8:9], 0
	s_cbranch_scc0 .LBB103_345
; %bb.307:
	global_load_dword v3, v[1:2], off
	s_mov_b64 s[0:1], -1
	s_mov_b64 s[2:3], 0
	s_waitcnt vmcnt(0)
	v_lshlrev_b32_e32 v3, 16, v3
	s_branch .LBB103_346
.LBB103_308:
	s_mov_b64 s[0:1], 0
                                        ; implicit-def: $vgpr3
	s_mov_b64 s[2:3], s[56:57]
	s_cbranch_execnz .LBB103_523
.LBB103_309:
	s_andn2_b64 vcc, exec, s[0:1]
	s_cbranch_vccnz .LBB103_571
.LBB103_310:
	s_cmp_lt_i32 s44, 1
	s_mov_b64 s[0:1], 0
	s_cbranch_scc1 .LBB103_315
; %bb.311:
	s_cmp_gt_i32 s44, 1
	s_cbranch_scc0 .LBB103_319
; %bb.312:
	s_cmp_eq_u32 s44, 2
	s_cbranch_scc0 .LBB103_321
; %bb.313:
	s_waitcnt vmcnt(0)
	v_cmp_ge_f32_e64 s[8:9], s45, v3
	s_mov_b64 s[10:11], 0
	s_branch .LBB103_322
.LBB103_314:
	s_mov_b64 s[8:9], -1
	s_mov_b64 s[0:1], 0
	s_mov_b64 s[2:3], s[56:57]
                                        ; implicit-def: $vgpr3
	s_branch .LBB103_487
.LBB103_315:
                                        ; implicit-def: $sgpr8_sgpr9
	s_mov_b64 s[10:11], 0
	s_cbranch_execnz .LBB103_326
.LBB103_316:
	s_andn2_b64 vcc, exec, s[10:11]
	s_cbranch_vccnz .LBB103_327
.LBB103_317:
	s_waitcnt vmcnt(0)
	v_cmp_gt_f32_e32 vcc, s45, v3
	s_andn2_b64 s[8:9], s[8:9], exec
	s_and_b64 s[10:11], vcc, exec
	s_or_b64 s[8:9], s[8:9], s[10:11]
	s_cbranch_execz .LBB103_328
	s_branch .LBB103_329
.LBB103_318:
	s_mov_b64 s[8:9], -1
	s_mov_b64 s[0:1], 0
	s_mov_b64 s[2:3], s[56:57]
                                        ; implicit-def: $vgpr3
	s_branch .LBB103_468
.LBB103_319:
	s_mov_b64 s[12:13], -1
	s_mov_b64 s[10:11], 0
                                        ; implicit-def: $sgpr8_sgpr9
	s_branch .LBB103_323
.LBB103_320:
	s_mov_b64 s[8:9], -1
	s_mov_b64 s[0:1], 0
	s_mov_b64 s[2:3], s[56:57]
                                        ; implicit-def: $vgpr3
	s_branch .LBB103_463
.LBB103_321:
	s_mov_b64 s[10:11], -1
                                        ; implicit-def: $sgpr8_sgpr9
.LBB103_322:
	s_mov_b64 s[12:13], 0
.LBB103_323:
	s_and_b64 vcc, exec, s[12:13]
	s_cbranch_vccz .LBB103_325
; %bb.324:
	s_waitcnt vmcnt(0)
	v_cmp_lt_f32_e32 vcc, s45, v3
	s_andn2_b64 s[8:9], s[8:9], exec
	s_and_b64 s[12:13], vcc, exec
	s_or_b64 s[8:9], s[8:9], s[12:13]
.LBB103_325:
	s_branch .LBB103_316
.LBB103_326:
	s_cmp_lg_u32 s44, 0
	s_mov_b64 s[0:1], -1
	s_cselect_b64 s[10:11], -1, 0
	s_andn2_b64 vcc, exec, s[10:11]
	s_cbranch_vccz .LBB103_317
.LBB103_327:
	s_andn2_b64 vcc, exec, s[0:1]
	s_cbranch_vccnz .LBB103_329
.LBB103_328:
	s_waitcnt vmcnt(0)
	v_cmp_le_f32_e32 vcc, s45, v3
	s_andn2_b64 s[0:1], s[8:9], exec
	s_and_b64 s[8:9], vcc, exec
	s_or_b64 s[8:9], s[0:1], s[8:9]
.LBB103_329:
	v_mov_b32_e32 v1, s25
	s_and_b32 s16, s75, 0xff
	v_add_co_u32_e32 v0, vcc, s24, v0
	s_cmp_lt_i32 s16, 11
	v_addc_co_u32_e32 v1, vcc, 0, v1, vcc
	s_cbranch_scc1 .LBB103_336
; %bb.330:
	s_and_b32 s17, 0xffff, s16
	s_cmp_gt_i32 s17, 25
	s_cbranch_scc0 .LBB103_337
; %bb.331:
	s_cmp_gt_i32 s17, 28
	s_cbranch_scc0 .LBB103_338
; %bb.332:
	;; [unrolled: 3-line block ×4, first 2 shown]
	s_mov_b64 s[12:13], 0
	s_mov_b64 s[0:1], -1
	s_cmp_eq_u32 s17, 46
	s_mov_b64 s[10:11], 0
	s_cbranch_scc0 .LBB103_350
; %bb.335:
	v_cndmask_b32_e64 v2, 0, 1.0, s[8:9]
	s_waitcnt vmcnt(0)
	v_bfe_u32 v3, v2, 16, 1
	s_movk_i32 s0, 0x7fff
	v_add3_u32 v2, v2, v3, s0
	v_lshrrev_b32_e32 v2, 16, v2
	global_store_dword v[0:1], v2, off
	s_mov_b64 s[10:11], -1
	s_mov_b64 s[0:1], 0
	s_branch .LBB103_350
.LBB103_336:
	s_mov_b64 s[12:13], -1
	s_mov_b64 s[10:11], 0
	s_mov_b64 s[0:1], s[54:55]
	s_branch .LBB103_419
.LBB103_337:
	s_mov_b64 s[12:13], -1
	s_mov_b64 s[10:11], 0
	s_mov_b64 s[0:1], s[54:55]
	s_branch .LBB103_377
.LBB103_338:
	s_mov_b64 s[12:13], -1
	s_mov_b64 s[10:11], 0
	s_mov_b64 s[0:1], s[54:55]
	s_branch .LBB103_360
.LBB103_339:
	s_andn2_saveexec_b64 s[14:15], s[14:15]
	s_cbranch_execz .LBB103_84
.LBB103_340:
	v_add_f32_e32 v2, 0x46000000, v3
	v_and_b32_e32 v2, 0xff, v2
	v_cmp_ne_u32_e32 vcc, 0, v2
	s_andn2_b64 s[12:13], s[12:13], exec
	s_and_b64 s[18:19], vcc, exec
	s_or_b64 s[12:13], s[12:13], s[18:19]
	s_or_b64 exec, exec, s[14:15]
	v_mov_b32_e32 v4, 0
	s_and_saveexec_b64 s[14:15], s[12:13]
	s_cbranch_execnz .LBB103_85
	s_branch .LBB103_86
.LBB103_341:
	s_mov_b64 s[8:9], -1
	s_mov_b64 s[0:1], 0
	s_mov_b64 s[2:3], s[56:57]
                                        ; implicit-def: $vgpr3
	s_branch .LBB103_346
.LBB103_342:
	s_mov_b64 s[12:13], -1
	s_mov_b64 s[10:11], 0
	s_mov_b64 s[0:1], s[54:55]
	s_branch .LBB103_356
.LBB103_343:
	s_andn2_saveexec_b64 s[14:15], s[14:15]
	s_cbranch_execz .LBB103_97
.LBB103_344:
	v_add_f32_e32 v2, 0x42800000, v3
	v_and_b32_e32 v2, 0xff, v2
	v_cmp_ne_u32_e32 vcc, 0, v2
	s_andn2_b64 s[12:13], s[12:13], exec
	s_and_b64 s[18:19], vcc, exec
	s_or_b64 s[12:13], s[12:13], s[18:19]
	s_or_b64 exec, exec, s[14:15]
	v_mov_b32_e32 v4, 0
	s_and_saveexec_b64 s[14:15], s[12:13]
	s_cbranch_execnz .LBB103_98
	s_branch .LBB103_99
.LBB103_345:
	s_mov_b64 s[2:3], -1
                                        ; implicit-def: $vgpr3
	s_mov_b64 s[0:1], 0
.LBB103_346:
	s_and_b64 vcc, exec, s[8:9]
	s_cbranch_vccz .LBB103_462
; %bb.347:
	s_cmp_eq_u32 s12, 44
	s_cbranch_scc0 .LBB103_461
; %bb.348:
	global_load_ubyte v3, v[1:2], off
	s_movk_i32 s2, 0xff
	v_mov_b32_e32 v4, 0x7f800001
	v_mov_b32_e32 v5, 0x400000
	s_mov_b64 s[0:1], -1
	s_waitcnt vmcnt(0)
	v_lshlrev_b32_e32 v6, 23, v3
	v_cmp_ne_u32_e32 vcc, s2, v3
	v_cndmask_b32_e32 v4, v4, v6, vcc
	v_cmp_ne_u32_e32 vcc, 0, v3
	v_cndmask_b32_e32 v3, v5, v4, vcc
	s_mov_b64 s[2:3], 0
	s_branch .LBB103_462
.LBB103_349:
	s_mov_b64 s[12:13], -1
	s_mov_b64 s[10:11], 0
	s_mov_b64 s[0:1], s[54:55]
.LBB103_350:
	s_and_b64 vcc, exec, s[12:13]
	s_cbranch_vccz .LBB103_355
; %bb.351:
	s_cmp_eq_u32 s17, 44
	s_mov_b64 s[0:1], -1
	s_cbranch_scc0 .LBB103_355
; %bb.352:
	s_waitcnt vmcnt(0)
	v_cndmask_b32_e64 v3, 0, 1.0, s[8:9]
	v_lshrrev_b32_e32 v2, 23, v3
	s_movk_i32 s0, 0xff
	v_cmp_ne_u32_e32 vcc, s0, v2
	v_mov_b32_e32 v4, 0xff
	s_and_saveexec_b64 s[10:11], vcc
; %bb.353:
	s_mov_b32 s0, 0x3fffff
	v_and_b32_e32 v4, 0x400000, v3
	v_and_or_b32 v3, v3, s0, v2
	v_cmp_ne_u32_e32 vcc, 0, v4
	v_cmp_ne_u32_e64 s[0:1], 0, v3
	s_and_b64 s[0:1], vcc, s[0:1]
	v_cndmask_b32_e64 v3, 0, 1, s[0:1]
	v_add_u32_e32 v4, v2, v3
; %bb.354:
	s_or_b64 exec, exec, s[10:11]
	s_mov_b64 s[10:11], -1
	s_mov_b64 s[0:1], 0
	global_store_byte v[0:1], v4, off
.LBB103_355:
	s_mov_b64 s[12:13], 0
.LBB103_356:
	s_and_b64 vcc, exec, s[12:13]
	s_cbranch_vccz .LBB103_359
; %bb.357:
	s_cmp_eq_u32 s17, 29
	s_mov_b64 s[0:1], -1
	s_cbranch_scc0 .LBB103_359
; %bb.358:
	s_mov_b32 s0, 0
	v_cndmask_b32_e64 v2, 0, 1, s[8:9]
	s_waitcnt vmcnt(0)
	v_mov_b32_e32 v3, s0
	global_store_dwordx2 v[0:1], v[2:3], off
	s_mov_b64 s[10:11], -1
	s_mov_b64 s[0:1], 0
.LBB103_359:
	s_mov_b64 s[12:13], 0
.LBB103_360:
	s_and_b64 vcc, exec, s[12:13]
	s_cbranch_vccz .LBB103_376
; %bb.361:
	s_cmp_lt_i32 s17, 27
	s_mov_b64 s[10:11], -1
	s_cbranch_scc1 .LBB103_367
; %bb.362:
	s_cmp_gt_i32 s17, 27
	s_cbranch_scc0 .LBB103_364
; %bb.363:
	v_cndmask_b32_e64 v2, 0, 1, s[8:9]
	s_mov_b64 s[10:11], 0
	global_store_dword v[0:1], v2, off
.LBB103_364:
	s_andn2_b64 vcc, exec, s[10:11]
	s_cbranch_vccnz .LBB103_366
; %bb.365:
	v_cndmask_b32_e64 v2, 0, 1, s[8:9]
	global_store_short v[0:1], v2, off
.LBB103_366:
	s_mov_b64 s[10:11], 0
.LBB103_367:
	s_andn2_b64 vcc, exec, s[10:11]
	s_cbranch_vccnz .LBB103_375
; %bb.368:
	s_waitcnt vmcnt(0)
	v_cndmask_b32_e64 v3, 0, 1.0, s[8:9]
	s_mov_b32 s10, 0x43800000
	v_cmp_gt_u32_e32 vcc, s10, v3
	v_mov_b32_e32 v4, 0x80
	s_and_saveexec_b64 s[10:11], vcc
	s_cbranch_execz .LBB103_374
; %bb.369:
	s_mov_b32 s12, 0x3bffffff
	v_cmp_lt_u32_e32 vcc, s12, v3
	s_mov_b64 s[12:13], 0
                                        ; implicit-def: $vgpr2
	s_and_saveexec_b64 s[14:15], vcc
	s_xor_b64 s[14:15], exec, s[14:15]
	s_cbranch_execz .LBB103_602
; %bb.370:
	v_bfe_u32 v2, v3, 20, 1
	s_mov_b32 s18, 0x487ffff
	v_add3_u32 v2, v3, v2, s18
	s_mov_b64 s[12:13], exec
	v_lshrrev_b32_e32 v2, 20, v2
                                        ; implicit-def: $vgpr3
	s_andn2_saveexec_b64 s[14:15], s[14:15]
	s_cbranch_execnz .LBB103_603
.LBB103_371:
	s_or_b64 exec, exec, s[14:15]
	v_mov_b32_e32 v4, 0
	s_and_saveexec_b64 s[14:15], s[12:13]
.LBB103_372:
	v_mov_b32_e32 v4, v2
.LBB103_373:
	s_or_b64 exec, exec, s[14:15]
.LBB103_374:
	s_or_b64 exec, exec, s[10:11]
	global_store_byte v[0:1], v4, off
.LBB103_375:
	s_mov_b64 s[10:11], -1
.LBB103_376:
	s_mov_b64 s[12:13], 0
.LBB103_377:
	s_and_b64 vcc, exec, s[12:13]
	s_cbranch_vccz .LBB103_418
; %bb.378:
	s_cmp_gt_i32 s17, 22
	s_mov_b64 s[12:13], -1
	s_cbranch_scc0 .LBB103_410
; %bb.379:
	s_cmp_lt_i32 s17, 24
	s_mov_b64 s[10:11], -1
	s_cbranch_scc1 .LBB103_399
; %bb.380:
	s_cmp_gt_i32 s17, 24
	s_cbranch_scc0 .LBB103_388
; %bb.381:
	s_waitcnt vmcnt(0)
	v_cndmask_b32_e64 v3, 0, 1.0, s[8:9]
	s_mov_b32 s10, 0x47800000
	v_cmp_gt_u32_e32 vcc, s10, v3
	v_mov_b32_e32 v4, 0x80
	s_and_saveexec_b64 s[10:11], vcc
	s_cbranch_execz .LBB103_387
; %bb.382:
	s_mov_b32 s12, 0x37ffffff
	v_cmp_lt_u32_e32 vcc, s12, v3
	s_mov_b64 s[12:13], 0
                                        ; implicit-def: $vgpr2
	s_and_saveexec_b64 s[14:15], vcc
	s_xor_b64 s[14:15], exec, s[14:15]
	s_cbranch_execz .LBB103_605
; %bb.383:
	v_bfe_u32 v2, v3, 21, 1
	s_mov_b32 s18, 0x88fffff
	v_add3_u32 v2, v3, v2, s18
	s_mov_b64 s[12:13], exec
	v_lshrrev_b32_e32 v2, 21, v2
                                        ; implicit-def: $vgpr3
	s_andn2_saveexec_b64 s[14:15], s[14:15]
	s_cbranch_execnz .LBB103_606
.LBB103_384:
	s_or_b64 exec, exec, s[14:15]
	v_mov_b32_e32 v4, 0
	s_and_saveexec_b64 s[14:15], s[12:13]
.LBB103_385:
	v_mov_b32_e32 v4, v2
.LBB103_386:
	s_or_b64 exec, exec, s[14:15]
.LBB103_387:
	s_or_b64 exec, exec, s[10:11]
	s_mov_b64 s[10:11], 0
	global_store_byte v[0:1], v4, off
.LBB103_388:
	s_and_b64 vcc, exec, s[10:11]
	s_cbranch_vccz .LBB103_398
; %bb.389:
	v_cndmask_b32_e64 v2, 0, 1.0, s[8:9]
	s_mov_b32 s10, 0x43f00000
	v_cmp_gt_u32_e32 vcc, s10, v2
                                        ; implicit-def: $vgpr3
	s_and_saveexec_b64 s[10:11], vcc
	s_xor_b64 s[10:11], exec, s[10:11]
	s_cbranch_execz .LBB103_395
; %bb.390:
	s_mov_b32 s12, 0x3c7fffff
	v_cmp_lt_u32_e32 vcc, s12, v2
                                        ; implicit-def: $vgpr3
	s_and_saveexec_b64 s[12:13], vcc
	s_xor_b64 s[12:13], exec, s[12:13]
	s_cbranch_execz .LBB103_392
; %bb.391:
	s_waitcnt vmcnt(0)
	v_bfe_u32 v3, v2, 20, 1
	s_mov_b32 s14, 0x407ffff
	v_add3_u32 v2, v2, v3, s14
	v_lshrrev_b32_e32 v3, 20, v2
	v_and_b32_e32 v2, 0xff00000, v2
	s_mov_b32 s14, 0x7f00000
	v_mov_b32_e32 v4, 0x7e
	v_cmp_ne_u32_e32 vcc, s14, v2
	v_cndmask_b32_e32 v3, v4, v3, vcc
                                        ; implicit-def: $vgpr2
.LBB103_392:
	s_andn2_saveexec_b64 s[12:13], s[12:13]
	s_cbranch_execz .LBB103_394
; %bb.393:
	s_waitcnt vmcnt(0)
	v_add_f32_e32 v3, 0x46800000, v2
.LBB103_394:
	s_or_b64 exec, exec, s[12:13]
                                        ; implicit-def: $vgpr2
.LBB103_395:
	s_andn2_saveexec_b64 s[10:11], s[10:11]
	s_cbranch_execz .LBB103_397
; %bb.396:
	s_mov_b32 s12, 0x7f800000
	s_waitcnt vmcnt(0)
	v_mov_b32_e32 v3, 0x7e
	v_mov_b32_e32 v4, 0x7f
	v_cmp_lt_u32_e32 vcc, s12, v2
	v_cndmask_b32_e32 v3, v3, v4, vcc
.LBB103_397:
	s_or_b64 exec, exec, s[10:11]
	s_waitcnt vmcnt(0)
	global_store_byte v[0:1], v3, off
.LBB103_398:
	s_mov_b64 s[10:11], 0
.LBB103_399:
	s_andn2_b64 vcc, exec, s[10:11]
	s_cbranch_vccnz .LBB103_409
; %bb.400:
	v_cndmask_b32_e64 v2, 0, 1.0, s[8:9]
	s_mov_b32 s10, 0x47800000
	v_cmp_gt_u32_e32 vcc, s10, v2
                                        ; implicit-def: $vgpr3
	s_and_saveexec_b64 s[10:11], vcc
	s_xor_b64 s[10:11], exec, s[10:11]
	s_cbranch_execz .LBB103_406
; %bb.401:
	s_mov_b32 s12, 0x387fffff
	v_cmp_lt_u32_e32 vcc, s12, v2
                                        ; implicit-def: $vgpr3
	s_and_saveexec_b64 s[12:13], vcc
	s_xor_b64 s[12:13], exec, s[12:13]
	s_cbranch_execz .LBB103_403
; %bb.402:
	s_waitcnt vmcnt(0)
	v_bfe_u32 v3, v2, 21, 1
	s_mov_b32 s14, 0x80fffff
	v_add3_u32 v2, v2, v3, s14
	v_lshrrev_b32_e32 v3, 21, v2
                                        ; implicit-def: $vgpr2
.LBB103_403:
	s_andn2_saveexec_b64 s[12:13], s[12:13]
	s_cbranch_execz .LBB103_405
; %bb.404:
	s_waitcnt vmcnt(0)
	v_add_f32_e32 v3, 0x43000000, v2
.LBB103_405:
	s_or_b64 exec, exec, s[12:13]
                                        ; implicit-def: $vgpr2
.LBB103_406:
	s_andn2_saveexec_b64 s[10:11], s[10:11]
	s_cbranch_execz .LBB103_408
; %bb.407:
	s_mov_b32 s12, 0x7f800000
	s_waitcnt vmcnt(0)
	v_mov_b32_e32 v3, 0x7c
	v_mov_b32_e32 v4, 0x7f
	v_cmp_lt_u32_e32 vcc, s12, v2
	v_cndmask_b32_e32 v3, v3, v4, vcc
.LBB103_408:
	s_or_b64 exec, exec, s[10:11]
	s_waitcnt vmcnt(0)
	global_store_byte v[0:1], v3, off
.LBB103_409:
	s_mov_b64 s[12:13], 0
	s_mov_b64 s[10:11], -1
.LBB103_410:
	s_andn2_b64 vcc, exec, s[12:13]
	s_cbranch_vccnz .LBB103_418
; %bb.411:
	s_cmp_gt_i32 s17, 14
	s_mov_b64 s[12:13], -1
	s_cbranch_scc0 .LBB103_415
; %bb.412:
	s_cmp_eq_u32 s17, 15
	s_mov_b64 s[0:1], -1
	s_cbranch_scc0 .LBB103_414
; %bb.413:
	v_cndmask_b32_e64 v2, 0, 1.0, s[8:9]
	s_waitcnt vmcnt(0)
	v_bfe_u32 v3, v2, 16, 1
	s_movk_i32 s0, 0x7fff
	v_add3_u32 v2, v2, v3, s0
	global_store_short_d16_hi v[0:1], v2, off
	s_mov_b64 s[10:11], -1
	s_mov_b64 s[0:1], 0
.LBB103_414:
	s_mov_b64 s[12:13], 0
.LBB103_415:
	s_and_b64 vcc, exec, s[12:13]
	s_cbranch_vccz .LBB103_418
; %bb.416:
	s_cmp_eq_u32 s17, 11
	s_mov_b64 s[0:1], -1
	s_cbranch_scc0 .LBB103_418
; %bb.417:
	v_cndmask_b32_e64 v2, 0, 1, s[8:9]
	s_mov_b64 s[10:11], -1
	s_mov_b64 s[0:1], 0
	global_store_byte v[0:1], v2, off
.LBB103_418:
	s_mov_b64 s[12:13], 0
.LBB103_419:
	s_and_b64 vcc, exec, s[12:13]
	s_cbranch_vccz .LBB103_458
; %bb.420:
	s_and_b32 s12, 0xffff, s16
	s_cmp_lt_i32 s12, 5
	s_mov_b64 s[10:11], -1
	s_cbranch_scc1 .LBB103_441
; %bb.421:
	s_cmp_lt_i32 s12, 8
	s_cbranch_scc1 .LBB103_431
; %bb.422:
	s_cmp_lt_i32 s12, 9
	s_cbranch_scc1 .LBB103_428
; %bb.423:
	s_cmp_gt_i32 s12, 9
	s_cbranch_scc0 .LBB103_425
; %bb.424:
	v_cndmask_b32_e64 v2, 0, 1, s[8:9]
	s_waitcnt vmcnt(0)
	v_cvt_f64_u32_e32 v[2:3], v2
	v_mov_b32_e32 v4, 0
	v_mov_b32_e32 v5, v4
	s_mov_b64 s[10:11], 0
	global_store_dwordx4 v[0:1], v[2:5], off
.LBB103_425:
	s_andn2_b64 vcc, exec, s[10:11]
	s_cbranch_vccnz .LBB103_427
; %bb.426:
	v_cndmask_b32_e64 v2, 0, 1.0, s[8:9]
	s_waitcnt vmcnt(0)
	v_mov_b32_e32 v3, 0
	global_store_dwordx2 v[0:1], v[2:3], off
.LBB103_427:
	s_mov_b64 s[10:11], 0
.LBB103_428:
	s_andn2_b64 vcc, exec, s[10:11]
	s_cbranch_vccnz .LBB103_430
; %bb.429:
	v_cndmask_b32_e64 v2, 0, 1.0, s[8:9]
	v_cvt_f16_f32_e32 v2, v2
	global_store_dword v[0:1], v2, off
.LBB103_430:
	s_mov_b64 s[10:11], 0
.LBB103_431:
	s_andn2_b64 vcc, exec, s[10:11]
	s_cbranch_vccnz .LBB103_440
; %bb.432:
	s_cmp_lt_i32 s12, 6
	s_mov_b64 s[10:11], -1
	s_cbranch_scc1 .LBB103_438
; %bb.433:
	s_cmp_gt_i32 s12, 6
	s_cbranch_scc0 .LBB103_435
; %bb.434:
	v_cndmask_b32_e64 v2, 0, 1, s[8:9]
	s_waitcnt vmcnt(0)
	v_cvt_f64_u32_e32 v[2:3], v2
	s_mov_b64 s[10:11], 0
	global_store_dwordx2 v[0:1], v[2:3], off
.LBB103_435:
	s_andn2_b64 vcc, exec, s[10:11]
	s_cbranch_vccnz .LBB103_437
; %bb.436:
	v_cndmask_b32_e64 v2, 0, 1.0, s[8:9]
	global_store_dword v[0:1], v2, off
.LBB103_437:
	s_mov_b64 s[10:11], 0
.LBB103_438:
	s_andn2_b64 vcc, exec, s[10:11]
	s_cbranch_vccnz .LBB103_440
; %bb.439:
	v_cndmask_b32_e64 v2, 0, 1.0, s[8:9]
	v_cvt_f16_f32_e32 v2, v2
	global_store_short v[0:1], v2, off
.LBB103_440:
	s_mov_b64 s[10:11], 0
.LBB103_441:
	s_andn2_b64 vcc, exec, s[10:11]
	s_cbranch_vccnz .LBB103_457
; %bb.442:
	s_cmp_lt_i32 s12, 2
	s_mov_b64 s[10:11], -1
	s_cbranch_scc1 .LBB103_452
; %bb.443:
	s_cmp_lt_i32 s12, 3
	s_cbranch_scc1 .LBB103_449
; %bb.444:
	s_cmp_gt_i32 s12, 3
	s_cbranch_scc0 .LBB103_446
; %bb.445:
	s_mov_b32 s10, 0
	v_cndmask_b32_e64 v2, 0, 1, s[8:9]
	s_waitcnt vmcnt(0)
	v_mov_b32_e32 v3, s10
	s_mov_b64 s[10:11], 0
	global_store_dwordx2 v[0:1], v[2:3], off
.LBB103_446:
	s_andn2_b64 vcc, exec, s[10:11]
	s_cbranch_vccnz .LBB103_448
; %bb.447:
	v_cndmask_b32_e64 v2, 0, 1, s[8:9]
	global_store_dword v[0:1], v2, off
.LBB103_448:
	s_mov_b64 s[10:11], 0
.LBB103_449:
	s_andn2_b64 vcc, exec, s[10:11]
	s_cbranch_vccnz .LBB103_451
; %bb.450:
	v_cndmask_b32_e64 v2, 0, 1, s[8:9]
	global_store_short v[0:1], v2, off
.LBB103_451:
	s_mov_b64 s[10:11], 0
.LBB103_452:
	s_andn2_b64 vcc, exec, s[10:11]
	s_cbranch_vccnz .LBB103_457
; %bb.453:
	s_mov_b64 s[10:11], -1
	s_cmp_gt_i32 s12, 0
	v_cndmask_b32_e64 v2, 0, 1, s[8:9]
	s_cbranch_scc0 .LBB103_455
; %bb.454:
	s_mov_b64 s[10:11], 0
	global_store_byte v[0:1], v2, off
.LBB103_455:
	s_andn2_b64 vcc, exec, s[10:11]
	s_cbranch_vccnz .LBB103_457
; %bb.456:
	global_store_byte v[0:1], v2, off
.LBB103_457:
	s_mov_b64 s[10:11], -1
.LBB103_458:
	s_andn2_b64 vcc, exec, s[10:11]
	s_cbranch_vccnz .LBB103_460
; %bb.459:
	v_add_u32_e32 v8, 0x80, v8
	s_mov_b64 s[8:9], -1
	s_branch .LBB103_573
.LBB103_460:
	s_mov_b64 s[8:9], 0
	s_branch .LBB103_572
.LBB103_461:
	s_mov_b64 s[2:3], -1
                                        ; implicit-def: $vgpr3
.LBB103_462:
	s_mov_b64 s[8:9], 0
.LBB103_463:
	s_and_b64 vcc, exec, s[8:9]
	s_cbranch_vccz .LBB103_467
; %bb.464:
	s_cmp_eq_u32 s12, 29
	s_cbranch_scc0 .LBB103_466
; %bb.465:
	global_load_dwordx2 v[3:4], v[1:2], off
	s_mov_b64 s[0:1], -1
	s_mov_b64 s[2:3], 0
	s_mov_b64 s[8:9], 0
	s_waitcnt vmcnt(0)
	v_ffbh_u32_e32 v5, v4
	v_min_u32_e32 v5, 32, v5
	v_lshlrev_b64 v[3:4], v5, v[3:4]
	v_min_u32_e32 v3, 1, v3
	v_or_b32_e32 v3, v4, v3
	v_cvt_f32_u32_e32 v3, v3
	v_sub_u32_e32 v4, 32, v5
	v_ldexp_f32 v3, v3, v4
	s_branch .LBB103_468
.LBB103_466:
	s_mov_b64 s[2:3], -1
                                        ; implicit-def: $vgpr3
.LBB103_467:
	s_mov_b64 s[8:9], 0
.LBB103_468:
	s_and_b64 vcc, exec, s[8:9]
	s_cbranch_vccz .LBB103_486
; %bb.469:
	s_cmp_lt_i32 s12, 27
	s_cbranch_scc1 .LBB103_472
; %bb.470:
	s_cmp_gt_i32 s12, 27
	s_cbranch_scc0 .LBB103_473
; %bb.471:
	global_load_dword v3, v[1:2], off
	s_mov_b64 s[0:1], 0
	s_waitcnt vmcnt(0)
	v_cvt_f32_u32_e32 v3, v3
	s_branch .LBB103_474
.LBB103_472:
	s_mov_b64 s[0:1], -1
                                        ; implicit-def: $vgpr3
	s_branch .LBB103_477
.LBB103_473:
	s_mov_b64 s[0:1], -1
                                        ; implicit-def: $vgpr3
.LBB103_474:
	s_andn2_b64 vcc, exec, s[0:1]
	s_cbranch_vccnz .LBB103_476
; %bb.475:
	global_load_ushort v3, v[1:2], off
	s_waitcnt vmcnt(0)
	v_cvt_f32_u32_e32 v3, v3
.LBB103_476:
	s_mov_b64 s[0:1], 0
.LBB103_477:
	s_andn2_b64 vcc, exec, s[0:1]
	s_cbranch_vccnz .LBB103_485
; %bb.478:
	global_load_ubyte v4, v[1:2], off
	s_movk_i32 s0, 0x7f
	s_waitcnt vmcnt(0)
	v_cmp_lt_i16_e32 vcc, s0, v4
	s_mov_b64 s[0:1], 0
	s_and_saveexec_b64 s[8:9], vcc
	s_xor_b64 s[8:9], exec, s[8:9]
	s_cbranch_execz .LBB103_499
; %bb.479:
	s_movk_i32 s0, 0x80
	v_cmp_eq_u16_e32 vcc, s0, v4
	s_mov_b64 s[0:1], -1
	s_and_saveexec_b64 s[10:11], vcc
; %bb.480:
	s_xor_b64 s[0:1], exec, -1
; %bb.481:
	s_or_b64 exec, exec, s[10:11]
	s_and_b64 s[0:1], s[0:1], exec
	s_or_saveexec_b64 s[8:9], s[8:9]
	v_mov_b32_e32 v3, 0x7f800001
	s_xor_b64 exec, exec, s[8:9]
	s_cbranch_execnz .LBB103_500
.LBB103_482:
	s_or_b64 exec, exec, s[8:9]
	s_and_saveexec_b64 s[8:9], s[0:1]
	s_cbranch_execz .LBB103_484
.LBB103_483:
	v_lshlrev_b32_e32 v3, 24, v4
	v_and_b32_e32 v4, 0xffff, v4
	v_and_b32_e32 v5, 7, v4
	v_ffbh_u32_e32 v7, v5
	v_min_u32_e32 v7, 32, v7
	v_subrev_u32_e32 v9, 28, v7
	v_bfe_u32 v6, v4, 3, 4
	v_lshlrev_b32_e32 v4, v9, v4
	v_sub_u32_e32 v7, 29, v7
	v_and_b32_e32 v4, 7, v4
	v_cmp_eq_u32_e32 vcc, 0, v6
	v_cndmask_b32_e32 v6, v6, v7, vcc
	v_cndmask_b32_e32 v4, v5, v4, vcc
	v_mov_b32_e32 v5, 0x3b800000
	v_lshlrev_b32_e32 v4, 20, v4
	v_and_b32_e32 v3, 0x80000000, v3
	v_lshl_add_u32 v5, v6, 23, v5
	v_or3_b32 v3, v3, v5, v4
.LBB103_484:
	s_or_b64 exec, exec, s[8:9]
.LBB103_485:
	s_mov_b64 s[0:1], -1
.LBB103_486:
	s_mov_b64 s[8:9], 0
.LBB103_487:
	s_and_b64 vcc, exec, s[8:9]
	s_cbranch_vccz .LBB103_522
; %bb.488:
	s_cmp_gt_i32 s12, 22
	s_cbranch_scc0 .LBB103_498
; %bb.489:
	s_cmp_lt_i32 s12, 24
	s_cbranch_scc1 .LBB103_501
; %bb.490:
	s_cmp_gt_i32 s12, 24
	s_cbranch_scc0 .LBB103_502
; %bb.491:
	global_load_ubyte v4, v[1:2], off
	s_movk_i32 s0, 0x7f
	s_waitcnt vmcnt(0)
	v_cmp_lt_i16_e32 vcc, s0, v4
	s_mov_b64 s[0:1], 0
	s_and_saveexec_b64 s[8:9], vcc
	s_xor_b64 s[8:9], exec, s[8:9]
	s_cbranch_execz .LBB103_514
; %bb.492:
	s_movk_i32 s0, 0x80
	v_cmp_eq_u16_e32 vcc, s0, v4
	s_mov_b64 s[0:1], -1
	s_and_saveexec_b64 s[10:11], vcc
; %bb.493:
	s_xor_b64 s[0:1], exec, -1
; %bb.494:
	s_or_b64 exec, exec, s[10:11]
	s_and_b64 s[0:1], s[0:1], exec
	s_or_saveexec_b64 s[8:9], s[8:9]
	v_mov_b32_e32 v3, 0x7f800001
	s_xor_b64 exec, exec, s[8:9]
	s_cbranch_execnz .LBB103_515
.LBB103_495:
	s_or_b64 exec, exec, s[8:9]
	s_and_saveexec_b64 s[8:9], s[0:1]
	s_cbranch_execz .LBB103_497
.LBB103_496:
	v_lshlrev_b32_e32 v3, 24, v4
	v_and_b32_e32 v4, 0xffff, v4
	v_and_b32_e32 v5, 3, v4
	v_ffbh_u32_e32 v7, v5
	v_min_u32_e32 v7, 32, v7
	v_subrev_u32_e32 v9, 29, v7
	v_bfe_u32 v6, v4, 2, 5
	v_lshlrev_b32_e32 v4, v9, v4
	v_sub_u32_e32 v7, 30, v7
	v_and_b32_e32 v4, 3, v4
	v_cmp_eq_u32_e32 vcc, 0, v6
	v_cndmask_b32_e32 v6, v6, v7, vcc
	v_cndmask_b32_e32 v4, v5, v4, vcc
	v_mov_b32_e32 v5, 0x37800000
	v_lshlrev_b32_e32 v4, 21, v4
	v_and_b32_e32 v3, 0x80000000, v3
	v_lshl_add_u32 v5, v6, 23, v5
	v_or3_b32 v3, v3, v5, v4
.LBB103_497:
	s_or_b64 exec, exec, s[8:9]
	s_mov_b64 s[0:1], 0
	s_branch .LBB103_503
.LBB103_498:
	s_mov_b64 s[8:9], -1
                                        ; implicit-def: $vgpr3
	s_branch .LBB103_509
.LBB103_499:
	s_or_saveexec_b64 s[8:9], s[8:9]
	v_mov_b32_e32 v3, 0x7f800001
	s_xor_b64 exec, exec, s[8:9]
	s_cbranch_execz .LBB103_482
.LBB103_500:
	v_cmp_ne_u16_e32 vcc, 0, v4
	s_andn2_b64 s[0:1], s[0:1], exec
	s_and_b64 s[10:11], vcc, exec
	v_mov_b32_e32 v3, 0
	s_or_b64 s[0:1], s[0:1], s[10:11]
	s_or_b64 exec, exec, s[8:9]
	s_and_saveexec_b64 s[8:9], s[0:1]
	s_cbranch_execnz .LBB103_483
	s_branch .LBB103_484
.LBB103_501:
	s_mov_b64 s[0:1], -1
                                        ; implicit-def: $vgpr3
	s_branch .LBB103_506
.LBB103_502:
	s_mov_b64 s[0:1], -1
                                        ; implicit-def: $vgpr3
.LBB103_503:
	s_and_b64 vcc, exec, s[0:1]
	s_cbranch_vccz .LBB103_505
; %bb.504:
	global_load_ubyte v3, v[1:2], off
	s_mov_b32 s0, 0x7f800000
	s_waitcnt vmcnt(0)
	v_lshlrev_b32_e32 v3, 24, v3
	v_and_b32_e32 v4, 0x7f000000, v3
	v_ffbh_u32_e32 v5, v4
	v_min_u32_e32 v5, 32, v5
	v_sub_u32_e64 v5, v5, 4 clamp
	v_lshlrev_b32_e32 v7, v5, v4
	v_lshlrev_b32_e32 v5, 23, v5
	v_lshrrev_b32_e32 v7, 4, v7
	v_add_u32_e32 v6, 0x1000000, v4
	v_sub_u32_e32 v5, v7, v5
	v_ashrrev_i32_e32 v6, 8, v6
	v_add_u32_e32 v5, 0x3c000000, v5
	v_and_or_b32 v5, v6, s0, v5
	v_cmp_ne_u32_e32 vcc, 0, v4
	v_cndmask_b32_e32 v4, 0, v5, vcc
	s_brev_b32 s0, 1
	v_and_or_b32 v3, v3, s0, v4
.LBB103_505:
	s_mov_b64 s[0:1], 0
.LBB103_506:
	s_andn2_b64 vcc, exec, s[0:1]
	s_cbranch_vccnz .LBB103_508
; %bb.507:
	global_load_ubyte v3, v[1:2], off
	s_movk_i32 s0, 0x7f00
	s_brev_b32 s1, 16
	s_waitcnt vmcnt(0)
	v_lshlrev_b16_e32 v4, 8, v3
	v_lshlrev_b32_e32 v3, 25, v3
	v_lshrrev_b32_e32 v5, 4, v3
	v_and_or_b32 v6, v4, s0, 0.5
	v_or_b32_e32 v5, 0x70000000, v5
	v_add_f32_e32 v6, -0.5, v6
	v_mul_f32_e32 v5, 0x7800000, v5
	v_cmp_gt_u32_e32 vcc, s1, v3
	v_bfe_i32 v4, v4, 0, 16
	v_cndmask_b32_e32 v3, v5, v6, vcc
	s_brev_b32 s0, 1
	v_and_or_b32 v3, v4, s0, v3
.LBB103_508:
	s_mov_b64 s[8:9], 0
	s_mov_b64 s[0:1], -1
.LBB103_509:
	s_andn2_b64 vcc, exec, s[8:9]
	s_cbranch_vccnz .LBB103_522
; %bb.510:
	s_cmp_gt_i32 s12, 14
	s_cbranch_scc0 .LBB103_513
; %bb.511:
	s_cmp_eq_u32 s12, 15
	s_cbranch_scc0 .LBB103_516
; %bb.512:
	global_load_ushort v3, v[1:2], off
	s_mov_b64 s[0:1], -1
	s_mov_b64 s[2:3], 0
	s_waitcnt vmcnt(0)
	v_lshlrev_b32_e32 v3, 16, v3
	s_branch .LBB103_517
.LBB103_513:
	s_mov_b64 s[8:9], -1
                                        ; implicit-def: $vgpr3
	s_branch .LBB103_518
.LBB103_514:
	s_or_saveexec_b64 s[8:9], s[8:9]
	v_mov_b32_e32 v3, 0x7f800001
	s_xor_b64 exec, exec, s[8:9]
	s_cbranch_execz .LBB103_495
.LBB103_515:
	v_cmp_ne_u16_e32 vcc, 0, v4
	s_andn2_b64 s[0:1], s[0:1], exec
	s_and_b64 s[10:11], vcc, exec
	v_mov_b32_e32 v3, 0
	s_or_b64 s[0:1], s[0:1], s[10:11]
	s_or_b64 exec, exec, s[8:9]
	s_and_saveexec_b64 s[8:9], s[0:1]
	s_cbranch_execnz .LBB103_496
	s_branch .LBB103_497
.LBB103_516:
	s_mov_b64 s[2:3], -1
                                        ; implicit-def: $vgpr3
.LBB103_517:
	s_mov_b64 s[8:9], 0
.LBB103_518:
	s_and_b64 vcc, exec, s[8:9]
	s_cbranch_vccz .LBB103_522
; %bb.519:
	s_cmp_eq_u32 s12, 11
	s_cbranch_scc0 .LBB103_521
; %bb.520:
	global_load_ubyte v3, v[1:2], off
	s_mov_b64 s[0:1], -1
	s_mov_b64 s[2:3], 0
	s_waitcnt vmcnt(0)
	v_cmp_ne_u16_e32 vcc, 0, v3
	v_cndmask_b32_e64 v3, 0, 1.0, vcc
	s_branch .LBB103_522
.LBB103_521:
	s_mov_b64 s[2:3], -1
                                        ; implicit-def: $vgpr3
.LBB103_522:
	s_branch .LBB103_309
.LBB103_523:
	s_cmp_lt_i32 s12, 5
	s_cbranch_scc1 .LBB103_528
; %bb.524:
	s_cmp_lt_i32 s12, 8
	s_cbranch_scc1 .LBB103_529
; %bb.525:
	;; [unrolled: 3-line block ×3, first 2 shown]
	s_cmp_gt_i32 s12, 9
	s_cbranch_scc0 .LBB103_531
; %bb.527:
	global_load_dwordx2 v[3:4], v[1:2], off
	s_mov_b64 s[0:1], 0
	s_waitcnt vmcnt(0)
	v_cvt_f32_f64_e32 v3, v[3:4]
	s_branch .LBB103_532
.LBB103_528:
	s_mov_b64 s[0:1], -1
                                        ; implicit-def: $vgpr3
	s_branch .LBB103_550
.LBB103_529:
	s_mov_b64 s[0:1], -1
                                        ; implicit-def: $vgpr3
	s_branch .LBB103_538
.LBB103_530:
	s_mov_b64 s[0:1], -1
                                        ; implicit-def: $vgpr3
	s_branch .LBB103_535
.LBB103_531:
	s_mov_b64 s[0:1], -1
                                        ; implicit-def: $vgpr3
.LBB103_532:
	s_andn2_b64 vcc, exec, s[0:1]
	s_cbranch_vccnz .LBB103_534
; %bb.533:
	global_load_dword v3, v[1:2], off
.LBB103_534:
	s_mov_b64 s[0:1], 0
.LBB103_535:
	s_andn2_b64 vcc, exec, s[0:1]
	s_cbranch_vccnz .LBB103_537
; %bb.536:
	global_load_dword v3, v[1:2], off
	s_waitcnt vmcnt(0)
	v_cvt_f32_f16_e32 v3, v3
.LBB103_537:
	s_mov_b64 s[0:1], 0
.LBB103_538:
	s_andn2_b64 vcc, exec, s[0:1]
	s_cbranch_vccnz .LBB103_549
; %bb.539:
	s_cmp_lt_i32 s12, 6
	s_cbranch_scc1 .LBB103_542
; %bb.540:
	s_cmp_gt_i32 s12, 6
	s_cbranch_scc0 .LBB103_543
; %bb.541:
	global_load_dwordx2 v[3:4], v[1:2], off
	s_mov_b64 s[0:1], 0
	s_waitcnt vmcnt(0)
	v_cvt_f32_f64_e32 v3, v[3:4]
	s_branch .LBB103_544
.LBB103_542:
	s_mov_b64 s[0:1], -1
                                        ; implicit-def: $vgpr3
	s_branch .LBB103_547
.LBB103_543:
	s_mov_b64 s[0:1], -1
                                        ; implicit-def: $vgpr3
.LBB103_544:
	s_andn2_b64 vcc, exec, s[0:1]
	s_cbranch_vccnz .LBB103_546
; %bb.545:
	global_load_dword v3, v[1:2], off
.LBB103_546:
	s_mov_b64 s[0:1], 0
.LBB103_547:
	s_andn2_b64 vcc, exec, s[0:1]
	s_cbranch_vccnz .LBB103_549
; %bb.548:
	global_load_ushort v3, v[1:2], off
	s_waitcnt vmcnt(0)
	v_cvt_f32_f16_e32 v3, v3
.LBB103_549:
	s_mov_b64 s[0:1], 0
.LBB103_550:
	s_andn2_b64 vcc, exec, s[0:1]
	s_cbranch_vccnz .LBB103_570
; %bb.551:
	s_cmp_lt_i32 s12, 2
	s_cbranch_scc1 .LBB103_555
; %bb.552:
	s_cmp_lt_i32 s12, 3
	s_cbranch_scc1 .LBB103_556
; %bb.553:
	s_cmp_gt_i32 s12, 3
	s_cbranch_scc0 .LBB103_557
; %bb.554:
	global_load_dwordx2 v[3:4], v[1:2], off
	s_mov_b64 s[0:1], 0
	s_waitcnt vmcnt(0)
	v_xor_b32_e32 v6, v3, v4
	v_ffbh_i32_e32 v5, v4
	v_ashrrev_i32_e32 v6, 31, v6
	v_add_u32_e32 v5, -1, v5
	v_add_u32_e32 v6, 32, v6
	v_min_u32_e32 v5, v5, v6
	v_lshlrev_b64 v[3:4], v5, v[3:4]
	v_min_u32_e32 v3, 1, v3
	v_or_b32_e32 v3, v4, v3
	v_cvt_f32_i32_e32 v3, v3
	v_sub_u32_e32 v4, 32, v5
	v_ldexp_f32 v3, v3, v4
	s_branch .LBB103_558
.LBB103_555:
	s_mov_b64 s[0:1], -1
                                        ; implicit-def: $vgpr3
	s_branch .LBB103_564
.LBB103_556:
	s_mov_b64 s[0:1], -1
                                        ; implicit-def: $vgpr3
	s_branch .LBB103_561
.LBB103_557:
	s_mov_b64 s[0:1], -1
                                        ; implicit-def: $vgpr3
.LBB103_558:
	s_andn2_b64 vcc, exec, s[0:1]
	s_cbranch_vccnz .LBB103_560
; %bb.559:
	global_load_dword v3, v[1:2], off
	s_waitcnt vmcnt(0)
	v_cvt_f32_i32_e32 v3, v3
.LBB103_560:
	s_mov_b64 s[0:1], 0
.LBB103_561:
	s_andn2_b64 vcc, exec, s[0:1]
	s_cbranch_vccnz .LBB103_563
; %bb.562:
	global_load_sshort v3, v[1:2], off
	s_waitcnt vmcnt(0)
	v_cvt_f32_i32_e32 v3, v3
.LBB103_563:
	s_mov_b64 s[0:1], 0
.LBB103_564:
	s_andn2_b64 vcc, exec, s[0:1]
	s_cbranch_vccnz .LBB103_570
; %bb.565:
	s_cmp_gt_i32 s12, 0
	s_cbranch_scc0 .LBB103_567
; %bb.566:
	global_load_sbyte v3, v[1:2], off
	s_mov_b64 s[0:1], 0
	s_waitcnt vmcnt(0)
	v_cvt_f32_i32_e32 v3, v3
	s_branch .LBB103_568
.LBB103_567:
	s_mov_b64 s[0:1], -1
                                        ; implicit-def: $vgpr3
.LBB103_568:
	s_andn2_b64 vcc, exec, s[0:1]
	s_cbranch_vccnz .LBB103_570
; %bb.569:
	global_load_ubyte v1, v[1:2], off
	s_waitcnt vmcnt(0)
	v_cvt_f32_ubyte0_e32 v3, v1
.LBB103_570:
	s_branch .LBB103_310
.LBB103_571:
	s_mov_b64 s[8:9], 0
	s_mov_b64 s[0:1], s[54:55]
.LBB103_572:
                                        ; implicit-def: $vgpr8
.LBB103_573:
	s_andn2_b64 s[10:11], s[54:55], exec
	s_and_b64 s[0:1], s[0:1], exec
	s_or_b64 s[62:63], s[10:11], s[0:1]
	s_andn2_b64 s[0:1], s[56:57], exec
	s_and_b64 s[2:3], s[2:3], exec
	s_or_b64 s[60:61], s[0:1], s[2:3]
	s_orn2_b64 s[0:1], s[8:9], exec
.LBB103_574:
	s_or_b64 exec, exec, s[64:65]
	s_mov_b64 s[2:3], 0
	s_mov_b64 s[8:9], 0
	;; [unrolled: 1-line block ×3, first 2 shown]
                                        ; implicit-def: $vgpr1_vgpr2
                                        ; implicit-def: $vgpr0
                                        ; implicit-def: $vgpr3
	s_and_saveexec_b64 s[64:65], s[0:1]
	s_cbranch_execz .LBB103_966
; %bb.575:
	v_cmp_gt_i32_e32 vcc, s72, v8
	s_mov_b64 s[2:3], -1
	s_mov_b64 s[68:69], s[60:61]
	s_mov_b64 s[70:71], s[62:63]
	s_and_saveexec_b64 s[66:67], vcc
	s_cbranch_execz .LBB103_866
; %bb.576:
	s_andn2_b64 vcc, exec, s[40:41]
	s_cbranch_vccnz .LBB103_581
; %bb.577:
	s_andn2_b64 vcc, exec, s[52:53]
	s_cbranch_vccnz .LBB103_582
; %bb.578:
	s_add_i32 s78, s77, 1
	s_cmp_eq_u32 s74, 2
	s_cbranch_scc1 .LBB103_583
; %bb.579:
	s_and_b32 s73, s78, 28
	v_mov_b32_e32 v2, 0
	s_mov_b32 s79, 0
	s_mov_b64 s[68:69], s[34:35]
	s_mov_b64 s[70:71], s[50:51]
	v_mov_b32_e32 v0, 0
	v_mov_b32_e32 v1, v8
.LBB103_580:                            ; =>This Inner Loop Header: Depth=1
	s_load_dwordx8 s[16:23], s[68:69], 0x4
	s_load_dwordx4 s[0:3], s[68:69], 0x24
	s_load_dwordx8 s[8:15], s[70:71], 0x0
	s_add_u32 s68, s68, 48
	s_addc_u32 s69, s69, 0
	s_waitcnt vmcnt(0) lgkmcnt(0)
	v_mul_hi_u32 v3, s17, v1
	s_add_i32 s79, s79, 4
	s_add_u32 s70, s70, 32
	s_addc_u32 s71, s71, 0
	v_add_u32_e32 v3, v1, v3
	v_lshrrev_b32_e32 v3, s18, v3
	v_mul_lo_u32 v4, v3, s16
	v_mul_hi_u32 v5, s20, v3
	s_cmp_eq_u32 s73, s79
	v_sub_u32_e32 v1, v1, v4
	v_add_u32_e32 v4, v3, v5
	v_mul_lo_u32 v5, v1, s8
	v_mul_lo_u32 v6, v1, s9
	v_lshrrev_b32_e32 v1, s21, v4
	v_mul_lo_u32 v4, v1, s19
	v_mul_hi_u32 v7, s23, v1
	v_sub_u32_e32 v3, v3, v4
	v_add_u32_e32 v4, v1, v7
	v_lshrrev_b32_e32 v4, s0, v4
	v_mul_hi_u32 v9, s2, v4
	v_mul_lo_u32 v10, v4, s22
	v_mul_lo_u32 v7, v3, s10
	v_mul_lo_u32 v3, v3, s11
	v_sub_u32_e32 v10, v1, v10
	v_add_u32_e32 v1, v4, v9
	v_lshrrev_b32_e32 v1, s3, v1
	v_mul_lo_u32 v9, v1, s1
	v_mul_lo_u32 v11, v10, s12
	;; [unrolled: 1-line block ×3, first 2 shown]
	v_add3_u32 v0, v5, v0, v7
	v_sub_u32_e32 v4, v4, v9
	v_mul_lo_u32 v9, v4, s14
	v_mul_lo_u32 v4, v4, s15
	v_add3_u32 v2, v6, v2, v3
	v_add3_u32 v0, v11, v0, v9
	;; [unrolled: 1-line block ×3, first 2 shown]
	s_cbranch_scc0 .LBB103_580
	s_branch .LBB103_584
.LBB103_581:
	s_mov_b64 s[0:1], -1
                                        ; implicit-def: $vgpr0
                                        ; implicit-def: $vgpr2
	s_branch .LBB103_588
.LBB103_582:
	v_mov_b32_e32 v0, 0
	v_mov_b32_e32 v2, 0
	s_branch .LBB103_587
.LBB103_583:
	s_mov_b32 s73, 0
	v_mov_b32_e32 v0, 0
	v_mov_b32_e32 v2, 0
	;; [unrolled: 1-line block ×3, first 2 shown]
.LBB103_584:
	s_and_b32 s8, s78, 3
	s_cmp_eq_u32 s8, 0
	s_cbranch_scc1 .LBB103_587
; %bb.585:
	s_lshl_b32 s0, s73, 3
	s_add_u32 s0, s34, s0
	s_addc_u32 s1, s35, 0
	s_add_u32 s0, s0, 0xc4
	s_addc_u32 s1, s1, 0
	s_mul_i32 s2, s73, 12
	s_add_u32 s2, s34, s2
	s_addc_u32 s3, s35, 0
.LBB103_586:                            ; =>This Inner Loop Header: Depth=1
	s_load_dwordx2 s[10:11], s[2:3], 0x4
	s_load_dword s9, s[2:3], 0xc
	s_load_dwordx2 s[12:13], s[0:1], 0x0
	s_add_u32 s2, s2, 12
	s_addc_u32 s3, s3, 0
	s_waitcnt vmcnt(0) lgkmcnt(0)
	v_mul_hi_u32 v3, s11, v1
	s_add_u32 s0, s0, 8
	s_addc_u32 s1, s1, 0
	s_add_i32 s8, s8, -1
	v_add_u32_e32 v3, v1, v3
	v_lshrrev_b32_e32 v4, s9, v3
	v_mul_lo_u32 v3, v4, s10
	s_cmp_lg_u32 s8, 0
	v_sub_u32_e32 v3, v1, v3
	v_mad_u64_u32 v[0:1], s[10:11], v3, s12, v[0:1]
	v_mad_u64_u32 v[2:3], s[10:11], v3, s13, v[2:3]
	v_mov_b32_e32 v1, v4
	s_cbranch_scc1 .LBB103_586
.LBB103_587:
	s_mov_b64 s[0:1], 0
.LBB103_588:
	s_andn2_b64 vcc, exec, s[0:1]
	s_cbranch_vccnz .LBB103_591
; %bb.589:
	v_mul_hi_u32 v0, s29, v8
	s_andn2_b64 vcc, exec, s[48:49]
	v_add_u32_e32 v0, v8, v0
	v_lshrrev_b32_e32 v1, s30, v0
	v_mul_lo_u32 v0, v1, s28
	v_sub_u32_e32 v2, v8, v0
	v_mul_lo_u32 v0, v2, s36
	v_mul_lo_u32 v2, v2, s37
	s_cbranch_vccnz .LBB103_591
; %bb.590:
	s_waitcnt vmcnt(0)
	v_mul_hi_u32 v3, s46, v1
	v_add_u32_e32 v3, v1, v3
	v_lshrrev_b32_e32 v3, s47, v3
	v_mul_lo_u32 v3, v3, s31
	v_sub_u32_e32 v3, v1, v3
	v_mad_u64_u32 v[0:1], s[0:1], v3, s38, v[0:1]
	v_mad_u64_u32 v[2:3], s[0:1], v3, s39, v[2:3]
.LBB103_591:
	s_waitcnt vmcnt(0)
	v_mov_b32_e32 v3, s27
	s_and_b32 s12, 0xffff, s76
	v_add_co_u32_e32 v1, vcc, s26, v2
	s_cmp_lt_i32 s12, 11
	v_addc_co_u32_e32 v2, vcc, 0, v3, vcc
	s_cbranch_scc1 .LBB103_598
; %bb.592:
	s_cmp_gt_i32 s12, 25
	s_cbranch_scc0 .LBB103_599
; %bb.593:
	s_cmp_gt_i32 s12, 28
	s_cbranch_scc0 .LBB103_600
	;; [unrolled: 3-line block ×4, first 2 shown]
; %bb.596:
	s_cmp_eq_u32 s12, 46
	s_mov_b64 s[8:9], 0
	s_cbranch_scc0 .LBB103_607
; %bb.597:
	global_load_dword v3, v[1:2], off
	s_mov_b64 s[0:1], -1
	s_mov_b64 s[2:3], 0
	s_waitcnt vmcnt(0)
	v_lshlrev_b32_e32 v3, 16, v3
	s_branch .LBB103_608
.LBB103_598:
	s_mov_b64 s[8:9], -1
	s_mov_b64 s[0:1], 0
                                        ; implicit-def: $vgpr3
	s_mov_b64 s[2:3], s[60:61]
	s_branch .LBB103_673
.LBB103_599:
	s_mov_b64 s[8:9], -1
	s_mov_b64 s[0:1], 0
	s_mov_b64 s[2:3], s[60:61]
                                        ; implicit-def: $vgpr3
	s_branch .LBB103_637
.LBB103_600:
	s_mov_b64 s[8:9], -1
	s_mov_b64 s[0:1], 0
	s_mov_b64 s[2:3], s[60:61]
                                        ; implicit-def: $vgpr3
	s_branch .LBB103_618
.LBB103_601:
	s_mov_b64 s[8:9], -1
	s_mov_b64 s[0:1], 0
	s_mov_b64 s[2:3], s[60:61]
                                        ; implicit-def: $vgpr3
	s_branch .LBB103_613
.LBB103_602:
	s_andn2_saveexec_b64 s[14:15], s[14:15]
	s_cbranch_execz .LBB103_371
.LBB103_603:
	v_add_f32_e32 v2, 0x46000000, v3
	v_and_b32_e32 v2, 0xff, v2
	v_cmp_ne_u32_e32 vcc, 0, v2
	s_andn2_b64 s[12:13], s[12:13], exec
	s_and_b64 s[18:19], vcc, exec
	s_or_b64 s[12:13], s[12:13], s[18:19]
	s_or_b64 exec, exec, s[14:15]
	v_mov_b32_e32 v4, 0
	s_and_saveexec_b64 s[14:15], s[12:13]
	s_cbranch_execnz .LBB103_372
	s_branch .LBB103_373
.LBB103_604:
	s_mov_b64 s[8:9], -1
	s_mov_b64 s[0:1], 0
	s_mov_b64 s[2:3], s[60:61]
                                        ; implicit-def: $vgpr3
	s_branch .LBB103_608
.LBB103_605:
	s_andn2_saveexec_b64 s[14:15], s[14:15]
	s_cbranch_execz .LBB103_384
.LBB103_606:
	v_add_f32_e32 v2, 0x42800000, v3
	v_and_b32_e32 v2, 0xff, v2
	v_cmp_ne_u32_e32 vcc, 0, v2
	s_andn2_b64 s[12:13], s[12:13], exec
	s_and_b64 s[18:19], vcc, exec
	s_or_b64 s[12:13], s[12:13], s[18:19]
	s_or_b64 exec, exec, s[14:15]
	v_mov_b32_e32 v4, 0
	s_and_saveexec_b64 s[14:15], s[12:13]
	s_cbranch_execnz .LBB103_385
	s_branch .LBB103_386
.LBB103_607:
	s_mov_b64 s[2:3], -1
                                        ; implicit-def: $vgpr3
	s_mov_b64 s[0:1], 0
.LBB103_608:
	s_and_b64 vcc, exec, s[8:9]
	s_cbranch_vccz .LBB103_612
; %bb.609:
	s_cmp_eq_u32 s12, 44
	s_cbranch_scc0 .LBB103_611
; %bb.610:
	global_load_ubyte v3, v[1:2], off
	s_movk_i32 s2, 0xff
	v_mov_b32_e32 v4, 0x7f800001
	v_mov_b32_e32 v5, 0x400000
	s_mov_b64 s[0:1], -1
	s_waitcnt vmcnt(0)
	v_lshlrev_b32_e32 v6, 23, v3
	v_cmp_ne_u32_e32 vcc, s2, v3
	v_cndmask_b32_e32 v4, v4, v6, vcc
	v_cmp_ne_u32_e32 vcc, 0, v3
	v_cndmask_b32_e32 v3, v5, v4, vcc
	s_mov_b64 s[2:3], 0
	s_branch .LBB103_612
.LBB103_611:
	s_mov_b64 s[2:3], -1
                                        ; implicit-def: $vgpr3
.LBB103_612:
	s_mov_b64 s[8:9], 0
.LBB103_613:
	s_and_b64 vcc, exec, s[8:9]
	s_cbranch_vccz .LBB103_617
; %bb.614:
	s_cmp_eq_u32 s12, 29
	s_cbranch_scc0 .LBB103_616
; %bb.615:
	global_load_dwordx2 v[3:4], v[1:2], off
	s_mov_b64 s[0:1], -1
	s_mov_b64 s[2:3], 0
	s_mov_b64 s[8:9], 0
	s_waitcnt vmcnt(0)
	v_ffbh_u32_e32 v5, v4
	v_min_u32_e32 v5, 32, v5
	v_lshlrev_b64 v[3:4], v5, v[3:4]
	v_min_u32_e32 v3, 1, v3
	v_or_b32_e32 v3, v4, v3
	v_cvt_f32_u32_e32 v3, v3
	v_sub_u32_e32 v4, 32, v5
	v_ldexp_f32 v3, v3, v4
	s_branch .LBB103_618
.LBB103_616:
	s_mov_b64 s[2:3], -1
                                        ; implicit-def: $vgpr3
.LBB103_617:
	s_mov_b64 s[8:9], 0
.LBB103_618:
	s_and_b64 vcc, exec, s[8:9]
	s_cbranch_vccz .LBB103_636
; %bb.619:
	s_cmp_lt_i32 s12, 27
	s_cbranch_scc1 .LBB103_622
; %bb.620:
	s_cmp_gt_i32 s12, 27
	s_cbranch_scc0 .LBB103_623
; %bb.621:
	global_load_dword v3, v[1:2], off
	s_mov_b64 s[0:1], 0
	s_waitcnt vmcnt(0)
	v_cvt_f32_u32_e32 v3, v3
	s_branch .LBB103_624
.LBB103_622:
	s_mov_b64 s[0:1], -1
                                        ; implicit-def: $vgpr3
	s_branch .LBB103_627
.LBB103_623:
	s_mov_b64 s[0:1], -1
                                        ; implicit-def: $vgpr3
.LBB103_624:
	s_andn2_b64 vcc, exec, s[0:1]
	s_cbranch_vccnz .LBB103_626
; %bb.625:
	global_load_ushort v3, v[1:2], off
	s_waitcnt vmcnt(0)
	v_cvt_f32_u32_e32 v3, v3
.LBB103_626:
	s_mov_b64 s[0:1], 0
.LBB103_627:
	s_andn2_b64 vcc, exec, s[0:1]
	s_cbranch_vccnz .LBB103_635
; %bb.628:
	global_load_ubyte v4, v[1:2], off
	s_movk_i32 s0, 0x7f
	s_waitcnt vmcnt(0)
	v_cmp_lt_i16_e32 vcc, s0, v4
	s_mov_b64 s[0:1], 0
	s_and_saveexec_b64 s[8:9], vcc
	s_xor_b64 s[8:9], exec, s[8:9]
	s_cbranch_execz .LBB103_649
; %bb.629:
	s_movk_i32 s0, 0x80
	v_cmp_eq_u16_e32 vcc, s0, v4
	s_mov_b64 s[0:1], -1
	s_and_saveexec_b64 s[10:11], vcc
; %bb.630:
	s_xor_b64 s[0:1], exec, -1
; %bb.631:
	s_or_b64 exec, exec, s[10:11]
	s_and_b64 s[0:1], s[0:1], exec
	s_or_saveexec_b64 s[8:9], s[8:9]
	v_mov_b32_e32 v3, 0x7f800001
	s_xor_b64 exec, exec, s[8:9]
	s_cbranch_execnz .LBB103_650
.LBB103_632:
	s_or_b64 exec, exec, s[8:9]
	s_and_saveexec_b64 s[8:9], s[0:1]
	s_cbranch_execz .LBB103_634
.LBB103_633:
	v_lshlrev_b32_e32 v3, 24, v4
	v_and_b32_e32 v4, 0xffff, v4
	v_and_b32_e32 v5, 7, v4
	v_ffbh_u32_e32 v7, v5
	v_min_u32_e32 v7, 32, v7
	v_subrev_u32_e32 v9, 28, v7
	v_bfe_u32 v6, v4, 3, 4
	v_lshlrev_b32_e32 v4, v9, v4
	v_sub_u32_e32 v7, 29, v7
	v_and_b32_e32 v4, 7, v4
	v_cmp_eq_u32_e32 vcc, 0, v6
	v_cndmask_b32_e32 v6, v6, v7, vcc
	v_cndmask_b32_e32 v4, v5, v4, vcc
	v_mov_b32_e32 v5, 0x3b800000
	v_lshlrev_b32_e32 v4, 20, v4
	v_and_b32_e32 v3, 0x80000000, v3
	v_lshl_add_u32 v5, v6, 23, v5
	v_or3_b32 v3, v3, v5, v4
.LBB103_634:
	s_or_b64 exec, exec, s[8:9]
.LBB103_635:
	s_mov_b64 s[0:1], -1
.LBB103_636:
	s_mov_b64 s[8:9], 0
.LBB103_637:
	s_and_b64 vcc, exec, s[8:9]
	s_cbranch_vccz .LBB103_672
; %bb.638:
	s_cmp_gt_i32 s12, 22
	s_cbranch_scc0 .LBB103_648
; %bb.639:
	s_cmp_lt_i32 s12, 24
	s_cbranch_scc1 .LBB103_651
; %bb.640:
	s_cmp_gt_i32 s12, 24
	s_cbranch_scc0 .LBB103_652
; %bb.641:
	global_load_ubyte v4, v[1:2], off
	s_movk_i32 s0, 0x7f
	s_waitcnt vmcnt(0)
	v_cmp_lt_i16_e32 vcc, s0, v4
	s_mov_b64 s[0:1], 0
	s_and_saveexec_b64 s[8:9], vcc
	s_xor_b64 s[8:9], exec, s[8:9]
	s_cbranch_execz .LBB103_664
; %bb.642:
	s_movk_i32 s0, 0x80
	v_cmp_eq_u16_e32 vcc, s0, v4
	s_mov_b64 s[0:1], -1
	s_and_saveexec_b64 s[10:11], vcc
; %bb.643:
	s_xor_b64 s[0:1], exec, -1
; %bb.644:
	s_or_b64 exec, exec, s[10:11]
	s_and_b64 s[0:1], s[0:1], exec
	s_or_saveexec_b64 s[8:9], s[8:9]
	v_mov_b32_e32 v3, 0x7f800001
	s_xor_b64 exec, exec, s[8:9]
	s_cbranch_execnz .LBB103_665
.LBB103_645:
	s_or_b64 exec, exec, s[8:9]
	s_and_saveexec_b64 s[8:9], s[0:1]
	s_cbranch_execz .LBB103_647
.LBB103_646:
	v_lshlrev_b32_e32 v3, 24, v4
	v_and_b32_e32 v4, 0xffff, v4
	v_and_b32_e32 v5, 3, v4
	v_ffbh_u32_e32 v7, v5
	v_min_u32_e32 v7, 32, v7
	v_subrev_u32_e32 v9, 29, v7
	v_bfe_u32 v6, v4, 2, 5
	v_lshlrev_b32_e32 v4, v9, v4
	v_sub_u32_e32 v7, 30, v7
	v_and_b32_e32 v4, 3, v4
	v_cmp_eq_u32_e32 vcc, 0, v6
	v_cndmask_b32_e32 v6, v6, v7, vcc
	v_cndmask_b32_e32 v4, v5, v4, vcc
	v_mov_b32_e32 v5, 0x37800000
	v_lshlrev_b32_e32 v4, 21, v4
	v_and_b32_e32 v3, 0x80000000, v3
	v_lshl_add_u32 v5, v6, 23, v5
	v_or3_b32 v3, v3, v5, v4
.LBB103_647:
	s_or_b64 exec, exec, s[8:9]
	s_mov_b64 s[0:1], 0
	s_branch .LBB103_653
.LBB103_648:
	s_mov_b64 s[8:9], -1
                                        ; implicit-def: $vgpr3
	s_branch .LBB103_659
.LBB103_649:
	s_or_saveexec_b64 s[8:9], s[8:9]
	v_mov_b32_e32 v3, 0x7f800001
	s_xor_b64 exec, exec, s[8:9]
	s_cbranch_execz .LBB103_632
.LBB103_650:
	v_cmp_ne_u16_e32 vcc, 0, v4
	s_andn2_b64 s[0:1], s[0:1], exec
	s_and_b64 s[10:11], vcc, exec
	v_mov_b32_e32 v3, 0
	s_or_b64 s[0:1], s[0:1], s[10:11]
	s_or_b64 exec, exec, s[8:9]
	s_and_saveexec_b64 s[8:9], s[0:1]
	s_cbranch_execnz .LBB103_633
	s_branch .LBB103_634
.LBB103_651:
	s_mov_b64 s[0:1], -1
                                        ; implicit-def: $vgpr3
	s_branch .LBB103_656
.LBB103_652:
	s_mov_b64 s[0:1], -1
                                        ; implicit-def: $vgpr3
.LBB103_653:
	s_and_b64 vcc, exec, s[0:1]
	s_cbranch_vccz .LBB103_655
; %bb.654:
	global_load_ubyte v3, v[1:2], off
	s_mov_b32 s0, 0x7f800000
	s_waitcnt vmcnt(0)
	v_lshlrev_b32_e32 v3, 24, v3
	v_and_b32_e32 v4, 0x7f000000, v3
	v_ffbh_u32_e32 v5, v4
	v_min_u32_e32 v5, 32, v5
	v_sub_u32_e64 v5, v5, 4 clamp
	v_lshlrev_b32_e32 v7, v5, v4
	v_lshlrev_b32_e32 v5, 23, v5
	v_lshrrev_b32_e32 v7, 4, v7
	v_add_u32_e32 v6, 0x1000000, v4
	v_sub_u32_e32 v5, v7, v5
	v_ashrrev_i32_e32 v6, 8, v6
	v_add_u32_e32 v5, 0x3c000000, v5
	v_and_or_b32 v5, v6, s0, v5
	v_cmp_ne_u32_e32 vcc, 0, v4
	v_cndmask_b32_e32 v4, 0, v5, vcc
	s_brev_b32 s0, 1
	v_and_or_b32 v3, v3, s0, v4
.LBB103_655:
	s_mov_b64 s[0:1], 0
.LBB103_656:
	s_andn2_b64 vcc, exec, s[0:1]
	s_cbranch_vccnz .LBB103_658
; %bb.657:
	global_load_ubyte v3, v[1:2], off
	s_movk_i32 s0, 0x7f00
	s_brev_b32 s1, 16
	s_waitcnt vmcnt(0)
	v_lshlrev_b16_e32 v4, 8, v3
	v_lshlrev_b32_e32 v3, 25, v3
	v_lshrrev_b32_e32 v5, 4, v3
	v_and_or_b32 v6, v4, s0, 0.5
	v_or_b32_e32 v5, 0x70000000, v5
	v_add_f32_e32 v6, -0.5, v6
	v_mul_f32_e32 v5, 0x7800000, v5
	v_cmp_gt_u32_e32 vcc, s1, v3
	v_bfe_i32 v4, v4, 0, 16
	v_cndmask_b32_e32 v3, v5, v6, vcc
	s_brev_b32 s0, 1
	v_and_or_b32 v3, v4, s0, v3
.LBB103_658:
	s_mov_b64 s[8:9], 0
	s_mov_b64 s[0:1], -1
.LBB103_659:
	s_andn2_b64 vcc, exec, s[8:9]
	s_cbranch_vccnz .LBB103_672
; %bb.660:
	s_cmp_gt_i32 s12, 14
	s_cbranch_scc0 .LBB103_663
; %bb.661:
	s_cmp_eq_u32 s12, 15
	s_cbranch_scc0 .LBB103_666
; %bb.662:
	global_load_ushort v3, v[1:2], off
	s_mov_b64 s[0:1], -1
	s_mov_b64 s[2:3], 0
	s_waitcnt vmcnt(0)
	v_lshlrev_b32_e32 v3, 16, v3
	s_branch .LBB103_667
.LBB103_663:
	s_mov_b64 s[8:9], -1
                                        ; implicit-def: $vgpr3
	s_branch .LBB103_668
.LBB103_664:
	s_or_saveexec_b64 s[8:9], s[8:9]
	v_mov_b32_e32 v3, 0x7f800001
	s_xor_b64 exec, exec, s[8:9]
	s_cbranch_execz .LBB103_645
.LBB103_665:
	v_cmp_ne_u16_e32 vcc, 0, v4
	s_andn2_b64 s[0:1], s[0:1], exec
	s_and_b64 s[10:11], vcc, exec
	v_mov_b32_e32 v3, 0
	s_or_b64 s[0:1], s[0:1], s[10:11]
	s_or_b64 exec, exec, s[8:9]
	s_and_saveexec_b64 s[8:9], s[0:1]
	s_cbranch_execnz .LBB103_646
	s_branch .LBB103_647
.LBB103_666:
	s_mov_b64 s[2:3], -1
                                        ; implicit-def: $vgpr3
.LBB103_667:
	s_mov_b64 s[8:9], 0
.LBB103_668:
	s_and_b64 vcc, exec, s[8:9]
	s_cbranch_vccz .LBB103_672
; %bb.669:
	s_cmp_eq_u32 s12, 11
	s_cbranch_scc0 .LBB103_671
; %bb.670:
	global_load_ubyte v3, v[1:2], off
	s_mov_b64 s[0:1], -1
	s_mov_b64 s[2:3], 0
	s_waitcnt vmcnt(0)
	v_cmp_ne_u16_e32 vcc, 0, v3
	v_cndmask_b32_e64 v3, 0, 1.0, vcc
	s_branch .LBB103_672
.LBB103_671:
	s_mov_b64 s[2:3], -1
                                        ; implicit-def: $vgpr3
.LBB103_672:
	s_mov_b64 s[8:9], 0
.LBB103_673:
	s_and_b64 vcc, exec, s[8:9]
	s_cbranch_vccz .LBB103_722
; %bb.674:
	s_cmp_lt_i32 s12, 5
	s_cbranch_scc1 .LBB103_679
; %bb.675:
	s_cmp_lt_i32 s12, 8
	s_cbranch_scc1 .LBB103_680
	;; [unrolled: 3-line block ×3, first 2 shown]
; %bb.677:
	s_cmp_gt_i32 s12, 9
	s_cbranch_scc0 .LBB103_682
; %bb.678:
	global_load_dwordx2 v[3:4], v[1:2], off
	s_mov_b64 s[0:1], 0
	s_waitcnt vmcnt(0)
	v_cvt_f32_f64_e32 v3, v[3:4]
	s_branch .LBB103_683
.LBB103_679:
	s_mov_b64 s[0:1], -1
                                        ; implicit-def: $vgpr3
	s_branch .LBB103_701
.LBB103_680:
	s_mov_b64 s[0:1], -1
                                        ; implicit-def: $vgpr3
	s_branch .LBB103_689
.LBB103_681:
	s_mov_b64 s[0:1], -1
                                        ; implicit-def: $vgpr3
	s_branch .LBB103_686
.LBB103_682:
	s_mov_b64 s[0:1], -1
                                        ; implicit-def: $vgpr3
.LBB103_683:
	s_andn2_b64 vcc, exec, s[0:1]
	s_cbranch_vccnz .LBB103_685
; %bb.684:
	global_load_dword v3, v[1:2], off
.LBB103_685:
	s_mov_b64 s[0:1], 0
.LBB103_686:
	s_andn2_b64 vcc, exec, s[0:1]
	s_cbranch_vccnz .LBB103_688
; %bb.687:
	global_load_dword v3, v[1:2], off
	s_waitcnt vmcnt(0)
	v_cvt_f32_f16_e32 v3, v3
.LBB103_688:
	s_mov_b64 s[0:1], 0
.LBB103_689:
	s_andn2_b64 vcc, exec, s[0:1]
	s_cbranch_vccnz .LBB103_700
; %bb.690:
	s_cmp_lt_i32 s12, 6
	s_cbranch_scc1 .LBB103_693
; %bb.691:
	s_cmp_gt_i32 s12, 6
	s_cbranch_scc0 .LBB103_694
; %bb.692:
	global_load_dwordx2 v[3:4], v[1:2], off
	s_mov_b64 s[0:1], 0
	s_waitcnt vmcnt(0)
	v_cvt_f32_f64_e32 v3, v[3:4]
	s_branch .LBB103_695
.LBB103_693:
	s_mov_b64 s[0:1], -1
                                        ; implicit-def: $vgpr3
	s_branch .LBB103_698
.LBB103_694:
	s_mov_b64 s[0:1], -1
                                        ; implicit-def: $vgpr3
.LBB103_695:
	s_andn2_b64 vcc, exec, s[0:1]
	s_cbranch_vccnz .LBB103_697
; %bb.696:
	global_load_dword v3, v[1:2], off
.LBB103_697:
	s_mov_b64 s[0:1], 0
.LBB103_698:
	s_andn2_b64 vcc, exec, s[0:1]
	s_cbranch_vccnz .LBB103_700
; %bb.699:
	global_load_ushort v3, v[1:2], off
	s_waitcnt vmcnt(0)
	v_cvt_f32_f16_e32 v3, v3
.LBB103_700:
	s_mov_b64 s[0:1], 0
.LBB103_701:
	s_andn2_b64 vcc, exec, s[0:1]
	s_cbranch_vccnz .LBB103_721
; %bb.702:
	s_cmp_lt_i32 s12, 2
	s_cbranch_scc1 .LBB103_706
; %bb.703:
	s_cmp_lt_i32 s12, 3
	s_cbranch_scc1 .LBB103_707
; %bb.704:
	s_cmp_gt_i32 s12, 3
	s_cbranch_scc0 .LBB103_708
; %bb.705:
	global_load_dwordx2 v[3:4], v[1:2], off
	s_mov_b64 s[0:1], 0
	s_waitcnt vmcnt(0)
	v_xor_b32_e32 v6, v3, v4
	v_ffbh_i32_e32 v5, v4
	v_ashrrev_i32_e32 v6, 31, v6
	v_add_u32_e32 v5, -1, v5
	v_add_u32_e32 v6, 32, v6
	v_min_u32_e32 v5, v5, v6
	v_lshlrev_b64 v[3:4], v5, v[3:4]
	v_min_u32_e32 v3, 1, v3
	v_or_b32_e32 v3, v4, v3
	v_cvt_f32_i32_e32 v3, v3
	v_sub_u32_e32 v4, 32, v5
	v_ldexp_f32 v3, v3, v4
	s_branch .LBB103_709
.LBB103_706:
	s_mov_b64 s[0:1], -1
                                        ; implicit-def: $vgpr3
	s_branch .LBB103_715
.LBB103_707:
	s_mov_b64 s[0:1], -1
                                        ; implicit-def: $vgpr3
	s_branch .LBB103_712
.LBB103_708:
	s_mov_b64 s[0:1], -1
                                        ; implicit-def: $vgpr3
.LBB103_709:
	s_andn2_b64 vcc, exec, s[0:1]
	s_cbranch_vccnz .LBB103_711
; %bb.710:
	global_load_dword v3, v[1:2], off
	s_waitcnt vmcnt(0)
	v_cvt_f32_i32_e32 v3, v3
.LBB103_711:
	s_mov_b64 s[0:1], 0
.LBB103_712:
	s_andn2_b64 vcc, exec, s[0:1]
	s_cbranch_vccnz .LBB103_714
; %bb.713:
	global_load_sshort v3, v[1:2], off
	s_waitcnt vmcnt(0)
	v_cvt_f32_i32_e32 v3, v3
.LBB103_714:
	s_mov_b64 s[0:1], 0
.LBB103_715:
	s_andn2_b64 vcc, exec, s[0:1]
	s_cbranch_vccnz .LBB103_721
; %bb.716:
	s_cmp_gt_i32 s12, 0
	s_cbranch_scc0 .LBB103_718
; %bb.717:
	global_load_sbyte v3, v[1:2], off
	s_mov_b64 s[0:1], 0
	s_waitcnt vmcnt(0)
	v_cvt_f32_i32_e32 v3, v3
	s_branch .LBB103_719
.LBB103_718:
	s_mov_b64 s[0:1], -1
                                        ; implicit-def: $vgpr3
.LBB103_719:
	s_andn2_b64 vcc, exec, s[0:1]
	s_cbranch_vccnz .LBB103_721
; %bb.720:
	global_load_ubyte v1, v[1:2], off
	s_waitcnt vmcnt(0)
	v_cvt_f32_ubyte0_e32 v3, v1
.LBB103_721:
	s_mov_b64 s[0:1], -1
.LBB103_722:
	s_andn2_b64 vcc, exec, s[0:1]
	s_cbranch_vccnz .LBB103_727
; %bb.723:
	s_cmp_lt_i32 s44, 1
	s_mov_b64 s[0:1], 0
	s_cbranch_scc1 .LBB103_728
; %bb.724:
	s_cmp_gt_i32 s44, 1
	s_cbranch_scc0 .LBB103_729
; %bb.725:
	s_cmp_eq_u32 s44, 2
	s_cbranch_scc0 .LBB103_730
; %bb.726:
	s_waitcnt vmcnt(0)
	v_cmp_ge_f32_e64 s[8:9], s45, v3
	s_mov_b64 s[10:11], 0
	s_branch .LBB103_731
.LBB103_727:
	s_mov_b64 s[8:9], 0
	s_mov_b64 s[0:1], s[62:63]
	s_branch .LBB103_864
.LBB103_728:
	s_mov_b64 s[12:13], -1
                                        ; implicit-def: $sgpr8_sgpr9
	s_mov_b64 s[10:11], 0
	s_branch .LBB103_735
.LBB103_729:
	s_mov_b64 s[12:13], -1
	s_mov_b64 s[10:11], 0
                                        ; implicit-def: $sgpr8_sgpr9
	s_branch .LBB103_732
.LBB103_730:
	s_mov_b64 s[10:11], -1
                                        ; implicit-def: $sgpr8_sgpr9
.LBB103_731:
	s_mov_b64 s[12:13], 0
.LBB103_732:
	s_and_b64 vcc, exec, s[12:13]
	s_cbranch_vccz .LBB103_734
; %bb.733:
	s_waitcnt vmcnt(0)
	v_cmp_lt_f32_e32 vcc, s45, v3
	s_andn2_b64 s[8:9], s[8:9], exec
	s_and_b64 s[12:13], vcc, exec
	s_or_b64 s[8:9], s[8:9], s[12:13]
.LBB103_734:
	s_mov_b64 s[12:13], 0
.LBB103_735:
	s_and_b64 vcc, exec, s[12:13]
	s_cbranch_vccz .LBB103_746
; %bb.736:
	s_cmp_lg_u32 s44, 0
	s_mov_b64 s[0:1], -1
	s_cselect_b64 s[10:11], -1, 0
	s_andn2_b64 vcc, exec, s[10:11]
	s_cbranch_vccz .LBB103_747
.LBB103_737:
	s_andn2_b64 vcc, exec, s[0:1]
	s_cbranch_vccnz .LBB103_739
.LBB103_738:
	s_waitcnt vmcnt(0)
	v_cmp_le_f32_e32 vcc, s45, v3
	s_andn2_b64 s[0:1], s[8:9], exec
	s_and_b64 s[8:9], vcc, exec
	s_or_b64 s[8:9], s[0:1], s[8:9]
.LBB103_739:
	v_mov_b32_e32 v1, s25
	s_and_b32 s16, s75, 0xff
	v_add_co_u32_e32 v0, vcc, s24, v0
	s_cmp_lt_i32 s16, 11
	v_addc_co_u32_e32 v1, vcc, 0, v1, vcc
	s_cbranch_scc1 .LBB103_748
; %bb.740:
	s_and_b32 s17, 0xffff, s16
	s_cmp_gt_i32 s17, 25
	s_cbranch_scc0 .LBB103_749
; %bb.741:
	s_cmp_gt_i32 s17, 28
	s_cbranch_scc0 .LBB103_750
; %bb.742:
	;; [unrolled: 3-line block ×4, first 2 shown]
	s_mov_b64 s[12:13], 0
	s_mov_b64 s[0:1], -1
	s_cmp_eq_u32 s17, 46
	s_mov_b64 s[10:11], 0
	s_cbranch_scc0 .LBB103_753
; %bb.745:
	v_cndmask_b32_e64 v2, 0, 1.0, s[8:9]
	s_waitcnt vmcnt(0)
	v_bfe_u32 v3, v2, 16, 1
	s_movk_i32 s0, 0x7fff
	v_add3_u32 v2, v2, v3, s0
	v_lshrrev_b32_e32 v2, 16, v2
	global_store_dword v[0:1], v2, off
	s_mov_b64 s[10:11], -1
	s_mov_b64 s[0:1], 0
	s_branch .LBB103_753
.LBB103_746:
	s_andn2_b64 vcc, exec, s[10:11]
	s_cbranch_vccnz .LBB103_737
.LBB103_747:
	s_waitcnt vmcnt(0)
	v_cmp_gt_f32_e32 vcc, s45, v3
	s_andn2_b64 s[8:9], s[8:9], exec
	s_and_b64 s[10:11], vcc, exec
	s_or_b64 s[8:9], s[8:9], s[10:11]
	s_cbranch_execz .LBB103_738
	s_branch .LBB103_739
.LBB103_748:
	s_mov_b64 s[12:13], -1
	s_mov_b64 s[10:11], 0
	s_mov_b64 s[0:1], s[62:63]
	s_branch .LBB103_822
.LBB103_749:
	s_mov_b64 s[12:13], -1
	s_mov_b64 s[10:11], 0
	s_mov_b64 s[0:1], s[62:63]
	s_branch .LBB103_780
.LBB103_750:
	s_mov_b64 s[12:13], -1
	s_mov_b64 s[10:11], 0
	s_mov_b64 s[0:1], s[62:63]
	s_branch .LBB103_763
.LBB103_751:
	s_mov_b64 s[12:13], -1
	s_mov_b64 s[10:11], 0
	s_mov_b64 s[0:1], s[62:63]
	s_branch .LBB103_759
.LBB103_752:
	s_mov_b64 s[12:13], -1
	s_mov_b64 s[10:11], 0
	s_mov_b64 s[0:1], s[62:63]
.LBB103_753:
	s_and_b64 vcc, exec, s[12:13]
	s_cbranch_vccz .LBB103_758
; %bb.754:
	s_cmp_eq_u32 s17, 44
	s_mov_b64 s[0:1], -1
	s_cbranch_scc0 .LBB103_758
; %bb.755:
	s_waitcnt vmcnt(0)
	v_cndmask_b32_e64 v3, 0, 1.0, s[8:9]
	v_lshrrev_b32_e32 v2, 23, v3
	s_movk_i32 s0, 0xff
	v_cmp_ne_u32_e32 vcc, s0, v2
	v_mov_b32_e32 v4, 0xff
	s_and_saveexec_b64 s[10:11], vcc
; %bb.756:
	s_mov_b32 s0, 0x3fffff
	v_and_b32_e32 v4, 0x400000, v3
	v_and_or_b32 v3, v3, s0, v2
	v_cmp_ne_u32_e32 vcc, 0, v4
	v_cmp_ne_u32_e64 s[0:1], 0, v3
	s_and_b64 s[0:1], vcc, s[0:1]
	v_cndmask_b32_e64 v3, 0, 1, s[0:1]
	v_add_u32_e32 v4, v2, v3
; %bb.757:
	s_or_b64 exec, exec, s[10:11]
	s_mov_b64 s[10:11], -1
	s_mov_b64 s[0:1], 0
	global_store_byte v[0:1], v4, off
.LBB103_758:
	s_mov_b64 s[12:13], 0
.LBB103_759:
	s_and_b64 vcc, exec, s[12:13]
	s_cbranch_vccz .LBB103_762
; %bb.760:
	s_cmp_eq_u32 s17, 29
	s_mov_b64 s[0:1], -1
	s_cbranch_scc0 .LBB103_762
; %bb.761:
	s_mov_b32 s0, 0
	v_cndmask_b32_e64 v2, 0, 1, s[8:9]
	s_waitcnt vmcnt(0)
	v_mov_b32_e32 v3, s0
	global_store_dwordx2 v[0:1], v[2:3], off
	s_mov_b64 s[10:11], -1
	s_mov_b64 s[0:1], 0
.LBB103_762:
	s_mov_b64 s[12:13], 0
.LBB103_763:
	s_and_b64 vcc, exec, s[12:13]
	s_cbranch_vccz .LBB103_779
; %bb.764:
	s_cmp_lt_i32 s17, 27
	s_mov_b64 s[10:11], -1
	s_cbranch_scc1 .LBB103_770
; %bb.765:
	s_cmp_gt_i32 s17, 27
	s_cbranch_scc0 .LBB103_767
; %bb.766:
	v_cndmask_b32_e64 v2, 0, 1, s[8:9]
	s_mov_b64 s[10:11], 0
	global_store_dword v[0:1], v2, off
.LBB103_767:
	s_andn2_b64 vcc, exec, s[10:11]
	s_cbranch_vccnz .LBB103_769
; %bb.768:
	v_cndmask_b32_e64 v2, 0, 1, s[8:9]
	global_store_short v[0:1], v2, off
.LBB103_769:
	s_mov_b64 s[10:11], 0
.LBB103_770:
	s_andn2_b64 vcc, exec, s[10:11]
	s_cbranch_vccnz .LBB103_778
; %bb.771:
	s_waitcnt vmcnt(0)
	v_cndmask_b32_e64 v3, 0, 1.0, s[8:9]
	s_mov_b32 s10, 0x43800000
	v_cmp_gt_u32_e32 vcc, s10, v3
	v_mov_b32_e32 v4, 0x80
	s_and_saveexec_b64 s[10:11], vcc
	s_cbranch_execz .LBB103_777
; %bb.772:
	s_mov_b32 s12, 0x3bffffff
	v_cmp_lt_u32_e32 vcc, s12, v3
	s_mov_b64 s[12:13], 0
                                        ; implicit-def: $vgpr2
	s_and_saveexec_b64 s[14:15], vcc
	s_xor_b64 s[14:15], exec, s[14:15]
	s_cbranch_execz .LBB103_894
; %bb.773:
	v_bfe_u32 v2, v3, 20, 1
	s_mov_b32 s18, 0x487ffff
	v_add3_u32 v2, v3, v2, s18
	s_mov_b64 s[12:13], exec
	v_lshrrev_b32_e32 v2, 20, v2
                                        ; implicit-def: $vgpr3
	s_andn2_saveexec_b64 s[14:15], s[14:15]
	s_cbranch_execnz .LBB103_895
.LBB103_774:
	s_or_b64 exec, exec, s[14:15]
	v_mov_b32_e32 v4, 0
	s_and_saveexec_b64 s[14:15], s[12:13]
.LBB103_775:
	v_mov_b32_e32 v4, v2
.LBB103_776:
	s_or_b64 exec, exec, s[14:15]
.LBB103_777:
	s_or_b64 exec, exec, s[10:11]
	global_store_byte v[0:1], v4, off
.LBB103_778:
	s_mov_b64 s[10:11], -1
.LBB103_779:
	s_mov_b64 s[12:13], 0
.LBB103_780:
	s_and_b64 vcc, exec, s[12:13]
	s_cbranch_vccz .LBB103_821
; %bb.781:
	s_cmp_gt_i32 s17, 22
	s_mov_b64 s[12:13], -1
	s_cbranch_scc0 .LBB103_813
; %bb.782:
	s_cmp_lt_i32 s17, 24
	s_mov_b64 s[10:11], -1
	s_cbranch_scc1 .LBB103_802
; %bb.783:
	s_cmp_gt_i32 s17, 24
	s_cbranch_scc0 .LBB103_791
; %bb.784:
	s_waitcnt vmcnt(0)
	v_cndmask_b32_e64 v3, 0, 1.0, s[8:9]
	s_mov_b32 s10, 0x47800000
	v_cmp_gt_u32_e32 vcc, s10, v3
	v_mov_b32_e32 v4, 0x80
	s_and_saveexec_b64 s[10:11], vcc
	s_cbranch_execz .LBB103_790
; %bb.785:
	s_mov_b32 s12, 0x37ffffff
	v_cmp_lt_u32_e32 vcc, s12, v3
	s_mov_b64 s[12:13], 0
                                        ; implicit-def: $vgpr2
	s_and_saveexec_b64 s[14:15], vcc
	s_xor_b64 s[14:15], exec, s[14:15]
	s_cbranch_execz .LBB103_897
; %bb.786:
	v_bfe_u32 v2, v3, 21, 1
	s_mov_b32 s18, 0x88fffff
	v_add3_u32 v2, v3, v2, s18
	s_mov_b64 s[12:13], exec
	v_lshrrev_b32_e32 v2, 21, v2
                                        ; implicit-def: $vgpr3
	s_andn2_saveexec_b64 s[14:15], s[14:15]
	s_cbranch_execnz .LBB103_898
.LBB103_787:
	s_or_b64 exec, exec, s[14:15]
	v_mov_b32_e32 v4, 0
	s_and_saveexec_b64 s[14:15], s[12:13]
.LBB103_788:
	v_mov_b32_e32 v4, v2
.LBB103_789:
	s_or_b64 exec, exec, s[14:15]
.LBB103_790:
	s_or_b64 exec, exec, s[10:11]
	s_mov_b64 s[10:11], 0
	global_store_byte v[0:1], v4, off
.LBB103_791:
	s_and_b64 vcc, exec, s[10:11]
	s_cbranch_vccz .LBB103_801
; %bb.792:
	v_cndmask_b32_e64 v2, 0, 1.0, s[8:9]
	s_mov_b32 s10, 0x43f00000
	v_cmp_gt_u32_e32 vcc, s10, v2
                                        ; implicit-def: $vgpr3
	s_and_saveexec_b64 s[10:11], vcc
	s_xor_b64 s[10:11], exec, s[10:11]
	s_cbranch_execz .LBB103_798
; %bb.793:
	s_mov_b32 s12, 0x3c7fffff
	v_cmp_lt_u32_e32 vcc, s12, v2
                                        ; implicit-def: $vgpr3
	s_and_saveexec_b64 s[12:13], vcc
	s_xor_b64 s[12:13], exec, s[12:13]
	s_cbranch_execz .LBB103_795
; %bb.794:
	s_waitcnt vmcnt(0)
	v_bfe_u32 v3, v2, 20, 1
	s_mov_b32 s14, 0x407ffff
	v_add3_u32 v2, v2, v3, s14
	v_lshrrev_b32_e32 v3, 20, v2
	v_and_b32_e32 v2, 0xff00000, v2
	s_mov_b32 s14, 0x7f00000
	v_mov_b32_e32 v4, 0x7e
	v_cmp_ne_u32_e32 vcc, s14, v2
	v_cndmask_b32_e32 v3, v4, v3, vcc
                                        ; implicit-def: $vgpr2
.LBB103_795:
	s_andn2_saveexec_b64 s[12:13], s[12:13]
	s_cbranch_execz .LBB103_797
; %bb.796:
	s_waitcnt vmcnt(0)
	v_add_f32_e32 v3, 0x46800000, v2
.LBB103_797:
	s_or_b64 exec, exec, s[12:13]
                                        ; implicit-def: $vgpr2
.LBB103_798:
	s_andn2_saveexec_b64 s[10:11], s[10:11]
	s_cbranch_execz .LBB103_800
; %bb.799:
	s_mov_b32 s12, 0x7f800000
	s_waitcnt vmcnt(0)
	v_mov_b32_e32 v3, 0x7e
	v_mov_b32_e32 v4, 0x7f
	v_cmp_lt_u32_e32 vcc, s12, v2
	v_cndmask_b32_e32 v3, v3, v4, vcc
.LBB103_800:
	s_or_b64 exec, exec, s[10:11]
	s_waitcnt vmcnt(0)
	global_store_byte v[0:1], v3, off
.LBB103_801:
	s_mov_b64 s[10:11], 0
.LBB103_802:
	s_andn2_b64 vcc, exec, s[10:11]
	s_cbranch_vccnz .LBB103_812
; %bb.803:
	v_cndmask_b32_e64 v2, 0, 1.0, s[8:9]
	s_mov_b32 s10, 0x47800000
	v_cmp_gt_u32_e32 vcc, s10, v2
                                        ; implicit-def: $vgpr3
	s_and_saveexec_b64 s[10:11], vcc
	s_xor_b64 s[10:11], exec, s[10:11]
	s_cbranch_execz .LBB103_809
; %bb.804:
	s_mov_b32 s12, 0x387fffff
	v_cmp_lt_u32_e32 vcc, s12, v2
                                        ; implicit-def: $vgpr3
	s_and_saveexec_b64 s[12:13], vcc
	s_xor_b64 s[12:13], exec, s[12:13]
	s_cbranch_execz .LBB103_806
; %bb.805:
	s_waitcnt vmcnt(0)
	v_bfe_u32 v3, v2, 21, 1
	s_mov_b32 s14, 0x80fffff
	v_add3_u32 v2, v2, v3, s14
	v_lshrrev_b32_e32 v3, 21, v2
                                        ; implicit-def: $vgpr2
.LBB103_806:
	s_andn2_saveexec_b64 s[12:13], s[12:13]
	s_cbranch_execz .LBB103_808
; %bb.807:
	s_waitcnt vmcnt(0)
	v_add_f32_e32 v3, 0x43000000, v2
.LBB103_808:
	s_or_b64 exec, exec, s[12:13]
                                        ; implicit-def: $vgpr2
.LBB103_809:
	s_andn2_saveexec_b64 s[10:11], s[10:11]
	s_cbranch_execz .LBB103_811
; %bb.810:
	s_mov_b32 s12, 0x7f800000
	s_waitcnt vmcnt(0)
	v_mov_b32_e32 v3, 0x7c
	v_mov_b32_e32 v4, 0x7f
	v_cmp_lt_u32_e32 vcc, s12, v2
	v_cndmask_b32_e32 v3, v3, v4, vcc
.LBB103_811:
	s_or_b64 exec, exec, s[10:11]
	s_waitcnt vmcnt(0)
	global_store_byte v[0:1], v3, off
.LBB103_812:
	s_mov_b64 s[12:13], 0
	s_mov_b64 s[10:11], -1
.LBB103_813:
	s_andn2_b64 vcc, exec, s[12:13]
	s_cbranch_vccnz .LBB103_821
; %bb.814:
	s_cmp_gt_i32 s17, 14
	s_mov_b64 s[12:13], -1
	s_cbranch_scc0 .LBB103_818
; %bb.815:
	s_cmp_eq_u32 s17, 15
	s_mov_b64 s[0:1], -1
	s_cbranch_scc0 .LBB103_817
; %bb.816:
	v_cndmask_b32_e64 v2, 0, 1.0, s[8:9]
	s_waitcnt vmcnt(0)
	v_bfe_u32 v3, v2, 16, 1
	s_movk_i32 s0, 0x7fff
	v_add3_u32 v2, v2, v3, s0
	global_store_short_d16_hi v[0:1], v2, off
	s_mov_b64 s[10:11], -1
	s_mov_b64 s[0:1], 0
.LBB103_817:
	s_mov_b64 s[12:13], 0
.LBB103_818:
	s_and_b64 vcc, exec, s[12:13]
	s_cbranch_vccz .LBB103_821
; %bb.819:
	s_cmp_eq_u32 s17, 11
	s_mov_b64 s[0:1], -1
	s_cbranch_scc0 .LBB103_821
; %bb.820:
	v_cndmask_b32_e64 v2, 0, 1, s[8:9]
	s_mov_b64 s[10:11], -1
	s_mov_b64 s[0:1], 0
	global_store_byte v[0:1], v2, off
.LBB103_821:
	s_mov_b64 s[12:13], 0
.LBB103_822:
	s_and_b64 vcc, exec, s[12:13]
	s_cbranch_vccz .LBB103_861
; %bb.823:
	s_and_b32 s12, 0xffff, s16
	s_cmp_lt_i32 s12, 5
	s_mov_b64 s[10:11], -1
	s_cbranch_scc1 .LBB103_844
; %bb.824:
	s_cmp_lt_i32 s12, 8
	s_cbranch_scc1 .LBB103_834
; %bb.825:
	s_cmp_lt_i32 s12, 9
	s_cbranch_scc1 .LBB103_831
; %bb.826:
	s_cmp_gt_i32 s12, 9
	s_cbranch_scc0 .LBB103_828
; %bb.827:
	v_cndmask_b32_e64 v2, 0, 1, s[8:9]
	s_waitcnt vmcnt(0)
	v_cvt_f64_u32_e32 v[2:3], v2
	v_mov_b32_e32 v4, 0
	v_mov_b32_e32 v5, v4
	s_mov_b64 s[10:11], 0
	global_store_dwordx4 v[0:1], v[2:5], off
.LBB103_828:
	s_andn2_b64 vcc, exec, s[10:11]
	s_cbranch_vccnz .LBB103_830
; %bb.829:
	v_cndmask_b32_e64 v2, 0, 1.0, s[8:9]
	s_waitcnt vmcnt(0)
	v_mov_b32_e32 v3, 0
	global_store_dwordx2 v[0:1], v[2:3], off
.LBB103_830:
	s_mov_b64 s[10:11], 0
.LBB103_831:
	s_andn2_b64 vcc, exec, s[10:11]
	s_cbranch_vccnz .LBB103_833
; %bb.832:
	v_cndmask_b32_e64 v2, 0, 1.0, s[8:9]
	v_cvt_f16_f32_e32 v2, v2
	global_store_dword v[0:1], v2, off
.LBB103_833:
	s_mov_b64 s[10:11], 0
.LBB103_834:
	s_andn2_b64 vcc, exec, s[10:11]
	s_cbranch_vccnz .LBB103_843
; %bb.835:
	s_cmp_lt_i32 s12, 6
	s_mov_b64 s[10:11], -1
	s_cbranch_scc1 .LBB103_841
; %bb.836:
	s_cmp_gt_i32 s12, 6
	s_cbranch_scc0 .LBB103_838
; %bb.837:
	v_cndmask_b32_e64 v2, 0, 1, s[8:9]
	s_waitcnt vmcnt(0)
	v_cvt_f64_u32_e32 v[2:3], v2
	s_mov_b64 s[10:11], 0
	global_store_dwordx2 v[0:1], v[2:3], off
.LBB103_838:
	s_andn2_b64 vcc, exec, s[10:11]
	s_cbranch_vccnz .LBB103_840
; %bb.839:
	v_cndmask_b32_e64 v2, 0, 1.0, s[8:9]
	global_store_dword v[0:1], v2, off
.LBB103_840:
	s_mov_b64 s[10:11], 0
.LBB103_841:
	s_andn2_b64 vcc, exec, s[10:11]
	s_cbranch_vccnz .LBB103_843
; %bb.842:
	v_cndmask_b32_e64 v2, 0, 1.0, s[8:9]
	v_cvt_f16_f32_e32 v2, v2
	global_store_short v[0:1], v2, off
.LBB103_843:
	s_mov_b64 s[10:11], 0
.LBB103_844:
	s_andn2_b64 vcc, exec, s[10:11]
	s_cbranch_vccnz .LBB103_860
; %bb.845:
	s_cmp_lt_i32 s12, 2
	s_mov_b64 s[10:11], -1
	s_cbranch_scc1 .LBB103_855
; %bb.846:
	s_cmp_lt_i32 s12, 3
	s_cbranch_scc1 .LBB103_852
; %bb.847:
	s_cmp_gt_i32 s12, 3
	s_cbranch_scc0 .LBB103_849
; %bb.848:
	s_mov_b32 s10, 0
	v_cndmask_b32_e64 v2, 0, 1, s[8:9]
	s_waitcnt vmcnt(0)
	v_mov_b32_e32 v3, s10
	s_mov_b64 s[10:11], 0
	global_store_dwordx2 v[0:1], v[2:3], off
.LBB103_849:
	s_andn2_b64 vcc, exec, s[10:11]
	s_cbranch_vccnz .LBB103_851
; %bb.850:
	v_cndmask_b32_e64 v2, 0, 1, s[8:9]
	global_store_dword v[0:1], v2, off
.LBB103_851:
	s_mov_b64 s[10:11], 0
.LBB103_852:
	s_andn2_b64 vcc, exec, s[10:11]
	s_cbranch_vccnz .LBB103_854
; %bb.853:
	v_cndmask_b32_e64 v2, 0, 1, s[8:9]
	global_store_short v[0:1], v2, off
.LBB103_854:
	s_mov_b64 s[10:11], 0
.LBB103_855:
	s_andn2_b64 vcc, exec, s[10:11]
	s_cbranch_vccnz .LBB103_860
; %bb.856:
	s_mov_b64 s[10:11], -1
	s_cmp_gt_i32 s12, 0
	v_cndmask_b32_e64 v2, 0, 1, s[8:9]
	s_cbranch_scc0 .LBB103_858
; %bb.857:
	s_mov_b64 s[10:11], 0
	global_store_byte v[0:1], v2, off
.LBB103_858:
	s_andn2_b64 vcc, exec, s[10:11]
	s_cbranch_vccnz .LBB103_860
; %bb.859:
	global_store_byte v[0:1], v2, off
.LBB103_860:
	s_mov_b64 s[10:11], -1
.LBB103_861:
	s_andn2_b64 vcc, exec, s[10:11]
	s_cbranch_vccnz .LBB103_863
; %bb.862:
	v_add_u32_e32 v8, 0x80, v8
	s_mov_b64 s[8:9], -1
	s_branch .LBB103_865
.LBB103_863:
	s_mov_b64 s[8:9], 0
.LBB103_864:
                                        ; implicit-def: $vgpr8
.LBB103_865:
	s_andn2_b64 s[10:11], s[62:63], exec
	s_and_b64 s[0:1], s[0:1], exec
	s_or_b64 s[70:71], s[10:11], s[0:1]
	s_andn2_b64 s[0:1], s[60:61], exec
	s_and_b64 s[2:3], s[2:3], exec
	s_or_b64 s[68:69], s[0:1], s[2:3]
	s_orn2_b64 s[2:3], s[8:9], exec
.LBB103_866:
	s_or_b64 exec, exec, s[66:67]
	s_mov_b64 s[0:1], 0
	s_mov_b64 s[8:9], 0
	;; [unrolled: 1-line block ×3, first 2 shown]
                                        ; implicit-def: $vgpr1_vgpr2
                                        ; implicit-def: $vgpr0
                                        ; implicit-def: $vgpr3
	s_and_saveexec_b64 s[66:67], s[2:3]
	s_cbranch_execz .LBB103_965
; %bb.867:
	v_cmp_gt_i32_e32 vcc, s72, v8
	s_mov_b64 s[2:3], 0
	s_mov_b64 s[12:13], s[68:69]
                                        ; implicit-def: $vgpr1_vgpr2
                                        ; implicit-def: $vgpr0
                                        ; implicit-def: $vgpr3
	s_and_saveexec_b64 s[72:73], vcc
	s_cbranch_execz .LBB103_964
; %bb.868:
	s_andn2_b64 vcc, exec, s[40:41]
	s_cbranch_vccnz .LBB103_873
; %bb.869:
	s_andn2_b64 vcc, exec, s[52:53]
	s_cbranch_vccnz .LBB103_874
; %bb.870:
	s_add_i32 s78, s77, 1
	s_cmp_eq_u32 s74, 2
	s_cbranch_scc1 .LBB103_875
; %bb.871:
	s_and_b32 s77, s78, 28
	v_mov_b32_e32 v2, 0
	s_mov_b32 s79, 0
	s_mov_b64 s[52:53], s[34:35]
	v_mov_b32_e32 v0, 0
	v_mov_b32_e32 v1, v8
.LBB103_872:                            ; =>This Inner Loop Header: Depth=1
	s_load_dwordx8 s[16:23], s[52:53], 0x4
	s_load_dwordx4 s[0:3], s[52:53], 0x24
	s_load_dwordx8 s[8:15], s[50:51], 0x0
	s_add_u32 s52, s52, 48
	s_addc_u32 s53, s53, 0
	s_waitcnt vmcnt(0) lgkmcnt(0)
	v_mul_hi_u32 v3, s17, v1
	s_add_i32 s79, s79, 4
	s_add_u32 s50, s50, 32
	s_addc_u32 s51, s51, 0
	v_add_u32_e32 v3, v1, v3
	v_lshrrev_b32_e32 v3, s18, v3
	v_mul_lo_u32 v4, v3, s16
	v_mul_hi_u32 v5, s20, v3
	s_cmp_eq_u32 s77, s79
	v_sub_u32_e32 v1, v1, v4
	v_add_u32_e32 v4, v3, v5
	v_mul_lo_u32 v5, v1, s8
	v_mul_lo_u32 v6, v1, s9
	v_lshrrev_b32_e32 v1, s21, v4
	v_mul_lo_u32 v4, v1, s19
	v_mul_hi_u32 v7, s23, v1
	v_sub_u32_e32 v3, v3, v4
	v_add_u32_e32 v4, v1, v7
	v_lshrrev_b32_e32 v4, s0, v4
	v_mul_hi_u32 v9, s2, v4
	v_mul_lo_u32 v10, v4, s22
	v_mul_lo_u32 v7, v3, s10
	;; [unrolled: 1-line block ×3, first 2 shown]
	v_sub_u32_e32 v10, v1, v10
	v_add_u32_e32 v1, v4, v9
	v_lshrrev_b32_e32 v1, s3, v1
	v_mul_lo_u32 v9, v1, s1
	v_mul_lo_u32 v11, v10, s12
	;; [unrolled: 1-line block ×3, first 2 shown]
	v_add3_u32 v0, v5, v0, v7
	v_sub_u32_e32 v4, v4, v9
	v_mul_lo_u32 v9, v4, s14
	v_mul_lo_u32 v4, v4, s15
	v_add3_u32 v2, v6, v2, v3
	v_add3_u32 v0, v11, v0, v9
	;; [unrolled: 1-line block ×3, first 2 shown]
	s_cbranch_scc0 .LBB103_872
	s_branch .LBB103_876
.LBB103_873:
	s_mov_b64 s[0:1], -1
                                        ; implicit-def: $vgpr0
                                        ; implicit-def: $vgpr2
	s_branch .LBB103_880
.LBB103_874:
	v_mov_b32_e32 v0, 0
	v_mov_b32_e32 v2, 0
	s_branch .LBB103_879
.LBB103_875:
	s_mov_b32 s77, 0
	v_mov_b32_e32 v0, 0
	v_mov_b32_e32 v2, 0
	;; [unrolled: 1-line block ×3, first 2 shown]
.LBB103_876:
	s_and_b32 s8, s78, 3
	s_cmp_eq_u32 s8, 0
	s_cbranch_scc1 .LBB103_879
; %bb.877:
	s_lshl_b32 s0, s77, 3
	s_add_u32 s0, s34, s0
	s_addc_u32 s1, s35, 0
	s_add_u32 s0, s0, 0xc4
	s_addc_u32 s1, s1, 0
	s_mul_i32 s2, s77, 12
	s_add_u32 s2, s34, s2
	s_addc_u32 s3, s35, 0
.LBB103_878:                            ; =>This Inner Loop Header: Depth=1
	s_load_dwordx2 s[10:11], s[2:3], 0x4
	s_load_dword s9, s[2:3], 0xc
	s_load_dwordx2 s[12:13], s[0:1], 0x0
	s_add_u32 s2, s2, 12
	s_addc_u32 s3, s3, 0
	s_waitcnt vmcnt(0) lgkmcnt(0)
	v_mul_hi_u32 v3, s11, v1
	s_add_u32 s0, s0, 8
	s_addc_u32 s1, s1, 0
	s_add_i32 s8, s8, -1
	v_add_u32_e32 v3, v1, v3
	v_lshrrev_b32_e32 v4, s9, v3
	v_mul_lo_u32 v3, v4, s10
	s_cmp_lg_u32 s8, 0
	v_sub_u32_e32 v3, v1, v3
	v_mad_u64_u32 v[0:1], s[10:11], v3, s12, v[0:1]
	v_mad_u64_u32 v[2:3], s[10:11], v3, s13, v[2:3]
	v_mov_b32_e32 v1, v4
	s_cbranch_scc1 .LBB103_878
.LBB103_879:
	s_mov_b64 s[0:1], 0
.LBB103_880:
	s_andn2_b64 vcc, exec, s[0:1]
	s_cbranch_vccnz .LBB103_883
; %bb.881:
	v_mul_hi_u32 v0, s29, v8
	s_andn2_b64 vcc, exec, s[48:49]
	v_add_u32_e32 v0, v8, v0
	v_lshrrev_b32_e32 v1, s30, v0
	v_mul_lo_u32 v0, v1, s28
	v_sub_u32_e32 v2, v8, v0
	v_mul_lo_u32 v0, v2, s36
	v_mul_lo_u32 v2, v2, s37
	s_cbranch_vccnz .LBB103_883
; %bb.882:
	s_waitcnt vmcnt(0)
	v_mul_hi_u32 v3, s46, v1
	v_add_u32_e32 v3, v1, v3
	v_lshrrev_b32_e32 v3, s47, v3
	v_mul_lo_u32 v3, v3, s31
	v_sub_u32_e32 v3, v1, v3
	v_mad_u64_u32 v[0:1], s[0:1], v3, s38, v[0:1]
	v_mad_u64_u32 v[2:3], s[0:1], v3, s39, v[2:3]
.LBB103_883:
	s_waitcnt vmcnt(0)
	v_mov_b32_e32 v3, s27
	s_and_b32 s14, 0xffff, s76
	v_add_co_u32_e32 v1, vcc, s26, v2
	s_cmp_lt_i32 s14, 11
	v_addc_co_u32_e32 v2, vcc, 0, v3, vcc
	s_cbranch_scc1 .LBB103_890
; %bb.884:
	s_cmp_gt_i32 s14, 25
	s_mov_b64 s[2:3], 0
	s_cbranch_scc0 .LBB103_891
; %bb.885:
	s_cmp_gt_i32 s14, 28
	s_cbranch_scc0 .LBB103_892
; %bb.886:
	s_cmp_gt_i32 s14, 43
	;; [unrolled: 3-line block ×3, first 2 shown]
	s_cbranch_scc0 .LBB103_896
; %bb.888:
	s_cmp_eq_u32 s14, 46
	s_mov_b64 s[10:11], 0
	s_cbranch_scc0 .LBB103_899
; %bb.889:
	global_load_dword v3, v[1:2], off
	s_mov_b64 s[0:1], 0
	s_mov_b64 s[8:9], -1
	s_waitcnt vmcnt(0)
	v_lshlrev_b32_e32 v3, 16, v3
	s_branch .LBB103_900
.LBB103_890:
	s_mov_b64 s[12:13], -1
	s_mov_b64 s[8:9], 0
	s_mov_b64 s[2:3], 0
	;; [unrolled: 1-line block ×3, first 2 shown]
                                        ; implicit-def: $vgpr3
	s_branch .LBB103_963
.LBB103_891:
	s_mov_b64 s[10:11], -1
	s_mov_b64 s[8:9], 0
	s_mov_b64 s[0:1], s[68:69]
                                        ; implicit-def: $vgpr3
	s_branch .LBB103_929
.LBB103_892:
	s_mov_b64 s[10:11], -1
	s_mov_b64 s[8:9], 0
	s_mov_b64 s[0:1], s[68:69]
                                        ; implicit-def: $vgpr3
	s_branch .LBB103_910
.LBB103_893:
	s_mov_b64 s[10:11], -1
	s_mov_b64 s[8:9], 0
	s_mov_b64 s[0:1], s[68:69]
                                        ; implicit-def: $vgpr3
	s_branch .LBB103_905
.LBB103_894:
	s_andn2_saveexec_b64 s[14:15], s[14:15]
	s_cbranch_execz .LBB103_774
.LBB103_895:
	v_add_f32_e32 v2, 0x46000000, v3
	v_and_b32_e32 v2, 0xff, v2
	v_cmp_ne_u32_e32 vcc, 0, v2
	s_andn2_b64 s[12:13], s[12:13], exec
	s_and_b64 s[18:19], vcc, exec
	s_or_b64 s[12:13], s[12:13], s[18:19]
	s_or_b64 exec, exec, s[14:15]
	v_mov_b32_e32 v4, 0
	s_and_saveexec_b64 s[14:15], s[12:13]
	s_cbranch_execnz .LBB103_775
	s_branch .LBB103_776
.LBB103_896:
	s_mov_b64 s[10:11], -1
	s_mov_b64 s[8:9], 0
	s_mov_b64 s[0:1], s[68:69]
                                        ; implicit-def: $vgpr3
	s_branch .LBB103_900
.LBB103_897:
	s_andn2_saveexec_b64 s[14:15], s[14:15]
	s_cbranch_execz .LBB103_787
.LBB103_898:
	v_add_f32_e32 v2, 0x42800000, v3
	v_and_b32_e32 v2, 0xff, v2
	v_cmp_ne_u32_e32 vcc, 0, v2
	s_andn2_b64 s[12:13], s[12:13], exec
	s_and_b64 s[18:19], vcc, exec
	s_or_b64 s[12:13], s[12:13], s[18:19]
	s_or_b64 exec, exec, s[14:15]
	v_mov_b32_e32 v4, 0
	s_and_saveexec_b64 s[14:15], s[12:13]
	s_cbranch_execnz .LBB103_788
	s_branch .LBB103_789
.LBB103_899:
	s_mov_b64 s[0:1], -1
                                        ; implicit-def: $vgpr3
	s_mov_b64 s[8:9], 0
.LBB103_900:
	s_and_b64 vcc, exec, s[10:11]
	s_cbranch_vccz .LBB103_904
; %bb.901:
	s_cmp_eq_u32 s14, 44
	s_cbranch_scc0 .LBB103_903
; %bb.902:
	global_load_ubyte v3, v[1:2], off
	s_movk_i32 s8, 0xff
	v_mov_b32_e32 v4, 0x7f800001
	v_mov_b32_e32 v5, 0x400000
	s_mov_b64 s[0:1], 0
	s_waitcnt vmcnt(0)
	v_lshlrev_b32_e32 v6, 23, v3
	v_cmp_ne_u32_e32 vcc, s8, v3
	v_cndmask_b32_e32 v4, v4, v6, vcc
	v_cmp_ne_u32_e32 vcc, 0, v3
	v_cndmask_b32_e32 v3, v5, v4, vcc
	s_mov_b64 s[8:9], -1
	s_branch .LBB103_904
.LBB103_903:
	s_mov_b64 s[0:1], -1
                                        ; implicit-def: $vgpr3
.LBB103_904:
	s_mov_b64 s[10:11], 0
.LBB103_905:
	s_and_b64 vcc, exec, s[10:11]
	s_cbranch_vccz .LBB103_909
; %bb.906:
	s_cmp_eq_u32 s14, 29
	s_cbranch_scc0 .LBB103_908
; %bb.907:
	global_load_dwordx2 v[3:4], v[1:2], off
	s_mov_b64 s[0:1], 0
	s_mov_b64 s[8:9], -1
	s_mov_b64 s[10:11], 0
	s_waitcnt vmcnt(0)
	v_ffbh_u32_e32 v5, v4
	v_min_u32_e32 v5, 32, v5
	v_lshlrev_b64 v[3:4], v5, v[3:4]
	v_min_u32_e32 v3, 1, v3
	v_or_b32_e32 v3, v4, v3
	v_cvt_f32_u32_e32 v3, v3
	v_sub_u32_e32 v4, 32, v5
	v_ldexp_f32 v3, v3, v4
	s_branch .LBB103_910
.LBB103_908:
	s_mov_b64 s[0:1], -1
                                        ; implicit-def: $vgpr3
.LBB103_909:
	s_mov_b64 s[10:11], 0
.LBB103_910:
	s_and_b64 vcc, exec, s[10:11]
	s_cbranch_vccz .LBB103_928
; %bb.911:
	s_cmp_lt_i32 s14, 27
	s_cbranch_scc1 .LBB103_914
; %bb.912:
	s_cmp_gt_i32 s14, 27
	s_cbranch_scc0 .LBB103_915
; %bb.913:
	global_load_dword v3, v[1:2], off
	s_mov_b64 s[8:9], 0
	s_waitcnt vmcnt(0)
	v_cvt_f32_u32_e32 v3, v3
	s_branch .LBB103_916
.LBB103_914:
	s_mov_b64 s[8:9], -1
                                        ; implicit-def: $vgpr3
	s_branch .LBB103_919
.LBB103_915:
	s_mov_b64 s[8:9], -1
                                        ; implicit-def: $vgpr3
.LBB103_916:
	s_andn2_b64 vcc, exec, s[8:9]
	s_cbranch_vccnz .LBB103_918
; %bb.917:
	global_load_ushort v3, v[1:2], off
	s_waitcnt vmcnt(0)
	v_cvt_f32_u32_e32 v3, v3
.LBB103_918:
	s_mov_b64 s[8:9], 0
.LBB103_919:
	s_andn2_b64 vcc, exec, s[8:9]
	s_cbranch_vccnz .LBB103_927
; %bb.920:
	global_load_ubyte v4, v[1:2], off
	s_movk_i32 s8, 0x7f
	s_waitcnt vmcnt(0)
	v_cmp_lt_i16_e32 vcc, s8, v4
	s_mov_b64 s[8:9], 0
	s_and_saveexec_b64 s[10:11], vcc
	s_xor_b64 s[10:11], exec, s[10:11]
	s_cbranch_execz .LBB103_941
; %bb.921:
	s_movk_i32 s8, 0x80
	v_cmp_eq_u16_e32 vcc, s8, v4
	s_mov_b64 s[8:9], -1
	s_and_saveexec_b64 s[12:13], vcc
; %bb.922:
	s_xor_b64 s[8:9], exec, -1
; %bb.923:
	s_or_b64 exec, exec, s[12:13]
	s_and_b64 s[8:9], s[8:9], exec
	s_or_saveexec_b64 s[10:11], s[10:11]
	v_mov_b32_e32 v3, 0x7f800001
	s_xor_b64 exec, exec, s[10:11]
	s_cbranch_execnz .LBB103_942
.LBB103_924:
	s_or_b64 exec, exec, s[10:11]
	s_and_saveexec_b64 s[10:11], s[8:9]
	s_cbranch_execz .LBB103_926
.LBB103_925:
	v_lshlrev_b32_e32 v3, 24, v4
	v_and_b32_e32 v4, 0xffff, v4
	v_and_b32_e32 v5, 7, v4
	v_ffbh_u32_e32 v7, v5
	v_min_u32_e32 v7, 32, v7
	v_subrev_u32_e32 v8, 28, v7
	v_bfe_u32 v6, v4, 3, 4
	v_lshlrev_b32_e32 v4, v8, v4
	v_sub_u32_e32 v7, 29, v7
	v_and_b32_e32 v4, 7, v4
	v_cmp_eq_u32_e32 vcc, 0, v6
	v_cndmask_b32_e32 v6, v6, v7, vcc
	v_cndmask_b32_e32 v4, v5, v4, vcc
	v_mov_b32_e32 v5, 0x3b800000
	v_lshlrev_b32_e32 v4, 20, v4
	v_and_b32_e32 v3, 0x80000000, v3
	v_lshl_add_u32 v5, v6, 23, v5
	v_or3_b32 v3, v3, v5, v4
.LBB103_926:
	s_or_b64 exec, exec, s[10:11]
.LBB103_927:
	s_mov_b64 s[8:9], -1
.LBB103_928:
	s_mov_b64 s[10:11], 0
.LBB103_929:
	s_and_b64 vcc, exec, s[10:11]
	s_cbranch_vccz .LBB103_962
; %bb.930:
	s_cmp_gt_i32 s14, 22
	s_cbranch_scc0 .LBB103_940
; %bb.931:
	s_cmp_lt_i32 s14, 24
	s_cbranch_scc1 .LBB103_943
; %bb.932:
	s_cmp_gt_i32 s14, 24
	s_cbranch_scc0 .LBB103_944
; %bb.933:
	global_load_ubyte v4, v[1:2], off
	s_movk_i32 s2, 0x7f
	s_waitcnt vmcnt(0)
	v_cmp_lt_i16_e32 vcc, s2, v4
	s_mov_b64 s[2:3], 0
	s_and_saveexec_b64 s[8:9], vcc
	s_xor_b64 s[8:9], exec, s[8:9]
	s_cbranch_execz .LBB103_956
; %bb.934:
	s_movk_i32 s2, 0x80
	v_cmp_eq_u16_e32 vcc, s2, v4
	s_mov_b64 s[2:3], -1
	s_and_saveexec_b64 s[10:11], vcc
; %bb.935:
	s_xor_b64 s[2:3], exec, -1
; %bb.936:
	s_or_b64 exec, exec, s[10:11]
	s_and_b64 s[2:3], s[2:3], exec
	s_or_saveexec_b64 s[8:9], s[8:9]
	v_mov_b32_e32 v3, 0x7f800001
	s_xor_b64 exec, exec, s[8:9]
	s_cbranch_execnz .LBB103_957
.LBB103_937:
	s_or_b64 exec, exec, s[8:9]
	s_and_saveexec_b64 s[8:9], s[2:3]
	s_cbranch_execz .LBB103_939
.LBB103_938:
	v_lshlrev_b32_e32 v3, 24, v4
	v_and_b32_e32 v4, 0xffff, v4
	v_and_b32_e32 v5, 3, v4
	v_ffbh_u32_e32 v7, v5
	v_min_u32_e32 v7, 32, v7
	v_subrev_u32_e32 v8, 29, v7
	v_bfe_u32 v6, v4, 2, 5
	v_lshlrev_b32_e32 v4, v8, v4
	v_sub_u32_e32 v7, 30, v7
	v_and_b32_e32 v4, 3, v4
	v_cmp_eq_u32_e32 vcc, 0, v6
	v_cndmask_b32_e32 v6, v6, v7, vcc
	v_cndmask_b32_e32 v4, v5, v4, vcc
	v_mov_b32_e32 v5, 0x37800000
	v_lshlrev_b32_e32 v4, 21, v4
	v_and_b32_e32 v3, 0x80000000, v3
	v_lshl_add_u32 v5, v6, 23, v5
	v_or3_b32 v3, v3, v5, v4
.LBB103_939:
	s_or_b64 exec, exec, s[8:9]
	s_mov_b64 s[2:3], 0
	s_branch .LBB103_945
.LBB103_940:
	s_mov_b64 s[2:3], -1
                                        ; implicit-def: $vgpr3
	s_branch .LBB103_951
.LBB103_941:
	s_or_saveexec_b64 s[10:11], s[10:11]
	v_mov_b32_e32 v3, 0x7f800001
	s_xor_b64 exec, exec, s[10:11]
	s_cbranch_execz .LBB103_924
.LBB103_942:
	v_cmp_ne_u16_e32 vcc, 0, v4
	s_andn2_b64 s[8:9], s[8:9], exec
	s_and_b64 s[12:13], vcc, exec
	v_mov_b32_e32 v3, 0
	s_or_b64 s[8:9], s[8:9], s[12:13]
	s_or_b64 exec, exec, s[10:11]
	s_and_saveexec_b64 s[10:11], s[8:9]
	s_cbranch_execnz .LBB103_925
	s_branch .LBB103_926
.LBB103_943:
	s_mov_b64 s[2:3], -1
                                        ; implicit-def: $vgpr3
	s_branch .LBB103_948
.LBB103_944:
	s_mov_b64 s[2:3], -1
                                        ; implicit-def: $vgpr3
.LBB103_945:
	s_and_b64 vcc, exec, s[2:3]
	s_cbranch_vccz .LBB103_947
; %bb.946:
	global_load_ubyte v3, v[1:2], off
	s_mov_b32 s2, 0x7f800000
	s_waitcnt vmcnt(0)
	v_lshlrev_b32_e32 v3, 24, v3
	v_and_b32_e32 v4, 0x7f000000, v3
	v_ffbh_u32_e32 v5, v4
	v_min_u32_e32 v5, 32, v5
	v_sub_u32_e64 v5, v5, 4 clamp
	v_lshlrev_b32_e32 v7, v5, v4
	v_lshlrev_b32_e32 v5, 23, v5
	v_lshrrev_b32_e32 v7, 4, v7
	v_add_u32_e32 v6, 0x1000000, v4
	v_sub_u32_e32 v5, v7, v5
	v_ashrrev_i32_e32 v6, 8, v6
	v_add_u32_e32 v5, 0x3c000000, v5
	v_and_or_b32 v5, v6, s2, v5
	v_cmp_ne_u32_e32 vcc, 0, v4
	v_cndmask_b32_e32 v4, 0, v5, vcc
	s_brev_b32 s2, 1
	v_and_or_b32 v3, v3, s2, v4
.LBB103_947:
	s_mov_b64 s[2:3], 0
.LBB103_948:
	s_andn2_b64 vcc, exec, s[2:3]
	s_cbranch_vccnz .LBB103_950
; %bb.949:
	global_load_ubyte v3, v[1:2], off
	s_movk_i32 s2, 0x7f00
	s_brev_b32 s3, 16
	s_waitcnt vmcnt(0)
	v_lshlrev_b16_e32 v4, 8, v3
	v_lshlrev_b32_e32 v3, 25, v3
	v_lshrrev_b32_e32 v5, 4, v3
	v_and_or_b32 v6, v4, s2, 0.5
	v_or_b32_e32 v5, 0x70000000, v5
	v_add_f32_e32 v6, -0.5, v6
	v_mul_f32_e32 v5, 0x7800000, v5
	v_cmp_gt_u32_e32 vcc, s3, v3
	v_bfe_i32 v4, v4, 0, 16
	v_cndmask_b32_e32 v3, v5, v6, vcc
	s_brev_b32 s2, 1
	v_and_or_b32 v3, v4, s2, v3
.LBB103_950:
	s_mov_b64 s[2:3], 0
	s_mov_b64 s[8:9], -1
.LBB103_951:
	s_andn2_b64 vcc, exec, s[2:3]
	s_mov_b64 s[2:3], 0
	s_cbranch_vccnz .LBB103_962
; %bb.952:
	s_cmp_gt_i32 s14, 14
	s_cbranch_scc0 .LBB103_955
; %bb.953:
	s_cmp_eq_u32 s14, 15
	s_cbranch_scc0 .LBB103_958
; %bb.954:
	global_load_ushort v3, v[1:2], off
	s_mov_b64 s[0:1], 0
	s_mov_b64 s[8:9], -1
	s_waitcnt vmcnt(0)
	v_lshlrev_b32_e32 v3, 16, v3
	s_branch .LBB103_959
.LBB103_955:
	s_mov_b64 s[10:11], -1
                                        ; implicit-def: $vgpr3
	s_branch .LBB103_960
.LBB103_956:
	s_or_saveexec_b64 s[8:9], s[8:9]
	v_mov_b32_e32 v3, 0x7f800001
	s_xor_b64 exec, exec, s[8:9]
	s_cbranch_execz .LBB103_937
.LBB103_957:
	v_cmp_ne_u16_e32 vcc, 0, v4
	s_andn2_b64 s[2:3], s[2:3], exec
	s_and_b64 s[10:11], vcc, exec
	v_mov_b32_e32 v3, 0
	s_or_b64 s[2:3], s[2:3], s[10:11]
	s_or_b64 exec, exec, s[8:9]
	s_and_saveexec_b64 s[8:9], s[2:3]
	s_cbranch_execnz .LBB103_938
	s_branch .LBB103_939
.LBB103_958:
	s_mov_b64 s[0:1], -1
                                        ; implicit-def: $vgpr3
.LBB103_959:
	s_mov_b64 s[10:11], 0
.LBB103_960:
	s_and_b64 vcc, exec, s[10:11]
	s_cbranch_vccz .LBB103_962
; %bb.961:
	s_cmp_lg_u32 s14, 11
	s_cselect_b64 s[10:11], -1, 0
	s_andn2_b64 s[0:1], s[0:1], exec
	s_and_b64 s[10:11], s[10:11], exec
	s_mov_b64 s[2:3], -1
	s_or_b64 s[0:1], s[0:1], s[10:11]
.LBB103_962:
	s_mov_b64 s[12:13], 0
.LBB103_963:
	s_and_b64 s[10:11], s[8:9], exec
	s_and_b64 s[8:9], s[12:13], exec
	s_andn2_b64 s[12:13], s[68:69], exec
	s_and_b64 s[0:1], s[0:1], exec
	s_and_b64 s[2:3], s[2:3], exec
	s_or_b64 s[12:13], s[12:13], s[0:1]
.LBB103_964:
	s_or_b64 exec, exec, s[72:73]
	s_and_b64 s[0:1], s[2:3], exec
	s_andn2_b64 s[2:3], s[68:69], exec
	s_and_b64 s[12:13], s[12:13], exec
	s_and_b64 s[10:11], s[10:11], exec
	;; [unrolled: 1-line block ×3, first 2 shown]
	s_or_b64 s[68:69], s[2:3], s[12:13]
.LBB103_965:
	s_or_b64 exec, exec, s[66:67]
	s_andn2_b64 s[2:3], s[62:63], exec
	s_and_b64 s[12:13], s[70:71], exec
	s_or_b64 s[62:63], s[2:3], s[12:13]
	s_and_b64 s[2:3], s[0:1], exec
	s_andn2_b64 s[0:1], s[60:61], exec
	s_and_b64 s[12:13], s[68:69], exec
	s_and_b64 s[10:11], s[10:11], exec
	;; [unrolled: 1-line block ×3, first 2 shown]
	s_or_b64 s[60:61], s[0:1], s[12:13]
.LBB103_966:
	s_or_b64 exec, exec, s[64:65]
	s_andn2_b64 s[0:1], s[54:55], exec
	s_and_b64 s[12:13], s[62:63], exec
	s_or_b64 s[54:55], s[0:1], s[12:13]
	s_and_b64 s[0:1], s[10:11], exec
	s_and_b64 s[10:11], s[8:9], exec
	;; [unrolled: 1-line block ×3, first 2 shown]
	s_andn2_b64 s[2:3], s[56:57], exec
	s_and_b64 s[8:9], s[60:61], exec
	s_or_b64 s[56:57], s[2:3], s[8:9]
	s_or_b64 exec, exec, s[58:59]
	s_mov_b64 s[2:3], 0
	s_and_saveexec_b64 s[8:9], s[56:57]
	s_cbranch_execz .LBB103_290
.LBB103_967:
	s_mov_b64 s[2:3], exec
	s_andn2_b64 s[62:63], s[62:63], exec
	s_trap 2
	s_or_b64 exec, exec, s[8:9]
	s_and_saveexec_b64 s[8:9], s[62:63]
	s_xor_b64 s[8:9], exec, s[8:9]
	s_cbranch_execnz .LBB103_291
.LBB103_968:
	s_or_b64 exec, exec, s[8:9]
	s_and_saveexec_b64 s[8:9], s[10:11]
	s_cbranch_execz .LBB103_1014
.LBB103_969:
	s_sext_i32_i16 s10, s76
	s_cmp_lt_i32 s10, 5
	s_cbranch_scc1 .LBB103_974
; %bb.970:
	s_cmp_lt_i32 s10, 8
	s_cbranch_scc1 .LBB103_975
; %bb.971:
	;; [unrolled: 3-line block ×3, first 2 shown]
	s_cmp_gt_i32 s10, 9
	s_cbranch_scc0 .LBB103_977
; %bb.973:
	global_load_dwordx2 v[3:4], v[1:2], off
	s_mov_b64 s[10:11], 0
	s_waitcnt vmcnt(0)
	v_cvt_f32_f64_e32 v3, v[3:4]
	s_branch .LBB103_978
.LBB103_974:
                                        ; implicit-def: $vgpr3
	s_branch .LBB103_995
.LBB103_975:
                                        ; implicit-def: $vgpr3
	s_branch .LBB103_984
.LBB103_976:
	s_mov_b64 s[10:11], -1
                                        ; implicit-def: $vgpr3
	s_branch .LBB103_981
.LBB103_977:
	s_mov_b64 s[10:11], -1
                                        ; implicit-def: $vgpr3
.LBB103_978:
	s_andn2_b64 vcc, exec, s[10:11]
	s_cbranch_vccnz .LBB103_980
; %bb.979:
	global_load_dword v3, v[1:2], off
.LBB103_980:
	s_mov_b64 s[10:11], 0
.LBB103_981:
	s_andn2_b64 vcc, exec, s[10:11]
	s_cbranch_vccnz .LBB103_983
; %bb.982:
	global_load_dword v3, v[1:2], off
	s_waitcnt vmcnt(0)
	v_cvt_f32_f16_e32 v3, v3
.LBB103_983:
	s_cbranch_execnz .LBB103_994
.LBB103_984:
	s_sext_i32_i16 s10, s76
	s_cmp_lt_i32 s10, 6
	s_cbranch_scc1 .LBB103_987
; %bb.985:
	s_cmp_gt_i32 s10, 6
	s_cbranch_scc0 .LBB103_988
; %bb.986:
	global_load_dwordx2 v[3:4], v[1:2], off
	s_mov_b64 s[10:11], 0
	s_waitcnt vmcnt(0)
	v_cvt_f32_f64_e32 v3, v[3:4]
	s_branch .LBB103_989
.LBB103_987:
	s_mov_b64 s[10:11], -1
                                        ; implicit-def: $vgpr3
	s_branch .LBB103_992
.LBB103_988:
	s_mov_b64 s[10:11], -1
                                        ; implicit-def: $vgpr3
.LBB103_989:
	s_andn2_b64 vcc, exec, s[10:11]
	s_cbranch_vccnz .LBB103_991
; %bb.990:
	global_load_dword v3, v[1:2], off
.LBB103_991:
	s_mov_b64 s[10:11], 0
.LBB103_992:
	s_andn2_b64 vcc, exec, s[10:11]
	s_cbranch_vccnz .LBB103_994
; %bb.993:
	global_load_ushort v3, v[1:2], off
	s_waitcnt vmcnt(0)
	v_cvt_f32_f16_e32 v3, v3
.LBB103_994:
	s_cbranch_execnz .LBB103_1013
.LBB103_995:
	s_sext_i32_i16 s10, s76
	s_cmp_lt_i32 s10, 2
	s_cbranch_scc1 .LBB103_999
; %bb.996:
	s_cmp_lt_i32 s10, 3
	s_cbranch_scc1 .LBB103_1000
; %bb.997:
	s_cmp_gt_i32 s10, 3
	s_cbranch_scc0 .LBB103_1001
; %bb.998:
	global_load_dwordx2 v[3:4], v[1:2], off
	s_mov_b64 s[10:11], 0
	s_waitcnt vmcnt(0)
	v_xor_b32_e32 v6, v3, v4
	v_ffbh_i32_e32 v5, v4
	v_ashrrev_i32_e32 v6, 31, v6
	v_add_u32_e32 v5, -1, v5
	v_add_u32_e32 v6, 32, v6
	v_min_u32_e32 v5, v5, v6
	v_lshlrev_b64 v[3:4], v5, v[3:4]
	v_min_u32_e32 v3, 1, v3
	v_or_b32_e32 v3, v4, v3
	v_cvt_f32_i32_e32 v3, v3
	v_sub_u32_e32 v4, 32, v5
	v_ldexp_f32 v3, v3, v4
	s_branch .LBB103_1002
.LBB103_999:
                                        ; implicit-def: $vgpr3
	s_branch .LBB103_1008
.LBB103_1000:
	s_mov_b64 s[10:11], -1
                                        ; implicit-def: $vgpr3
	s_branch .LBB103_1005
.LBB103_1001:
	s_mov_b64 s[10:11], -1
                                        ; implicit-def: $vgpr3
.LBB103_1002:
	s_andn2_b64 vcc, exec, s[10:11]
	s_cbranch_vccnz .LBB103_1004
; %bb.1003:
	global_load_dword v3, v[1:2], off
	s_waitcnt vmcnt(0)
	v_cvt_f32_i32_e32 v3, v3
.LBB103_1004:
	s_mov_b64 s[10:11], 0
.LBB103_1005:
	s_andn2_b64 vcc, exec, s[10:11]
	s_cbranch_vccnz .LBB103_1007
; %bb.1006:
	global_load_sshort v3, v[1:2], off
	s_waitcnt vmcnt(0)
	v_cvt_f32_i32_e32 v3, v3
.LBB103_1007:
	s_cbranch_execnz .LBB103_1013
.LBB103_1008:
	s_sext_i32_i16 s10, s76
	s_cmp_gt_i32 s10, 0
	s_cbranch_scc0 .LBB103_1010
; %bb.1009:
	global_load_sbyte v3, v[1:2], off
	s_mov_b64 s[10:11], 0
	s_waitcnt vmcnt(0)
	v_cvt_f32_i32_e32 v3, v3
	s_branch .LBB103_1011
.LBB103_1010:
	s_mov_b64 s[10:11], -1
                                        ; implicit-def: $vgpr3
.LBB103_1011:
	s_andn2_b64 vcc, exec, s[10:11]
	s_cbranch_vccnz .LBB103_1013
; %bb.1012:
	global_load_ubyte v1, v[1:2], off
	s_waitcnt vmcnt(0)
	v_cvt_f32_ubyte0_e32 v3, v1
.LBB103_1013:
	s_or_b64 s[0:1], s[0:1], exec
.LBB103_1014:
	s_or_b64 exec, exec, s[8:9]
	s_mov_b64 s[14:15], 0
	s_mov_b64 s[12:13], 0
                                        ; implicit-def: $sgpr8_sgpr9
                                        ; implicit-def: $sgpr20
                                        ; implicit-def: $vgpr1_vgpr2
	s_and_saveexec_b64 s[10:11], s[0:1]
	s_cbranch_execz .LBB103_1019
; %bb.1015:
	s_cmp_lt_i32 s44, 1
	s_mov_b64 s[0:1], 0
	s_cbranch_scc1 .LBB103_1022
; %bb.1016:
	s_cmp_gt_i32 s44, 1
	s_cbranch_scc0 .LBB103_1023
; %bb.1017:
	s_cmp_eq_u32 s44, 2
	s_cbranch_scc0 .LBB103_1024
; %bb.1018:
	s_waitcnt vmcnt(0)
	v_cmp_ge_f32_e64 s[8:9], s45, v3
	s_branch .LBB103_1026
.LBB103_1019:
	s_or_b64 exec, exec, s[10:11]
	s_and_saveexec_b64 s[0:1], s[54:55]
	s_cbranch_execnz .LBB103_1111
.LBB103_1020:
	s_or_b64 exec, exec, s[0:1]
	s_and_saveexec_b64 s[0:1], s[14:15]
	s_xor_b64 s[0:1], exec, s[0:1]
	s_cbranch_execz .LBB103_1112
.LBB103_1021:
	v_cndmask_b32_e64 v0, 0, 1, s[8:9]
	global_store_byte v[1:2], v0, off
	s_or_b64 exec, exec, s[0:1]
	s_and_saveexec_b64 s[0:1], s[12:13]
	s_xor_b64 s[0:1], exec, s[0:1]
	s_cbranch_execz .LBB103_1150
	s_branch .LBB103_1113
.LBB103_1022:
                                        ; implicit-def: $sgpr8_sgpr9
	s_cbranch_execnz .LBB103_1029
	s_branch .LBB103_1030
.LBB103_1023:
	s_mov_b64 s[14:15], -1
	s_branch .LBB103_1025
.LBB103_1024:
	s_mov_b64 s[12:13], -1
.LBB103_1025:
                                        ; implicit-def: $sgpr8_sgpr9
.LBB103_1026:
	s_and_b64 vcc, exec, s[14:15]
	s_cbranch_vccz .LBB103_1028
; %bb.1027:
	s_waitcnt vmcnt(0)
	v_cmp_lt_f32_e32 vcc, s45, v3
	s_andn2_b64 s[8:9], s[8:9], exec
	s_and_b64 s[14:15], vcc, exec
	s_or_b64 s[8:9], s[8:9], s[14:15]
.LBB103_1028:
	s_branch .LBB103_1030
.LBB103_1029:
	s_cmp_lg_u32 s44, 0
	s_mov_b64 s[0:1], -1
	s_cselect_b64 s[12:13], -1, 0
.LBB103_1030:
	s_andn2_b64 vcc, exec, s[12:13]
	s_cbranch_vccnz .LBB103_1032
; %bb.1031:
	s_waitcnt vmcnt(0)
	v_cmp_gt_f32_e32 vcc, s45, v3
	s_andn2_b64 s[8:9], s[8:9], exec
	s_and_b64 s[12:13], vcc, exec
	s_or_b64 s[8:9], s[8:9], s[12:13]
	s_cbranch_execz .LBB103_1033
	s_branch .LBB103_1034
.LBB103_1032:
	s_andn2_b64 vcc, exec, s[0:1]
	s_cbranch_vccnz .LBB103_1034
.LBB103_1033:
	s_waitcnt vmcnt(0)
	v_cmp_le_f32_e32 vcc, s45, v3
	s_andn2_b64 s[0:1], s[8:9], exec
	s_and_b64 s[8:9], vcc, exec
	s_or_b64 s[8:9], s[0:1], s[8:9]
.LBB103_1034:
	v_mov_b32_e32 v2, s25
	s_and_b32 s20, s75, 0xff
	v_add_co_u32_e32 v1, vcc, s24, v0
	s_cmp_lt_i32 s20, 11
	v_addc_co_u32_e32 v2, vcc, 0, v2, vcc
	s_cbranch_scc1 .LBB103_1108
; %bb.1035:
	s_and_b32 s21, 0xffff, s20
	s_mov_b64 s[14:15], -1
	s_cmp_gt_i32 s21, 25
	s_mov_b64 s[0:1], s[54:55]
	s_cbranch_scc0 .LBB103_1068
; %bb.1036:
	s_mov_b64 s[12:13], -1
	s_cmp_gt_i32 s21, 28
	s_mov_b64 s[0:1], s[54:55]
	s_cbranch_scc0 .LBB103_1052
; %bb.1037:
	s_cmp_gt_i32 s21, 43
	s_mov_b64 s[0:1], s[54:55]
	s_cbranch_scc0 .LBB103_1048
; %bb.1038:
	;; [unrolled: 4-line block ×3, first 2 shown]
	s_cmp_eq_u32 s21, 46
	s_mov_b64 s[0:1], -1
	s_cbranch_scc0 .LBB103_1041
; %bb.1040:
	v_cndmask_b32_e64 v0, 0, 1.0, s[8:9]
	s_waitcnt vmcnt(0)
	v_bfe_u32 v3, v0, 16, 1
	s_movk_i32 s0, 0x7fff
	v_add3_u32 v0, v0, v3, s0
	v_lshrrev_b32_e32 v0, 16, v0
	global_store_dword v[1:2], v0, off
	s_mov_b64 s[0:1], 0
.LBB103_1041:
	s_mov_b64 s[12:13], 0
.LBB103_1042:
	s_and_b64 vcc, exec, s[12:13]
	s_cbranch_vccz .LBB103_1047
; %bb.1043:
	s_cmp_eq_u32 s21, 44
	s_mov_b64 s[0:1], -1
	s_cbranch_scc0 .LBB103_1047
; %bb.1044:
	s_waitcnt vmcnt(0)
	v_cndmask_b32_e64 v3, 0, 1.0, s[8:9]
	v_lshrrev_b32_e32 v0, 23, v3
	s_movk_i32 s0, 0xff
	v_cmp_ne_u32_e32 vcc, s0, v0
	v_mov_b32_e32 v4, 0xff
	s_and_saveexec_b64 s[12:13], vcc
; %bb.1045:
	s_mov_b32 s0, 0x3fffff
	v_and_b32_e32 v4, 0x400000, v3
	v_and_or_b32 v3, v3, s0, v0
	v_cmp_ne_u32_e32 vcc, 0, v4
	v_cmp_ne_u32_e64 s[0:1], 0, v3
	s_and_b64 s[0:1], vcc, s[0:1]
	v_cndmask_b32_e64 v3, 0, 1, s[0:1]
	v_add_u32_e32 v4, v0, v3
; %bb.1046:
	s_or_b64 exec, exec, s[12:13]
	s_mov_b64 s[0:1], 0
	global_store_byte v[1:2], v4, off
.LBB103_1047:
	s_mov_b64 s[12:13], 0
.LBB103_1048:
	s_and_b64 vcc, exec, s[12:13]
	s_cbranch_vccz .LBB103_1051
; %bb.1049:
	s_cmp_eq_u32 s21, 29
	s_mov_b64 s[0:1], -1
	s_cbranch_scc0 .LBB103_1051
; %bb.1050:
	s_mov_b32 s0, 0
	s_waitcnt vmcnt(0)
	v_cndmask_b32_e64 v3, 0, 1, s[8:9]
	v_mov_b32_e32 v4, s0
	global_store_dwordx2 v[1:2], v[3:4], off
	s_mov_b64 s[0:1], 0
.LBB103_1051:
	s_mov_b64 s[12:13], 0
.LBB103_1052:
	s_and_b64 vcc, exec, s[12:13]
	s_cbranch_vccz .LBB103_1067
; %bb.1053:
	s_cmp_lt_i32 s21, 27
	s_mov_b64 s[12:13], -1
	s_cbranch_scc1 .LBB103_1059
; %bb.1054:
	s_cmp_gt_i32 s21, 27
	s_cbranch_scc0 .LBB103_1056
; %bb.1055:
	v_cndmask_b32_e64 v0, 0, 1, s[8:9]
	s_mov_b64 s[12:13], 0
	global_store_dword v[1:2], v0, off
.LBB103_1056:
	s_andn2_b64 vcc, exec, s[12:13]
	s_cbranch_vccnz .LBB103_1058
; %bb.1057:
	v_cndmask_b32_e64 v0, 0, 1, s[8:9]
	global_store_short v[1:2], v0, off
.LBB103_1058:
	s_mov_b64 s[12:13], 0
.LBB103_1059:
	s_andn2_b64 vcc, exec, s[12:13]
	s_cbranch_vccnz .LBB103_1067
; %bb.1060:
	s_waitcnt vmcnt(0)
	v_cndmask_b32_e64 v3, 0, 1.0, s[8:9]
	s_mov_b32 s12, 0x43800000
	v_cmp_gt_u32_e32 vcc, s12, v3
	v_mov_b32_e32 v4, 0x80
	s_and_saveexec_b64 s[12:13], vcc
	s_cbranch_execz .LBB103_1066
; %bb.1061:
	s_mov_b32 s14, 0x3bffffff
	v_cmp_lt_u32_e32 vcc, s14, v3
	s_mov_b64 s[14:15], 0
                                        ; implicit-def: $vgpr0
	s_and_saveexec_b64 s[16:17], vcc
	s_xor_b64 s[16:17], exec, s[16:17]
	s_cbranch_execz .LBB103_1221
; %bb.1062:
	v_bfe_u32 v0, v3, 20, 1
	s_mov_b32 s18, 0x487ffff
	v_add3_u32 v0, v3, v0, s18
	s_mov_b64 s[14:15], exec
	v_lshrrev_b32_e32 v0, 20, v0
                                        ; implicit-def: $vgpr3
	s_andn2_saveexec_b64 s[16:17], s[16:17]
	s_cbranch_execnz .LBB103_1222
.LBB103_1063:
	s_or_b64 exec, exec, s[16:17]
	v_mov_b32_e32 v4, 0
	s_and_saveexec_b64 s[16:17], s[14:15]
.LBB103_1064:
	v_mov_b32_e32 v4, v0
.LBB103_1065:
	s_or_b64 exec, exec, s[16:17]
.LBB103_1066:
	s_or_b64 exec, exec, s[12:13]
	global_store_byte v[1:2], v4, off
.LBB103_1067:
	s_mov_b64 s[14:15], 0
.LBB103_1068:
	s_mov_b64 s[12:13], 0
	s_and_b64 vcc, exec, s[14:15]
	s_cbranch_vccz .LBB103_1109
; %bb.1069:
	s_cmp_gt_i32 s21, 22
	s_mov_b64 s[14:15], -1
	s_cbranch_scc0 .LBB103_1101
; %bb.1070:
	s_cmp_lt_i32 s21, 24
	s_cbranch_scc1 .LBB103_1090
; %bb.1071:
	s_cmp_gt_i32 s21, 24
	s_cbranch_scc0 .LBB103_1079
; %bb.1072:
	s_waitcnt vmcnt(0)
	v_cndmask_b32_e64 v3, 0, 1.0, s[8:9]
	s_mov_b32 s14, 0x47800000
	v_cmp_gt_u32_e32 vcc, s14, v3
	v_mov_b32_e32 v4, 0x80
	s_and_saveexec_b64 s[14:15], vcc
	s_cbranch_execz .LBB103_1078
; %bb.1073:
	s_mov_b32 s16, 0x37ffffff
	v_cmp_lt_u32_e32 vcc, s16, v3
	s_mov_b64 s[16:17], 0
                                        ; implicit-def: $vgpr0
	s_and_saveexec_b64 s[18:19], vcc
	s_xor_b64 s[18:19], exec, s[18:19]
	s_cbranch_execz .LBB103_1361
; %bb.1074:
	v_bfe_u32 v0, v3, 21, 1
	s_mov_b32 s22, 0x88fffff
	v_add3_u32 v0, v3, v0, s22
	s_mov_b64 s[16:17], exec
	v_lshrrev_b32_e32 v0, 21, v0
                                        ; implicit-def: $vgpr3
	s_andn2_saveexec_b64 s[18:19], s[18:19]
	s_cbranch_execnz .LBB103_1362
.LBB103_1075:
	s_or_b64 exec, exec, s[18:19]
	v_mov_b32_e32 v4, 0
	s_and_saveexec_b64 s[18:19], s[16:17]
.LBB103_1076:
	v_mov_b32_e32 v4, v0
.LBB103_1077:
	s_or_b64 exec, exec, s[18:19]
.LBB103_1078:
	s_or_b64 exec, exec, s[14:15]
	s_mov_b64 s[14:15], 0
	global_store_byte v[1:2], v4, off
.LBB103_1079:
	s_and_b64 vcc, exec, s[14:15]
	s_cbranch_vccz .LBB103_1089
; %bb.1080:
	v_cndmask_b32_e64 v0, 0, 1.0, s[8:9]
	s_mov_b32 s14, 0x43f00000
	v_cmp_gt_u32_e32 vcc, s14, v0
                                        ; implicit-def: $vgpr3
	s_and_saveexec_b64 s[14:15], vcc
	s_xor_b64 s[14:15], exec, s[14:15]
	s_cbranch_execz .LBB103_1086
; %bb.1081:
	s_mov_b32 s16, 0x3c7fffff
	v_cmp_lt_u32_e32 vcc, s16, v0
                                        ; implicit-def: $vgpr3
	s_and_saveexec_b64 s[16:17], vcc
	s_xor_b64 s[16:17], exec, s[16:17]
	s_cbranch_execz .LBB103_1083
; %bb.1082:
	s_waitcnt vmcnt(0)
	v_bfe_u32 v3, v0, 20, 1
	s_mov_b32 s18, 0x407ffff
	v_add3_u32 v0, v0, v3, s18
	v_lshrrev_b32_e32 v3, 20, v0
	v_and_b32_e32 v0, 0xff00000, v0
	s_mov_b32 s18, 0x7f00000
	v_mov_b32_e32 v4, 0x7e
	v_cmp_ne_u32_e32 vcc, s18, v0
	v_cndmask_b32_e32 v3, v4, v3, vcc
                                        ; implicit-def: $vgpr0
.LBB103_1083:
	s_andn2_saveexec_b64 s[16:17], s[16:17]
	s_cbranch_execz .LBB103_1085
; %bb.1084:
	s_waitcnt vmcnt(0)
	v_add_f32_e32 v3, 0x46800000, v0
.LBB103_1085:
	s_or_b64 exec, exec, s[16:17]
                                        ; implicit-def: $vgpr0
.LBB103_1086:
	s_andn2_saveexec_b64 s[14:15], s[14:15]
	s_cbranch_execz .LBB103_1088
; %bb.1087:
	s_mov_b32 s16, 0x7f800000
	s_waitcnt vmcnt(0)
	v_mov_b32_e32 v3, 0x7e
	v_mov_b32_e32 v4, 0x7f
	v_cmp_lt_u32_e32 vcc, s16, v0
	v_cndmask_b32_e32 v3, v3, v4, vcc
.LBB103_1088:
	s_or_b64 exec, exec, s[14:15]
	s_waitcnt vmcnt(0)
	global_store_byte v[1:2], v3, off
.LBB103_1089:
	s_mov_b64 s[14:15], 0
.LBB103_1090:
	s_andn2_b64 vcc, exec, s[14:15]
	s_cbranch_vccnz .LBB103_1100
; %bb.1091:
	v_cndmask_b32_e64 v0, 0, 1.0, s[8:9]
	s_mov_b32 s14, 0x47800000
	v_cmp_gt_u32_e32 vcc, s14, v0
                                        ; implicit-def: $vgpr3
	s_and_saveexec_b64 s[14:15], vcc
	s_xor_b64 s[14:15], exec, s[14:15]
	s_cbranch_execz .LBB103_1097
; %bb.1092:
	s_mov_b32 s16, 0x387fffff
	v_cmp_lt_u32_e32 vcc, s16, v0
                                        ; implicit-def: $vgpr3
	s_and_saveexec_b64 s[16:17], vcc
	s_xor_b64 s[16:17], exec, s[16:17]
	s_cbranch_execz .LBB103_1094
; %bb.1093:
	s_waitcnt vmcnt(0)
	v_bfe_u32 v3, v0, 21, 1
	s_mov_b32 s18, 0x80fffff
	v_add3_u32 v0, v0, v3, s18
	v_lshrrev_b32_e32 v3, 21, v0
                                        ; implicit-def: $vgpr0
.LBB103_1094:
	s_andn2_saveexec_b64 s[16:17], s[16:17]
	s_cbranch_execz .LBB103_1096
; %bb.1095:
	s_waitcnt vmcnt(0)
	v_add_f32_e32 v3, 0x43000000, v0
.LBB103_1096:
	s_or_b64 exec, exec, s[16:17]
                                        ; implicit-def: $vgpr0
.LBB103_1097:
	s_andn2_saveexec_b64 s[14:15], s[14:15]
	s_cbranch_execz .LBB103_1099
; %bb.1098:
	s_mov_b32 s16, 0x7f800000
	s_waitcnt vmcnt(0)
	v_mov_b32_e32 v3, 0x7c
	v_mov_b32_e32 v4, 0x7f
	v_cmp_lt_u32_e32 vcc, s16, v0
	v_cndmask_b32_e32 v3, v3, v4, vcc
.LBB103_1099:
	s_or_b64 exec, exec, s[14:15]
	s_waitcnt vmcnt(0)
	global_store_byte v[1:2], v3, off
.LBB103_1100:
	s_mov_b64 s[14:15], 0
.LBB103_1101:
	s_andn2_b64 vcc, exec, s[14:15]
	s_mov_b64 s[14:15], 0
	s_cbranch_vccnz .LBB103_1110
; %bb.1102:
	s_cmp_gt_i32 s21, 14
	s_mov_b64 s[16:17], -1
	s_cbranch_scc0 .LBB103_1106
; %bb.1103:
	s_cmp_eq_u32 s21, 15
	s_mov_b64 s[0:1], -1
	s_cbranch_scc0 .LBB103_1105
; %bb.1104:
	v_cndmask_b32_e64 v0, 0, 1.0, s[8:9]
	s_waitcnt vmcnt(0)
	v_bfe_u32 v3, v0, 16, 1
	s_movk_i32 s0, 0x7fff
	v_add3_u32 v0, v0, v3, s0
	global_store_short_d16_hi v[1:2], v0, off
	s_mov_b64 s[0:1], 0
.LBB103_1105:
	s_mov_b64 s[16:17], 0
.LBB103_1106:
	s_and_b64 vcc, exec, s[16:17]
	s_cbranch_vccz .LBB103_1110
; %bb.1107:
	s_cmp_lg_u32 s21, 11
	s_cselect_b64 s[16:17], -1, 0
	s_andn2_b64 s[0:1], s[0:1], exec
	s_and_b64 s[16:17], s[16:17], exec
	s_mov_b64 s[14:15], -1
	s_or_b64 s[0:1], s[0:1], s[16:17]
	s_branch .LBB103_1110
.LBB103_1108:
	s_mov_b64 s[14:15], 0
	s_mov_b64 s[12:13], -1
	s_mov_b64 s[0:1], s[54:55]
	s_branch .LBB103_1110
.LBB103_1109:
	s_mov_b64 s[14:15], 0
.LBB103_1110:
	s_andn2_b64 s[16:17], s[54:55], exec
	s_and_b64 s[0:1], s[0:1], exec
	s_and_b64 s[12:13], s[12:13], exec
	;; [unrolled: 1-line block ×3, first 2 shown]
	s_or_b64 s[54:55], s[16:17], s[0:1]
	s_or_b64 exec, exec, s[10:11]
	s_and_saveexec_b64 s[0:1], s[54:55]
	s_cbranch_execz .LBB103_1020
.LBB103_1111:
	s_or_b64 s[2:3], s[2:3], exec
	s_andn2_b64 s[14:15], s[14:15], exec
	s_trap 2
	s_or_b64 exec, exec, s[0:1]
	s_and_saveexec_b64 s[0:1], s[14:15]
	s_xor_b64 s[0:1], exec, s[0:1]
	s_cbranch_execnz .LBB103_1021
.LBB103_1112:
	s_or_b64 exec, exec, s[0:1]
	s_and_saveexec_b64 s[0:1], s[12:13]
	s_xor_b64 s[0:1], exec, s[0:1]
	s_cbranch_execz .LBB103_1150
.LBB103_1113:
	s_sext_i32_i16 s12, s20
	s_cmp_lt_i32 s12, 5
	s_mov_b64 s[10:11], -1
	s_cbranch_scc1 .LBB103_1134
; %bb.1114:
	s_cmp_lt_i32 s12, 8
	s_cbranch_scc1 .LBB103_1124
; %bb.1115:
	s_cmp_lt_i32 s12, 9
	s_cbranch_scc1 .LBB103_1121
; %bb.1116:
	s_cmp_gt_i32 s12, 9
	s_cbranch_scc0 .LBB103_1118
; %bb.1117:
	v_cndmask_b32_e64 v0, 0, 1, s[8:9]
	s_waitcnt vmcnt(0)
	v_cvt_f64_u32_e32 v[3:4], v0
	v_mov_b32_e32 v5, 0
	v_mov_b32_e32 v6, v5
	s_mov_b64 s[10:11], 0
	global_store_dwordx4 v[1:2], v[3:6], off
.LBB103_1118:
	s_andn2_b64 vcc, exec, s[10:11]
	s_cbranch_vccnz .LBB103_1120
; %bb.1119:
	s_waitcnt vmcnt(0)
	v_cndmask_b32_e64 v3, 0, 1.0, s[8:9]
	v_mov_b32_e32 v4, 0
	global_store_dwordx2 v[1:2], v[3:4], off
.LBB103_1120:
	s_mov_b64 s[10:11], 0
.LBB103_1121:
	s_andn2_b64 vcc, exec, s[10:11]
	s_cbranch_vccnz .LBB103_1123
; %bb.1122:
	v_cndmask_b32_e64 v0, 0, 1.0, s[8:9]
	v_cvt_f16_f32_e32 v0, v0
	global_store_dword v[1:2], v0, off
.LBB103_1123:
	s_mov_b64 s[10:11], 0
.LBB103_1124:
	s_andn2_b64 vcc, exec, s[10:11]
	s_cbranch_vccnz .LBB103_1133
; %bb.1125:
	s_sext_i32_i16 s12, s20
	s_cmp_lt_i32 s12, 6
	s_mov_b64 s[10:11], -1
	s_cbranch_scc1 .LBB103_1131
; %bb.1126:
	s_cmp_gt_i32 s12, 6
	s_cbranch_scc0 .LBB103_1128
; %bb.1127:
	v_cndmask_b32_e64 v0, 0, 1, s[8:9]
	s_waitcnt vmcnt(0)
	v_cvt_f64_u32_e32 v[3:4], v0
	s_mov_b64 s[10:11], 0
	global_store_dwordx2 v[1:2], v[3:4], off
.LBB103_1128:
	s_andn2_b64 vcc, exec, s[10:11]
	s_cbranch_vccnz .LBB103_1130
; %bb.1129:
	v_cndmask_b32_e64 v0, 0, 1.0, s[8:9]
	global_store_dword v[1:2], v0, off
.LBB103_1130:
	s_mov_b64 s[10:11], 0
.LBB103_1131:
	s_andn2_b64 vcc, exec, s[10:11]
	s_cbranch_vccnz .LBB103_1133
; %bb.1132:
	v_cndmask_b32_e64 v0, 0, 1.0, s[8:9]
	v_cvt_f16_f32_e32 v0, v0
	global_store_short v[1:2], v0, off
.LBB103_1133:
	s_mov_b64 s[10:11], 0
.LBB103_1134:
	s_andn2_b64 vcc, exec, s[10:11]
	s_cbranch_vccnz .LBB103_1150
; %bb.1135:
	s_sext_i32_i16 s12, s20
	s_cmp_lt_i32 s12, 2
	s_mov_b64 s[10:11], -1
	s_cbranch_scc1 .LBB103_1145
; %bb.1136:
	s_cmp_lt_i32 s12, 3
	s_cbranch_scc1 .LBB103_1142
; %bb.1137:
	s_cmp_gt_i32 s12, 3
	s_cbranch_scc0 .LBB103_1139
; %bb.1138:
	s_mov_b32 s10, 0
	s_waitcnt vmcnt(0)
	v_cndmask_b32_e64 v3, 0, 1, s[8:9]
	v_mov_b32_e32 v4, s10
	s_mov_b64 s[10:11], 0
	global_store_dwordx2 v[1:2], v[3:4], off
.LBB103_1139:
	s_andn2_b64 vcc, exec, s[10:11]
	s_cbranch_vccnz .LBB103_1141
; %bb.1140:
	v_cndmask_b32_e64 v0, 0, 1, s[8:9]
	global_store_dword v[1:2], v0, off
.LBB103_1141:
	s_mov_b64 s[10:11], 0
.LBB103_1142:
	s_andn2_b64 vcc, exec, s[10:11]
	s_cbranch_vccnz .LBB103_1144
; %bb.1143:
	v_cndmask_b32_e64 v0, 0, 1, s[8:9]
	global_store_short v[1:2], v0, off
.LBB103_1144:
	s_mov_b64 s[10:11], 0
.LBB103_1145:
	s_andn2_b64 vcc, exec, s[10:11]
	s_cbranch_vccnz .LBB103_1150
; %bb.1146:
	s_sext_i32_i16 s10, s20
	s_cmp_gt_i32 s10, 0
	s_mov_b64 s[10:11], -1
	s_cbranch_scc0 .LBB103_1148
; %bb.1147:
	v_cndmask_b32_e64 v0, 0, 1, s[8:9]
	s_mov_b64 s[10:11], 0
	global_store_byte v[1:2], v0, off
.LBB103_1148:
	s_andn2_b64 vcc, exec, s[10:11]
	s_cbranch_vccnz .LBB103_1150
; %bb.1149:
	v_cndmask_b32_e64 v0, 0, 1, s[8:9]
	global_store_byte v[1:2], v0, off
.LBB103_1150:
	s_or_b64 exec, exec, s[0:1]
	s_and_b64 s[28:29], s[2:3], exec
                                        ; implicit-def: $vgpr15
                                        ; implicit-def: $vgpr8
.LBB103_1151:
	s_or_saveexec_b64 s[30:31], s[42:43]
	s_mov_b64 s[0:1], 0
                                        ; implicit-def: $sgpr10_sgpr11
                                        ; implicit-def: $vgpr0_vgpr1
                                        ; implicit-def: $sgpr22
	s_xor_b64 exec, exec, s[30:31]
	s_cbranch_execz .LBB103_1774
; %bb.1152:
	v_cndmask_b32_e64 v0, 0, 1, s[40:41]
	v_cmp_ne_u32_e64 s[0:1], 1, v0
	s_andn2_b64 vcc, exec, s[40:41]
	s_cbranch_vccnz .LBB103_1158
; %bb.1153:
	s_cmp_lg_u32 s33, 0
	s_mov_b32 s36, 0
	s_cbranch_scc0 .LBB103_1159
; %bb.1154:
	s_min_u32 s37, s74, 15
	s_add_i32 s37, s37, 1
	s_cmp_eq_u32 s74, 2
	s_cbranch_scc1 .LBB103_1160
; %bb.1155:
	s_and_b32 s36, s37, 28
	s_add_u32 s2, s34, 0xc4
	s_addc_u32 s3, s35, 0
	v_mov_b32_e32 v13, 0
	s_mov_b32 s38, 0
	s_mov_b64 s[6:7], s[34:35]
	v_mov_b32_e32 v6, 0
	v_mov_b32_e32 v0, v8
.LBB103_1156:                           ; =>This Inner Loop Header: Depth=1
	s_load_dwordx8 s[16:23], s[6:7], 0x4
	s_load_dwordx4 s[24:27], s[6:7], 0x24
	s_load_dwordx8 s[8:15], s[2:3], 0x0
	s_add_u32 s6, s6, 48
	s_addc_u32 s7, s7, 0
	s_waitcnt lgkmcnt(0)
	v_mul_hi_u32 v1, s17, v0
	s_add_i32 s38, s38, 4
	s_add_u32 s2, s2, 32
	s_addc_u32 s3, s3, 0
	v_add_u32_e32 v1, v0, v1
	v_lshrrev_b32_e32 v1, s18, v1
	v_mul_lo_u32 v2, v1, s16
	s_waitcnt vmcnt(0)
	v_mul_hi_u32 v3, s20, v1
	s_cmp_lg_u32 s36, s38
	v_sub_u32_e32 v0, v0, v2
	v_add_u32_e32 v2, v1, v3
	v_mul_lo_u32 v3, v0, s8
	v_mul_lo_u32 v4, v0, s9
	v_lshrrev_b32_e32 v0, s21, v2
	v_mul_lo_u32 v2, v0, s19
	v_mul_hi_u32 v5, s23, v0
	v_sub_u32_e32 v1, v1, v2
	v_add_u32_e32 v2, v0, v5
	v_lshrrev_b32_e32 v2, s24, v2
	v_mul_hi_u32 v7, s26, v2
	v_mul_lo_u32 v9, v2, s22
	v_mul_lo_u32 v5, v1, s10
	;; [unrolled: 1-line block ×3, first 2 shown]
	v_sub_u32_e32 v9, v0, v9
	v_add_u32_e32 v0, v2, v7
	v_lshrrev_b32_e32 v0, s27, v0
	v_mul_lo_u32 v7, v0, s25
	v_mul_lo_u32 v10, v9, s12
	;; [unrolled: 1-line block ×3, first 2 shown]
	v_add3_u32 v3, v3, v6, v5
	v_sub_u32_e32 v2, v2, v7
	v_mul_lo_u32 v7, v2, s14
	v_mul_lo_u32 v2, v2, s15
	v_add3_u32 v1, v4, v13, v1
	v_add3_u32 v6, v10, v3, v7
	;; [unrolled: 1-line block ×3, first 2 shown]
	s_cbranch_scc1 .LBB103_1156
; %bb.1157:
	s_and_b32 s8, s37, 3
	s_cmp_eq_u32 s8, 0
	s_cbranch_scc0 .LBB103_1161
	s_branch .LBB103_1163
.LBB103_1158:
                                        ; implicit-def: $vgpr6
                                        ; implicit-def: $vgpr13
	s_branch .LBB103_1164
.LBB103_1159:
	v_mov_b32_e32 v6, 0
	v_mov_b32_e32 v13, 0
	s_branch .LBB103_1163
.LBB103_1160:
	v_mov_b32_e32 v6, 0
	v_mov_b32_e32 v13, 0
	;; [unrolled: 1-line block ×3, first 2 shown]
	s_and_b32 s8, s37, 3
	s_cmp_eq_u32 s8, 0
	s_cbranch_scc1 .LBB103_1163
.LBB103_1161:
	s_lshl_b32 s2, s36, 3
	s_add_u32 s2, s34, s2
	s_addc_u32 s3, s35, 0
	s_add_u32 s2, s2, 0xc4
	s_addc_u32 s3, s3, 0
	s_mul_i32 s6, s36, 12
	s_add_u32 s6, s34, s6
	s_addc_u32 s7, s35, 0
.LBB103_1162:                           ; =>This Inner Loop Header: Depth=1
	s_load_dwordx2 s[10:11], s[6:7], 0x4
	s_load_dword s9, s[6:7], 0xc
	s_load_dwordx2 s[12:13], s[2:3], 0x0
	s_add_u32 s6, s6, 12
	s_addc_u32 s7, s7, 0
	s_waitcnt lgkmcnt(0)
	v_mul_hi_u32 v1, s11, v0
	s_add_u32 s2, s2, 8
	s_addc_u32 s3, s3, 0
	s_add_i32 s8, s8, -1
	v_add_u32_e32 v1, v0, v1
	v_lshrrev_b32_e32 v1, s9, v1
	v_mul_lo_u32 v2, v1, s10
	s_cmp_lg_u32 s8, 0
	v_sub_u32_e32 v0, v0, v2
	v_mad_u64_u32 v[6:7], s[10:11], v0, s12, v[6:7]
	v_mad_u64_u32 v[13:14], s[10:11], v0, s13, v[13:14]
	v_mov_b32_e32 v0, v1
	s_cbranch_scc1 .LBB103_1162
.LBB103_1163:
	s_cbranch_execnz .LBB103_1166
.LBB103_1164:
	s_load_dwordx4 s[8:11], s[34:35], 0x4
	s_load_dwordx2 s[2:3], s[34:35], 0xc4
	s_cmp_lt_u32 s33, 2
	s_waitcnt lgkmcnt(0)
	v_mul_hi_u32 v0, s9, v8
	v_add_u32_e32 v0, v8, v0
	v_lshrrev_b32_e32 v0, s10, v0
	v_mul_lo_u32 v1, v0, s8
	v_sub_u32_e32 v1, v8, v1
	v_mul_lo_u32 v6, v1, s2
	v_mul_lo_u32 v13, v1, s3
	s_cbranch_scc1 .LBB103_1166
; %bb.1165:
	s_load_dwordx4 s[8:11], s[34:35], 0x10
	s_load_dwordx2 s[2:3], s[34:35], 0xcc
	s_waitcnt lgkmcnt(0)
	v_mul_hi_u32 v1, s9, v0
	v_add_u32_e32 v1, v0, v1
	v_lshrrev_b32_e32 v1, s10, v1
	v_mul_lo_u32 v1, v1, s8
	v_sub_u32_e32 v0, v0, v1
	v_mad_u64_u32 v[6:7], s[6:7], v0, s2, v[6:7]
	v_mad_u64_u32 v[13:14], s[2:3], v0, s3, v[13:14]
.LBB103_1166:
	s_and_b64 vcc, exec, s[0:1]
	v_add_u32_e32 v0, 0x80, v8
	s_cbranch_vccnz .LBB103_1172
; %bb.1167:
	s_cmp_lg_u32 s33, 0
	s_mov_b32 s36, 0
	s_cbranch_scc0 .LBB103_1173
; %bb.1168:
	s_min_u32 s37, s74, 15
	s_add_i32 s37, s37, 1
	s_cmp_eq_u32 s74, 2
	s_cbranch_scc1 .LBB103_1174
; %bb.1169:
	s_and_b32 s36, s37, 28
	s_add_u32 s2, s34, 0xc4
	s_addc_u32 s3, s35, 0
	v_mov_b32_e32 v11, 0
	s_mov_b32 s38, 0
	s_mov_b64 s[6:7], s[34:35]
	v_mov_b32_e32 v4, 0
	v_mov_b32_e32 v1, v0
.LBB103_1170:                           ; =>This Inner Loop Header: Depth=1
	s_load_dwordx8 s[16:23], s[6:7], 0x4
	s_load_dwordx4 s[24:27], s[6:7], 0x24
	s_load_dwordx8 s[8:15], s[2:3], 0x0
	s_add_u32 s6, s6, 48
	s_addc_u32 s7, s7, 0
	s_waitcnt lgkmcnt(0)
	v_mul_hi_u32 v2, s17, v1
	s_add_i32 s38, s38, 4
	s_add_u32 s2, s2, 32
	s_addc_u32 s3, s3, 0
	v_add_u32_e32 v2, v1, v2
	v_lshrrev_b32_e32 v2, s18, v2
	s_waitcnt vmcnt(0)
	v_mul_lo_u32 v3, v2, s16
	v_mul_hi_u32 v5, s20, v2
	s_cmp_lg_u32 s36, s38
	v_sub_u32_e32 v1, v1, v3
	v_add_u32_e32 v3, v2, v5
	v_mul_lo_u32 v5, v1, s8
	v_mul_lo_u32 v7, v1, s9
	v_lshrrev_b32_e32 v1, s21, v3
	v_mul_lo_u32 v3, v1, s19
	v_mul_hi_u32 v9, s23, v1
	v_sub_u32_e32 v2, v2, v3
	v_add_u32_e32 v3, v1, v9
	v_lshrrev_b32_e32 v3, s24, v3
	v_mul_hi_u32 v10, s26, v3
	v_mul_lo_u32 v12, v3, s22
	v_mul_lo_u32 v9, v2, s10
	;; [unrolled: 1-line block ×3, first 2 shown]
	v_sub_u32_e32 v12, v1, v12
	v_add_u32_e32 v1, v3, v10
	v_lshrrev_b32_e32 v1, s27, v1
	v_mul_lo_u32 v10, v1, s25
	v_mul_lo_u32 v14, v12, s12
	;; [unrolled: 1-line block ×3, first 2 shown]
	v_add3_u32 v4, v5, v4, v9
	v_sub_u32_e32 v3, v3, v10
	v_mul_lo_u32 v10, v3, s14
	v_mul_lo_u32 v3, v3, s15
	v_add3_u32 v2, v7, v11, v2
	v_add3_u32 v4, v14, v4, v10
	;; [unrolled: 1-line block ×3, first 2 shown]
	s_cbranch_scc1 .LBB103_1170
; %bb.1171:
	s_and_b32 s8, s37, 3
	s_cmp_eq_u32 s8, 0
	s_cbranch_scc0 .LBB103_1175
	s_branch .LBB103_1177
.LBB103_1172:
                                        ; implicit-def: $vgpr4
                                        ; implicit-def: $vgpr11
	s_branch .LBB103_1178
.LBB103_1173:
	v_mov_b32_e32 v4, 0
	v_mov_b32_e32 v11, 0
	s_branch .LBB103_1177
.LBB103_1174:
	v_mov_b32_e32 v4, 0
	v_mov_b32_e32 v11, 0
	;; [unrolled: 1-line block ×3, first 2 shown]
	s_and_b32 s8, s37, 3
	s_cmp_eq_u32 s8, 0
	s_cbranch_scc1 .LBB103_1177
.LBB103_1175:
	s_lshl_b32 s2, s36, 3
	s_add_u32 s2, s34, s2
	s_addc_u32 s3, s35, 0
	s_add_u32 s2, s2, 0xc4
	s_addc_u32 s3, s3, 0
	s_mul_i32 s6, s36, 12
	s_add_u32 s6, s34, s6
	s_addc_u32 s7, s35, 0
.LBB103_1176:                           ; =>This Inner Loop Header: Depth=1
	s_load_dwordx2 s[10:11], s[6:7], 0x4
	s_load_dword s9, s[6:7], 0xc
	s_load_dwordx2 s[12:13], s[2:3], 0x0
	s_add_u32 s6, s6, 12
	s_addc_u32 s7, s7, 0
	s_waitcnt lgkmcnt(0)
	v_mul_hi_u32 v2, s11, v1
	s_add_u32 s2, s2, 8
	s_addc_u32 s3, s3, 0
	s_add_i32 s8, s8, -1
	v_add_u32_e32 v2, v1, v2
	v_lshrrev_b32_e32 v2, s9, v2
	s_waitcnt vmcnt(0)
	v_mul_lo_u32 v3, v2, s10
	s_cmp_lg_u32 s8, 0
	v_sub_u32_e32 v1, v1, v3
	v_mad_u64_u32 v[4:5], s[10:11], v1, s12, v[4:5]
	v_mad_u64_u32 v[11:12], s[10:11], v1, s13, v[11:12]
	v_mov_b32_e32 v1, v2
	s_cbranch_scc1 .LBB103_1176
.LBB103_1177:
	s_cbranch_execnz .LBB103_1180
.LBB103_1178:
	s_load_dwordx4 s[8:11], s[34:35], 0x4
	s_load_dwordx2 s[2:3], s[34:35], 0xc4
	s_cmp_lt_u32 s33, 2
	s_waitcnt lgkmcnt(0)
	v_mul_hi_u32 v1, s9, v0
	v_add_u32_e32 v1, v0, v1
	v_lshrrev_b32_e32 v1, s10, v1
	v_mul_lo_u32 v2, v1, s8
	v_sub_u32_e32 v0, v0, v2
	v_mul_lo_u32 v4, v0, s2
	v_mul_lo_u32 v11, v0, s3
	s_cbranch_scc1 .LBB103_1180
; %bb.1179:
	s_load_dwordx4 s[8:11], s[34:35], 0x10
	s_load_dwordx2 s[2:3], s[34:35], 0xcc
	s_waitcnt lgkmcnt(0)
	v_mul_hi_u32 v0, s9, v1
	v_add_u32_e32 v0, v1, v0
	v_lshrrev_b32_e32 v0, s10, v0
	v_mul_lo_u32 v0, v0, s8
	v_sub_u32_e32 v0, v1, v0
	v_mad_u64_u32 v[4:5], s[6:7], v0, s2, v[4:5]
	v_mad_u64_u32 v[11:12], s[2:3], v0, s3, v[11:12]
.LBB103_1180:
	s_and_b64 vcc, exec, s[0:1]
	v_add_u32_e32 v0, 0x100, v8
	s_cbranch_vccnz .LBB103_1186
; %bb.1181:
	s_cmp_lg_u32 s33, 0
	s_mov_b32 s36, 0
	s_cbranch_scc0 .LBB103_1187
; %bb.1182:
	s_min_u32 s37, s74, 15
	s_add_i32 s37, s37, 1
	s_cmp_eq_u32 s74, 2
	s_cbranch_scc1 .LBB103_1188
; %bb.1183:
	s_and_b32 s36, s37, 28
	s_add_u32 s2, s34, 0xc4
	s_addc_u32 s3, s35, 0
	v_mov_b32_e32 v9, 0
	s_mov_b32 s38, 0
	s_mov_b64 s[6:7], s[34:35]
	v_mov_b32_e32 v2, 0
	v_mov_b32_e32 v1, v0
.LBB103_1184:                           ; =>This Inner Loop Header: Depth=1
	s_load_dwordx8 s[16:23], s[6:7], 0x4
	s_load_dwordx4 s[24:27], s[6:7], 0x24
	s_load_dwordx8 s[8:15], s[2:3], 0x0
	s_add_u32 s6, s6, 48
	s_addc_u32 s7, s7, 0
	s_waitcnt vmcnt(0) lgkmcnt(0)
	v_mul_hi_u32 v3, s17, v1
	s_add_i32 s38, s38, 4
	s_add_u32 s2, s2, 32
	s_addc_u32 s3, s3, 0
	v_add_u32_e32 v3, v1, v3
	v_lshrrev_b32_e32 v3, s18, v3
	v_mul_lo_u32 v5, v3, s16
	v_mul_hi_u32 v7, s20, v3
	s_cmp_lg_u32 s36, s38
	v_sub_u32_e32 v1, v1, v5
	v_add_u32_e32 v5, v3, v7
	v_mul_lo_u32 v7, v1, s8
	v_mul_lo_u32 v8, v1, s9
	v_lshrrev_b32_e32 v1, s21, v5
	v_mul_lo_u32 v5, v1, s19
	v_mul_hi_u32 v10, s23, v1
	v_sub_u32_e32 v3, v3, v5
	v_add_u32_e32 v5, v1, v10
	v_lshrrev_b32_e32 v5, s24, v5
	v_mul_hi_u32 v12, s26, v5
	v_mul_lo_u32 v14, v5, s22
	v_mul_lo_u32 v10, v3, s10
	;; [unrolled: 1-line block ×3, first 2 shown]
	v_sub_u32_e32 v14, v1, v14
	v_add_u32_e32 v1, v5, v12
	v_lshrrev_b32_e32 v1, s27, v1
	v_mul_lo_u32 v12, v1, s25
	v_mul_lo_u32 v16, v14, s12
	;; [unrolled: 1-line block ×3, first 2 shown]
	v_add3_u32 v2, v7, v2, v10
	v_sub_u32_e32 v5, v5, v12
	v_mul_lo_u32 v12, v5, s14
	v_mul_lo_u32 v5, v5, s15
	v_add3_u32 v3, v8, v9, v3
	v_add3_u32 v2, v16, v2, v12
	;; [unrolled: 1-line block ×3, first 2 shown]
	s_cbranch_scc1 .LBB103_1184
; %bb.1185:
	s_and_b32 s8, s37, 3
	s_cmp_eq_u32 s8, 0
	s_cbranch_scc0 .LBB103_1189
	s_branch .LBB103_1191
.LBB103_1186:
                                        ; implicit-def: $vgpr2
                                        ; implicit-def: $vgpr9
	s_branch .LBB103_1192
.LBB103_1187:
	v_mov_b32_e32 v2, 0
	v_mov_b32_e32 v9, 0
	s_branch .LBB103_1191
.LBB103_1188:
	v_mov_b32_e32 v2, 0
	v_mov_b32_e32 v9, 0
	v_mov_b32_e32 v1, v0
	s_and_b32 s8, s37, 3
	s_cmp_eq_u32 s8, 0
	s_cbranch_scc1 .LBB103_1191
.LBB103_1189:
	s_lshl_b32 s2, s36, 3
	s_add_u32 s2, s34, s2
	s_addc_u32 s3, s35, 0
	s_add_u32 s2, s2, 0xc4
	s_addc_u32 s3, s3, 0
	s_mul_i32 s6, s36, 12
	s_add_u32 s6, s34, s6
	s_addc_u32 s7, s35, 0
.LBB103_1190:                           ; =>This Inner Loop Header: Depth=1
	s_load_dwordx2 s[10:11], s[6:7], 0x4
	s_load_dword s9, s[6:7], 0xc
	s_load_dwordx2 s[12:13], s[2:3], 0x0
	s_add_u32 s6, s6, 12
	s_addc_u32 s7, s7, 0
	s_waitcnt vmcnt(0) lgkmcnt(0)
	v_mul_hi_u32 v3, s11, v1
	s_add_u32 s2, s2, 8
	s_addc_u32 s3, s3, 0
	s_add_i32 s8, s8, -1
	v_add_u32_e32 v3, v1, v3
	v_lshrrev_b32_e32 v5, s9, v3
	v_mul_lo_u32 v3, v5, s10
	s_cmp_lg_u32 s8, 0
	v_sub_u32_e32 v1, v1, v3
	v_mad_u64_u32 v[2:3], s[10:11], v1, s12, v[2:3]
	v_mad_u64_u32 v[9:10], s[10:11], v1, s13, v[9:10]
	v_mov_b32_e32 v1, v5
	s_cbranch_scc1 .LBB103_1190
.LBB103_1191:
	s_cbranch_execnz .LBB103_1194
.LBB103_1192:
	s_load_dwordx4 s[8:11], s[34:35], 0x4
	s_load_dwordx2 s[2:3], s[34:35], 0xc4
	s_cmp_lt_u32 s33, 2
	s_waitcnt lgkmcnt(0)
	v_mul_hi_u32 v1, s9, v0
	v_add_u32_e32 v1, v0, v1
	v_lshrrev_b32_e32 v1, s10, v1
	v_mul_lo_u32 v2, v1, s8
	v_sub_u32_e32 v0, v0, v2
	v_mul_lo_u32 v2, v0, s2
	v_mul_lo_u32 v9, v0, s3
	s_cbranch_scc1 .LBB103_1194
; %bb.1193:
	s_load_dwordx4 s[8:11], s[34:35], 0x10
	s_load_dwordx2 s[2:3], s[34:35], 0xcc
	s_waitcnt lgkmcnt(0)
	v_mul_hi_u32 v0, s9, v1
	v_add_u32_e32 v0, v1, v0
	v_lshrrev_b32_e32 v0, s10, v0
	v_mul_lo_u32 v0, v0, s8
	v_sub_u32_e32 v0, v1, v0
	s_waitcnt vmcnt(0)
	v_mad_u64_u32 v[2:3], s[6:7], v0, s2, v[2:3]
	v_mad_u64_u32 v[9:10], s[2:3], v0, s3, v[9:10]
.LBB103_1194:
	s_and_b64 vcc, exec, s[0:1]
	s_cbranch_vccnz .LBB103_1200
; %bb.1195:
	s_cmp_lg_u32 s33, 0
	s_mov_b32 s26, 0
	s_cbranch_scc0 .LBB103_1201
; %bb.1196:
	s_min_u32 s27, s74, 15
	s_add_i32 s27, s27, 1
	s_cmp_eq_u32 s74, 2
	s_cbranch_scc1 .LBB103_1202
; %bb.1197:
	s_and_b32 s26, s27, 28
	s_add_u32 s6, s34, 0xc4
	s_addc_u32 s7, s35, 0
	v_mov_b32_e32 v7, 0
	s_mov_b32 s36, 0
	s_mov_b64 s[24:25], s[34:35]
	v_mov_b32_e32 v0, 0
	v_mov_b32_e32 v1, v15
.LBB103_1198:                           ; =>This Inner Loop Header: Depth=1
	s_load_dwordx8 s[16:23], s[24:25], 0x4
	s_load_dwordx4 s[0:3], s[24:25], 0x24
	s_load_dwordx8 s[8:15], s[6:7], 0x0
	s_add_u32 s24, s24, 48
	s_addc_u32 s25, s25, 0
	s_waitcnt vmcnt(0) lgkmcnt(0)
	v_mul_hi_u32 v3, s17, v1
	s_add_i32 s36, s36, 4
	s_add_u32 s6, s6, 32
	s_addc_u32 s7, s7, 0
	v_add_u32_e32 v3, v1, v3
	v_lshrrev_b32_e32 v3, s18, v3
	v_mul_lo_u32 v5, v3, s16
	v_mul_hi_u32 v8, s20, v3
	s_cmp_lg_u32 s26, s36
	v_sub_u32_e32 v1, v1, v5
	v_add_u32_e32 v5, v3, v8
	v_mul_lo_u32 v8, v1, s8
	v_mul_lo_u32 v10, v1, s9
	v_lshrrev_b32_e32 v1, s21, v5
	v_mul_lo_u32 v5, v1, s19
	v_mul_hi_u32 v12, s23, v1
	v_sub_u32_e32 v3, v3, v5
	v_add_u32_e32 v5, v1, v12
	v_lshrrev_b32_e32 v5, s0, v5
	v_mul_hi_u32 v14, s2, v5
	v_mul_lo_u32 v16, v5, s22
	v_mul_lo_u32 v12, v3, s10
	;; [unrolled: 1-line block ×3, first 2 shown]
	v_sub_u32_e32 v16, v1, v16
	v_add_u32_e32 v1, v5, v14
	v_lshrrev_b32_e32 v1, s3, v1
	v_mul_lo_u32 v14, v1, s1
	v_mul_lo_u32 v17, v16, s12
	;; [unrolled: 1-line block ×3, first 2 shown]
	v_add3_u32 v0, v8, v0, v12
	v_sub_u32_e32 v5, v5, v14
	v_mul_lo_u32 v14, v5, s14
	v_mul_lo_u32 v5, v5, s15
	v_add3_u32 v3, v10, v7, v3
	v_add3_u32 v0, v17, v0, v14
	;; [unrolled: 1-line block ×3, first 2 shown]
	s_cbranch_scc1 .LBB103_1198
; %bb.1199:
	s_and_b32 s6, s27, 3
	s_cmp_eq_u32 s6, 0
	s_cbranch_scc0 .LBB103_1203
	s_branch .LBB103_1205
.LBB103_1200:
                                        ; implicit-def: $vgpr0
                                        ; implicit-def: $vgpr7
	s_branch .LBB103_1206
.LBB103_1201:
	v_mov_b32_e32 v0, 0
	v_mov_b32_e32 v7, 0
	s_branch .LBB103_1205
.LBB103_1202:
	v_mov_b32_e32 v0, 0
	v_mov_b32_e32 v7, 0
	;; [unrolled: 1-line block ×3, first 2 shown]
	s_and_b32 s6, s27, 3
	s_cmp_eq_u32 s6, 0
	s_cbranch_scc1 .LBB103_1205
.LBB103_1203:
	s_lshl_b32 s0, s26, 3
	s_add_u32 s0, s34, s0
	s_addc_u32 s1, s35, 0
	s_add_u32 s0, s0, 0xc4
	s_addc_u32 s1, s1, 0
	s_mul_i32 s2, s26, 12
	s_add_u32 s2, s34, s2
	s_addc_u32 s3, s35, 0
.LBB103_1204:                           ; =>This Inner Loop Header: Depth=1
	s_load_dwordx2 s[8:9], s[2:3], 0x4
	s_load_dword s7, s[2:3], 0xc
	s_load_dwordx2 s[10:11], s[0:1], 0x0
	s_add_u32 s2, s2, 12
	s_addc_u32 s3, s3, 0
	s_waitcnt vmcnt(0) lgkmcnt(0)
	v_mul_hi_u32 v3, s9, v1
	s_add_u32 s0, s0, 8
	s_addc_u32 s1, s1, 0
	s_add_i32 s6, s6, -1
	v_add_u32_e32 v3, v1, v3
	v_lshrrev_b32_e32 v3, s7, v3
	v_mul_lo_u32 v5, v3, s8
	s_cmp_lg_u32 s6, 0
	v_sub_u32_e32 v5, v1, v5
	v_mad_u64_u32 v[0:1], s[8:9], v5, s10, v[0:1]
	v_mad_u64_u32 v[7:8], s[8:9], v5, s11, v[7:8]
	v_mov_b32_e32 v1, v3
	s_cbranch_scc1 .LBB103_1204
.LBB103_1205:
	s_cbranch_execnz .LBB103_1208
.LBB103_1206:
	s_load_dwordx4 s[0:3], s[34:35], 0x4
	s_load_dwordx2 s[6:7], s[34:35], 0xc4
	s_cmp_lt_u32 s33, 2
	s_waitcnt lgkmcnt(0)
	v_mul_hi_u32 v0, s1, v15
	v_add_u32_e32 v0, v15, v0
	v_lshrrev_b32_e32 v1, s2, v0
	v_mul_lo_u32 v0, v1, s0
	s_waitcnt vmcnt(0)
	v_sub_u32_e32 v3, v15, v0
	v_mul_lo_u32 v0, v3, s6
	v_mul_lo_u32 v7, v3, s7
	s_cbranch_scc1 .LBB103_1208
; %bb.1207:
	s_load_dwordx4 s[0:3], s[34:35], 0x10
	s_load_dwordx2 s[6:7], s[34:35], 0xcc
	s_waitcnt lgkmcnt(0)
	v_mul_hi_u32 v3, s1, v1
	v_add_u32_e32 v3, v1, v3
	v_lshrrev_b32_e32 v3, s2, v3
	v_mul_lo_u32 v3, v3, s0
	v_sub_u32_e32 v3, v1, v3
	v_mad_u64_u32 v[0:1], s[0:1], v3, s6, v[0:1]
	v_mad_u64_u32 v[7:8], s[0:1], v3, s7, v[7:8]
.LBB103_1208:
	s_load_dwordx4 s[8:11], s[34:35], 0x148
	s_load_dword s16, s[4:5], 0x168
	s_waitcnt lgkmcnt(0)
	v_mov_b32_e32 v1, s11
	s_bfe_u32 s14, s16, 0x80008
	v_add_co_u32_e32 v12, vcc, s10, v13
	s_cmp_lt_i32 s14, 11
	v_addc_co_u32_e32 v13, vcc, 0, v1, vcc
	s_cbranch_scc1 .LBB103_1215
; %bb.1209:
	s_and_b32 s15, 0xffff, s14
	s_cmp_gt_i32 s15, 25
	s_mov_b64 s[4:5], 0
	s_cbranch_scc0 .LBB103_1217
; %bb.1210:
	s_cmp_gt_i32 s15, 28
	s_cbranch_scc0 .LBB103_1218
; %bb.1211:
	s_cmp_gt_i32 s15, 43
	;; [unrolled: 3-line block ×3, first 2 shown]
	s_cbranch_scc0 .LBB103_1220
; %bb.1213:
	s_cmp_eq_u32 s15, 46
	s_mov_b64 s[2:3], 0
	s_cbranch_scc0 .LBB103_1223
; %bb.1214:
	global_load_dword v1, v[12:13], off
	s_mov_b64 s[0:1], 0
	s_mov_b64 s[6:7], -1
	s_waitcnt vmcnt(0)
	v_lshlrev_b32_e32 v1, 16, v1
	s_branch .LBB103_1224
.LBB103_1215:
	s_mov_b64 s[6:7], 0
                                        ; implicit-def: $vgpr1
	s_mov_b64 s[2:3], s[28:29]
	s_cbranch_execnz .LBB103_1287
.LBB103_1216:
	s_andn2_b64 vcc, exec, s[6:7]
	s_cbranch_vccz .LBB103_1332
	s_branch .LBB103_1771
.LBB103_1217:
	s_mov_b64 s[6:7], 0
	s_mov_b64 s[0:1], 0
                                        ; implicit-def: $vgpr1
	s_cbranch_execnz .LBB103_1252
	s_branch .LBB103_1283
.LBB103_1218:
	s_mov_b64 s[2:3], -1
	s_mov_b64 s[6:7], 0
	s_mov_b64 s[0:1], 0
                                        ; implicit-def: $vgpr1
	s_branch .LBB103_1233
.LBB103_1219:
	s_mov_b64 s[6:7], 0
	s_mov_b64 s[0:1], 0
                                        ; implicit-def: $vgpr1
	s_cbranch_execnz .LBB103_1229
	s_branch .LBB103_1232
.LBB103_1220:
	s_mov_b64 s[2:3], -1
	s_mov_b64 s[6:7], 0
	s_mov_b64 s[0:1], 0
                                        ; implicit-def: $vgpr1
	s_branch .LBB103_1224
.LBB103_1221:
	s_andn2_saveexec_b64 s[16:17], s[16:17]
	s_cbranch_execz .LBB103_1063
.LBB103_1222:
	v_add_f32_e32 v0, 0x46000000, v3
	v_and_b32_e32 v0, 0xff, v0
	v_cmp_ne_u32_e32 vcc, 0, v0
	s_andn2_b64 s[14:15], s[14:15], exec
	s_and_b64 s[18:19], vcc, exec
	s_or_b64 s[14:15], s[14:15], s[18:19]
	s_or_b64 exec, exec, s[16:17]
	v_mov_b32_e32 v4, 0
	s_and_saveexec_b64 s[16:17], s[14:15]
	s_cbranch_execnz .LBB103_1064
	s_branch .LBB103_1065
.LBB103_1223:
	s_mov_b64 s[0:1], -1
                                        ; implicit-def: $vgpr1
	s_mov_b64 s[6:7], 0
.LBB103_1224:
	s_and_b64 vcc, exec, s[2:3]
	s_cbranch_vccz .LBB103_1227
; %bb.1225:
	s_cmp_eq_u32 s15, 44
	s_cbranch_scc0 .LBB103_1228
; %bb.1226:
	global_load_ubyte v1, v[12:13], off
	s_movk_i32 s2, 0xff
	s_waitcnt vmcnt(1)
	v_mov_b32_e32 v3, 0x7f800001
	v_mov_b32_e32 v5, 0x400000
	s_mov_b64 s[0:1], 0
	s_mov_b64 s[6:7], -1
	s_waitcnt vmcnt(0)
	v_lshlrev_b32_e32 v8, 23, v1
	v_cmp_ne_u32_e32 vcc, s2, v1
	v_cndmask_b32_e32 v3, v3, v8, vcc
	v_cmp_ne_u32_e32 vcc, 0, v1
	v_cndmask_b32_e32 v1, v5, v3, vcc
.LBB103_1227:
	s_branch .LBB103_1232
.LBB103_1228:
	s_mov_b64 s[0:1], -1
                                        ; implicit-def: $vgpr1
	s_branch .LBB103_1232
.LBB103_1229:
	s_cmp_eq_u32 s15, 29
	s_cbranch_scc0 .LBB103_1231
; %bb.1230:
	global_load_dwordx2 v[14:15], v[12:13], off
	s_mov_b64 s[0:1], 0
	s_mov_b64 s[6:7], -1
	s_mov_b64 s[2:3], 0
	s_waitcnt vmcnt(0)
	v_ffbh_u32_e32 v1, v15
	v_min_u32_e32 v1, 32, v1
	v_lshlrev_b64 v[14:15], v1, v[14:15]
	v_sub_u32_e32 v1, 32, v1
	v_min_u32_e32 v3, 1, v14
	v_or_b32_e32 v3, v15, v3
	v_cvt_f32_u32_e32 v3, v3
	v_ldexp_f32 v1, v3, v1
	s_branch .LBB103_1233
.LBB103_1231:
	s_mov_b64 s[0:1], -1
                                        ; implicit-def: $vgpr1
.LBB103_1232:
	s_mov_b64 s[2:3], 0
.LBB103_1233:
	s_and_b64 vcc, exec, s[2:3]
	s_cbranch_vccz .LBB103_1251
; %bb.1234:
	s_cmp_lt_i32 s15, 27
	s_cbranch_scc1 .LBB103_1237
; %bb.1235:
	s_cmp_gt_i32 s15, 27
	s_cbranch_scc0 .LBB103_1238
; %bb.1236:
	global_load_dword v1, v[12:13], off
	s_mov_b64 s[2:3], 0
	s_waitcnt vmcnt(0)
	v_cvt_f32_u32_e32 v1, v1
	s_branch .LBB103_1239
.LBB103_1237:
	s_mov_b64 s[2:3], -1
                                        ; implicit-def: $vgpr1
	s_branch .LBB103_1242
.LBB103_1238:
	s_mov_b64 s[2:3], -1
                                        ; implicit-def: $vgpr1
.LBB103_1239:
	s_andn2_b64 vcc, exec, s[2:3]
	s_cbranch_vccnz .LBB103_1241
; %bb.1240:
	global_load_ushort v1, v[12:13], off
	s_waitcnt vmcnt(0)
	v_cvt_f32_u32_e32 v1, v1
.LBB103_1241:
	s_mov_b64 s[2:3], 0
.LBB103_1242:
	s_andn2_b64 vcc, exec, s[2:3]
	s_cbranch_vccnz .LBB103_1250
; %bb.1243:
	global_load_ubyte v3, v[12:13], off
	s_movk_i32 s2, 0x7f
	s_waitcnt vmcnt(0)
	v_cmp_lt_i16_e32 vcc, s2, v3
	s_mov_b64 s[2:3], 0
	s_and_saveexec_b64 s[6:7], vcc
	s_xor_b64 s[6:7], exec, s[6:7]
	s_cbranch_execz .LBB103_1263
; %bb.1244:
	s_movk_i32 s2, 0x80
	v_cmp_eq_u16_e32 vcc, s2, v3
	s_mov_b64 s[2:3], -1
	s_and_saveexec_b64 s[12:13], vcc
; %bb.1245:
	s_xor_b64 s[2:3], exec, -1
; %bb.1246:
	s_or_b64 exec, exec, s[12:13]
	s_and_b64 s[2:3], s[2:3], exec
	s_or_saveexec_b64 s[6:7], s[6:7]
	v_mov_b32_e32 v1, 0x7f800001
	s_xor_b64 exec, exec, s[6:7]
	s_cbranch_execnz .LBB103_1264
.LBB103_1247:
	s_or_b64 exec, exec, s[6:7]
	s_and_saveexec_b64 s[6:7], s[2:3]
	s_cbranch_execz .LBB103_1249
.LBB103_1248:
	v_lshlrev_b32_e32 v1, 24, v3
	v_and_b32_e32 v3, 0xffff, v3
	v_and_b32_e32 v5, 7, v3
	v_ffbh_u32_e32 v10, v5
	v_min_u32_e32 v10, 32, v10
	v_subrev_u32_e32 v14, 28, v10
	v_bfe_u32 v8, v3, 3, 4
	v_lshlrev_b32_e32 v3, v14, v3
	v_sub_u32_e32 v10, 29, v10
	v_and_b32_e32 v3, 7, v3
	v_cmp_eq_u32_e32 vcc, 0, v8
	v_cndmask_b32_e32 v8, v8, v10, vcc
	v_cndmask_b32_e32 v3, v5, v3, vcc
	v_mov_b32_e32 v5, 0x3b800000
	v_lshlrev_b32_e32 v3, 20, v3
	v_and_b32_e32 v1, 0x80000000, v1
	v_lshl_add_u32 v5, v8, 23, v5
	v_or3_b32 v1, v1, v5, v3
.LBB103_1249:
	s_or_b64 exec, exec, s[6:7]
.LBB103_1250:
	s_mov_b64 s[6:7], -1
.LBB103_1251:
	s_branch .LBB103_1283
.LBB103_1252:
	s_cmp_gt_i32 s15, 22
	s_cbranch_scc0 .LBB103_1262
; %bb.1253:
	s_cmp_lt_i32 s15, 24
	s_cbranch_scc1 .LBB103_1265
; %bb.1254:
	s_cmp_gt_i32 s15, 24
	s_cbranch_scc0 .LBB103_1266
; %bb.1255:
	global_load_ubyte v3, v[12:13], off
	s_movk_i32 s2, 0x7f
	s_waitcnt vmcnt(0)
	v_cmp_lt_i16_e32 vcc, s2, v3
	s_mov_b64 s[2:3], 0
	s_and_saveexec_b64 s[4:5], vcc
	s_xor_b64 s[4:5], exec, s[4:5]
	s_cbranch_execz .LBB103_1277
; %bb.1256:
	s_movk_i32 s2, 0x80
	v_cmp_eq_u16_e32 vcc, s2, v3
	s_mov_b64 s[2:3], -1
	s_and_saveexec_b64 s[6:7], vcc
; %bb.1257:
	s_xor_b64 s[2:3], exec, -1
; %bb.1258:
	s_or_b64 exec, exec, s[6:7]
	s_and_b64 s[2:3], s[2:3], exec
	s_or_saveexec_b64 s[4:5], s[4:5]
	v_mov_b32_e32 v1, 0x7f800001
	s_xor_b64 exec, exec, s[4:5]
	s_cbranch_execnz .LBB103_1278
.LBB103_1259:
	s_or_b64 exec, exec, s[4:5]
	s_and_saveexec_b64 s[4:5], s[2:3]
	s_cbranch_execz .LBB103_1261
.LBB103_1260:
	v_lshlrev_b32_e32 v1, 24, v3
	v_and_b32_e32 v3, 0xffff, v3
	v_and_b32_e32 v5, 3, v3
	v_ffbh_u32_e32 v10, v5
	v_min_u32_e32 v10, 32, v10
	v_subrev_u32_e32 v14, 29, v10
	v_bfe_u32 v8, v3, 2, 5
	v_lshlrev_b32_e32 v3, v14, v3
	v_sub_u32_e32 v10, 30, v10
	v_and_b32_e32 v3, 3, v3
	v_cmp_eq_u32_e32 vcc, 0, v8
	v_cndmask_b32_e32 v8, v8, v10, vcc
	v_cndmask_b32_e32 v3, v5, v3, vcc
	v_mov_b32_e32 v5, 0x37800000
	v_lshlrev_b32_e32 v3, 21, v3
	v_and_b32_e32 v1, 0x80000000, v1
	v_lshl_add_u32 v5, v8, 23, v5
	v_or3_b32 v1, v1, v5, v3
.LBB103_1261:
	s_or_b64 exec, exec, s[4:5]
	s_mov_b64 s[2:3], 0
	s_branch .LBB103_1267
.LBB103_1262:
                                        ; implicit-def: $vgpr1
	s_mov_b64 s[4:5], 0
	s_branch .LBB103_1273
.LBB103_1263:
	s_or_saveexec_b64 s[6:7], s[6:7]
	v_mov_b32_e32 v1, 0x7f800001
	s_xor_b64 exec, exec, s[6:7]
	s_cbranch_execz .LBB103_1247
.LBB103_1264:
	v_cmp_ne_u16_e32 vcc, 0, v3
	s_andn2_b64 s[2:3], s[2:3], exec
	s_and_b64 s[12:13], vcc, exec
	v_mov_b32_e32 v1, 0
	s_or_b64 s[2:3], s[2:3], s[12:13]
	s_or_b64 exec, exec, s[6:7]
	s_and_saveexec_b64 s[6:7], s[2:3]
	s_cbranch_execnz .LBB103_1248
	s_branch .LBB103_1249
.LBB103_1265:
	s_mov_b64 s[2:3], -1
                                        ; implicit-def: $vgpr1
	s_branch .LBB103_1270
.LBB103_1266:
	s_mov_b64 s[2:3], -1
                                        ; implicit-def: $vgpr1
.LBB103_1267:
	s_and_b64 vcc, exec, s[2:3]
	s_cbranch_vccz .LBB103_1269
; %bb.1268:
	global_load_ubyte v1, v[12:13], off
	s_mov_b32 s2, 0x7f800000
	s_waitcnt vmcnt(0)
	v_lshlrev_b32_e32 v1, 24, v1
	v_and_b32_e32 v3, 0x7f000000, v1
	v_ffbh_u32_e32 v5, v3
	v_min_u32_e32 v5, 32, v5
	v_sub_u32_e64 v5, v5, 4 clamp
	v_lshlrev_b32_e32 v10, v5, v3
	v_lshlrev_b32_e32 v5, 23, v5
	v_lshrrev_b32_e32 v10, 4, v10
	v_add_u32_e32 v8, 0x1000000, v3
	v_sub_u32_e32 v5, v10, v5
	v_ashrrev_i32_e32 v8, 8, v8
	v_add_u32_e32 v5, 0x3c000000, v5
	v_and_or_b32 v5, v8, s2, v5
	v_cmp_ne_u32_e32 vcc, 0, v3
	v_cndmask_b32_e32 v3, 0, v5, vcc
	s_brev_b32 s2, 1
	v_and_or_b32 v1, v1, s2, v3
.LBB103_1269:
	s_mov_b64 s[2:3], 0
.LBB103_1270:
	s_andn2_b64 vcc, exec, s[2:3]
	s_cbranch_vccnz .LBB103_1272
; %bb.1271:
	global_load_ubyte v1, v[12:13], off
	s_movk_i32 s2, 0x7f00
	s_brev_b32 s3, 16
	s_waitcnt vmcnt(0)
	v_lshlrev_b16_e32 v3, 8, v1
	v_lshlrev_b32_e32 v1, 25, v1
	v_lshrrev_b32_e32 v5, 4, v1
	v_and_or_b32 v8, v3, s2, 0.5
	v_or_b32_e32 v5, 0x70000000, v5
	v_add_f32_e32 v8, -0.5, v8
	v_mul_f32_e32 v5, 0x7800000, v5
	v_cmp_gt_u32_e32 vcc, s3, v1
	v_bfe_i32 v3, v3, 0, 16
	v_cndmask_b32_e32 v1, v5, v8, vcc
	s_brev_b32 s2, 1
	v_and_or_b32 v1, v3, s2, v1
.LBB103_1272:
	s_mov_b64 s[6:7], -1
	s_mov_b64 s[4:5], 0
	s_cbranch_execnz .LBB103_1283
.LBB103_1273:
	s_cmp_gt_i32 s15, 14
	s_cbranch_scc0 .LBB103_1276
; %bb.1274:
	s_cmp_eq_u32 s15, 15
	s_cbranch_scc0 .LBB103_1279
; %bb.1275:
	global_load_ushort v1, v[12:13], off
	s_mov_b64 s[0:1], 0
	s_mov_b64 s[6:7], -1
	s_waitcnt vmcnt(0)
	v_lshlrev_b32_e32 v1, 16, v1
	s_branch .LBB103_1280
.LBB103_1276:
	s_mov_b64 s[2:3], -1
                                        ; implicit-def: $vgpr1
	s_branch .LBB103_1281
.LBB103_1277:
	s_or_saveexec_b64 s[4:5], s[4:5]
	v_mov_b32_e32 v1, 0x7f800001
	s_xor_b64 exec, exec, s[4:5]
	s_cbranch_execz .LBB103_1259
.LBB103_1278:
	v_cmp_ne_u16_e32 vcc, 0, v3
	s_andn2_b64 s[2:3], s[2:3], exec
	s_and_b64 s[6:7], vcc, exec
	v_mov_b32_e32 v1, 0
	s_or_b64 s[2:3], s[2:3], s[6:7]
	s_or_b64 exec, exec, s[4:5]
	s_and_saveexec_b64 s[4:5], s[2:3]
	s_cbranch_execnz .LBB103_1260
	s_branch .LBB103_1261
.LBB103_1279:
	s_mov_b64 s[0:1], -1
                                        ; implicit-def: $vgpr1
.LBB103_1280:
	s_mov_b64 s[2:3], 0
.LBB103_1281:
	s_and_b64 vcc, exec, s[2:3]
	s_cbranch_vccz .LBB103_1283
; %bb.1282:
	s_cmp_lg_u32 s15, 11
	s_mov_b64 s[4:5], -1
	s_cselect_b64 s[0:1], -1, 0
.LBB103_1283:
	s_and_b64 vcc, exec, s[0:1]
	s_mov_b64 s[2:3], s[28:29]
	s_cbranch_vccnz .LBB103_1359
; %bb.1284:
	s_andn2_b64 vcc, exec, s[4:5]
	s_cbranch_vccnz .LBB103_1286
.LBB103_1285:
	global_load_ubyte v1, v[12:13], off
	s_mov_b64 s[6:7], -1
	s_waitcnt vmcnt(0)
	v_cmp_ne_u16_e32 vcc, 0, v1
	v_cndmask_b32_e64 v1, 0, 1.0, vcc
.LBB103_1286:
	s_branch .LBB103_1216
.LBB103_1287:
	s_and_b32 s4, 0xffff, s14
	s_cmp_lt_i32 s4, 5
	s_cbranch_scc1 .LBB103_1292
; %bb.1288:
	s_cmp_lt_i32 s4, 8
	s_cbranch_scc1 .LBB103_1293
; %bb.1289:
	;; [unrolled: 3-line block ×3, first 2 shown]
	s_cmp_gt_i32 s4, 9
	s_cbranch_scc0 .LBB103_1295
; %bb.1291:
	global_load_dwordx2 v[14:15], v[12:13], off
	s_mov_b64 s[0:1], 0
	s_waitcnt vmcnt(0)
	v_cvt_f32_f64_e32 v1, v[14:15]
	s_branch .LBB103_1296
.LBB103_1292:
                                        ; implicit-def: $vgpr1
	s_branch .LBB103_1313
.LBB103_1293:
                                        ; implicit-def: $vgpr1
	s_branch .LBB103_1302
.LBB103_1294:
	s_mov_b64 s[0:1], -1
                                        ; implicit-def: $vgpr1
	s_branch .LBB103_1299
.LBB103_1295:
	s_mov_b64 s[0:1], -1
                                        ; implicit-def: $vgpr1
.LBB103_1296:
	s_andn2_b64 vcc, exec, s[0:1]
	s_cbranch_vccnz .LBB103_1298
; %bb.1297:
	global_load_dword v1, v[12:13], off
.LBB103_1298:
	s_mov_b64 s[0:1], 0
.LBB103_1299:
	s_andn2_b64 vcc, exec, s[0:1]
	s_cbranch_vccnz .LBB103_1301
; %bb.1300:
	global_load_dword v1, v[12:13], off
	s_waitcnt vmcnt(0)
	v_cvt_f32_f16_e32 v1, v1
.LBB103_1301:
	s_cbranch_execnz .LBB103_1312
.LBB103_1302:
	s_cmp_lt_i32 s4, 6
	s_cbranch_scc1 .LBB103_1305
; %bb.1303:
	s_cmp_gt_i32 s4, 6
	s_cbranch_scc0 .LBB103_1306
; %bb.1304:
	global_load_dwordx2 v[14:15], v[12:13], off
	s_mov_b64 s[0:1], 0
	s_waitcnt vmcnt(0)
	v_cvt_f32_f64_e32 v1, v[14:15]
	s_branch .LBB103_1307
.LBB103_1305:
	s_mov_b64 s[0:1], -1
                                        ; implicit-def: $vgpr1
	s_branch .LBB103_1310
.LBB103_1306:
	s_mov_b64 s[0:1], -1
                                        ; implicit-def: $vgpr1
.LBB103_1307:
	s_andn2_b64 vcc, exec, s[0:1]
	s_cbranch_vccnz .LBB103_1309
; %bb.1308:
	global_load_dword v1, v[12:13], off
.LBB103_1309:
	s_mov_b64 s[0:1], 0
.LBB103_1310:
	s_andn2_b64 vcc, exec, s[0:1]
	s_cbranch_vccnz .LBB103_1312
; %bb.1311:
	global_load_ushort v1, v[12:13], off
	s_waitcnt vmcnt(0)
	v_cvt_f32_f16_e32 v1, v1
.LBB103_1312:
	s_cbranch_execnz .LBB103_1331
.LBB103_1313:
	s_cmp_lt_i32 s4, 2
	s_cbranch_scc1 .LBB103_1317
; %bb.1314:
	s_cmp_lt_i32 s4, 3
	s_cbranch_scc1 .LBB103_1318
; %bb.1315:
	s_cmp_gt_i32 s4, 3
	s_cbranch_scc0 .LBB103_1319
; %bb.1316:
	global_load_dwordx2 v[14:15], v[12:13], off
	s_mov_b64 s[0:1], 0
	s_waitcnt vmcnt(0)
	v_xor_b32_e32 v3, v14, v15
	v_ffbh_i32_e32 v1, v15
	v_ashrrev_i32_e32 v3, 31, v3
	v_add_u32_e32 v1, -1, v1
	v_add_u32_e32 v3, 32, v3
	v_min_u32_e32 v1, v1, v3
	v_lshlrev_b64 v[14:15], v1, v[14:15]
	v_sub_u32_e32 v1, 32, v1
	v_min_u32_e32 v3, 1, v14
	v_or_b32_e32 v3, v15, v3
	v_cvt_f32_i32_e32 v3, v3
	v_ldexp_f32 v1, v3, v1
	s_branch .LBB103_1320
.LBB103_1317:
                                        ; implicit-def: $vgpr1
	s_branch .LBB103_1326
.LBB103_1318:
	s_mov_b64 s[0:1], -1
                                        ; implicit-def: $vgpr1
	s_branch .LBB103_1323
.LBB103_1319:
	s_mov_b64 s[0:1], -1
                                        ; implicit-def: $vgpr1
.LBB103_1320:
	s_andn2_b64 vcc, exec, s[0:1]
	s_cbranch_vccnz .LBB103_1322
; %bb.1321:
	global_load_dword v1, v[12:13], off
	s_waitcnt vmcnt(0)
	v_cvt_f32_i32_e32 v1, v1
.LBB103_1322:
	s_mov_b64 s[0:1], 0
.LBB103_1323:
	s_andn2_b64 vcc, exec, s[0:1]
	s_cbranch_vccnz .LBB103_1325
; %bb.1324:
	global_load_sshort v1, v[12:13], off
	s_waitcnt vmcnt(0)
	v_cvt_f32_i32_e32 v1, v1
.LBB103_1325:
	s_cbranch_execnz .LBB103_1331
.LBB103_1326:
	s_cmp_gt_i32 s4, 0
	s_cbranch_scc0 .LBB103_1328
; %bb.1327:
	global_load_sbyte v1, v[12:13], off
	s_mov_b64 s[0:1], 0
	s_waitcnt vmcnt(0)
	v_cvt_f32_i32_e32 v1, v1
	s_branch .LBB103_1329
.LBB103_1328:
	s_mov_b64 s[0:1], -1
                                        ; implicit-def: $vgpr1
.LBB103_1329:
	s_andn2_b64 vcc, exec, s[0:1]
	s_cbranch_vccnz .LBB103_1331
; %bb.1330:
	global_load_ubyte v1, v[12:13], off
	s_waitcnt vmcnt(0)
	v_cvt_f32_ubyte0_e32 v1, v1
.LBB103_1331:
.LBB103_1332:
	s_load_dwordx2 s[0:1], s[34:35], 0x158
	s_mov_b64 s[6:7], 0
	s_waitcnt lgkmcnt(0)
	s_cmp_lt_i32 s0, 1
	s_cbranch_scc1 .LBB103_1336
; %bb.1333:
	s_cmp_gt_i32 s0, 1
	s_cbranch_scc0 .LBB103_1337
; %bb.1334:
	s_cmp_eq_u32 s0, 2
	s_cbranch_scc0 .LBB103_1338
; %bb.1335:
	s_waitcnt vmcnt(0)
	v_cmp_ge_f32_e64 s[4:5], s1, v1
	s_mov_b64 s[12:13], 0
	s_branch .LBB103_1339
.LBB103_1336:
                                        ; implicit-def: $sgpr4_sgpr5
	s_mov_b64 s[12:13], 0
	s_cbranch_execnz .LBB103_1342
	s_branch .LBB103_1343
.LBB103_1337:
	s_mov_b64 s[12:13], 0
                                        ; implicit-def: $sgpr4_sgpr5
	s_cbranch_execnz .LBB103_1340
	s_branch .LBB103_1341
.LBB103_1338:
	s_mov_b64 s[12:13], -1
                                        ; implicit-def: $sgpr4_sgpr5
.LBB103_1339:
	s_branch .LBB103_1341
.LBB103_1340:
	s_waitcnt vmcnt(0)
	v_cmp_lt_f32_e32 vcc, s1, v1
	s_andn2_b64 s[4:5], s[4:5], exec
	s_and_b64 s[14:15], vcc, exec
	s_or_b64 s[4:5], s[4:5], s[14:15]
.LBB103_1341:
	s_branch .LBB103_1343
.LBB103_1342:
	s_cmp_lg_u32 s0, 0
	s_mov_b64 s[6:7], -1
	s_cselect_b64 s[12:13], -1, 0
.LBB103_1343:
	s_andn2_b64 vcc, exec, s[12:13]
	s_cbranch_vccnz .LBB103_1345
; %bb.1344:
	s_waitcnt vmcnt(0)
	v_cmp_gt_f32_e32 vcc, s1, v1
	s_andn2_b64 s[4:5], s[4:5], exec
	s_and_b64 s[12:13], vcc, exec
	s_or_b64 s[4:5], s[4:5], s[12:13]
	s_cbranch_execz .LBB103_1346
	s_branch .LBB103_1347
.LBB103_1345:
	s_andn2_b64 vcc, exec, s[6:7]
	s_cbranch_vccnz .LBB103_1347
.LBB103_1346:
	s_waitcnt vmcnt(0)
	v_cmp_le_f32_e32 vcc, s1, v1
	s_andn2_b64 s[4:5], s[4:5], exec
	s_and_b64 s[6:7], vcc, exec
	s_or_b64 s[4:5], s[4:5], s[6:7]
.LBB103_1347:
	s_lshr_b32 s6, s16, 8
	s_waitcnt vmcnt(0)
	v_mov_b32_e32 v1, s11
	s_and_b32 s22, s6, 0xff
	v_add_co_u32_e32 v10, vcc, s10, v11
	s_cmp_lt_i32 s22, 11
	v_addc_co_u32_e32 v11, vcc, 0, v1, vcc
	s_cbranch_scc1 .LBB103_1354
; %bb.1348:
	s_and_b32 s20, 0xffff, s22
	s_cmp_gt_i32 s20, 25
	s_mov_b64 s[12:13], 0
	s_cbranch_scc0 .LBB103_1356
; %bb.1349:
	s_cmp_gt_i32 s20, 28
	s_cbranch_scc0 .LBB103_1357
; %bb.1350:
	s_cmp_gt_i32 s20, 43
	;; [unrolled: 3-line block ×3, first 2 shown]
	s_cbranch_scc0 .LBB103_1360
; %bb.1352:
	s_cmp_eq_u32 s20, 46
	s_mov_b64 s[16:17], 0
	s_cbranch_scc0 .LBB103_1363
; %bb.1353:
	global_load_dword v1, v[10:11], off
	s_mov_b64 s[6:7], 0
	s_mov_b64 s[14:15], -1
	s_waitcnt vmcnt(0)
	v_lshlrev_b32_e32 v1, 16, v1
	s_branch .LBB103_1364
.LBB103_1354:
	s_mov_b64 s[14:15], 0
                                        ; implicit-def: $vgpr1
	s_cbranch_execnz .LBB103_1429
.LBB103_1355:
	s_andn2_b64 vcc, exec, s[14:15]
	s_cbranch_vccnz .LBB103_1771
	s_branch .LBB103_1476
.LBB103_1356:
	s_mov_b64 s[14:15], 0
	s_mov_b64 s[6:7], 0
                                        ; implicit-def: $vgpr1
	s_cbranch_execnz .LBB103_1393
	s_branch .LBB103_1425
.LBB103_1357:
	s_mov_b64 s[16:17], -1
	s_mov_b64 s[14:15], 0
	s_mov_b64 s[6:7], 0
                                        ; implicit-def: $vgpr1
	s_branch .LBB103_1374
.LBB103_1358:
	s_mov_b64 s[16:17], -1
	s_mov_b64 s[14:15], 0
	s_mov_b64 s[6:7], 0
                                        ; implicit-def: $vgpr1
	s_branch .LBB103_1369
.LBB103_1359:
	s_or_b64 s[2:3], s[28:29], exec
	s_trap 2
	s_cbranch_execz .LBB103_1285
	s_branch .LBB103_1286
.LBB103_1360:
	s_mov_b64 s[16:17], -1
	s_mov_b64 s[14:15], 0
	s_mov_b64 s[6:7], 0
                                        ; implicit-def: $vgpr1
	s_branch .LBB103_1364
.LBB103_1361:
	s_andn2_saveexec_b64 s[18:19], s[18:19]
	s_cbranch_execz .LBB103_1075
.LBB103_1362:
	v_add_f32_e32 v0, 0x42800000, v3
	v_and_b32_e32 v0, 0xff, v0
	v_cmp_ne_u32_e32 vcc, 0, v0
	s_andn2_b64 s[16:17], s[16:17], exec
	s_and_b64 s[22:23], vcc, exec
	s_or_b64 s[16:17], s[16:17], s[22:23]
	s_or_b64 exec, exec, s[18:19]
	v_mov_b32_e32 v4, 0
	s_and_saveexec_b64 s[18:19], s[16:17]
	s_cbranch_execnz .LBB103_1076
	s_branch .LBB103_1077
.LBB103_1363:
	s_mov_b64 s[6:7], -1
                                        ; implicit-def: $vgpr1
	s_mov_b64 s[14:15], 0
.LBB103_1364:
	s_and_b64 vcc, exec, s[16:17]
	s_cbranch_vccz .LBB103_1368
; %bb.1365:
	s_cmp_eq_u32 s20, 44
	s_cbranch_scc0 .LBB103_1367
; %bb.1366:
	global_load_ubyte v1, v[10:11], off
	s_movk_i32 s14, 0xff
	v_mov_b32_e32 v3, 0x7f800001
	v_mov_b32_e32 v5, 0x400000
	s_mov_b64 s[6:7], 0
	s_waitcnt vmcnt(0)
	v_lshlrev_b32_e32 v8, 23, v1
	v_cmp_ne_u32_e32 vcc, s14, v1
	v_cndmask_b32_e32 v3, v3, v8, vcc
	v_cmp_ne_u32_e32 vcc, 0, v1
	v_cndmask_b32_e32 v1, v5, v3, vcc
	s_mov_b64 s[14:15], -1
	s_branch .LBB103_1368
.LBB103_1367:
	s_mov_b64 s[6:7], -1
                                        ; implicit-def: $vgpr1
.LBB103_1368:
	s_mov_b64 s[16:17], 0
.LBB103_1369:
	s_and_b64 vcc, exec, s[16:17]
	s_cbranch_vccz .LBB103_1373
; %bb.1370:
	s_cmp_eq_u32 s20, 29
	s_cbranch_scc0 .LBB103_1372
; %bb.1371:
	global_load_dwordx2 v[12:13], v[10:11], off
	s_mov_b64 s[6:7], 0
	s_mov_b64 s[14:15], -1
	s_mov_b64 s[16:17], 0
	s_waitcnt vmcnt(0)
	v_ffbh_u32_e32 v1, v13
	v_min_u32_e32 v1, 32, v1
	v_lshlrev_b64 v[12:13], v1, v[12:13]
	v_sub_u32_e32 v1, 32, v1
	v_min_u32_e32 v3, 1, v12
	v_or_b32_e32 v3, v13, v3
	v_cvt_f32_u32_e32 v3, v3
	v_ldexp_f32 v1, v3, v1
	s_branch .LBB103_1374
.LBB103_1372:
	s_mov_b64 s[6:7], -1
                                        ; implicit-def: $vgpr1
.LBB103_1373:
	s_mov_b64 s[16:17], 0
.LBB103_1374:
	s_and_b64 vcc, exec, s[16:17]
	s_cbranch_vccz .LBB103_1392
; %bb.1375:
	s_cmp_lt_i32 s20, 27
	s_cbranch_scc1 .LBB103_1378
; %bb.1376:
	s_cmp_gt_i32 s20, 27
	s_cbranch_scc0 .LBB103_1379
; %bb.1377:
	global_load_dword v1, v[10:11], off
	s_mov_b64 s[14:15], 0
	s_waitcnt vmcnt(0)
	v_cvt_f32_u32_e32 v1, v1
	s_branch .LBB103_1380
.LBB103_1378:
	s_mov_b64 s[14:15], -1
                                        ; implicit-def: $vgpr1
	s_branch .LBB103_1383
.LBB103_1379:
	s_mov_b64 s[14:15], -1
                                        ; implicit-def: $vgpr1
.LBB103_1380:
	s_andn2_b64 vcc, exec, s[14:15]
	s_cbranch_vccnz .LBB103_1382
; %bb.1381:
	global_load_ushort v1, v[10:11], off
	s_waitcnt vmcnt(0)
	v_cvt_f32_u32_e32 v1, v1
.LBB103_1382:
	s_mov_b64 s[14:15], 0
.LBB103_1383:
	s_andn2_b64 vcc, exec, s[14:15]
	s_cbranch_vccnz .LBB103_1391
; %bb.1384:
	global_load_ubyte v3, v[10:11], off
	s_movk_i32 s14, 0x7f
	s_waitcnt vmcnt(0)
	v_cmp_lt_i16_e32 vcc, s14, v3
	s_mov_b64 s[14:15], 0
	s_and_saveexec_b64 s[16:17], vcc
	s_xor_b64 s[16:17], exec, s[16:17]
	s_cbranch_execz .LBB103_1404
; %bb.1385:
	s_movk_i32 s14, 0x80
	v_cmp_eq_u16_e32 vcc, s14, v3
	s_mov_b64 s[14:15], -1
	s_and_saveexec_b64 s[18:19], vcc
; %bb.1386:
	s_xor_b64 s[14:15], exec, -1
; %bb.1387:
	s_or_b64 exec, exec, s[18:19]
	s_and_b64 s[14:15], s[14:15], exec
	s_or_saveexec_b64 s[16:17], s[16:17]
	v_mov_b32_e32 v1, 0x7f800001
	s_xor_b64 exec, exec, s[16:17]
	s_cbranch_execnz .LBB103_1405
.LBB103_1388:
	s_or_b64 exec, exec, s[16:17]
	s_and_saveexec_b64 s[16:17], s[14:15]
	s_cbranch_execz .LBB103_1390
.LBB103_1389:
	v_lshlrev_b32_e32 v1, 24, v3
	v_and_b32_e32 v3, 0xffff, v3
	v_and_b32_e32 v5, 7, v3
	v_ffbh_u32_e32 v12, v5
	v_min_u32_e32 v12, 32, v12
	v_subrev_u32_e32 v13, 28, v12
	v_bfe_u32 v8, v3, 3, 4
	v_lshlrev_b32_e32 v3, v13, v3
	v_sub_u32_e32 v12, 29, v12
	v_and_b32_e32 v3, 7, v3
	v_cmp_eq_u32_e32 vcc, 0, v8
	v_cndmask_b32_e32 v8, v8, v12, vcc
	v_cndmask_b32_e32 v3, v5, v3, vcc
	v_mov_b32_e32 v5, 0x3b800000
	v_lshlrev_b32_e32 v3, 20, v3
	v_and_b32_e32 v1, 0x80000000, v1
	v_lshl_add_u32 v5, v8, 23, v5
	v_or3_b32 v1, v1, v5, v3
.LBB103_1390:
	s_or_b64 exec, exec, s[16:17]
.LBB103_1391:
	s_mov_b64 s[14:15], -1
.LBB103_1392:
	s_branch .LBB103_1425
.LBB103_1393:
	s_cmp_gt_i32 s20, 22
	s_cbranch_scc0 .LBB103_1403
; %bb.1394:
	s_cmp_lt_i32 s20, 24
	s_cbranch_scc1 .LBB103_1406
; %bb.1395:
	s_cmp_gt_i32 s20, 24
	s_cbranch_scc0 .LBB103_1407
; %bb.1396:
	global_load_ubyte v3, v[10:11], off
	s_movk_i32 s12, 0x7f
	s_waitcnt vmcnt(0)
	v_cmp_lt_i16_e32 vcc, s12, v3
	s_mov_b64 s[12:13], 0
	s_and_saveexec_b64 s[14:15], vcc
	s_xor_b64 s[14:15], exec, s[14:15]
	s_cbranch_execz .LBB103_1419
; %bb.1397:
	s_movk_i32 s12, 0x80
	v_cmp_eq_u16_e32 vcc, s12, v3
	s_mov_b64 s[12:13], -1
	s_and_saveexec_b64 s[16:17], vcc
; %bb.1398:
	s_xor_b64 s[12:13], exec, -1
; %bb.1399:
	s_or_b64 exec, exec, s[16:17]
	s_and_b64 s[12:13], s[12:13], exec
	s_or_saveexec_b64 s[14:15], s[14:15]
	v_mov_b32_e32 v1, 0x7f800001
	s_xor_b64 exec, exec, s[14:15]
	s_cbranch_execnz .LBB103_1420
.LBB103_1400:
	s_or_b64 exec, exec, s[14:15]
	s_and_saveexec_b64 s[14:15], s[12:13]
	s_cbranch_execz .LBB103_1402
.LBB103_1401:
	v_lshlrev_b32_e32 v1, 24, v3
	v_and_b32_e32 v3, 0xffff, v3
	v_and_b32_e32 v5, 3, v3
	v_ffbh_u32_e32 v12, v5
	v_min_u32_e32 v12, 32, v12
	v_subrev_u32_e32 v13, 29, v12
	v_bfe_u32 v8, v3, 2, 5
	v_lshlrev_b32_e32 v3, v13, v3
	v_sub_u32_e32 v12, 30, v12
	v_and_b32_e32 v3, 3, v3
	v_cmp_eq_u32_e32 vcc, 0, v8
	v_cndmask_b32_e32 v8, v8, v12, vcc
	v_cndmask_b32_e32 v3, v5, v3, vcc
	v_mov_b32_e32 v5, 0x37800000
	v_lshlrev_b32_e32 v3, 21, v3
	v_and_b32_e32 v1, 0x80000000, v1
	v_lshl_add_u32 v5, v8, 23, v5
	v_or3_b32 v1, v1, v5, v3
.LBB103_1402:
	s_or_b64 exec, exec, s[14:15]
	s_mov_b64 s[12:13], 0
	s_branch .LBB103_1408
.LBB103_1403:
	s_mov_b64 s[12:13], -1
                                        ; implicit-def: $vgpr1
	s_branch .LBB103_1414
.LBB103_1404:
	s_or_saveexec_b64 s[16:17], s[16:17]
	v_mov_b32_e32 v1, 0x7f800001
	s_xor_b64 exec, exec, s[16:17]
	s_cbranch_execz .LBB103_1388
.LBB103_1405:
	v_cmp_ne_u16_e32 vcc, 0, v3
	s_andn2_b64 s[14:15], s[14:15], exec
	s_and_b64 s[18:19], vcc, exec
	v_mov_b32_e32 v1, 0
	s_or_b64 s[14:15], s[14:15], s[18:19]
	s_or_b64 exec, exec, s[16:17]
	s_and_saveexec_b64 s[16:17], s[14:15]
	s_cbranch_execnz .LBB103_1389
	s_branch .LBB103_1390
.LBB103_1406:
	s_mov_b64 s[12:13], -1
                                        ; implicit-def: $vgpr1
	s_branch .LBB103_1411
.LBB103_1407:
	s_mov_b64 s[12:13], -1
                                        ; implicit-def: $vgpr1
.LBB103_1408:
	s_and_b64 vcc, exec, s[12:13]
	s_cbranch_vccz .LBB103_1410
; %bb.1409:
	global_load_ubyte v1, v[10:11], off
	s_mov_b32 s12, 0x7f800000
	s_waitcnt vmcnt(0)
	v_lshlrev_b32_e32 v1, 24, v1
	v_and_b32_e32 v3, 0x7f000000, v1
	v_ffbh_u32_e32 v5, v3
	v_min_u32_e32 v5, 32, v5
	v_sub_u32_e64 v5, v5, 4 clamp
	v_lshlrev_b32_e32 v12, v5, v3
	v_lshlrev_b32_e32 v5, 23, v5
	v_lshrrev_b32_e32 v12, 4, v12
	v_add_u32_e32 v8, 0x1000000, v3
	v_sub_u32_e32 v5, v12, v5
	v_ashrrev_i32_e32 v8, 8, v8
	v_add_u32_e32 v5, 0x3c000000, v5
	v_and_or_b32 v5, v8, s12, v5
	v_cmp_ne_u32_e32 vcc, 0, v3
	v_cndmask_b32_e32 v3, 0, v5, vcc
	s_brev_b32 s12, 1
	v_and_or_b32 v1, v1, s12, v3
.LBB103_1410:
	s_mov_b64 s[12:13], 0
.LBB103_1411:
	s_andn2_b64 vcc, exec, s[12:13]
	s_cbranch_vccnz .LBB103_1413
; %bb.1412:
	global_load_ubyte v1, v[10:11], off
	s_movk_i32 s12, 0x7f00
	s_brev_b32 s13, 16
	s_waitcnt vmcnt(0)
	v_lshlrev_b16_e32 v3, 8, v1
	v_lshlrev_b32_e32 v1, 25, v1
	v_lshrrev_b32_e32 v5, 4, v1
	v_and_or_b32 v8, v3, s12, 0.5
	v_or_b32_e32 v5, 0x70000000, v5
	v_add_f32_e32 v8, -0.5, v8
	v_mul_f32_e32 v5, 0x7800000, v5
	v_cmp_gt_u32_e32 vcc, s13, v1
	v_bfe_i32 v3, v3, 0, 16
	v_cndmask_b32_e32 v1, v5, v8, vcc
	s_brev_b32 s12, 1
	v_and_or_b32 v1, v3, s12, v1
.LBB103_1413:
	s_mov_b64 s[12:13], 0
	s_mov_b64 s[14:15], -1
.LBB103_1414:
	s_andn2_b64 vcc, exec, s[12:13]
	s_mov_b64 s[12:13], 0
	s_cbranch_vccnz .LBB103_1425
; %bb.1415:
	s_cmp_gt_i32 s20, 14
	s_cbranch_scc0 .LBB103_1418
; %bb.1416:
	s_cmp_eq_u32 s20, 15
	s_cbranch_scc0 .LBB103_1421
; %bb.1417:
	global_load_ushort v1, v[10:11], off
	s_mov_b64 s[6:7], 0
	s_mov_b64 s[14:15], -1
	s_waitcnt vmcnt(0)
	v_lshlrev_b32_e32 v1, 16, v1
	s_branch .LBB103_1422
.LBB103_1418:
	s_mov_b64 s[16:17], -1
                                        ; implicit-def: $vgpr1
	s_branch .LBB103_1423
.LBB103_1419:
	s_or_saveexec_b64 s[14:15], s[14:15]
	v_mov_b32_e32 v1, 0x7f800001
	s_xor_b64 exec, exec, s[14:15]
	s_cbranch_execz .LBB103_1400
.LBB103_1420:
	v_cmp_ne_u16_e32 vcc, 0, v3
	s_andn2_b64 s[12:13], s[12:13], exec
	s_and_b64 s[16:17], vcc, exec
	v_mov_b32_e32 v1, 0
	s_or_b64 s[12:13], s[12:13], s[16:17]
	s_or_b64 exec, exec, s[14:15]
	s_and_saveexec_b64 s[14:15], s[12:13]
	s_cbranch_execnz .LBB103_1401
	s_branch .LBB103_1402
.LBB103_1421:
	s_mov_b64 s[6:7], -1
                                        ; implicit-def: $vgpr1
.LBB103_1422:
	s_mov_b64 s[16:17], 0
.LBB103_1423:
	s_and_b64 vcc, exec, s[16:17]
	s_cbranch_vccz .LBB103_1425
; %bb.1424:
	s_cmp_lg_u32 s20, 11
	s_mov_b64 s[12:13], -1
	s_cselect_b64 s[6:7], -1, 0
.LBB103_1425:
	s_and_b64 vcc, exec, s[6:7]
	s_cbranch_vccnz .LBB103_1504
; %bb.1426:
	s_andn2_b64 vcc, exec, s[12:13]
	s_cbranch_vccnz .LBB103_1428
.LBB103_1427:
	global_load_ubyte v1, v[10:11], off
	s_mov_b64 s[14:15], -1
	s_waitcnt vmcnt(0)
	v_cmp_ne_u16_e32 vcc, 0, v1
	v_cndmask_b32_e64 v1, 0, 1.0, vcc
.LBB103_1428:
	s_branch .LBB103_1355
.LBB103_1429:
	s_and_b32 s12, 0xffff, s22
	s_cmp_lt_i32 s12, 5
	s_cbranch_scc1 .LBB103_1434
; %bb.1430:
	s_cmp_lt_i32 s12, 8
	s_cbranch_scc1 .LBB103_1435
; %bb.1431:
	;; [unrolled: 3-line block ×3, first 2 shown]
	s_cmp_gt_i32 s12, 9
	s_cbranch_scc0 .LBB103_1437
; %bb.1433:
	global_load_dwordx2 v[12:13], v[10:11], off
	s_mov_b64 s[6:7], 0
	s_waitcnt vmcnt(0)
	v_cvt_f32_f64_e32 v1, v[12:13]
	s_branch .LBB103_1438
.LBB103_1434:
                                        ; implicit-def: $vgpr1
	s_branch .LBB103_1456
.LBB103_1435:
	s_mov_b64 s[6:7], -1
                                        ; implicit-def: $vgpr1
	s_branch .LBB103_1444
.LBB103_1436:
	s_mov_b64 s[6:7], -1
                                        ; implicit-def: $vgpr1
	s_branch .LBB103_1441
.LBB103_1437:
	s_mov_b64 s[6:7], -1
                                        ; implicit-def: $vgpr1
.LBB103_1438:
	s_andn2_b64 vcc, exec, s[6:7]
	s_cbranch_vccnz .LBB103_1440
; %bb.1439:
	global_load_dword v1, v[10:11], off
.LBB103_1440:
	s_mov_b64 s[6:7], 0
.LBB103_1441:
	s_andn2_b64 vcc, exec, s[6:7]
	s_cbranch_vccnz .LBB103_1443
; %bb.1442:
	global_load_dword v1, v[10:11], off
	s_waitcnt vmcnt(0)
	v_cvt_f32_f16_e32 v1, v1
.LBB103_1443:
	s_mov_b64 s[6:7], 0
.LBB103_1444:
	s_andn2_b64 vcc, exec, s[6:7]
	s_cbranch_vccnz .LBB103_1455
; %bb.1445:
	s_cmp_lt_i32 s12, 6
	s_cbranch_scc1 .LBB103_1448
; %bb.1446:
	s_cmp_gt_i32 s12, 6
	s_cbranch_scc0 .LBB103_1449
; %bb.1447:
	global_load_dwordx2 v[12:13], v[10:11], off
	s_mov_b64 s[6:7], 0
	s_waitcnt vmcnt(0)
	v_cvt_f32_f64_e32 v1, v[12:13]
	s_branch .LBB103_1450
.LBB103_1448:
	s_mov_b64 s[6:7], -1
                                        ; implicit-def: $vgpr1
	s_branch .LBB103_1453
.LBB103_1449:
	s_mov_b64 s[6:7], -1
                                        ; implicit-def: $vgpr1
.LBB103_1450:
	s_andn2_b64 vcc, exec, s[6:7]
	s_cbranch_vccnz .LBB103_1452
; %bb.1451:
	global_load_dword v1, v[10:11], off
.LBB103_1452:
	s_mov_b64 s[6:7], 0
.LBB103_1453:
	s_andn2_b64 vcc, exec, s[6:7]
	s_cbranch_vccnz .LBB103_1455
; %bb.1454:
	global_load_ushort v1, v[10:11], off
	s_waitcnt vmcnt(0)
	v_cvt_f32_f16_e32 v1, v1
.LBB103_1455:
	s_cbranch_execnz .LBB103_1475
.LBB103_1456:
	s_cmp_lt_i32 s12, 2
	s_cbranch_scc1 .LBB103_1460
; %bb.1457:
	s_cmp_lt_i32 s12, 3
	s_cbranch_scc1 .LBB103_1461
; %bb.1458:
	s_cmp_gt_i32 s12, 3
	s_cbranch_scc0 .LBB103_1462
; %bb.1459:
	global_load_dwordx2 v[12:13], v[10:11], off
	s_mov_b64 s[6:7], 0
	s_waitcnt vmcnt(0)
	v_xor_b32_e32 v3, v12, v13
	v_ffbh_i32_e32 v1, v13
	v_ashrrev_i32_e32 v3, 31, v3
	v_add_u32_e32 v1, -1, v1
	v_add_u32_e32 v3, 32, v3
	v_min_u32_e32 v1, v1, v3
	v_lshlrev_b64 v[12:13], v1, v[12:13]
	v_sub_u32_e32 v1, 32, v1
	v_min_u32_e32 v3, 1, v12
	v_or_b32_e32 v3, v13, v3
	v_cvt_f32_i32_e32 v3, v3
	v_ldexp_f32 v1, v3, v1
	s_branch .LBB103_1463
.LBB103_1460:
	s_mov_b64 s[6:7], -1
                                        ; implicit-def: $vgpr1
	s_branch .LBB103_1469
.LBB103_1461:
	s_mov_b64 s[6:7], -1
                                        ; implicit-def: $vgpr1
	s_branch .LBB103_1466
.LBB103_1462:
	s_mov_b64 s[6:7], -1
                                        ; implicit-def: $vgpr1
.LBB103_1463:
	s_andn2_b64 vcc, exec, s[6:7]
	s_cbranch_vccnz .LBB103_1465
; %bb.1464:
	global_load_dword v1, v[10:11], off
	s_waitcnt vmcnt(0)
	v_cvt_f32_i32_e32 v1, v1
.LBB103_1465:
	s_mov_b64 s[6:7], 0
.LBB103_1466:
	s_andn2_b64 vcc, exec, s[6:7]
	s_cbranch_vccnz .LBB103_1468
; %bb.1467:
	global_load_sshort v1, v[10:11], off
	s_waitcnt vmcnt(0)
	v_cvt_f32_i32_e32 v1, v1
.LBB103_1468:
	s_mov_b64 s[6:7], 0
.LBB103_1469:
	s_andn2_b64 vcc, exec, s[6:7]
	s_cbranch_vccnz .LBB103_1475
; %bb.1470:
	s_cmp_gt_i32 s12, 0
	s_cbranch_scc0 .LBB103_1472
; %bb.1471:
	global_load_sbyte v1, v[10:11], off
	s_mov_b64 s[6:7], 0
	s_waitcnt vmcnt(0)
	v_cvt_f32_i32_e32 v1, v1
	s_branch .LBB103_1473
.LBB103_1472:
	s_mov_b64 s[6:7], -1
                                        ; implicit-def: $vgpr1
.LBB103_1473:
	s_andn2_b64 vcc, exec, s[6:7]
	s_cbranch_vccnz .LBB103_1475
; %bb.1474:
	global_load_ubyte v1, v[10:11], off
	s_waitcnt vmcnt(0)
	v_cvt_f32_ubyte0_e32 v1, v1
.LBB103_1475:
.LBB103_1476:
	s_cmp_lt_i32 s0, 1
	s_mov_b64 s[12:13], 0
	s_cbranch_scc1 .LBB103_1480
; %bb.1477:
	s_cmp_gt_i32 s0, 1
	s_cbranch_scc0 .LBB103_1481
; %bb.1478:
	s_cmp_eq_u32 s0, 2
	s_cbranch_scc0 .LBB103_1482
; %bb.1479:
	s_waitcnt vmcnt(0)
	v_cmp_ge_f32_e64 s[6:7], s1, v1
	s_mov_b64 s[14:15], 0
	s_branch .LBB103_1483
.LBB103_1480:
                                        ; implicit-def: $sgpr6_sgpr7
	s_mov_b64 s[14:15], 0
	s_cbranch_execnz .LBB103_1487
	s_branch .LBB103_1488
.LBB103_1481:
	s_mov_b64 s[16:17], -1
	s_mov_b64 s[14:15], 0
                                        ; implicit-def: $sgpr6_sgpr7
	s_branch .LBB103_1484
.LBB103_1482:
	s_mov_b64 s[14:15], -1
                                        ; implicit-def: $sgpr6_sgpr7
.LBB103_1483:
	s_mov_b64 s[16:17], 0
.LBB103_1484:
	s_and_b64 vcc, exec, s[16:17]
	s_cbranch_vccz .LBB103_1486
; %bb.1485:
	s_waitcnt vmcnt(0)
	v_cmp_lt_f32_e32 vcc, s1, v1
	s_andn2_b64 s[6:7], s[6:7], exec
	s_and_b64 s[16:17], vcc, exec
	s_or_b64 s[6:7], s[6:7], s[16:17]
.LBB103_1486:
	s_branch .LBB103_1488
.LBB103_1487:
	s_cmp_lg_u32 s0, 0
	s_mov_b64 s[12:13], -1
	s_cselect_b64 s[14:15], -1, 0
.LBB103_1488:
	s_andn2_b64 vcc, exec, s[14:15]
	s_cbranch_vccnz .LBB103_1490
; %bb.1489:
	s_waitcnt vmcnt(0)
	v_cmp_gt_f32_e32 vcc, s1, v1
	s_andn2_b64 s[6:7], s[6:7], exec
	s_and_b64 s[14:15], vcc, exec
	s_or_b64 s[6:7], s[6:7], s[14:15]
	s_cbranch_execz .LBB103_1491
	s_branch .LBB103_1492
.LBB103_1490:
	s_andn2_b64 vcc, exec, s[12:13]
	s_cbranch_vccnz .LBB103_1492
.LBB103_1491:
	s_waitcnt vmcnt(0)
	v_cmp_le_f32_e32 vcc, s1, v1
	s_andn2_b64 s[6:7], s[6:7], exec
	s_and_b64 s[12:13], vcc, exec
	s_or_b64 s[6:7], s[6:7], s[12:13]
.LBB103_1492:
	s_waitcnt vmcnt(0)
	v_mov_b32_e32 v1, s11
	v_add_co_u32_e32 v8, vcc, s10, v9
	s_cmp_lt_i32 s22, 11
	v_addc_co_u32_e32 v9, vcc, 0, v1, vcc
	s_cbranch_scc1 .LBB103_1499
; %bb.1493:
	s_and_b32 s23, 0xffff, s22
	s_cmp_gt_i32 s23, 25
	s_mov_b64 s[14:15], 0
	s_cbranch_scc0 .LBB103_1501
; %bb.1494:
	s_cmp_gt_i32 s23, 28
	s_cbranch_scc0 .LBB103_1502
; %bb.1495:
	s_cmp_gt_i32 s23, 43
	;; [unrolled: 3-line block ×3, first 2 shown]
	s_cbranch_scc0 .LBB103_1505
; %bb.1497:
	s_cmp_eq_u32 s23, 46
	s_mov_b64 s[18:19], 0
	s_cbranch_scc0 .LBB103_1506
; %bb.1498:
	global_load_dword v1, v[8:9], off
	s_mov_b64 s[12:13], 0
	s_mov_b64 s[16:17], -1
	s_waitcnt vmcnt(0)
	v_lshlrev_b32_e32 v1, 16, v1
	s_branch .LBB103_1507
.LBB103_1499:
	s_mov_b64 s[16:17], 0
                                        ; implicit-def: $vgpr1
	s_cbranch_execnz .LBB103_1573
.LBB103_1500:
	s_andn2_b64 vcc, exec, s[16:17]
	s_cbranch_vccnz .LBB103_1771
	s_branch .LBB103_1621
.LBB103_1501:
	s_mov_b64 s[18:19], -1
	s_mov_b64 s[16:17], 0
	s_mov_b64 s[12:13], 0
                                        ; implicit-def: $vgpr1
	s_branch .LBB103_1536
.LBB103_1502:
	s_mov_b64 s[18:19], -1
	s_mov_b64 s[16:17], 0
	s_mov_b64 s[12:13], 0
                                        ; implicit-def: $vgpr1
	s_branch .LBB103_1517
.LBB103_1503:
	s_mov_b64 s[18:19], -1
	s_mov_b64 s[16:17], 0
	s_mov_b64 s[12:13], 0
                                        ; implicit-def: $vgpr1
	s_branch .LBB103_1512
.LBB103_1504:
	s_trap 2
	s_or_b64 s[2:3], s[2:3], exec
	s_cbranch_execz .LBB103_1427
	s_branch .LBB103_1428
.LBB103_1505:
	s_mov_b64 s[18:19], -1
	s_mov_b64 s[16:17], 0
	s_mov_b64 s[12:13], 0
                                        ; implicit-def: $vgpr1
	s_branch .LBB103_1507
.LBB103_1506:
	s_mov_b64 s[12:13], -1
                                        ; implicit-def: $vgpr1
	s_mov_b64 s[16:17], 0
.LBB103_1507:
	s_and_b64 vcc, exec, s[18:19]
	s_cbranch_vccz .LBB103_1511
; %bb.1508:
	s_cmp_eq_u32 s23, 44
	s_cbranch_scc0 .LBB103_1510
; %bb.1509:
	global_load_ubyte v1, v[8:9], off
	s_movk_i32 s16, 0xff
	v_mov_b32_e32 v3, 0x7f800001
	v_mov_b32_e32 v5, 0x400000
	s_mov_b64 s[12:13], 0
	s_waitcnt vmcnt(0)
	v_lshlrev_b32_e32 v10, 23, v1
	v_cmp_ne_u32_e32 vcc, s16, v1
	v_cndmask_b32_e32 v3, v3, v10, vcc
	v_cmp_ne_u32_e32 vcc, 0, v1
	v_cndmask_b32_e32 v1, v5, v3, vcc
	s_mov_b64 s[16:17], -1
	s_branch .LBB103_1511
.LBB103_1510:
	s_mov_b64 s[12:13], -1
                                        ; implicit-def: $vgpr1
.LBB103_1511:
	s_mov_b64 s[18:19], 0
.LBB103_1512:
	s_and_b64 vcc, exec, s[18:19]
	s_cbranch_vccz .LBB103_1516
; %bb.1513:
	s_cmp_eq_u32 s23, 29
	s_cbranch_scc0 .LBB103_1515
; %bb.1514:
	global_load_dwordx2 v[10:11], v[8:9], off
	s_mov_b64 s[12:13], 0
	s_mov_b64 s[16:17], -1
	s_mov_b64 s[18:19], 0
	s_waitcnt vmcnt(0)
	v_ffbh_u32_e32 v1, v11
	v_min_u32_e32 v1, 32, v1
	v_lshlrev_b64 v[10:11], v1, v[10:11]
	v_sub_u32_e32 v1, 32, v1
	v_min_u32_e32 v3, 1, v10
	v_or_b32_e32 v3, v11, v3
	v_cvt_f32_u32_e32 v3, v3
	v_ldexp_f32 v1, v3, v1
	s_branch .LBB103_1517
.LBB103_1515:
	s_mov_b64 s[12:13], -1
                                        ; implicit-def: $vgpr1
.LBB103_1516:
	s_mov_b64 s[18:19], 0
.LBB103_1517:
	s_and_b64 vcc, exec, s[18:19]
	s_cbranch_vccz .LBB103_1535
; %bb.1518:
	s_cmp_lt_i32 s23, 27
	s_cbranch_scc1 .LBB103_1521
; %bb.1519:
	s_cmp_gt_i32 s23, 27
	s_cbranch_scc0 .LBB103_1522
; %bb.1520:
	global_load_dword v1, v[8:9], off
	s_mov_b64 s[16:17], 0
	s_waitcnt vmcnt(0)
	v_cvt_f32_u32_e32 v1, v1
	s_branch .LBB103_1523
.LBB103_1521:
	s_mov_b64 s[16:17], -1
                                        ; implicit-def: $vgpr1
	s_branch .LBB103_1526
.LBB103_1522:
	s_mov_b64 s[16:17], -1
                                        ; implicit-def: $vgpr1
.LBB103_1523:
	s_andn2_b64 vcc, exec, s[16:17]
	s_cbranch_vccnz .LBB103_1525
; %bb.1524:
	global_load_ushort v1, v[8:9], off
	s_waitcnt vmcnt(0)
	v_cvt_f32_u32_e32 v1, v1
.LBB103_1525:
	s_mov_b64 s[16:17], 0
.LBB103_1526:
	s_andn2_b64 vcc, exec, s[16:17]
	s_cbranch_vccnz .LBB103_1534
; %bb.1527:
	global_load_ubyte v3, v[8:9], off
	s_movk_i32 s16, 0x7f
	s_waitcnt vmcnt(0)
	v_cmp_lt_i16_e32 vcc, s16, v3
	s_mov_b64 s[16:17], 0
	s_and_saveexec_b64 s[18:19], vcc
	s_xor_b64 s[18:19], exec, s[18:19]
	s_cbranch_execz .LBB103_1548
; %bb.1528:
	s_movk_i32 s16, 0x80
	v_cmp_eq_u16_e32 vcc, s16, v3
	s_mov_b64 s[16:17], -1
	s_and_saveexec_b64 s[20:21], vcc
; %bb.1529:
	s_xor_b64 s[16:17], exec, -1
; %bb.1530:
	s_or_b64 exec, exec, s[20:21]
	s_and_b64 s[16:17], s[16:17], exec
	s_or_saveexec_b64 s[18:19], s[18:19]
	v_mov_b32_e32 v1, 0x7f800001
	s_xor_b64 exec, exec, s[18:19]
	s_cbranch_execnz .LBB103_1549
.LBB103_1531:
	s_or_b64 exec, exec, s[18:19]
	s_and_saveexec_b64 s[18:19], s[16:17]
	s_cbranch_execz .LBB103_1533
.LBB103_1532:
	v_lshlrev_b32_e32 v1, 24, v3
	v_and_b32_e32 v3, 0xffff, v3
	v_and_b32_e32 v5, 7, v3
	v_ffbh_u32_e32 v11, v5
	v_min_u32_e32 v11, 32, v11
	v_subrev_u32_e32 v12, 28, v11
	v_bfe_u32 v10, v3, 3, 4
	v_lshlrev_b32_e32 v3, v12, v3
	v_sub_u32_e32 v11, 29, v11
	v_and_b32_e32 v3, 7, v3
	v_cmp_eq_u32_e32 vcc, 0, v10
	v_cndmask_b32_e32 v10, v10, v11, vcc
	v_cndmask_b32_e32 v3, v5, v3, vcc
	v_mov_b32_e32 v5, 0x3b800000
	v_lshlrev_b32_e32 v3, 20, v3
	v_and_b32_e32 v1, 0x80000000, v1
	v_lshl_add_u32 v5, v10, 23, v5
	v_or3_b32 v1, v1, v5, v3
.LBB103_1533:
	s_or_b64 exec, exec, s[18:19]
.LBB103_1534:
	s_mov_b64 s[16:17], -1
.LBB103_1535:
	s_mov_b64 s[18:19], 0
.LBB103_1536:
	s_and_b64 vcc, exec, s[18:19]
	s_cbranch_vccz .LBB103_1569
; %bb.1537:
	s_cmp_gt_i32 s23, 22
	s_cbranch_scc0 .LBB103_1547
; %bb.1538:
	s_cmp_lt_i32 s23, 24
	s_cbranch_scc1 .LBB103_1550
; %bb.1539:
	s_cmp_gt_i32 s23, 24
	s_cbranch_scc0 .LBB103_1551
; %bb.1540:
	global_load_ubyte v3, v[8:9], off
	s_movk_i32 s14, 0x7f
	s_waitcnt vmcnt(0)
	v_cmp_lt_i16_e32 vcc, s14, v3
	s_mov_b64 s[14:15], 0
	s_and_saveexec_b64 s[16:17], vcc
	s_xor_b64 s[16:17], exec, s[16:17]
	s_cbranch_execz .LBB103_1563
; %bb.1541:
	s_movk_i32 s14, 0x80
	v_cmp_eq_u16_e32 vcc, s14, v3
	s_mov_b64 s[14:15], -1
	s_and_saveexec_b64 s[18:19], vcc
; %bb.1542:
	s_xor_b64 s[14:15], exec, -1
; %bb.1543:
	s_or_b64 exec, exec, s[18:19]
	s_and_b64 s[14:15], s[14:15], exec
	s_or_saveexec_b64 s[16:17], s[16:17]
	v_mov_b32_e32 v1, 0x7f800001
	s_xor_b64 exec, exec, s[16:17]
	s_cbranch_execnz .LBB103_1564
.LBB103_1544:
	s_or_b64 exec, exec, s[16:17]
	s_and_saveexec_b64 s[16:17], s[14:15]
	s_cbranch_execz .LBB103_1546
.LBB103_1545:
	v_lshlrev_b32_e32 v1, 24, v3
	v_and_b32_e32 v3, 0xffff, v3
	v_and_b32_e32 v5, 3, v3
	v_ffbh_u32_e32 v11, v5
	v_min_u32_e32 v11, 32, v11
	v_subrev_u32_e32 v12, 29, v11
	v_bfe_u32 v10, v3, 2, 5
	v_lshlrev_b32_e32 v3, v12, v3
	v_sub_u32_e32 v11, 30, v11
	v_and_b32_e32 v3, 3, v3
	v_cmp_eq_u32_e32 vcc, 0, v10
	v_cndmask_b32_e32 v10, v10, v11, vcc
	v_cndmask_b32_e32 v3, v5, v3, vcc
	v_mov_b32_e32 v5, 0x37800000
	v_lshlrev_b32_e32 v3, 21, v3
	v_and_b32_e32 v1, 0x80000000, v1
	v_lshl_add_u32 v5, v10, 23, v5
	v_or3_b32 v1, v1, v5, v3
.LBB103_1546:
	s_or_b64 exec, exec, s[16:17]
	s_mov_b64 s[14:15], 0
	s_branch .LBB103_1552
.LBB103_1547:
	s_mov_b64 s[14:15], -1
                                        ; implicit-def: $vgpr1
	s_branch .LBB103_1558
.LBB103_1548:
	s_or_saveexec_b64 s[18:19], s[18:19]
	v_mov_b32_e32 v1, 0x7f800001
	s_xor_b64 exec, exec, s[18:19]
	s_cbranch_execz .LBB103_1531
.LBB103_1549:
	v_cmp_ne_u16_e32 vcc, 0, v3
	s_andn2_b64 s[16:17], s[16:17], exec
	s_and_b64 s[20:21], vcc, exec
	v_mov_b32_e32 v1, 0
	s_or_b64 s[16:17], s[16:17], s[20:21]
	s_or_b64 exec, exec, s[18:19]
	s_and_saveexec_b64 s[18:19], s[16:17]
	s_cbranch_execnz .LBB103_1532
	s_branch .LBB103_1533
.LBB103_1550:
	s_mov_b64 s[14:15], -1
                                        ; implicit-def: $vgpr1
	s_branch .LBB103_1555
.LBB103_1551:
	s_mov_b64 s[14:15], -1
                                        ; implicit-def: $vgpr1
.LBB103_1552:
	s_and_b64 vcc, exec, s[14:15]
	s_cbranch_vccz .LBB103_1554
; %bb.1553:
	global_load_ubyte v1, v[8:9], off
	s_mov_b32 s14, 0x7f800000
	s_waitcnt vmcnt(0)
	v_lshlrev_b32_e32 v1, 24, v1
	v_and_b32_e32 v3, 0x7f000000, v1
	v_ffbh_u32_e32 v5, v3
	v_min_u32_e32 v5, 32, v5
	v_sub_u32_e64 v5, v5, 4 clamp
	v_lshlrev_b32_e32 v11, v5, v3
	v_lshlrev_b32_e32 v5, 23, v5
	v_lshrrev_b32_e32 v11, 4, v11
	v_add_u32_e32 v10, 0x1000000, v3
	v_sub_u32_e32 v5, v11, v5
	v_ashrrev_i32_e32 v10, 8, v10
	v_add_u32_e32 v5, 0x3c000000, v5
	v_and_or_b32 v5, v10, s14, v5
	v_cmp_ne_u32_e32 vcc, 0, v3
	v_cndmask_b32_e32 v3, 0, v5, vcc
	s_brev_b32 s14, 1
	v_and_or_b32 v1, v1, s14, v3
.LBB103_1554:
	s_mov_b64 s[14:15], 0
.LBB103_1555:
	s_andn2_b64 vcc, exec, s[14:15]
	s_cbranch_vccnz .LBB103_1557
; %bb.1556:
	global_load_ubyte v1, v[8:9], off
	s_movk_i32 s14, 0x7f00
	s_brev_b32 s15, 16
	s_waitcnt vmcnt(0)
	v_lshlrev_b16_e32 v3, 8, v1
	v_lshlrev_b32_e32 v1, 25, v1
	v_lshrrev_b32_e32 v5, 4, v1
	v_and_or_b32 v10, v3, s14, 0.5
	v_or_b32_e32 v5, 0x70000000, v5
	v_add_f32_e32 v10, -0.5, v10
	v_mul_f32_e32 v5, 0x7800000, v5
	v_cmp_gt_u32_e32 vcc, s15, v1
	v_bfe_i32 v3, v3, 0, 16
	v_cndmask_b32_e32 v1, v5, v10, vcc
	s_brev_b32 s14, 1
	v_and_or_b32 v1, v3, s14, v1
.LBB103_1557:
	s_mov_b64 s[14:15], 0
	s_mov_b64 s[16:17], -1
.LBB103_1558:
	s_andn2_b64 vcc, exec, s[14:15]
	s_mov_b64 s[14:15], 0
	s_cbranch_vccnz .LBB103_1569
; %bb.1559:
	s_cmp_gt_i32 s23, 14
	s_cbranch_scc0 .LBB103_1562
; %bb.1560:
	s_cmp_eq_u32 s23, 15
	s_cbranch_scc0 .LBB103_1565
; %bb.1561:
	global_load_ushort v1, v[8:9], off
	s_mov_b64 s[12:13], 0
	s_mov_b64 s[16:17], -1
	s_waitcnt vmcnt(0)
	v_lshlrev_b32_e32 v1, 16, v1
	s_branch .LBB103_1566
.LBB103_1562:
	s_mov_b64 s[18:19], -1
                                        ; implicit-def: $vgpr1
	s_branch .LBB103_1567
.LBB103_1563:
	s_or_saveexec_b64 s[16:17], s[16:17]
	v_mov_b32_e32 v1, 0x7f800001
	s_xor_b64 exec, exec, s[16:17]
	s_cbranch_execz .LBB103_1544
.LBB103_1564:
	v_cmp_ne_u16_e32 vcc, 0, v3
	s_andn2_b64 s[14:15], s[14:15], exec
	s_and_b64 s[18:19], vcc, exec
	v_mov_b32_e32 v1, 0
	s_or_b64 s[14:15], s[14:15], s[18:19]
	s_or_b64 exec, exec, s[16:17]
	s_and_saveexec_b64 s[16:17], s[14:15]
	s_cbranch_execnz .LBB103_1545
	s_branch .LBB103_1546
.LBB103_1565:
	s_mov_b64 s[12:13], -1
                                        ; implicit-def: $vgpr1
.LBB103_1566:
	s_mov_b64 s[18:19], 0
.LBB103_1567:
	s_and_b64 vcc, exec, s[18:19]
	s_cbranch_vccz .LBB103_1569
; %bb.1568:
	s_cmp_lg_u32 s23, 11
	s_mov_b64 s[14:15], -1
	s_cselect_b64 s[12:13], -1, 0
.LBB103_1569:
	s_and_b64 vcc, exec, s[12:13]
	s_cbranch_vccnz .LBB103_1648
; %bb.1570:
	s_andn2_b64 vcc, exec, s[14:15]
	s_cbranch_vccnz .LBB103_1572
.LBB103_1571:
	global_load_ubyte v1, v[8:9], off
	s_mov_b64 s[16:17], -1
	s_waitcnt vmcnt(0)
	v_cmp_ne_u16_e32 vcc, 0, v1
	v_cndmask_b32_e64 v1, 0, 1.0, vcc
.LBB103_1572:
	s_branch .LBB103_1500
.LBB103_1573:
	s_and_b32 s14, 0xffff, s22
	s_cmp_lt_i32 s14, 5
	s_cbranch_scc1 .LBB103_1578
; %bb.1574:
	s_cmp_lt_i32 s14, 8
	s_cbranch_scc1 .LBB103_1579
; %bb.1575:
	;; [unrolled: 3-line block ×3, first 2 shown]
	s_cmp_gt_i32 s14, 9
	s_cbranch_scc0 .LBB103_1581
; %bb.1577:
	global_load_dwordx2 v[10:11], v[8:9], off
	s_mov_b64 s[12:13], 0
	s_waitcnt vmcnt(0)
	v_cvt_f32_f64_e32 v1, v[10:11]
	s_branch .LBB103_1582
.LBB103_1578:
	s_mov_b64 s[12:13], -1
                                        ; implicit-def: $vgpr1
	s_branch .LBB103_1600
.LBB103_1579:
	s_mov_b64 s[12:13], -1
                                        ; implicit-def: $vgpr1
	s_branch .LBB103_1588
.LBB103_1580:
	s_mov_b64 s[12:13], -1
                                        ; implicit-def: $vgpr1
	s_branch .LBB103_1585
.LBB103_1581:
	s_mov_b64 s[12:13], -1
                                        ; implicit-def: $vgpr1
.LBB103_1582:
	s_andn2_b64 vcc, exec, s[12:13]
	s_cbranch_vccnz .LBB103_1584
; %bb.1583:
	global_load_dword v1, v[8:9], off
.LBB103_1584:
	s_mov_b64 s[12:13], 0
.LBB103_1585:
	s_andn2_b64 vcc, exec, s[12:13]
	s_cbranch_vccnz .LBB103_1587
; %bb.1586:
	global_load_dword v1, v[8:9], off
	s_waitcnt vmcnt(0)
	v_cvt_f32_f16_e32 v1, v1
.LBB103_1587:
	s_mov_b64 s[12:13], 0
.LBB103_1588:
	s_andn2_b64 vcc, exec, s[12:13]
	s_cbranch_vccnz .LBB103_1599
; %bb.1589:
	s_cmp_lt_i32 s14, 6
	s_cbranch_scc1 .LBB103_1592
; %bb.1590:
	s_cmp_gt_i32 s14, 6
	s_cbranch_scc0 .LBB103_1593
; %bb.1591:
	global_load_dwordx2 v[10:11], v[8:9], off
	s_mov_b64 s[12:13], 0
	s_waitcnt vmcnt(0)
	v_cvt_f32_f64_e32 v1, v[10:11]
	s_branch .LBB103_1594
.LBB103_1592:
	s_mov_b64 s[12:13], -1
                                        ; implicit-def: $vgpr1
	s_branch .LBB103_1597
.LBB103_1593:
	s_mov_b64 s[12:13], -1
                                        ; implicit-def: $vgpr1
.LBB103_1594:
	s_andn2_b64 vcc, exec, s[12:13]
	s_cbranch_vccnz .LBB103_1596
; %bb.1595:
	global_load_dword v1, v[8:9], off
.LBB103_1596:
	s_mov_b64 s[12:13], 0
.LBB103_1597:
	s_andn2_b64 vcc, exec, s[12:13]
	s_cbranch_vccnz .LBB103_1599
; %bb.1598:
	global_load_ushort v1, v[8:9], off
	s_waitcnt vmcnt(0)
	v_cvt_f32_f16_e32 v1, v1
.LBB103_1599:
	s_mov_b64 s[12:13], 0
.LBB103_1600:
	s_andn2_b64 vcc, exec, s[12:13]
	s_cbranch_vccnz .LBB103_1620
; %bb.1601:
	s_cmp_lt_i32 s14, 2
	s_cbranch_scc1 .LBB103_1605
; %bb.1602:
	s_cmp_lt_i32 s14, 3
	s_cbranch_scc1 .LBB103_1606
; %bb.1603:
	s_cmp_gt_i32 s14, 3
	s_cbranch_scc0 .LBB103_1607
; %bb.1604:
	global_load_dwordx2 v[10:11], v[8:9], off
	s_mov_b64 s[12:13], 0
	s_waitcnt vmcnt(0)
	v_xor_b32_e32 v3, v10, v11
	v_ffbh_i32_e32 v1, v11
	v_ashrrev_i32_e32 v3, 31, v3
	v_add_u32_e32 v1, -1, v1
	v_add_u32_e32 v3, 32, v3
	v_min_u32_e32 v1, v1, v3
	v_lshlrev_b64 v[10:11], v1, v[10:11]
	v_sub_u32_e32 v1, 32, v1
	v_min_u32_e32 v3, 1, v10
	v_or_b32_e32 v3, v11, v3
	v_cvt_f32_i32_e32 v3, v3
	v_ldexp_f32 v1, v3, v1
	s_branch .LBB103_1608
.LBB103_1605:
	s_mov_b64 s[12:13], -1
                                        ; implicit-def: $vgpr1
	s_branch .LBB103_1614
.LBB103_1606:
	s_mov_b64 s[12:13], -1
                                        ; implicit-def: $vgpr1
	s_branch .LBB103_1611
.LBB103_1607:
	s_mov_b64 s[12:13], -1
                                        ; implicit-def: $vgpr1
.LBB103_1608:
	s_andn2_b64 vcc, exec, s[12:13]
	s_cbranch_vccnz .LBB103_1610
; %bb.1609:
	global_load_dword v1, v[8:9], off
	s_waitcnt vmcnt(0)
	v_cvt_f32_i32_e32 v1, v1
.LBB103_1610:
	s_mov_b64 s[12:13], 0
.LBB103_1611:
	s_andn2_b64 vcc, exec, s[12:13]
	s_cbranch_vccnz .LBB103_1613
; %bb.1612:
	global_load_sshort v1, v[8:9], off
	s_waitcnt vmcnt(0)
	v_cvt_f32_i32_e32 v1, v1
.LBB103_1613:
	s_mov_b64 s[12:13], 0
.LBB103_1614:
	s_andn2_b64 vcc, exec, s[12:13]
	s_cbranch_vccnz .LBB103_1620
; %bb.1615:
	s_cmp_gt_i32 s14, 0
	s_cbranch_scc0 .LBB103_1617
; %bb.1616:
	global_load_sbyte v1, v[8:9], off
	s_mov_b64 s[12:13], 0
	s_waitcnt vmcnt(0)
	v_cvt_f32_i32_e32 v1, v1
	s_branch .LBB103_1618
.LBB103_1617:
	s_mov_b64 s[12:13], -1
                                        ; implicit-def: $vgpr1
.LBB103_1618:
	s_andn2_b64 vcc, exec, s[12:13]
	s_cbranch_vccnz .LBB103_1620
; %bb.1619:
	global_load_ubyte v1, v[8:9], off
	s_waitcnt vmcnt(0)
	v_cvt_f32_ubyte0_e32 v1, v1
.LBB103_1620:
.LBB103_1621:
	s_cmp_lt_i32 s0, 1
	s_mov_b64 s[14:15], 0
	s_cbranch_scc1 .LBB103_1625
; %bb.1622:
	s_cmp_gt_i32 s0, 1
	s_cbranch_scc0 .LBB103_1628
; %bb.1623:
	s_cmp_eq_u32 s0, 2
	s_cbranch_scc0 .LBB103_1629
; %bb.1624:
	s_waitcnt vmcnt(0)
	v_cmp_ge_f32_e64 s[12:13], s1, v1
	s_mov_b64 s[16:17], 0
	s_branch .LBB103_1630
.LBB103_1625:
                                        ; implicit-def: $sgpr12_sgpr13
	s_mov_b64 s[16:17], 0
	s_cbranch_execnz .LBB103_1634
.LBB103_1626:
	s_andn2_b64 vcc, exec, s[16:17]
	s_cbranch_vccnz .LBB103_1635
.LBB103_1627:
	s_waitcnt vmcnt(0)
	v_cmp_gt_f32_e32 vcc, s1, v1
	s_andn2_b64 s[12:13], s[12:13], exec
	s_and_b64 s[16:17], vcc, exec
	s_or_b64 s[12:13], s[12:13], s[16:17]
	s_cbranch_execz .LBB103_1636
	s_branch .LBB103_1637
.LBB103_1628:
	s_mov_b64 s[18:19], -1
	s_mov_b64 s[16:17], 0
                                        ; implicit-def: $sgpr12_sgpr13
	s_branch .LBB103_1631
.LBB103_1629:
	s_mov_b64 s[16:17], -1
                                        ; implicit-def: $sgpr12_sgpr13
.LBB103_1630:
	s_mov_b64 s[18:19], 0
.LBB103_1631:
	s_and_b64 vcc, exec, s[18:19]
	s_cbranch_vccz .LBB103_1633
; %bb.1632:
	s_waitcnt vmcnt(0)
	v_cmp_lt_f32_e32 vcc, s1, v1
	s_andn2_b64 s[12:13], s[12:13], exec
	s_and_b64 s[18:19], vcc, exec
	s_or_b64 s[12:13], s[12:13], s[18:19]
.LBB103_1633:
	s_branch .LBB103_1626
.LBB103_1634:
	s_cmp_lg_u32 s0, 0
	s_mov_b64 s[14:15], -1
	s_cselect_b64 s[16:17], -1, 0
	s_andn2_b64 vcc, exec, s[16:17]
	s_cbranch_vccz .LBB103_1627
.LBB103_1635:
	s_andn2_b64 vcc, exec, s[14:15]
	s_cbranch_vccnz .LBB103_1637
.LBB103_1636:
	s_waitcnt vmcnt(0)
	v_cmp_le_f32_e32 vcc, s1, v1
	s_andn2_b64 s[12:13], s[12:13], exec
	s_and_b64 s[14:15], vcc, exec
	s_or_b64 s[12:13], s[12:13], s[14:15]
.LBB103_1637:
	s_waitcnt vmcnt(0)
	v_mov_b32_e32 v1, s11
	v_add_co_u32_e32 v7, vcc, s10, v7
	s_cmp_lt_i32 s22, 11
	v_addc_co_u32_e32 v8, vcc, 0, v1, vcc
	s_cbranch_scc1 .LBB103_1644
; %bb.1638:
	s_and_b32 s23, 0xffff, s22
	s_cmp_gt_i32 s23, 25
	s_mov_b64 s[14:15], 0
	s_cbranch_scc0 .LBB103_1645
; %bb.1639:
	s_cmp_gt_i32 s23, 28
	s_cbranch_scc0 .LBB103_1646
; %bb.1640:
	s_cmp_gt_i32 s23, 43
	s_cbranch_scc0 .LBB103_1647
; %bb.1641:
	s_cmp_gt_i32 s23, 45
	s_cbranch_scc0 .LBB103_1649
; %bb.1642:
	s_cmp_eq_u32 s23, 46
	s_mov_b64 s[18:19], 0
	s_cbranch_scc0 .LBB103_1650
; %bb.1643:
	global_load_dword v1, v[7:8], off
	s_mov_b64 s[10:11], 0
	s_mov_b64 s[16:17], -1
	s_waitcnt vmcnt(0)
	v_lshlrev_b32_e32 v1, 16, v1
	s_branch .LBB103_1651
.LBB103_1644:
	s_mov_b64 s[10:11], -1
	s_mov_b64 s[16:17], 0
                                        ; implicit-def: $vgpr1
	s_branch .LBB103_1717
.LBB103_1645:
	s_mov_b64 s[18:19], -1
	s_mov_b64 s[16:17], 0
	s_mov_b64 s[10:11], 0
                                        ; implicit-def: $vgpr1
	s_branch .LBB103_1680
.LBB103_1646:
	s_mov_b64 s[18:19], -1
	s_mov_b64 s[16:17], 0
	s_mov_b64 s[10:11], 0
                                        ; implicit-def: $vgpr1
	s_branch .LBB103_1661
.LBB103_1647:
	s_mov_b64 s[18:19], -1
	s_mov_b64 s[16:17], 0
	s_mov_b64 s[10:11], 0
                                        ; implicit-def: $vgpr1
	s_branch .LBB103_1656
.LBB103_1648:
	s_trap 2
	s_or_b64 s[2:3], s[2:3], exec
	s_cbranch_execz .LBB103_1571
	s_branch .LBB103_1572
.LBB103_1649:
	s_mov_b64 s[18:19], -1
	s_mov_b64 s[16:17], 0
	s_mov_b64 s[10:11], 0
                                        ; implicit-def: $vgpr1
	s_branch .LBB103_1651
.LBB103_1650:
	s_mov_b64 s[10:11], -1
                                        ; implicit-def: $vgpr1
	s_mov_b64 s[16:17], 0
.LBB103_1651:
	s_and_b64 vcc, exec, s[18:19]
	s_cbranch_vccz .LBB103_1655
; %bb.1652:
	s_cmp_eq_u32 s23, 44
	s_cbranch_scc0 .LBB103_1654
; %bb.1653:
	global_load_ubyte v1, v[7:8], off
	s_movk_i32 s16, 0xff
	v_mov_b32_e32 v3, 0x7f800001
	v_mov_b32_e32 v5, 0x400000
	s_mov_b64 s[10:11], 0
	s_waitcnt vmcnt(0)
	v_lshlrev_b32_e32 v9, 23, v1
	v_cmp_ne_u32_e32 vcc, s16, v1
	v_cndmask_b32_e32 v3, v3, v9, vcc
	v_cmp_ne_u32_e32 vcc, 0, v1
	v_cndmask_b32_e32 v1, v5, v3, vcc
	s_mov_b64 s[16:17], -1
	s_branch .LBB103_1655
.LBB103_1654:
	s_mov_b64 s[10:11], -1
                                        ; implicit-def: $vgpr1
.LBB103_1655:
	s_mov_b64 s[18:19], 0
.LBB103_1656:
	s_and_b64 vcc, exec, s[18:19]
	s_cbranch_vccz .LBB103_1660
; %bb.1657:
	s_cmp_eq_u32 s23, 29
	s_cbranch_scc0 .LBB103_1659
; %bb.1658:
	global_load_dwordx2 v[9:10], v[7:8], off
	s_mov_b64 s[10:11], 0
	s_mov_b64 s[16:17], -1
	s_mov_b64 s[18:19], 0
	s_waitcnt vmcnt(0)
	v_ffbh_u32_e32 v1, v10
	v_min_u32_e32 v1, 32, v1
	v_lshlrev_b64 v[9:10], v1, v[9:10]
	v_sub_u32_e32 v1, 32, v1
	v_min_u32_e32 v3, 1, v9
	v_or_b32_e32 v3, v10, v3
	v_cvt_f32_u32_e32 v3, v3
	v_ldexp_f32 v1, v3, v1
	s_branch .LBB103_1661
.LBB103_1659:
	s_mov_b64 s[10:11], -1
                                        ; implicit-def: $vgpr1
.LBB103_1660:
	s_mov_b64 s[18:19], 0
.LBB103_1661:
	s_and_b64 vcc, exec, s[18:19]
	s_cbranch_vccz .LBB103_1679
; %bb.1662:
	s_cmp_lt_i32 s23, 27
	s_cbranch_scc1 .LBB103_1665
; %bb.1663:
	s_cmp_gt_i32 s23, 27
	s_cbranch_scc0 .LBB103_1666
; %bb.1664:
	global_load_dword v1, v[7:8], off
	s_mov_b64 s[16:17], 0
	s_waitcnt vmcnt(0)
	v_cvt_f32_u32_e32 v1, v1
	s_branch .LBB103_1667
.LBB103_1665:
	s_mov_b64 s[16:17], -1
                                        ; implicit-def: $vgpr1
	s_branch .LBB103_1670
.LBB103_1666:
	s_mov_b64 s[16:17], -1
                                        ; implicit-def: $vgpr1
.LBB103_1667:
	s_andn2_b64 vcc, exec, s[16:17]
	s_cbranch_vccnz .LBB103_1669
; %bb.1668:
	global_load_ushort v1, v[7:8], off
	s_waitcnt vmcnt(0)
	v_cvt_f32_u32_e32 v1, v1
.LBB103_1669:
	s_mov_b64 s[16:17], 0
.LBB103_1670:
	s_andn2_b64 vcc, exec, s[16:17]
	s_cbranch_vccnz .LBB103_1678
; %bb.1671:
	global_load_ubyte v3, v[7:8], off
	s_movk_i32 s16, 0x7f
	s_waitcnt vmcnt(0)
	v_cmp_lt_i16_e32 vcc, s16, v3
	s_mov_b64 s[16:17], 0
	s_and_saveexec_b64 s[18:19], vcc
	s_xor_b64 s[18:19], exec, s[18:19]
	s_cbranch_execz .LBB103_1692
; %bb.1672:
	s_movk_i32 s16, 0x80
	v_cmp_eq_u16_e32 vcc, s16, v3
	s_mov_b64 s[16:17], -1
	s_and_saveexec_b64 s[20:21], vcc
; %bb.1673:
	s_xor_b64 s[16:17], exec, -1
; %bb.1674:
	s_or_b64 exec, exec, s[20:21]
	s_and_b64 s[16:17], s[16:17], exec
	s_or_saveexec_b64 s[18:19], s[18:19]
	v_mov_b32_e32 v1, 0x7f800001
	s_xor_b64 exec, exec, s[18:19]
	s_cbranch_execnz .LBB103_1693
.LBB103_1675:
	s_or_b64 exec, exec, s[18:19]
	s_and_saveexec_b64 s[18:19], s[16:17]
	s_cbranch_execz .LBB103_1677
.LBB103_1676:
	v_lshlrev_b32_e32 v1, 24, v3
	v_and_b32_e32 v3, 0xffff, v3
	v_and_b32_e32 v5, 7, v3
	v_ffbh_u32_e32 v10, v5
	v_min_u32_e32 v10, 32, v10
	v_subrev_u32_e32 v11, 28, v10
	v_bfe_u32 v9, v3, 3, 4
	v_lshlrev_b32_e32 v3, v11, v3
	v_sub_u32_e32 v10, 29, v10
	v_and_b32_e32 v3, 7, v3
	v_cmp_eq_u32_e32 vcc, 0, v9
	v_cndmask_b32_e32 v9, v9, v10, vcc
	v_cndmask_b32_e32 v3, v5, v3, vcc
	v_mov_b32_e32 v5, 0x3b800000
	v_lshlrev_b32_e32 v3, 20, v3
	v_and_b32_e32 v1, 0x80000000, v1
	v_lshl_add_u32 v5, v9, 23, v5
	v_or3_b32 v1, v1, v5, v3
.LBB103_1677:
	s_or_b64 exec, exec, s[18:19]
.LBB103_1678:
	s_mov_b64 s[16:17], -1
.LBB103_1679:
	s_mov_b64 s[18:19], 0
.LBB103_1680:
	s_and_b64 vcc, exec, s[18:19]
	s_cbranch_vccz .LBB103_1713
; %bb.1681:
	s_cmp_gt_i32 s23, 22
	s_cbranch_scc0 .LBB103_1691
; %bb.1682:
	s_cmp_lt_i32 s23, 24
	s_cbranch_scc1 .LBB103_1694
; %bb.1683:
	s_cmp_gt_i32 s23, 24
	s_cbranch_scc0 .LBB103_1695
; %bb.1684:
	global_load_ubyte v3, v[7:8], off
	s_movk_i32 s14, 0x7f
	s_waitcnt vmcnt(0)
	v_cmp_lt_i16_e32 vcc, s14, v3
	s_mov_b64 s[14:15], 0
	s_and_saveexec_b64 s[16:17], vcc
	s_xor_b64 s[16:17], exec, s[16:17]
	s_cbranch_execz .LBB103_1707
; %bb.1685:
	s_movk_i32 s14, 0x80
	v_cmp_eq_u16_e32 vcc, s14, v3
	s_mov_b64 s[14:15], -1
	s_and_saveexec_b64 s[18:19], vcc
; %bb.1686:
	s_xor_b64 s[14:15], exec, -1
; %bb.1687:
	s_or_b64 exec, exec, s[18:19]
	s_and_b64 s[14:15], s[14:15], exec
	s_or_saveexec_b64 s[16:17], s[16:17]
	v_mov_b32_e32 v1, 0x7f800001
	s_xor_b64 exec, exec, s[16:17]
	s_cbranch_execnz .LBB103_1708
.LBB103_1688:
	s_or_b64 exec, exec, s[16:17]
	s_and_saveexec_b64 s[16:17], s[14:15]
	s_cbranch_execz .LBB103_1690
.LBB103_1689:
	v_lshlrev_b32_e32 v1, 24, v3
	v_and_b32_e32 v3, 0xffff, v3
	v_and_b32_e32 v5, 3, v3
	v_ffbh_u32_e32 v10, v5
	v_min_u32_e32 v10, 32, v10
	v_subrev_u32_e32 v11, 29, v10
	v_bfe_u32 v9, v3, 2, 5
	v_lshlrev_b32_e32 v3, v11, v3
	v_sub_u32_e32 v10, 30, v10
	v_and_b32_e32 v3, 3, v3
	v_cmp_eq_u32_e32 vcc, 0, v9
	v_cndmask_b32_e32 v9, v9, v10, vcc
	v_cndmask_b32_e32 v3, v5, v3, vcc
	v_mov_b32_e32 v5, 0x37800000
	v_lshlrev_b32_e32 v3, 21, v3
	v_and_b32_e32 v1, 0x80000000, v1
	v_lshl_add_u32 v5, v9, 23, v5
	v_or3_b32 v1, v1, v5, v3
.LBB103_1690:
	s_or_b64 exec, exec, s[16:17]
	s_mov_b64 s[14:15], 0
	s_branch .LBB103_1696
.LBB103_1691:
	s_mov_b64 s[14:15], -1
                                        ; implicit-def: $vgpr1
	s_branch .LBB103_1702
.LBB103_1692:
	s_or_saveexec_b64 s[18:19], s[18:19]
	v_mov_b32_e32 v1, 0x7f800001
	s_xor_b64 exec, exec, s[18:19]
	s_cbranch_execz .LBB103_1675
.LBB103_1693:
	v_cmp_ne_u16_e32 vcc, 0, v3
	s_andn2_b64 s[16:17], s[16:17], exec
	s_and_b64 s[20:21], vcc, exec
	v_mov_b32_e32 v1, 0
	s_or_b64 s[16:17], s[16:17], s[20:21]
	s_or_b64 exec, exec, s[18:19]
	s_and_saveexec_b64 s[18:19], s[16:17]
	s_cbranch_execnz .LBB103_1676
	s_branch .LBB103_1677
.LBB103_1694:
	s_mov_b64 s[14:15], -1
                                        ; implicit-def: $vgpr1
	s_branch .LBB103_1699
.LBB103_1695:
	s_mov_b64 s[14:15], -1
                                        ; implicit-def: $vgpr1
.LBB103_1696:
	s_and_b64 vcc, exec, s[14:15]
	s_cbranch_vccz .LBB103_1698
; %bb.1697:
	global_load_ubyte v1, v[7:8], off
	s_mov_b32 s14, 0x7f800000
	s_waitcnt vmcnt(0)
	v_lshlrev_b32_e32 v1, 24, v1
	v_and_b32_e32 v3, 0x7f000000, v1
	v_ffbh_u32_e32 v5, v3
	v_min_u32_e32 v5, 32, v5
	v_sub_u32_e64 v5, v5, 4 clamp
	v_lshlrev_b32_e32 v10, v5, v3
	v_lshlrev_b32_e32 v5, 23, v5
	v_lshrrev_b32_e32 v10, 4, v10
	v_add_u32_e32 v9, 0x1000000, v3
	v_sub_u32_e32 v5, v10, v5
	v_ashrrev_i32_e32 v9, 8, v9
	v_add_u32_e32 v5, 0x3c000000, v5
	v_and_or_b32 v5, v9, s14, v5
	v_cmp_ne_u32_e32 vcc, 0, v3
	v_cndmask_b32_e32 v3, 0, v5, vcc
	s_brev_b32 s14, 1
	v_and_or_b32 v1, v1, s14, v3
.LBB103_1698:
	s_mov_b64 s[14:15], 0
.LBB103_1699:
	s_andn2_b64 vcc, exec, s[14:15]
	s_cbranch_vccnz .LBB103_1701
; %bb.1700:
	global_load_ubyte v1, v[7:8], off
	s_movk_i32 s14, 0x7f00
	s_brev_b32 s15, 16
	s_waitcnt vmcnt(0)
	v_lshlrev_b16_e32 v3, 8, v1
	v_lshlrev_b32_e32 v1, 25, v1
	v_lshrrev_b32_e32 v5, 4, v1
	v_and_or_b32 v9, v3, s14, 0.5
	v_or_b32_e32 v5, 0x70000000, v5
	v_add_f32_e32 v9, -0.5, v9
	v_mul_f32_e32 v5, 0x7800000, v5
	v_cmp_gt_u32_e32 vcc, s15, v1
	v_bfe_i32 v3, v3, 0, 16
	v_cndmask_b32_e32 v1, v5, v9, vcc
	s_brev_b32 s14, 1
	v_and_or_b32 v1, v3, s14, v1
.LBB103_1701:
	s_mov_b64 s[14:15], 0
	s_mov_b64 s[16:17], -1
.LBB103_1702:
	s_andn2_b64 vcc, exec, s[14:15]
	s_mov_b64 s[14:15], 0
	s_cbranch_vccnz .LBB103_1713
; %bb.1703:
	s_cmp_gt_i32 s23, 14
	s_cbranch_scc0 .LBB103_1706
; %bb.1704:
	s_cmp_eq_u32 s23, 15
	s_cbranch_scc0 .LBB103_1709
; %bb.1705:
	global_load_ushort v1, v[7:8], off
	s_mov_b64 s[10:11], 0
	s_mov_b64 s[16:17], -1
	s_waitcnt vmcnt(0)
	v_lshlrev_b32_e32 v1, 16, v1
	s_branch .LBB103_1710
.LBB103_1706:
	s_mov_b64 s[18:19], -1
                                        ; implicit-def: $vgpr1
	s_branch .LBB103_1711
.LBB103_1707:
	s_or_saveexec_b64 s[16:17], s[16:17]
	v_mov_b32_e32 v1, 0x7f800001
	s_xor_b64 exec, exec, s[16:17]
	s_cbranch_execz .LBB103_1688
.LBB103_1708:
	v_cmp_ne_u16_e32 vcc, 0, v3
	s_andn2_b64 s[14:15], s[14:15], exec
	s_and_b64 s[18:19], vcc, exec
	v_mov_b32_e32 v1, 0
	s_or_b64 s[14:15], s[14:15], s[18:19]
	s_or_b64 exec, exec, s[16:17]
	s_and_saveexec_b64 s[16:17], s[14:15]
	s_cbranch_execnz .LBB103_1689
	s_branch .LBB103_1690
.LBB103_1709:
	s_mov_b64 s[10:11], -1
                                        ; implicit-def: $vgpr1
.LBB103_1710:
	s_mov_b64 s[18:19], 0
.LBB103_1711:
	s_and_b64 vcc, exec, s[18:19]
	s_cbranch_vccz .LBB103_1713
; %bb.1712:
	s_cmp_lg_u32 s23, 11
	s_mov_b64 s[14:15], -1
	s_cselect_b64 s[10:11], -1, 0
.LBB103_1713:
	s_and_b64 vcc, exec, s[10:11]
	s_cbranch_vccnz .LBB103_2265
; %bb.1714:
	s_andn2_b64 vcc, exec, s[14:15]
	s_cbranch_vccnz .LBB103_1716
.LBB103_1715:
	global_load_ubyte v1, v[7:8], off
	s_mov_b64 s[16:17], -1
	s_waitcnt vmcnt(0)
	v_cmp_ne_u16_e32 vcc, 0, v1
	v_cndmask_b32_e64 v1, 0, 1.0, vcc
.LBB103_1716:
	s_mov_b64 s[10:11], 0
.LBB103_1717:
	s_and_b64 vcc, exec, s[10:11]
	s_cbranch_vccz .LBB103_1766
; %bb.1718:
	s_and_b32 s14, 0xffff, s22
	s_cmp_lt_i32 s14, 5
	s_cbranch_scc1 .LBB103_1723
; %bb.1719:
	s_cmp_lt_i32 s14, 8
	s_cbranch_scc1 .LBB103_1724
; %bb.1720:
	;; [unrolled: 3-line block ×3, first 2 shown]
	s_cmp_gt_i32 s14, 9
	s_cbranch_scc0 .LBB103_1726
; %bb.1722:
	global_load_dwordx2 v[9:10], v[7:8], off
	s_mov_b64 s[10:11], 0
	s_waitcnt vmcnt(0)
	v_cvt_f32_f64_e32 v1, v[9:10]
	s_branch .LBB103_1727
.LBB103_1723:
	s_mov_b64 s[10:11], -1
                                        ; implicit-def: $vgpr1
	s_branch .LBB103_1745
.LBB103_1724:
	s_mov_b64 s[10:11], -1
                                        ; implicit-def: $vgpr1
	s_branch .LBB103_1733
.LBB103_1725:
	s_mov_b64 s[10:11], -1
                                        ; implicit-def: $vgpr1
	s_branch .LBB103_1730
.LBB103_1726:
	s_mov_b64 s[10:11], -1
                                        ; implicit-def: $vgpr1
.LBB103_1727:
	s_andn2_b64 vcc, exec, s[10:11]
	s_cbranch_vccnz .LBB103_1729
; %bb.1728:
	global_load_dword v1, v[7:8], off
.LBB103_1729:
	s_mov_b64 s[10:11], 0
.LBB103_1730:
	s_andn2_b64 vcc, exec, s[10:11]
	s_cbranch_vccnz .LBB103_1732
; %bb.1731:
	global_load_dword v1, v[7:8], off
	s_waitcnt vmcnt(0)
	v_cvt_f32_f16_e32 v1, v1
.LBB103_1732:
	s_mov_b64 s[10:11], 0
.LBB103_1733:
	s_andn2_b64 vcc, exec, s[10:11]
	s_cbranch_vccnz .LBB103_1744
; %bb.1734:
	s_cmp_lt_i32 s14, 6
	s_cbranch_scc1 .LBB103_1737
; %bb.1735:
	s_cmp_gt_i32 s14, 6
	s_cbranch_scc0 .LBB103_1738
; %bb.1736:
	global_load_dwordx2 v[9:10], v[7:8], off
	s_mov_b64 s[10:11], 0
	s_waitcnt vmcnt(0)
	v_cvt_f32_f64_e32 v1, v[9:10]
	s_branch .LBB103_1739
.LBB103_1737:
	s_mov_b64 s[10:11], -1
                                        ; implicit-def: $vgpr1
	s_branch .LBB103_1742
.LBB103_1738:
	s_mov_b64 s[10:11], -1
                                        ; implicit-def: $vgpr1
.LBB103_1739:
	s_andn2_b64 vcc, exec, s[10:11]
	s_cbranch_vccnz .LBB103_1741
; %bb.1740:
	global_load_dword v1, v[7:8], off
.LBB103_1741:
	s_mov_b64 s[10:11], 0
.LBB103_1742:
	s_andn2_b64 vcc, exec, s[10:11]
	s_cbranch_vccnz .LBB103_1744
; %bb.1743:
	global_load_ushort v1, v[7:8], off
	s_waitcnt vmcnt(0)
	v_cvt_f32_f16_e32 v1, v1
.LBB103_1744:
	s_mov_b64 s[10:11], 0
.LBB103_1745:
	s_andn2_b64 vcc, exec, s[10:11]
	s_cbranch_vccnz .LBB103_1765
; %bb.1746:
	s_cmp_lt_i32 s14, 2
	s_cbranch_scc1 .LBB103_1750
; %bb.1747:
	s_cmp_lt_i32 s14, 3
	s_cbranch_scc1 .LBB103_1751
; %bb.1748:
	s_cmp_gt_i32 s14, 3
	s_cbranch_scc0 .LBB103_1752
; %bb.1749:
	global_load_dwordx2 v[9:10], v[7:8], off
	s_mov_b64 s[10:11], 0
	s_waitcnt vmcnt(0)
	v_xor_b32_e32 v3, v9, v10
	v_ffbh_i32_e32 v1, v10
	v_ashrrev_i32_e32 v3, 31, v3
	v_add_u32_e32 v1, -1, v1
	v_add_u32_e32 v3, 32, v3
	v_min_u32_e32 v1, v1, v3
	v_lshlrev_b64 v[9:10], v1, v[9:10]
	v_sub_u32_e32 v1, 32, v1
	v_min_u32_e32 v3, 1, v9
	v_or_b32_e32 v3, v10, v3
	v_cvt_f32_i32_e32 v3, v3
	v_ldexp_f32 v1, v3, v1
	s_branch .LBB103_1753
.LBB103_1750:
	s_mov_b64 s[10:11], -1
                                        ; implicit-def: $vgpr1
	s_branch .LBB103_1759
.LBB103_1751:
	s_mov_b64 s[10:11], -1
                                        ; implicit-def: $vgpr1
	s_branch .LBB103_1756
.LBB103_1752:
	s_mov_b64 s[10:11], -1
                                        ; implicit-def: $vgpr1
.LBB103_1753:
	s_andn2_b64 vcc, exec, s[10:11]
	s_cbranch_vccnz .LBB103_1755
; %bb.1754:
	global_load_dword v1, v[7:8], off
	s_waitcnt vmcnt(0)
	v_cvt_f32_i32_e32 v1, v1
.LBB103_1755:
	s_mov_b64 s[10:11], 0
.LBB103_1756:
	s_andn2_b64 vcc, exec, s[10:11]
	s_cbranch_vccnz .LBB103_1758
; %bb.1757:
	global_load_sshort v1, v[7:8], off
	s_waitcnt vmcnt(0)
	v_cvt_f32_i32_e32 v1, v1
.LBB103_1758:
	s_mov_b64 s[10:11], 0
.LBB103_1759:
	s_andn2_b64 vcc, exec, s[10:11]
	s_cbranch_vccnz .LBB103_1765
; %bb.1760:
	s_cmp_gt_i32 s14, 0
	s_cbranch_scc0 .LBB103_1762
; %bb.1761:
	global_load_sbyte v1, v[7:8], off
	s_mov_b64 s[10:11], 0
	s_waitcnt vmcnt(0)
	v_cvt_f32_i32_e32 v1, v1
	s_branch .LBB103_1763
.LBB103_1762:
	s_mov_b64 s[10:11], -1
                                        ; implicit-def: $vgpr1
.LBB103_1763:
	s_andn2_b64 vcc, exec, s[10:11]
	s_cbranch_vccnz .LBB103_1765
; %bb.1764:
	global_load_ubyte v1, v[7:8], off
	s_waitcnt vmcnt(0)
	v_cvt_f32_ubyte0_e32 v1, v1
.LBB103_1765:
	s_mov_b64 s[16:17], -1
.LBB103_1766:
	s_andn2_b64 vcc, exec, s[16:17]
	s_cbranch_vccnz .LBB103_1771
; %bb.1767:
	s_cmp_lt_i32 s0, 1
	s_mov_b64 s[14:15], 0
	s_cbranch_scc1 .LBB103_1817
; %bb.1768:
	s_cmp_gt_i32 s0, 1
	s_cbranch_scc0 .LBB103_1818
; %bb.1769:
	s_cmp_eq_u32 s0, 2
	s_cbranch_scc0 .LBB103_1819
; %bb.1770:
	s_waitcnt vmcnt(0)
	v_cmp_ge_f32_e64 s[10:11], s1, v1
	s_mov_b64 s[16:17], 0
	s_branch .LBB103_1820
.LBB103_1771:
	s_mov_b64 s[0:1], 0
                                        ; implicit-def: $sgpr10_sgpr11
.LBB103_1772:
	s_mov_b64 s[4:5], 0
                                        ; implicit-def: $vgpr0_vgpr1
                                        ; implicit-def: $sgpr22
.LBB103_1773:
	s_and_b64 s[6:7], s[4:5], exec
	s_andn2_b64 s[4:5], s[28:29], exec
	s_and_b64 s[2:3], s[2:3], exec
	s_and_b64 s[0:1], s[0:1], exec
	s_or_b64 s[28:29], s[4:5], s[2:3]
.LBB103_1774:
	s_or_b64 exec, exec, s[30:31]
	s_and_saveexec_b64 s[2:3], s[28:29]
	s_cbranch_execz .LBB103_1777
; %bb.1775:
	; divergent unreachable
	s_or_b64 exec, exec, s[2:3]
	s_and_saveexec_b64 s[2:3], s[6:7]
	s_xor_b64 s[2:3], exec, s[2:3]
	s_cbranch_execnz .LBB103_1778
.LBB103_1776:
	s_or_b64 exec, exec, s[2:3]
	s_and_saveexec_b64 s[2:3], s[0:1]
	s_cbranch_execnz .LBB103_1779
	s_branch .LBB103_1816
.LBB103_1777:
	s_or_b64 exec, exec, s[2:3]
	s_and_saveexec_b64 s[2:3], s[6:7]
	s_xor_b64 s[2:3], exec, s[2:3]
	s_cbranch_execz .LBB103_1776
.LBB103_1778:
	v_cndmask_b32_e64 v2, 0, 1, s[10:11]
	s_waitcnt vmcnt(0)
	global_store_byte v[0:1], v2, off
	s_or_b64 exec, exec, s[2:3]
	s_and_saveexec_b64 s[2:3], s[0:1]
	s_cbranch_execz .LBB103_1816
.LBB103_1779:
	s_sext_i32_i16 s2, s22
	s_cmp_lt_i32 s2, 5
	s_mov_b64 s[0:1], -1
	s_cbranch_scc1 .LBB103_1800
; %bb.1780:
	s_cmp_lt_i32 s2, 8
	s_cbranch_scc1 .LBB103_1790
; %bb.1781:
	s_cmp_lt_i32 s2, 9
	s_cbranch_scc1 .LBB103_1787
; %bb.1782:
	s_cmp_gt_i32 s2, 9
	s_cbranch_scc0 .LBB103_1784
; %bb.1783:
	v_cndmask_b32_e64 v2, 0, 1, s[10:11]
	s_waitcnt vmcnt(0)
	v_cvt_f64_u32_e32 v[2:3], v2
	v_mov_b32_e32 v4, 0
	v_mov_b32_e32 v5, v4
	s_mov_b64 s[0:1], 0
	global_store_dwordx4 v[0:1], v[2:5], off
.LBB103_1784:
	s_andn2_b64 vcc, exec, s[0:1]
	s_cbranch_vccnz .LBB103_1786
; %bb.1785:
	v_cndmask_b32_e64 v2, 0, 1.0, s[10:11]
	s_waitcnt vmcnt(0)
	v_mov_b32_e32 v3, 0
	global_store_dwordx2 v[0:1], v[2:3], off
.LBB103_1786:
	s_mov_b64 s[0:1], 0
.LBB103_1787:
	s_andn2_b64 vcc, exec, s[0:1]
	s_cbranch_vccnz .LBB103_1789
; %bb.1788:
	v_cndmask_b32_e64 v2, 0, 1.0, s[10:11]
	v_cvt_f16_f32_e32 v2, v2
	s_waitcnt vmcnt(0)
	global_store_dword v[0:1], v2, off
.LBB103_1789:
	s_mov_b64 s[0:1], 0
.LBB103_1790:
	s_andn2_b64 vcc, exec, s[0:1]
	s_cbranch_vccnz .LBB103_1799
; %bb.1791:
	s_sext_i32_i16 s2, s22
	s_cmp_lt_i32 s2, 6
	s_mov_b64 s[0:1], -1
	s_cbranch_scc1 .LBB103_1797
; %bb.1792:
	s_cmp_gt_i32 s2, 6
	s_cbranch_scc0 .LBB103_1794
; %bb.1793:
	v_cndmask_b32_e64 v2, 0, 1, s[10:11]
	s_waitcnt vmcnt(0)
	v_cvt_f64_u32_e32 v[2:3], v2
	s_mov_b64 s[0:1], 0
	global_store_dwordx2 v[0:1], v[2:3], off
.LBB103_1794:
	s_andn2_b64 vcc, exec, s[0:1]
	s_cbranch_vccnz .LBB103_1796
; %bb.1795:
	v_cndmask_b32_e64 v2, 0, 1.0, s[10:11]
	s_waitcnt vmcnt(0)
	global_store_dword v[0:1], v2, off
.LBB103_1796:
	s_mov_b64 s[0:1], 0
.LBB103_1797:
	s_andn2_b64 vcc, exec, s[0:1]
	s_cbranch_vccnz .LBB103_1799
; %bb.1798:
	v_cndmask_b32_e64 v2, 0, 1.0, s[10:11]
	v_cvt_f16_f32_e32 v2, v2
	s_waitcnt vmcnt(0)
	global_store_short v[0:1], v2, off
.LBB103_1799:
	s_mov_b64 s[0:1], 0
.LBB103_1800:
	s_andn2_b64 vcc, exec, s[0:1]
	s_cbranch_vccnz .LBB103_1816
; %bb.1801:
	s_sext_i32_i16 s2, s22
	s_cmp_lt_i32 s2, 2
	s_mov_b64 s[0:1], -1
	s_cbranch_scc1 .LBB103_1811
; %bb.1802:
	s_cmp_lt_i32 s2, 3
	s_cbranch_scc1 .LBB103_1808
; %bb.1803:
	s_cmp_gt_i32 s2, 3
	s_cbranch_scc0 .LBB103_1805
; %bb.1804:
	s_mov_b32 s0, 0
	v_cndmask_b32_e64 v2, 0, 1, s[10:11]
	s_waitcnt vmcnt(0)
	v_mov_b32_e32 v3, s0
	global_store_dwordx2 v[0:1], v[2:3], off
	s_mov_b64 s[0:1], 0
.LBB103_1805:
	s_andn2_b64 vcc, exec, s[0:1]
	s_cbranch_vccnz .LBB103_1807
; %bb.1806:
	v_cndmask_b32_e64 v2, 0, 1, s[10:11]
	s_waitcnt vmcnt(0)
	global_store_dword v[0:1], v2, off
.LBB103_1807:
	s_mov_b64 s[0:1], 0
.LBB103_1808:
	s_andn2_b64 vcc, exec, s[0:1]
	s_cbranch_vccnz .LBB103_1810
; %bb.1809:
	v_cndmask_b32_e64 v2, 0, 1, s[10:11]
	s_waitcnt vmcnt(0)
	global_store_short v[0:1], v2, off
.LBB103_1810:
	s_mov_b64 s[0:1], 0
.LBB103_1811:
	s_andn2_b64 vcc, exec, s[0:1]
	s_cbranch_vccnz .LBB103_1816
; %bb.1812:
	s_sext_i32_i16 s0, s22
	s_cmp_gt_i32 s0, 0
	s_mov_b64 s[0:1], -1
	s_cbranch_scc0 .LBB103_1814
; %bb.1813:
	v_cndmask_b32_e64 v2, 0, 1, s[10:11]
	s_waitcnt vmcnt(0)
	global_store_byte v[0:1], v2, off
	s_mov_b64 s[0:1], 0
.LBB103_1814:
	s_andn2_b64 vcc, exec, s[0:1]
	s_cbranch_vccnz .LBB103_1816
; %bb.1815:
	v_cndmask_b32_e64 v2, 0, 1, s[10:11]
	s_waitcnt vmcnt(0)
	global_store_byte v[0:1], v2, off
	s_endpgm
.LBB103_1816:
	s_endpgm
.LBB103_1817:
	s_mov_b64 s[18:19], -1
                                        ; implicit-def: $sgpr10_sgpr11
	s_mov_b64 s[16:17], 0
	s_branch .LBB103_1824
.LBB103_1818:
	s_mov_b64 s[18:19], -1
	s_mov_b64 s[16:17], 0
                                        ; implicit-def: $sgpr10_sgpr11
	s_branch .LBB103_1821
.LBB103_1819:
	s_mov_b64 s[16:17], -1
                                        ; implicit-def: $sgpr10_sgpr11
.LBB103_1820:
	s_mov_b64 s[18:19], 0
.LBB103_1821:
	s_and_b64 vcc, exec, s[18:19]
	s_cbranch_vccz .LBB103_1823
; %bb.1822:
	s_waitcnt vmcnt(0)
	v_cmp_lt_f32_e32 vcc, s1, v1
	s_andn2_b64 s[10:11], s[10:11], exec
	s_and_b64 s[18:19], vcc, exec
	s_or_b64 s[10:11], s[10:11], s[18:19]
.LBB103_1823:
	s_mov_b64 s[18:19], 0
.LBB103_1824:
	s_and_b64 vcc, exec, s[18:19]
	s_cbranch_vccz .LBB103_1906
; %bb.1825:
	s_cmp_lg_u32 s0, 0
	s_mov_b64 s[14:15], -1
	s_cselect_b64 s[16:17], -1, 0
	s_andn2_b64 vcc, exec, s[16:17]
	s_cbranch_vccz .LBB103_1907
.LBB103_1826:
	s_andn2_b64 vcc, exec, s[14:15]
	s_cbranch_vccnz .LBB103_1828
.LBB103_1827:
	s_waitcnt vmcnt(0)
	v_cmp_le_f32_e32 vcc, s1, v1
	s_andn2_b64 s[0:1], s[10:11], exec
	s_and_b64 s[10:11], vcc, exec
	s_or_b64 s[10:11], s[0:1], s[10:11]
.LBB103_1828:
	s_load_dword s0, s[34:35], 0x160
	s_waitcnt vmcnt(0)
	v_mov_b32_e32 v1, s9
	v_add_co_u32_e32 v5, vcc, s8, v6
	v_addc_co_u32_e32 v6, vcc, 0, v1, vcc
	s_waitcnt lgkmcnt(0)
	s_and_b32 s22, s0, 0xff
	s_cmp_lt_i32 s22, 11
	s_cbranch_scc1 .LBB103_1908
; %bb.1829:
	s_and_b32 s23, 0xffff, s22
	s_mov_b64 s[18:19], -1
	s_mov_b64 s[14:15], 0
	s_cmp_gt_i32 s23, 25
	s_mov_b64 s[16:17], 0
	s_mov_b64 s[0:1], 0
	s_cbranch_scc0 .LBB103_1862
; %bb.1830:
	s_cmp_gt_i32 s23, 28
	s_cbranch_scc0 .LBB103_1845
; %bb.1831:
	s_cmp_gt_i32 s23, 43
	;; [unrolled: 3-line block ×3, first 2 shown]
	s_cbranch_scc0 .LBB103_1835
; %bb.1833:
	s_mov_b64 s[0:1], -1
	s_mov_b64 s[18:19], 0
	s_cmp_eq_u32 s23, 46
	s_cbranch_scc0 .LBB103_1835
; %bb.1834:
	v_cndmask_b32_e64 v1, 0, 1.0, s[4:5]
	v_bfe_u32 v3, v1, 16, 1
	s_movk_i32 s0, 0x7fff
	v_add3_u32 v1, v1, v3, s0
	v_lshrrev_b32_e32 v1, 16, v1
	global_store_dword v[5:6], v1, off
	s_mov_b64 s[0:1], 0
	s_mov_b64 s[16:17], -1
.LBB103_1835:
	s_and_b64 vcc, exec, s[18:19]
	s_cbranch_vccz .LBB103_1840
; %bb.1836:
	s_cmp_eq_u32 s23, 44
	s_mov_b64 s[0:1], -1
	s_cbranch_scc0 .LBB103_1840
; %bb.1837:
	v_cndmask_b32_e64 v3, 0, 1.0, s[4:5]
	v_lshrrev_b32_e32 v1, 23, v3
	s_movk_i32 s0, 0xff
	v_cmp_ne_u32_e32 vcc, s0, v1
	v_mov_b32_e32 v7, 0xff
	s_and_saveexec_b64 s[16:17], vcc
; %bb.1838:
	s_mov_b32 s0, 0x3fffff
	v_and_b32_e32 v7, 0x400000, v3
	v_and_or_b32 v3, v3, s0, v1
	v_cmp_ne_u32_e32 vcc, 0, v7
	v_cmp_ne_u32_e64 s[0:1], 0, v3
	s_and_b64 s[0:1], vcc, s[0:1]
	v_cndmask_b32_e64 v3, 0, 1, s[0:1]
	v_add_u32_e32 v7, v1, v3
; %bb.1839:
	s_or_b64 exec, exec, s[16:17]
	s_mov_b64 s[0:1], 0
	s_mov_b64 s[16:17], -1
	global_store_byte v[5:6], v7, off
.LBB103_1840:
	s_mov_b64 s[18:19], 0
.LBB103_1841:
	s_and_b64 vcc, exec, s[18:19]
	s_cbranch_vccz .LBB103_1844
; %bb.1842:
	s_cmp_eq_u32 s23, 29
	s_mov_b64 s[0:1], -1
	s_cbranch_scc0 .LBB103_1844
; %bb.1843:
	s_mov_b32 s0, 0
	v_cndmask_b32_e64 v7, 0, 1, s[4:5]
	v_mov_b32_e32 v8, s0
	global_store_dwordx2 v[5:6], v[7:8], off
	s_mov_b64 s[0:1], 0
	s_mov_b64 s[16:17], -1
.LBB103_1844:
	s_mov_b64 s[18:19], 0
.LBB103_1845:
	s_and_b64 vcc, exec, s[18:19]
	s_cbranch_vccz .LBB103_1861
; %bb.1846:
	s_cmp_lt_i32 s23, 27
	s_mov_b64 s[16:17], -1
	s_cbranch_scc1 .LBB103_1852
; %bb.1847:
	s_cmp_gt_i32 s23, 27
	s_cbranch_scc0 .LBB103_1849
; %bb.1848:
	v_cndmask_b32_e64 v1, 0, 1, s[4:5]
	s_mov_b64 s[16:17], 0
	global_store_dword v[5:6], v1, off
.LBB103_1849:
	s_andn2_b64 vcc, exec, s[16:17]
	s_cbranch_vccnz .LBB103_1851
; %bb.1850:
	v_cndmask_b32_e64 v1, 0, 1, s[4:5]
	global_store_short v[5:6], v1, off
.LBB103_1851:
	s_mov_b64 s[16:17], 0
.LBB103_1852:
	s_andn2_b64 vcc, exec, s[16:17]
	s_cbranch_vccnz .LBB103_1860
; %bb.1853:
	v_cndmask_b32_e64 v3, 0, 1.0, s[4:5]
	s_mov_b32 s16, 0x43800000
	v_cmp_gt_u32_e32 vcc, s16, v3
	v_mov_b32_e32 v7, 0x80
	s_and_saveexec_b64 s[16:17], vcc
	s_cbranch_execz .LBB103_1859
; %bb.1854:
	s_mov_b32 s18, 0x3bffffff
	v_cmp_lt_u32_e32 vcc, s18, v3
	s_mov_b64 s[18:19], 0
                                        ; implicit-def: $vgpr1
	s_and_saveexec_b64 s[20:21], vcc
	s_xor_b64 s[20:21], exec, s[20:21]
	s_cbranch_execz .LBB103_2266
; %bb.1855:
	v_bfe_u32 v1, v3, 20, 1
	s_mov_b32 s24, 0x487ffff
	v_add3_u32 v1, v3, v1, s24
	s_mov_b64 s[18:19], exec
	v_lshrrev_b32_e32 v1, 20, v1
                                        ; implicit-def: $vgpr3
	s_andn2_saveexec_b64 s[20:21], s[20:21]
	s_cbranch_execnz .LBB103_2267
.LBB103_1856:
	s_or_b64 exec, exec, s[20:21]
	v_mov_b32_e32 v7, 0
	s_and_saveexec_b64 s[20:21], s[18:19]
.LBB103_1857:
	v_mov_b32_e32 v7, v1
.LBB103_1858:
	s_or_b64 exec, exec, s[20:21]
.LBB103_1859:
	s_or_b64 exec, exec, s[16:17]
	global_store_byte v[5:6], v7, off
.LBB103_1860:
	s_mov_b64 s[16:17], -1
.LBB103_1861:
	s_mov_b64 s[18:19], 0
.LBB103_1862:
	s_and_b64 vcc, exec, s[18:19]
	s_cbranch_vccz .LBB103_1902
; %bb.1863:
	s_cmp_gt_i32 s23, 22
	s_mov_b64 s[14:15], -1
	s_cbranch_scc0 .LBB103_1895
; %bb.1864:
	s_cmp_lt_i32 s23, 24
	s_cbranch_scc1 .LBB103_1884
; %bb.1865:
	s_cmp_gt_i32 s23, 24
	s_cbranch_scc0 .LBB103_1873
; %bb.1866:
	v_cndmask_b32_e64 v3, 0, 1.0, s[4:5]
	s_mov_b32 s14, 0x47800000
	v_cmp_gt_u32_e32 vcc, s14, v3
	v_mov_b32_e32 v7, 0x80
	s_and_saveexec_b64 s[14:15], vcc
	s_cbranch_execz .LBB103_1872
; %bb.1867:
	s_mov_b32 s16, 0x37ffffff
	v_cmp_lt_u32_e32 vcc, s16, v3
	s_mov_b64 s[16:17], 0
                                        ; implicit-def: $vgpr1
	s_and_saveexec_b64 s[18:19], vcc
	s_xor_b64 s[18:19], exec, s[18:19]
	s_cbranch_execz .LBB103_2269
; %bb.1868:
	v_bfe_u32 v1, v3, 21, 1
	s_mov_b32 s20, 0x88fffff
	v_add3_u32 v1, v3, v1, s20
	s_mov_b64 s[16:17], exec
	v_lshrrev_b32_e32 v1, 21, v1
                                        ; implicit-def: $vgpr3
	s_andn2_saveexec_b64 s[18:19], s[18:19]
	s_cbranch_execnz .LBB103_2270
.LBB103_1869:
	s_or_b64 exec, exec, s[18:19]
	v_mov_b32_e32 v7, 0
	s_and_saveexec_b64 s[18:19], s[16:17]
.LBB103_1870:
	v_mov_b32_e32 v7, v1
.LBB103_1871:
	s_or_b64 exec, exec, s[18:19]
.LBB103_1872:
	s_or_b64 exec, exec, s[14:15]
	s_mov_b64 s[14:15], 0
	global_store_byte v[5:6], v7, off
.LBB103_1873:
	s_and_b64 vcc, exec, s[14:15]
	s_cbranch_vccz .LBB103_1883
; %bb.1874:
	v_cndmask_b32_e64 v1, 0, 1.0, s[4:5]
	s_mov_b32 s14, 0x43f00000
	v_cmp_gt_u32_e32 vcc, s14, v1
                                        ; implicit-def: $vgpr3
	s_and_saveexec_b64 s[14:15], vcc
	s_xor_b64 s[14:15], exec, s[14:15]
	s_cbranch_execz .LBB103_1880
; %bb.1875:
	s_mov_b32 s16, 0x3c7fffff
	v_cmp_lt_u32_e32 vcc, s16, v1
                                        ; implicit-def: $vgpr3
	s_and_saveexec_b64 s[16:17], vcc
	s_xor_b64 s[16:17], exec, s[16:17]
; %bb.1876:
	v_bfe_u32 v3, v1, 20, 1
	s_mov_b32 s18, 0x407ffff
	v_add3_u32 v1, v1, v3, s18
	v_lshrrev_b32_e32 v3, 20, v1
	v_and_b32_e32 v1, 0xff00000, v1
	s_mov_b32 s18, 0x7f00000
	v_mov_b32_e32 v7, 0x7e
	v_cmp_ne_u32_e32 vcc, s18, v1
	v_cndmask_b32_e32 v3, v7, v3, vcc
                                        ; implicit-def: $vgpr1
; %bb.1877:
	s_andn2_saveexec_b64 s[16:17], s[16:17]
; %bb.1878:
	v_add_f32_e32 v3, 0x46800000, v1
; %bb.1879:
	s_or_b64 exec, exec, s[16:17]
                                        ; implicit-def: $vgpr1
.LBB103_1880:
	s_andn2_saveexec_b64 s[14:15], s[14:15]
; %bb.1881:
	s_mov_b32 s16, 0x7f800000
	v_mov_b32_e32 v3, 0x7e
	v_mov_b32_e32 v7, 0x7f
	v_cmp_lt_u32_e32 vcc, s16, v1
	v_cndmask_b32_e32 v3, v3, v7, vcc
; %bb.1882:
	s_or_b64 exec, exec, s[14:15]
	global_store_byte v[5:6], v3, off
.LBB103_1883:
	s_mov_b64 s[14:15], 0
.LBB103_1884:
	s_andn2_b64 vcc, exec, s[14:15]
	s_cbranch_vccnz .LBB103_1894
; %bb.1885:
	v_cndmask_b32_e64 v1, 0, 1.0, s[4:5]
	s_mov_b32 s14, 0x47800000
	v_cmp_gt_u32_e32 vcc, s14, v1
                                        ; implicit-def: $vgpr3
	s_and_saveexec_b64 s[14:15], vcc
	s_xor_b64 s[14:15], exec, s[14:15]
	s_cbranch_execz .LBB103_1891
; %bb.1886:
	s_mov_b32 s16, 0x387fffff
	v_cmp_lt_u32_e32 vcc, s16, v1
                                        ; implicit-def: $vgpr3
	s_and_saveexec_b64 s[16:17], vcc
	s_xor_b64 s[16:17], exec, s[16:17]
; %bb.1887:
	v_bfe_u32 v3, v1, 21, 1
	s_mov_b32 s18, 0x80fffff
	v_add3_u32 v1, v1, v3, s18
	v_lshrrev_b32_e32 v3, 21, v1
                                        ; implicit-def: $vgpr1
; %bb.1888:
	s_andn2_saveexec_b64 s[16:17], s[16:17]
; %bb.1889:
	v_add_f32_e32 v3, 0x43000000, v1
; %bb.1890:
	s_or_b64 exec, exec, s[16:17]
                                        ; implicit-def: $vgpr1
.LBB103_1891:
	s_andn2_saveexec_b64 s[14:15], s[14:15]
; %bb.1892:
	s_mov_b32 s16, 0x7f800000
	v_mov_b32_e32 v3, 0x7c
	v_mov_b32_e32 v7, 0x7f
	v_cmp_lt_u32_e32 vcc, s16, v1
	v_cndmask_b32_e32 v3, v3, v7, vcc
; %bb.1893:
	s_or_b64 exec, exec, s[14:15]
	global_store_byte v[5:6], v3, off
.LBB103_1894:
	s_mov_b64 s[14:15], 0
	s_mov_b64 s[16:17], -1
.LBB103_1895:
	s_andn2_b64 vcc, exec, s[14:15]
	s_mov_b64 s[14:15], 0
	s_cbranch_vccnz .LBB103_1902
; %bb.1896:
	s_cmp_gt_i32 s23, 14
	s_mov_b64 s[18:19], -1
	s_cbranch_scc0 .LBB103_1900
; %bb.1897:
	s_cmp_eq_u32 s23, 15
	s_mov_b64 s[0:1], -1
	s_cbranch_scc0 .LBB103_1899
; %bb.1898:
	v_cndmask_b32_e64 v1, 0, 1.0, s[4:5]
	v_bfe_u32 v3, v1, 16, 1
	s_movk_i32 s0, 0x7fff
	v_add3_u32 v1, v1, v3, s0
	global_store_short_d16_hi v[5:6], v1, off
	s_mov_b64 s[0:1], 0
	s_mov_b64 s[16:17], -1
.LBB103_1899:
	s_mov_b64 s[18:19], 0
.LBB103_1900:
	s_and_b64 vcc, exec, s[18:19]
	s_cbranch_vccz .LBB103_1902
; %bb.1901:
	s_cmp_lg_u32 s23, 11
	s_mov_b64 s[14:15], -1
	s_cselect_b64 s[0:1], -1, 0
.LBB103_1902:
	s_and_b64 vcc, exec, s[0:1]
	s_cbranch_vccnz .LBB103_2268
; %bb.1903:
	s_andn2_b64 vcc, exec, s[14:15]
	s_cbranch_vccnz .LBB103_1905
.LBB103_1904:
	v_cndmask_b32_e64 v1, 0, 1, s[4:5]
	s_mov_b64 s[16:17], -1
	global_store_byte v[5:6], v1, off
.LBB103_1905:
	s_mov_b64 s[0:1], 0
	s_branch .LBB103_1909
.LBB103_1906:
	s_andn2_b64 vcc, exec, s[16:17]
	s_cbranch_vccnz .LBB103_1826
.LBB103_1907:
	s_waitcnt vmcnt(0)
	v_cmp_gt_f32_e32 vcc, s1, v1
	s_andn2_b64 s[10:11], s[10:11], exec
	s_and_b64 s[16:17], vcc, exec
	s_or_b64 s[10:11], s[10:11], s[16:17]
	s_cbranch_execz .LBB103_1827
	s_branch .LBB103_1828
.LBB103_1908:
	s_mov_b64 s[0:1], -1
	s_mov_b64 s[16:17], 0
.LBB103_1909:
	s_and_b64 vcc, exec, s[0:1]
	s_cbranch_vccz .LBB103_1948
; %bb.1910:
	s_and_b32 s14, 0xffff, s22
	s_cmp_lt_i32 s14, 5
	s_mov_b64 s[0:1], -1
	s_cbranch_scc1 .LBB103_1931
; %bb.1911:
	s_cmp_lt_i32 s14, 8
	s_cbranch_scc1 .LBB103_1921
; %bb.1912:
	s_cmp_lt_i32 s14, 9
	s_cbranch_scc1 .LBB103_1918
; %bb.1913:
	s_cmp_gt_i32 s14, 9
	s_cbranch_scc0 .LBB103_1915
; %bb.1914:
	v_cndmask_b32_e64 v1, 0, 1, s[4:5]
	v_cvt_f64_u32_e32 v[7:8], v1
	v_mov_b32_e32 v9, 0
	v_mov_b32_e32 v10, v9
	s_mov_b64 s[0:1], 0
	global_store_dwordx4 v[5:6], v[7:10], off
.LBB103_1915:
	s_andn2_b64 vcc, exec, s[0:1]
	s_cbranch_vccnz .LBB103_1917
; %bb.1916:
	v_cndmask_b32_e64 v7, 0, 1.0, s[4:5]
	v_mov_b32_e32 v8, 0
	global_store_dwordx2 v[5:6], v[7:8], off
.LBB103_1917:
	s_mov_b64 s[0:1], 0
.LBB103_1918:
	s_andn2_b64 vcc, exec, s[0:1]
	s_cbranch_vccnz .LBB103_1920
; %bb.1919:
	v_cndmask_b32_e64 v1, 0, 1.0, s[4:5]
	v_cvt_f16_f32_e32 v1, v1
	global_store_dword v[5:6], v1, off
.LBB103_1920:
	s_mov_b64 s[0:1], 0
.LBB103_1921:
	s_andn2_b64 vcc, exec, s[0:1]
	s_cbranch_vccnz .LBB103_1930
; %bb.1922:
	s_cmp_lt_i32 s14, 6
	s_mov_b64 s[0:1], -1
	s_cbranch_scc1 .LBB103_1928
; %bb.1923:
	s_cmp_gt_i32 s14, 6
	s_cbranch_scc0 .LBB103_1925
; %bb.1924:
	v_cndmask_b32_e64 v1, 0, 1, s[4:5]
	v_cvt_f64_u32_e32 v[7:8], v1
	s_mov_b64 s[0:1], 0
	global_store_dwordx2 v[5:6], v[7:8], off
.LBB103_1925:
	s_andn2_b64 vcc, exec, s[0:1]
	s_cbranch_vccnz .LBB103_1927
; %bb.1926:
	v_cndmask_b32_e64 v1, 0, 1.0, s[4:5]
	global_store_dword v[5:6], v1, off
.LBB103_1927:
	s_mov_b64 s[0:1], 0
.LBB103_1928:
	s_andn2_b64 vcc, exec, s[0:1]
	s_cbranch_vccnz .LBB103_1930
; %bb.1929:
	v_cndmask_b32_e64 v1, 0, 1.0, s[4:5]
	v_cvt_f16_f32_e32 v1, v1
	global_store_short v[5:6], v1, off
.LBB103_1930:
	s_mov_b64 s[0:1], 0
.LBB103_1931:
	s_andn2_b64 vcc, exec, s[0:1]
	s_cbranch_vccnz .LBB103_1947
; %bb.1932:
	s_cmp_lt_i32 s14, 2
	s_mov_b64 s[0:1], -1
	s_cbranch_scc1 .LBB103_1942
; %bb.1933:
	s_cmp_lt_i32 s14, 3
	s_cbranch_scc1 .LBB103_1939
; %bb.1934:
	s_cmp_gt_i32 s14, 3
	s_cbranch_scc0 .LBB103_1936
; %bb.1935:
	s_mov_b32 s0, 0
	v_cndmask_b32_e64 v7, 0, 1, s[4:5]
	v_mov_b32_e32 v8, s0
	global_store_dwordx2 v[5:6], v[7:8], off
	s_mov_b64 s[0:1], 0
.LBB103_1936:
	s_andn2_b64 vcc, exec, s[0:1]
	s_cbranch_vccnz .LBB103_1938
; %bb.1937:
	v_cndmask_b32_e64 v1, 0, 1, s[4:5]
	global_store_dword v[5:6], v1, off
.LBB103_1938:
	s_mov_b64 s[0:1], 0
.LBB103_1939:
	s_andn2_b64 vcc, exec, s[0:1]
	s_cbranch_vccnz .LBB103_1941
; %bb.1940:
	v_cndmask_b32_e64 v1, 0, 1, s[4:5]
	global_store_short v[5:6], v1, off
.LBB103_1941:
	s_mov_b64 s[0:1], 0
.LBB103_1942:
	s_andn2_b64 vcc, exec, s[0:1]
	s_cbranch_vccnz .LBB103_1947
; %bb.1943:
	s_mov_b64 s[0:1], -1
	s_cmp_gt_i32 s14, 0
	v_cndmask_b32_e64 v1, 0, 1, s[4:5]
	s_cbranch_scc0 .LBB103_1945
; %bb.1944:
	global_store_byte v[5:6], v1, off
	s_mov_b64 s[0:1], 0
.LBB103_1945:
	s_andn2_b64 vcc, exec, s[0:1]
	s_cbranch_vccnz .LBB103_1947
; %bb.1946:
	global_store_byte v[5:6], v1, off
.LBB103_1947:
	s_mov_b64 s[16:17], -1
.LBB103_1948:
	s_andn2_b64 vcc, exec, s[16:17]
	s_cbranch_vccnz .LBB103_2263
; %bb.1949:
	v_mov_b32_e32 v1, s9
	s_and_b32 s20, 0xffff, s22
	v_add_co_u32_e32 v3, vcc, s8, v4
	s_cmp_lt_i32 s20, 11
	v_addc_co_u32_e32 v4, vcc, 0, v1, vcc
	s_cbranch_scc1 .LBB103_2027
; %bb.1950:
	s_mov_b64 s[16:17], -1
	s_mov_b64 s[4:5], 0
	s_cmp_gt_i32 s20, 25
	s_mov_b64 s[14:15], 0
	s_mov_b64 s[0:1], 0
	s_cbranch_scc0 .LBB103_1983
; %bb.1951:
	s_cmp_gt_i32 s20, 28
	s_cbranch_scc0 .LBB103_1966
; %bb.1952:
	s_cmp_gt_i32 s20, 43
	;; [unrolled: 3-line block ×3, first 2 shown]
	s_cbranch_scc0 .LBB103_1956
; %bb.1954:
	s_mov_b64 s[0:1], -1
	s_mov_b64 s[16:17], 0
	s_cmp_eq_u32 s20, 46
	s_cbranch_scc0 .LBB103_1956
; %bb.1955:
	v_cndmask_b32_e64 v1, 0, 1.0, s[6:7]
	v_bfe_u32 v5, v1, 16, 1
	s_movk_i32 s0, 0x7fff
	v_add3_u32 v1, v1, v5, s0
	v_lshrrev_b32_e32 v1, 16, v1
	global_store_dword v[3:4], v1, off
	s_mov_b64 s[0:1], 0
	s_mov_b64 s[14:15], -1
.LBB103_1956:
	s_and_b64 vcc, exec, s[16:17]
	s_cbranch_vccz .LBB103_1961
; %bb.1957:
	s_cmp_eq_u32 s20, 44
	s_mov_b64 s[0:1], -1
	s_cbranch_scc0 .LBB103_1961
; %bb.1958:
	v_cndmask_b32_e64 v5, 0, 1.0, s[6:7]
	v_lshrrev_b32_e32 v1, 23, v5
	s_movk_i32 s0, 0xff
	v_cmp_ne_u32_e32 vcc, s0, v1
	v_mov_b32_e32 v6, 0xff
	s_and_saveexec_b64 s[14:15], vcc
; %bb.1959:
	s_mov_b32 s0, 0x3fffff
	v_and_b32_e32 v6, 0x400000, v5
	v_and_or_b32 v5, v5, s0, v1
	v_cmp_ne_u32_e32 vcc, 0, v6
	v_cmp_ne_u32_e64 s[0:1], 0, v5
	s_and_b64 s[0:1], vcc, s[0:1]
	v_cndmask_b32_e64 v5, 0, 1, s[0:1]
	v_add_u32_e32 v6, v1, v5
; %bb.1960:
	s_or_b64 exec, exec, s[14:15]
	s_mov_b64 s[0:1], 0
	s_mov_b64 s[14:15], -1
	global_store_byte v[3:4], v6, off
.LBB103_1961:
	s_mov_b64 s[16:17], 0
.LBB103_1962:
	s_and_b64 vcc, exec, s[16:17]
	s_cbranch_vccz .LBB103_1965
; %bb.1963:
	s_cmp_eq_u32 s20, 29
	s_mov_b64 s[0:1], -1
	s_cbranch_scc0 .LBB103_1965
; %bb.1964:
	s_mov_b32 s0, 0
	v_cndmask_b32_e64 v5, 0, 1, s[6:7]
	v_mov_b32_e32 v6, s0
	global_store_dwordx2 v[3:4], v[5:6], off
	s_mov_b64 s[0:1], 0
	s_mov_b64 s[14:15], -1
.LBB103_1965:
	s_mov_b64 s[16:17], 0
.LBB103_1966:
	s_and_b64 vcc, exec, s[16:17]
	s_cbranch_vccz .LBB103_1982
; %bb.1967:
	s_cmp_lt_i32 s20, 27
	s_mov_b64 s[14:15], -1
	s_cbranch_scc1 .LBB103_1973
; %bb.1968:
	s_cmp_gt_i32 s20, 27
	s_cbranch_scc0 .LBB103_1970
; %bb.1969:
	v_cndmask_b32_e64 v1, 0, 1, s[6:7]
	s_mov_b64 s[14:15], 0
	global_store_dword v[3:4], v1, off
.LBB103_1970:
	s_andn2_b64 vcc, exec, s[14:15]
	s_cbranch_vccnz .LBB103_1972
; %bb.1971:
	v_cndmask_b32_e64 v1, 0, 1, s[6:7]
	global_store_short v[3:4], v1, off
.LBB103_1972:
	s_mov_b64 s[14:15], 0
.LBB103_1973:
	s_andn2_b64 vcc, exec, s[14:15]
	s_cbranch_vccnz .LBB103_1981
; %bb.1974:
	v_cndmask_b32_e64 v5, 0, 1.0, s[6:7]
	s_mov_b32 s14, 0x43800000
	v_cmp_gt_u32_e32 vcc, s14, v5
	v_mov_b32_e32 v6, 0x80
	s_and_saveexec_b64 s[14:15], vcc
	s_cbranch_execz .LBB103_1980
; %bb.1975:
	s_mov_b32 s16, 0x3bffffff
	v_cmp_lt_u32_e32 vcc, s16, v5
	s_mov_b64 s[16:17], 0
                                        ; implicit-def: $vgpr1
	s_and_saveexec_b64 s[18:19], vcc
	s_xor_b64 s[18:19], exec, s[18:19]
	s_cbranch_execz .LBB103_2271
; %bb.1976:
	v_bfe_u32 v1, v5, 20, 1
	s_mov_b32 s21, 0x487ffff
	v_add3_u32 v1, v5, v1, s21
	s_mov_b64 s[16:17], exec
	v_lshrrev_b32_e32 v1, 20, v1
                                        ; implicit-def: $vgpr5
	s_andn2_saveexec_b64 s[18:19], s[18:19]
	s_cbranch_execnz .LBB103_2272
.LBB103_1977:
	s_or_b64 exec, exec, s[18:19]
	v_mov_b32_e32 v6, 0
	s_and_saveexec_b64 s[18:19], s[16:17]
.LBB103_1978:
	v_mov_b32_e32 v6, v1
.LBB103_1979:
	s_or_b64 exec, exec, s[18:19]
.LBB103_1980:
	s_or_b64 exec, exec, s[14:15]
	global_store_byte v[3:4], v6, off
.LBB103_1981:
	s_mov_b64 s[14:15], -1
.LBB103_1982:
	s_mov_b64 s[16:17], 0
.LBB103_1983:
	s_and_b64 vcc, exec, s[16:17]
	s_cbranch_vccz .LBB103_2023
; %bb.1984:
	s_cmp_gt_i32 s20, 22
	s_mov_b64 s[4:5], -1
	s_cbranch_scc0 .LBB103_2016
; %bb.1985:
	s_cmp_lt_i32 s20, 24
	s_cbranch_scc1 .LBB103_2005
; %bb.1986:
	s_cmp_gt_i32 s20, 24
	s_cbranch_scc0 .LBB103_1994
; %bb.1987:
	v_cndmask_b32_e64 v5, 0, 1.0, s[6:7]
	s_mov_b32 s4, 0x47800000
	v_cmp_gt_u32_e32 vcc, s4, v5
	v_mov_b32_e32 v6, 0x80
	s_and_saveexec_b64 s[4:5], vcc
	s_cbranch_execz .LBB103_1993
; %bb.1988:
	s_mov_b32 s14, 0x37ffffff
	v_cmp_lt_u32_e32 vcc, s14, v5
	s_mov_b64 s[14:15], 0
                                        ; implicit-def: $vgpr1
	s_and_saveexec_b64 s[16:17], vcc
	s_xor_b64 s[16:17], exec, s[16:17]
	s_cbranch_execz .LBB103_2274
; %bb.1989:
	v_bfe_u32 v1, v5, 21, 1
	s_mov_b32 s18, 0x88fffff
	v_add3_u32 v1, v5, v1, s18
	s_mov_b64 s[14:15], exec
	v_lshrrev_b32_e32 v1, 21, v1
                                        ; implicit-def: $vgpr5
	s_andn2_saveexec_b64 s[16:17], s[16:17]
	s_cbranch_execnz .LBB103_2275
.LBB103_1990:
	s_or_b64 exec, exec, s[16:17]
	v_mov_b32_e32 v6, 0
	s_and_saveexec_b64 s[16:17], s[14:15]
.LBB103_1991:
	v_mov_b32_e32 v6, v1
.LBB103_1992:
	s_or_b64 exec, exec, s[16:17]
.LBB103_1993:
	s_or_b64 exec, exec, s[4:5]
	s_mov_b64 s[4:5], 0
	global_store_byte v[3:4], v6, off
.LBB103_1994:
	s_and_b64 vcc, exec, s[4:5]
	s_cbranch_vccz .LBB103_2004
; %bb.1995:
	v_cndmask_b32_e64 v1, 0, 1.0, s[6:7]
	s_mov_b32 s4, 0x43f00000
	v_cmp_gt_u32_e32 vcc, s4, v1
                                        ; implicit-def: $vgpr5
	s_and_saveexec_b64 s[4:5], vcc
	s_xor_b64 s[4:5], exec, s[4:5]
	s_cbranch_execz .LBB103_2001
; %bb.1996:
	s_mov_b32 s14, 0x3c7fffff
	v_cmp_lt_u32_e32 vcc, s14, v1
                                        ; implicit-def: $vgpr5
	s_and_saveexec_b64 s[14:15], vcc
	s_xor_b64 s[14:15], exec, s[14:15]
; %bb.1997:
	v_bfe_u32 v5, v1, 20, 1
	s_mov_b32 s16, 0x407ffff
	v_add3_u32 v1, v1, v5, s16
	v_lshrrev_b32_e32 v5, 20, v1
	v_and_b32_e32 v1, 0xff00000, v1
	s_mov_b32 s16, 0x7f00000
	v_mov_b32_e32 v6, 0x7e
	v_cmp_ne_u32_e32 vcc, s16, v1
	v_cndmask_b32_e32 v5, v6, v5, vcc
                                        ; implicit-def: $vgpr1
; %bb.1998:
	s_andn2_saveexec_b64 s[14:15], s[14:15]
; %bb.1999:
	v_add_f32_e32 v5, 0x46800000, v1
; %bb.2000:
	s_or_b64 exec, exec, s[14:15]
                                        ; implicit-def: $vgpr1
.LBB103_2001:
	s_andn2_saveexec_b64 s[4:5], s[4:5]
; %bb.2002:
	s_mov_b32 s14, 0x7f800000
	v_mov_b32_e32 v5, 0x7e
	v_mov_b32_e32 v6, 0x7f
	v_cmp_lt_u32_e32 vcc, s14, v1
	v_cndmask_b32_e32 v5, v5, v6, vcc
; %bb.2003:
	s_or_b64 exec, exec, s[4:5]
	global_store_byte v[3:4], v5, off
.LBB103_2004:
	s_mov_b64 s[4:5], 0
.LBB103_2005:
	s_andn2_b64 vcc, exec, s[4:5]
	s_cbranch_vccnz .LBB103_2015
; %bb.2006:
	v_cndmask_b32_e64 v1, 0, 1.0, s[6:7]
	s_mov_b32 s4, 0x47800000
	v_cmp_gt_u32_e32 vcc, s4, v1
                                        ; implicit-def: $vgpr5
	s_and_saveexec_b64 s[4:5], vcc
	s_xor_b64 s[4:5], exec, s[4:5]
	s_cbranch_execz .LBB103_2012
; %bb.2007:
	s_mov_b32 s14, 0x387fffff
	v_cmp_lt_u32_e32 vcc, s14, v1
                                        ; implicit-def: $vgpr5
	s_and_saveexec_b64 s[14:15], vcc
	s_xor_b64 s[14:15], exec, s[14:15]
; %bb.2008:
	v_bfe_u32 v5, v1, 21, 1
	s_mov_b32 s16, 0x80fffff
	v_add3_u32 v1, v1, v5, s16
	v_lshrrev_b32_e32 v5, 21, v1
                                        ; implicit-def: $vgpr1
; %bb.2009:
	s_andn2_saveexec_b64 s[14:15], s[14:15]
; %bb.2010:
	v_add_f32_e32 v5, 0x43000000, v1
; %bb.2011:
	s_or_b64 exec, exec, s[14:15]
                                        ; implicit-def: $vgpr1
.LBB103_2012:
	s_andn2_saveexec_b64 s[4:5], s[4:5]
; %bb.2013:
	s_mov_b32 s14, 0x7f800000
	v_mov_b32_e32 v5, 0x7c
	v_mov_b32_e32 v6, 0x7f
	v_cmp_lt_u32_e32 vcc, s14, v1
	v_cndmask_b32_e32 v5, v5, v6, vcc
; %bb.2014:
	s_or_b64 exec, exec, s[4:5]
	global_store_byte v[3:4], v5, off
.LBB103_2015:
	s_mov_b64 s[4:5], 0
	s_mov_b64 s[14:15], -1
.LBB103_2016:
	s_andn2_b64 vcc, exec, s[4:5]
	s_mov_b64 s[4:5], 0
	s_cbranch_vccnz .LBB103_2023
; %bb.2017:
	s_cmp_gt_i32 s20, 14
	s_mov_b64 s[16:17], -1
	s_cbranch_scc0 .LBB103_2021
; %bb.2018:
	s_cmp_eq_u32 s20, 15
	s_mov_b64 s[0:1], -1
	s_cbranch_scc0 .LBB103_2020
; %bb.2019:
	v_cndmask_b32_e64 v1, 0, 1.0, s[6:7]
	v_bfe_u32 v5, v1, 16, 1
	s_movk_i32 s0, 0x7fff
	v_add3_u32 v1, v1, v5, s0
	global_store_short_d16_hi v[3:4], v1, off
	s_mov_b64 s[0:1], 0
	s_mov_b64 s[14:15], -1
.LBB103_2020:
	s_mov_b64 s[16:17], 0
.LBB103_2021:
	s_and_b64 vcc, exec, s[16:17]
	s_cbranch_vccz .LBB103_2023
; %bb.2022:
	s_cmp_lg_u32 s20, 11
	s_mov_b64 s[4:5], -1
	s_cselect_b64 s[0:1], -1, 0
.LBB103_2023:
	s_and_b64 vcc, exec, s[0:1]
	s_cbranch_vccnz .LBB103_2273
; %bb.2024:
	s_andn2_b64 vcc, exec, s[4:5]
	s_cbranch_vccnz .LBB103_2026
.LBB103_2025:
	v_cndmask_b32_e64 v1, 0, 1, s[6:7]
	s_mov_b64 s[14:15], -1
	global_store_byte v[3:4], v1, off
.LBB103_2026:
	s_mov_b64 s[0:1], 0
	s_branch .LBB103_2028
.LBB103_2027:
	s_mov_b64 s[0:1], -1
	s_mov_b64 s[14:15], 0
.LBB103_2028:
	s_and_b64 vcc, exec, s[0:1]
	s_cbranch_vccz .LBB103_2067
; %bb.2029:
	s_cmp_lt_i32 s20, 5
	s_mov_b64 s[0:1], -1
	s_cbranch_scc1 .LBB103_2050
; %bb.2030:
	s_cmp_lt_i32 s20, 8
	s_cbranch_scc1 .LBB103_2040
; %bb.2031:
	s_cmp_lt_i32 s20, 9
	s_cbranch_scc1 .LBB103_2037
; %bb.2032:
	s_cmp_gt_i32 s20, 9
	s_cbranch_scc0 .LBB103_2034
; %bb.2033:
	v_cndmask_b32_e64 v1, 0, 1, s[6:7]
	v_cvt_f64_u32_e32 v[5:6], v1
	v_mov_b32_e32 v7, 0
	v_mov_b32_e32 v8, v7
	s_mov_b64 s[0:1], 0
	global_store_dwordx4 v[3:4], v[5:8], off
.LBB103_2034:
	s_andn2_b64 vcc, exec, s[0:1]
	s_cbranch_vccnz .LBB103_2036
; %bb.2035:
	v_cndmask_b32_e64 v5, 0, 1.0, s[6:7]
	v_mov_b32_e32 v6, 0
	global_store_dwordx2 v[3:4], v[5:6], off
.LBB103_2036:
	s_mov_b64 s[0:1], 0
.LBB103_2037:
	s_andn2_b64 vcc, exec, s[0:1]
	s_cbranch_vccnz .LBB103_2039
; %bb.2038:
	v_cndmask_b32_e64 v1, 0, 1.0, s[6:7]
	v_cvt_f16_f32_e32 v1, v1
	global_store_dword v[3:4], v1, off
.LBB103_2039:
	s_mov_b64 s[0:1], 0
.LBB103_2040:
	s_andn2_b64 vcc, exec, s[0:1]
	s_cbranch_vccnz .LBB103_2049
; %bb.2041:
	s_cmp_lt_i32 s20, 6
	s_mov_b64 s[0:1], -1
	s_cbranch_scc1 .LBB103_2047
; %bb.2042:
	s_cmp_gt_i32 s20, 6
	s_cbranch_scc0 .LBB103_2044
; %bb.2043:
	v_cndmask_b32_e64 v1, 0, 1, s[6:7]
	v_cvt_f64_u32_e32 v[5:6], v1
	s_mov_b64 s[0:1], 0
	global_store_dwordx2 v[3:4], v[5:6], off
.LBB103_2044:
	s_andn2_b64 vcc, exec, s[0:1]
	s_cbranch_vccnz .LBB103_2046
; %bb.2045:
	v_cndmask_b32_e64 v1, 0, 1.0, s[6:7]
	global_store_dword v[3:4], v1, off
.LBB103_2046:
	s_mov_b64 s[0:1], 0
.LBB103_2047:
	s_andn2_b64 vcc, exec, s[0:1]
	s_cbranch_vccnz .LBB103_2049
; %bb.2048:
	v_cndmask_b32_e64 v1, 0, 1.0, s[6:7]
	v_cvt_f16_f32_e32 v1, v1
	global_store_short v[3:4], v1, off
.LBB103_2049:
	s_mov_b64 s[0:1], 0
.LBB103_2050:
	s_andn2_b64 vcc, exec, s[0:1]
	s_cbranch_vccnz .LBB103_2066
; %bb.2051:
	s_cmp_lt_i32 s20, 2
	s_mov_b64 s[0:1], -1
	s_cbranch_scc1 .LBB103_2061
; %bb.2052:
	s_cmp_lt_i32 s20, 3
	s_cbranch_scc1 .LBB103_2058
; %bb.2053:
	s_cmp_gt_i32 s20, 3
	s_cbranch_scc0 .LBB103_2055
; %bb.2054:
	s_mov_b32 s0, 0
	v_cndmask_b32_e64 v5, 0, 1, s[6:7]
	v_mov_b32_e32 v6, s0
	global_store_dwordx2 v[3:4], v[5:6], off
	s_mov_b64 s[0:1], 0
.LBB103_2055:
	s_andn2_b64 vcc, exec, s[0:1]
	s_cbranch_vccnz .LBB103_2057
; %bb.2056:
	v_cndmask_b32_e64 v1, 0, 1, s[6:7]
	global_store_dword v[3:4], v1, off
.LBB103_2057:
	s_mov_b64 s[0:1], 0
.LBB103_2058:
	s_andn2_b64 vcc, exec, s[0:1]
	s_cbranch_vccnz .LBB103_2060
; %bb.2059:
	v_cndmask_b32_e64 v1, 0, 1, s[6:7]
	global_store_short v[3:4], v1, off
.LBB103_2060:
	s_mov_b64 s[0:1], 0
.LBB103_2061:
	s_andn2_b64 vcc, exec, s[0:1]
	s_cbranch_vccnz .LBB103_2066
; %bb.2062:
	s_mov_b64 s[0:1], -1
	s_cmp_gt_i32 s20, 0
	v_cndmask_b32_e64 v1, 0, 1, s[6:7]
	s_cbranch_scc0 .LBB103_2064
; %bb.2063:
	global_store_byte v[3:4], v1, off
	s_mov_b64 s[0:1], 0
.LBB103_2064:
	s_andn2_b64 vcc, exec, s[0:1]
	s_cbranch_vccnz .LBB103_2066
; %bb.2065:
	global_store_byte v[3:4], v1, off
.LBB103_2066:
	s_mov_b64 s[14:15], -1
.LBB103_2067:
	s_andn2_b64 vcc, exec, s[14:15]
	s_cbranch_vccnz .LBB103_2263
; %bb.2068:
	v_mov_b32_e32 v3, s9
	v_add_co_u32_e32 v1, vcc, s8, v2
	s_cmp_lt_i32 s20, 11
	v_addc_co_u32_e32 v2, vcc, 0, v3, vcc
	s_cbranch_scc1 .LBB103_2146
; %bb.2069:
	s_mov_b64 s[14:15], -1
	s_mov_b64 s[4:5], 0
	s_cmp_gt_i32 s20, 25
	s_mov_b64 s[6:7], 0
	s_mov_b64 s[0:1], 0
	s_cbranch_scc0 .LBB103_2102
; %bb.2070:
	s_cmp_gt_i32 s20, 28
	s_cbranch_scc0 .LBB103_2085
; %bb.2071:
	s_cmp_gt_i32 s20, 43
	;; [unrolled: 3-line block ×3, first 2 shown]
	s_cbranch_scc0 .LBB103_2075
; %bb.2073:
	s_mov_b64 s[0:1], -1
	s_mov_b64 s[14:15], 0
	s_cmp_eq_u32 s20, 46
	s_cbranch_scc0 .LBB103_2075
; %bb.2074:
	v_cndmask_b32_e64 v3, 0, 1.0, s[12:13]
	v_bfe_u32 v4, v3, 16, 1
	s_movk_i32 s0, 0x7fff
	v_add3_u32 v3, v3, v4, s0
	v_lshrrev_b32_e32 v3, 16, v3
	global_store_dword v[1:2], v3, off
	s_mov_b64 s[0:1], 0
	s_mov_b64 s[6:7], -1
.LBB103_2075:
	s_and_b64 vcc, exec, s[14:15]
	s_cbranch_vccz .LBB103_2080
; %bb.2076:
	s_cmp_eq_u32 s20, 44
	s_mov_b64 s[0:1], -1
	s_cbranch_scc0 .LBB103_2080
; %bb.2077:
	v_cndmask_b32_e64 v4, 0, 1.0, s[12:13]
	v_lshrrev_b32_e32 v3, 23, v4
	s_movk_i32 s0, 0xff
	v_cmp_ne_u32_e32 vcc, s0, v3
	v_mov_b32_e32 v5, 0xff
	s_and_saveexec_b64 s[6:7], vcc
; %bb.2078:
	s_mov_b32 s0, 0x3fffff
	v_and_b32_e32 v5, 0x400000, v4
	v_and_or_b32 v4, v4, s0, v3
	v_cmp_ne_u32_e32 vcc, 0, v5
	v_cmp_ne_u32_e64 s[0:1], 0, v4
	s_and_b64 s[0:1], vcc, s[0:1]
	v_cndmask_b32_e64 v4, 0, 1, s[0:1]
	v_add_u32_e32 v5, v3, v4
; %bb.2079:
	s_or_b64 exec, exec, s[6:7]
	s_mov_b64 s[0:1], 0
	s_mov_b64 s[6:7], -1
	global_store_byte v[1:2], v5, off
.LBB103_2080:
	s_mov_b64 s[14:15], 0
.LBB103_2081:
	s_and_b64 vcc, exec, s[14:15]
	s_cbranch_vccz .LBB103_2084
; %bb.2082:
	s_cmp_eq_u32 s20, 29
	s_mov_b64 s[0:1], -1
	s_cbranch_scc0 .LBB103_2084
; %bb.2083:
	s_mov_b32 s0, 0
	v_cndmask_b32_e64 v3, 0, 1, s[12:13]
	v_mov_b32_e32 v4, s0
	global_store_dwordx2 v[1:2], v[3:4], off
	s_mov_b64 s[0:1], 0
	s_mov_b64 s[6:7], -1
.LBB103_2084:
	s_mov_b64 s[14:15], 0
.LBB103_2085:
	s_and_b64 vcc, exec, s[14:15]
	s_cbranch_vccz .LBB103_2101
; %bb.2086:
	s_cmp_lt_i32 s20, 27
	s_mov_b64 s[6:7], -1
	s_cbranch_scc1 .LBB103_2092
; %bb.2087:
	s_cmp_gt_i32 s20, 27
	s_cbranch_scc0 .LBB103_2089
; %bb.2088:
	v_cndmask_b32_e64 v3, 0, 1, s[12:13]
	s_mov_b64 s[6:7], 0
	global_store_dword v[1:2], v3, off
.LBB103_2089:
	s_andn2_b64 vcc, exec, s[6:7]
	s_cbranch_vccnz .LBB103_2091
; %bb.2090:
	v_cndmask_b32_e64 v3, 0, 1, s[12:13]
	global_store_short v[1:2], v3, off
.LBB103_2091:
	s_mov_b64 s[6:7], 0
.LBB103_2092:
	s_andn2_b64 vcc, exec, s[6:7]
	s_cbranch_vccnz .LBB103_2100
; %bb.2093:
	v_cndmask_b32_e64 v4, 0, 1.0, s[12:13]
	s_mov_b32 s6, 0x43800000
	v_cmp_gt_u32_e32 vcc, s6, v4
	v_mov_b32_e32 v5, 0x80
	s_and_saveexec_b64 s[6:7], vcc
	s_cbranch_execz .LBB103_2099
; %bb.2094:
	s_mov_b32 s14, 0x3bffffff
	v_cmp_lt_u32_e32 vcc, s14, v4
	s_mov_b64 s[14:15], 0
                                        ; implicit-def: $vgpr3
	s_and_saveexec_b64 s[16:17], vcc
	s_xor_b64 s[16:17], exec, s[16:17]
	s_cbranch_execz .LBB103_2276
; %bb.2095:
	v_bfe_u32 v3, v4, 20, 1
	s_mov_b32 s18, 0x487ffff
	v_add3_u32 v3, v4, v3, s18
	s_mov_b64 s[14:15], exec
	v_lshrrev_b32_e32 v3, 20, v3
                                        ; implicit-def: $vgpr4
	s_andn2_saveexec_b64 s[16:17], s[16:17]
	s_cbranch_execnz .LBB103_2277
.LBB103_2096:
	s_or_b64 exec, exec, s[16:17]
	v_mov_b32_e32 v5, 0
	s_and_saveexec_b64 s[16:17], s[14:15]
.LBB103_2097:
	v_mov_b32_e32 v5, v3
.LBB103_2098:
	s_or_b64 exec, exec, s[16:17]
.LBB103_2099:
	s_or_b64 exec, exec, s[6:7]
	global_store_byte v[1:2], v5, off
.LBB103_2100:
	s_mov_b64 s[6:7], -1
.LBB103_2101:
	s_mov_b64 s[14:15], 0
.LBB103_2102:
	s_and_b64 vcc, exec, s[14:15]
	s_cbranch_vccz .LBB103_2142
; %bb.2103:
	s_cmp_gt_i32 s20, 22
	s_mov_b64 s[4:5], -1
	s_cbranch_scc0 .LBB103_2135
; %bb.2104:
	s_cmp_lt_i32 s20, 24
	s_cbranch_scc1 .LBB103_2124
; %bb.2105:
	s_cmp_gt_i32 s20, 24
	s_cbranch_scc0 .LBB103_2113
; %bb.2106:
	v_cndmask_b32_e64 v4, 0, 1.0, s[12:13]
	s_mov_b32 s4, 0x47800000
	v_cmp_gt_u32_e32 vcc, s4, v4
	v_mov_b32_e32 v5, 0x80
	s_and_saveexec_b64 s[4:5], vcc
	s_cbranch_execz .LBB103_2112
; %bb.2107:
	s_mov_b32 s6, 0x37ffffff
	v_cmp_lt_u32_e32 vcc, s6, v4
	s_mov_b64 s[6:7], 0
                                        ; implicit-def: $vgpr3
	s_and_saveexec_b64 s[14:15], vcc
	s_xor_b64 s[14:15], exec, s[14:15]
	s_cbranch_execz .LBB103_2279
; %bb.2108:
	v_bfe_u32 v3, v4, 21, 1
	s_mov_b32 s16, 0x88fffff
	v_add3_u32 v3, v4, v3, s16
	s_mov_b64 s[6:7], exec
	v_lshrrev_b32_e32 v3, 21, v3
                                        ; implicit-def: $vgpr4
	s_andn2_saveexec_b64 s[14:15], s[14:15]
	s_cbranch_execnz .LBB103_2280
.LBB103_2109:
	s_or_b64 exec, exec, s[14:15]
	v_mov_b32_e32 v5, 0
	s_and_saveexec_b64 s[14:15], s[6:7]
.LBB103_2110:
	v_mov_b32_e32 v5, v3
.LBB103_2111:
	s_or_b64 exec, exec, s[14:15]
.LBB103_2112:
	s_or_b64 exec, exec, s[4:5]
	s_mov_b64 s[4:5], 0
	global_store_byte v[1:2], v5, off
.LBB103_2113:
	s_and_b64 vcc, exec, s[4:5]
	s_cbranch_vccz .LBB103_2123
; %bb.2114:
	v_cndmask_b32_e64 v3, 0, 1.0, s[12:13]
	s_mov_b32 s4, 0x43f00000
	v_cmp_gt_u32_e32 vcc, s4, v3
                                        ; implicit-def: $vgpr4
	s_and_saveexec_b64 s[4:5], vcc
	s_xor_b64 s[4:5], exec, s[4:5]
	s_cbranch_execz .LBB103_2120
; %bb.2115:
	s_mov_b32 s6, 0x3c7fffff
	v_cmp_lt_u32_e32 vcc, s6, v3
                                        ; implicit-def: $vgpr4
	s_and_saveexec_b64 s[6:7], vcc
	s_xor_b64 s[6:7], exec, s[6:7]
; %bb.2116:
	v_bfe_u32 v4, v3, 20, 1
	s_mov_b32 s14, 0x407ffff
	v_add3_u32 v3, v3, v4, s14
	v_lshrrev_b32_e32 v4, 20, v3
	v_and_b32_e32 v3, 0xff00000, v3
	s_mov_b32 s14, 0x7f00000
	v_mov_b32_e32 v5, 0x7e
	v_cmp_ne_u32_e32 vcc, s14, v3
	v_cndmask_b32_e32 v4, v5, v4, vcc
                                        ; implicit-def: $vgpr3
; %bb.2117:
	s_andn2_saveexec_b64 s[6:7], s[6:7]
; %bb.2118:
	v_add_f32_e32 v4, 0x46800000, v3
; %bb.2119:
	s_or_b64 exec, exec, s[6:7]
                                        ; implicit-def: $vgpr3
.LBB103_2120:
	s_andn2_saveexec_b64 s[4:5], s[4:5]
; %bb.2121:
	s_mov_b32 s6, 0x7f800000
	v_mov_b32_e32 v4, 0x7e
	v_mov_b32_e32 v5, 0x7f
	v_cmp_lt_u32_e32 vcc, s6, v3
	v_cndmask_b32_e32 v4, v4, v5, vcc
; %bb.2122:
	s_or_b64 exec, exec, s[4:5]
	global_store_byte v[1:2], v4, off
.LBB103_2123:
	s_mov_b64 s[4:5], 0
.LBB103_2124:
	s_andn2_b64 vcc, exec, s[4:5]
	s_cbranch_vccnz .LBB103_2134
; %bb.2125:
	v_cndmask_b32_e64 v3, 0, 1.0, s[12:13]
	s_mov_b32 s4, 0x47800000
	v_cmp_gt_u32_e32 vcc, s4, v3
                                        ; implicit-def: $vgpr4
	s_and_saveexec_b64 s[4:5], vcc
	s_xor_b64 s[4:5], exec, s[4:5]
	s_cbranch_execz .LBB103_2131
; %bb.2126:
	s_mov_b32 s6, 0x387fffff
	v_cmp_lt_u32_e32 vcc, s6, v3
                                        ; implicit-def: $vgpr4
	s_and_saveexec_b64 s[6:7], vcc
	s_xor_b64 s[6:7], exec, s[6:7]
; %bb.2127:
	v_bfe_u32 v4, v3, 21, 1
	s_mov_b32 s14, 0x80fffff
	v_add3_u32 v3, v3, v4, s14
	v_lshrrev_b32_e32 v4, 21, v3
                                        ; implicit-def: $vgpr3
; %bb.2128:
	s_andn2_saveexec_b64 s[6:7], s[6:7]
; %bb.2129:
	v_add_f32_e32 v4, 0x43000000, v3
; %bb.2130:
	s_or_b64 exec, exec, s[6:7]
                                        ; implicit-def: $vgpr3
.LBB103_2131:
	s_andn2_saveexec_b64 s[4:5], s[4:5]
; %bb.2132:
	s_mov_b32 s6, 0x7f800000
	v_mov_b32_e32 v4, 0x7c
	v_mov_b32_e32 v5, 0x7f
	v_cmp_lt_u32_e32 vcc, s6, v3
	v_cndmask_b32_e32 v4, v4, v5, vcc
; %bb.2133:
	s_or_b64 exec, exec, s[4:5]
	global_store_byte v[1:2], v4, off
.LBB103_2134:
	s_mov_b64 s[4:5], 0
	s_mov_b64 s[6:7], -1
.LBB103_2135:
	s_andn2_b64 vcc, exec, s[4:5]
	s_mov_b64 s[4:5], 0
	s_cbranch_vccnz .LBB103_2142
; %bb.2136:
	s_cmp_gt_i32 s20, 14
	s_mov_b64 s[14:15], -1
	s_cbranch_scc0 .LBB103_2140
; %bb.2137:
	s_cmp_eq_u32 s20, 15
	s_mov_b64 s[0:1], -1
	s_cbranch_scc0 .LBB103_2139
; %bb.2138:
	v_cndmask_b32_e64 v3, 0, 1.0, s[12:13]
	v_bfe_u32 v4, v3, 16, 1
	s_movk_i32 s0, 0x7fff
	v_add3_u32 v3, v3, v4, s0
	global_store_short_d16_hi v[1:2], v3, off
	s_mov_b64 s[0:1], 0
	s_mov_b64 s[6:7], -1
.LBB103_2139:
	s_mov_b64 s[14:15], 0
.LBB103_2140:
	s_and_b64 vcc, exec, s[14:15]
	s_cbranch_vccz .LBB103_2142
; %bb.2141:
	s_cmp_lg_u32 s20, 11
	s_mov_b64 s[4:5], -1
	s_cselect_b64 s[0:1], -1, 0
.LBB103_2142:
	s_and_b64 vcc, exec, s[0:1]
	s_cbranch_vccnz .LBB103_2278
; %bb.2143:
	s_andn2_b64 vcc, exec, s[4:5]
	s_cbranch_vccnz .LBB103_2145
.LBB103_2144:
	v_cndmask_b32_e64 v3, 0, 1, s[12:13]
	s_mov_b64 s[6:7], -1
	global_store_byte v[1:2], v3, off
.LBB103_2145:
	s_mov_b64 s[0:1], 0
	s_branch .LBB103_2147
.LBB103_2146:
	s_mov_b64 s[0:1], -1
	s_mov_b64 s[6:7], 0
.LBB103_2147:
	s_and_b64 vcc, exec, s[0:1]
	s_cbranch_vccz .LBB103_2186
; %bb.2148:
	s_cmp_lt_i32 s20, 5
	s_mov_b64 s[0:1], -1
	s_cbranch_scc1 .LBB103_2169
; %bb.2149:
	s_cmp_lt_i32 s20, 8
	s_cbranch_scc1 .LBB103_2159
; %bb.2150:
	s_cmp_lt_i32 s20, 9
	s_cbranch_scc1 .LBB103_2156
; %bb.2151:
	s_cmp_gt_i32 s20, 9
	s_cbranch_scc0 .LBB103_2153
; %bb.2152:
	v_cndmask_b32_e64 v3, 0, 1, s[12:13]
	v_cvt_f64_u32_e32 v[3:4], v3
	v_mov_b32_e32 v5, 0
	v_mov_b32_e32 v6, v5
	s_mov_b64 s[0:1], 0
	global_store_dwordx4 v[1:2], v[3:6], off
.LBB103_2153:
	s_andn2_b64 vcc, exec, s[0:1]
	s_cbranch_vccnz .LBB103_2155
; %bb.2154:
	v_cndmask_b32_e64 v3, 0, 1.0, s[12:13]
	v_mov_b32_e32 v4, 0
	global_store_dwordx2 v[1:2], v[3:4], off
.LBB103_2155:
	s_mov_b64 s[0:1], 0
.LBB103_2156:
	s_andn2_b64 vcc, exec, s[0:1]
	s_cbranch_vccnz .LBB103_2158
; %bb.2157:
	v_cndmask_b32_e64 v3, 0, 1.0, s[12:13]
	v_cvt_f16_f32_e32 v3, v3
	global_store_dword v[1:2], v3, off
.LBB103_2158:
	s_mov_b64 s[0:1], 0
.LBB103_2159:
	s_andn2_b64 vcc, exec, s[0:1]
	s_cbranch_vccnz .LBB103_2168
; %bb.2160:
	s_cmp_lt_i32 s20, 6
	s_mov_b64 s[0:1], -1
	s_cbranch_scc1 .LBB103_2166
; %bb.2161:
	s_cmp_gt_i32 s20, 6
	s_cbranch_scc0 .LBB103_2163
; %bb.2162:
	v_cndmask_b32_e64 v3, 0, 1, s[12:13]
	v_cvt_f64_u32_e32 v[3:4], v3
	s_mov_b64 s[0:1], 0
	global_store_dwordx2 v[1:2], v[3:4], off
.LBB103_2163:
	s_andn2_b64 vcc, exec, s[0:1]
	s_cbranch_vccnz .LBB103_2165
; %bb.2164:
	v_cndmask_b32_e64 v3, 0, 1.0, s[12:13]
	global_store_dword v[1:2], v3, off
.LBB103_2165:
	s_mov_b64 s[0:1], 0
.LBB103_2166:
	s_andn2_b64 vcc, exec, s[0:1]
	s_cbranch_vccnz .LBB103_2168
; %bb.2167:
	v_cndmask_b32_e64 v3, 0, 1.0, s[12:13]
	v_cvt_f16_f32_e32 v3, v3
	global_store_short v[1:2], v3, off
.LBB103_2168:
	s_mov_b64 s[0:1], 0
.LBB103_2169:
	s_andn2_b64 vcc, exec, s[0:1]
	s_cbranch_vccnz .LBB103_2185
; %bb.2170:
	s_cmp_lt_i32 s20, 2
	s_mov_b64 s[0:1], -1
	s_cbranch_scc1 .LBB103_2180
; %bb.2171:
	s_cmp_lt_i32 s20, 3
	s_cbranch_scc1 .LBB103_2177
; %bb.2172:
	s_cmp_gt_i32 s20, 3
	s_cbranch_scc0 .LBB103_2174
; %bb.2173:
	s_mov_b32 s0, 0
	v_cndmask_b32_e64 v3, 0, 1, s[12:13]
	v_mov_b32_e32 v4, s0
	global_store_dwordx2 v[1:2], v[3:4], off
	s_mov_b64 s[0:1], 0
.LBB103_2174:
	s_andn2_b64 vcc, exec, s[0:1]
	s_cbranch_vccnz .LBB103_2176
; %bb.2175:
	v_cndmask_b32_e64 v3, 0, 1, s[12:13]
	global_store_dword v[1:2], v3, off
.LBB103_2176:
	s_mov_b64 s[0:1], 0
.LBB103_2177:
	s_andn2_b64 vcc, exec, s[0:1]
	s_cbranch_vccnz .LBB103_2179
; %bb.2178:
	v_cndmask_b32_e64 v3, 0, 1, s[12:13]
	global_store_short v[1:2], v3, off
.LBB103_2179:
	s_mov_b64 s[0:1], 0
.LBB103_2180:
	s_andn2_b64 vcc, exec, s[0:1]
	s_cbranch_vccnz .LBB103_2185
; %bb.2181:
	s_cmp_gt_i32 s20, 0
	s_mov_b64 s[0:1], -1
	s_cbranch_scc0 .LBB103_2183
; %bb.2182:
	v_cndmask_b32_e64 v3, 0, 1, s[12:13]
	global_store_byte v[1:2], v3, off
	s_mov_b64 s[0:1], 0
.LBB103_2183:
	s_andn2_b64 vcc, exec, s[0:1]
	s_cbranch_vccnz .LBB103_2185
; %bb.2184:
	v_cndmask_b32_e64 v3, 0, 1, s[12:13]
	global_store_byte v[1:2], v3, off
.LBB103_2185:
	s_mov_b64 s[6:7], -1
.LBB103_2186:
	s_andn2_b64 vcc, exec, s[6:7]
	s_cbranch_vccnz .LBB103_2263
; %bb.2187:
	v_mov_b32_e32 v1, s9
	v_add_co_u32_e32 v0, vcc, s8, v0
	s_cmp_lt_i32 s20, 11
	v_addc_co_u32_e32 v1, vcc, 0, v1, vcc
	s_cbranch_scc1 .LBB103_2264
; %bb.2188:
	s_mov_b64 s[6:7], -1
	s_mov_b64 s[4:5], 0
	s_cmp_gt_i32 s20, 25
	s_mov_b64 s[0:1], 0
	s_cbranch_scc0 .LBB103_2221
; %bb.2189:
	s_cmp_gt_i32 s20, 28
	s_cbranch_scc0 .LBB103_2205
; %bb.2190:
	s_cmp_gt_i32 s20, 43
	;; [unrolled: 3-line block ×3, first 2 shown]
	s_cbranch_scc0 .LBB103_2195
; %bb.2192:
	s_cmp_eq_u32 s20, 46
	s_mov_b64 s[0:1], -1
	s_cbranch_scc0 .LBB103_2194
; %bb.2193:
	v_cndmask_b32_e64 v2, 0, 1.0, s[10:11]
	v_bfe_u32 v3, v2, 16, 1
	s_movk_i32 s0, 0x7fff
	v_add3_u32 v2, v2, v3, s0
	v_lshrrev_b32_e32 v2, 16, v2
	global_store_dword v[0:1], v2, off
	s_mov_b64 s[0:1], 0
.LBB103_2194:
	s_mov_b64 s[6:7], 0
.LBB103_2195:
	s_and_b64 vcc, exec, s[6:7]
	s_cbranch_vccz .LBB103_2200
; %bb.2196:
	s_cmp_eq_u32 s20, 44
	s_mov_b64 s[0:1], -1
	s_cbranch_scc0 .LBB103_2200
; %bb.2197:
	v_cndmask_b32_e64 v3, 0, 1.0, s[10:11]
	v_lshrrev_b32_e32 v2, 23, v3
	s_movk_i32 s0, 0xff
	v_cmp_ne_u32_e32 vcc, s0, v2
	v_mov_b32_e32 v4, 0xff
	s_and_saveexec_b64 s[6:7], vcc
; %bb.2198:
	s_mov_b32 s0, 0x3fffff
	v_and_b32_e32 v4, 0x400000, v3
	v_and_or_b32 v3, v3, s0, v2
	v_cmp_ne_u32_e32 vcc, 0, v4
	v_cmp_ne_u32_e64 s[0:1], 0, v3
	s_and_b64 s[0:1], vcc, s[0:1]
	v_cndmask_b32_e64 v3, 0, 1, s[0:1]
	v_add_u32_e32 v4, v2, v3
; %bb.2199:
	s_or_b64 exec, exec, s[6:7]
	s_mov_b64 s[0:1], 0
	global_store_byte v[0:1], v4, off
.LBB103_2200:
	s_mov_b64 s[6:7], 0
.LBB103_2201:
	s_and_b64 vcc, exec, s[6:7]
	s_cbranch_vccz .LBB103_2204
; %bb.2202:
	s_cmp_eq_u32 s20, 29
	s_mov_b64 s[0:1], -1
	s_cbranch_scc0 .LBB103_2204
; %bb.2203:
	s_mov_b32 s0, 0
	v_cndmask_b32_e64 v2, 0, 1, s[10:11]
	v_mov_b32_e32 v3, s0
	global_store_dwordx2 v[0:1], v[2:3], off
	s_mov_b64 s[0:1], 0
.LBB103_2204:
	s_mov_b64 s[6:7], 0
.LBB103_2205:
	s_and_b64 vcc, exec, s[6:7]
	s_cbranch_vccz .LBB103_2220
; %bb.2206:
	s_cmp_lt_i32 s20, 27
	s_mov_b64 s[6:7], -1
	s_cbranch_scc1 .LBB103_2212
; %bb.2207:
	s_cmp_gt_i32 s20, 27
	s_cbranch_scc0 .LBB103_2209
; %bb.2208:
	v_cndmask_b32_e64 v2, 0, 1, s[10:11]
	global_store_dword v[0:1], v2, off
	s_mov_b64 s[6:7], 0
.LBB103_2209:
	s_andn2_b64 vcc, exec, s[6:7]
	s_cbranch_vccnz .LBB103_2211
; %bb.2210:
	v_cndmask_b32_e64 v2, 0, 1, s[10:11]
	global_store_short v[0:1], v2, off
.LBB103_2211:
	s_mov_b64 s[6:7], 0
.LBB103_2212:
	s_andn2_b64 vcc, exec, s[6:7]
	s_cbranch_vccnz .LBB103_2220
; %bb.2213:
	v_cndmask_b32_e64 v3, 0, 1.0, s[10:11]
	s_mov_b32 s6, 0x43800000
	v_cmp_gt_u32_e32 vcc, s6, v3
	v_mov_b32_e32 v4, 0x80
	s_and_saveexec_b64 s[6:7], vcc
	s_cbranch_execz .LBB103_2219
; %bb.2214:
	s_mov_b32 s8, 0x3bffffff
	v_cmp_lt_u32_e32 vcc, s8, v3
	s_mov_b64 s[8:9], 0
                                        ; implicit-def: $vgpr2
	s_and_saveexec_b64 s[12:13], vcc
	s_xor_b64 s[12:13], exec, s[12:13]
	s_cbranch_execz .LBB103_2281
; %bb.2215:
	v_bfe_u32 v2, v3, 20, 1
	s_mov_b32 s14, 0x487ffff
	v_add3_u32 v2, v3, v2, s14
	s_mov_b64 s[8:9], exec
	v_lshrrev_b32_e32 v2, 20, v2
                                        ; implicit-def: $vgpr3
	s_andn2_saveexec_b64 s[12:13], s[12:13]
	s_cbranch_execnz .LBB103_2282
.LBB103_2216:
	s_or_b64 exec, exec, s[12:13]
	v_mov_b32_e32 v4, 0
	s_and_saveexec_b64 s[12:13], s[8:9]
.LBB103_2217:
	v_mov_b32_e32 v4, v2
.LBB103_2218:
	s_or_b64 exec, exec, s[12:13]
.LBB103_2219:
	s_or_b64 exec, exec, s[6:7]
	global_store_byte v[0:1], v4, off
.LBB103_2220:
	s_mov_b64 s[6:7], 0
.LBB103_2221:
	s_and_b64 vcc, exec, s[6:7]
	s_cbranch_vccz .LBB103_2261
; %bb.2222:
	s_cmp_gt_i32 s20, 22
	s_mov_b64 s[4:5], -1
	s_cbranch_scc0 .LBB103_2254
; %bb.2223:
	s_cmp_lt_i32 s20, 24
	s_cbranch_scc1 .LBB103_2243
; %bb.2224:
	s_cmp_gt_i32 s20, 24
	s_cbranch_scc0 .LBB103_2232
; %bb.2225:
	v_cndmask_b32_e64 v3, 0, 1.0, s[10:11]
	s_mov_b32 s4, 0x47800000
	v_cmp_gt_u32_e32 vcc, s4, v3
	v_mov_b32_e32 v4, 0x80
	s_and_saveexec_b64 s[4:5], vcc
	s_cbranch_execz .LBB103_2231
; %bb.2226:
	s_mov_b32 s6, 0x37ffffff
	v_cmp_lt_u32_e32 vcc, s6, v3
	s_mov_b64 s[6:7], 0
                                        ; implicit-def: $vgpr2
	s_and_saveexec_b64 s[8:9], vcc
	s_xor_b64 s[8:9], exec, s[8:9]
	s_cbranch_execz .LBB103_2284
; %bb.2227:
	v_bfe_u32 v2, v3, 21, 1
	s_mov_b32 s12, 0x88fffff
	v_add3_u32 v2, v3, v2, s12
	s_mov_b64 s[6:7], exec
	v_lshrrev_b32_e32 v2, 21, v2
                                        ; implicit-def: $vgpr3
	s_andn2_saveexec_b64 s[8:9], s[8:9]
	s_cbranch_execnz .LBB103_2285
.LBB103_2228:
	s_or_b64 exec, exec, s[8:9]
	v_mov_b32_e32 v4, 0
	s_and_saveexec_b64 s[8:9], s[6:7]
.LBB103_2229:
	v_mov_b32_e32 v4, v2
.LBB103_2230:
	s_or_b64 exec, exec, s[8:9]
.LBB103_2231:
	s_or_b64 exec, exec, s[4:5]
	s_mov_b64 s[4:5], 0
	global_store_byte v[0:1], v4, off
.LBB103_2232:
	s_and_b64 vcc, exec, s[4:5]
	s_cbranch_vccz .LBB103_2242
; %bb.2233:
	v_cndmask_b32_e64 v2, 0, 1.0, s[10:11]
	s_mov_b32 s4, 0x43f00000
	v_cmp_gt_u32_e32 vcc, s4, v2
                                        ; implicit-def: $vgpr3
	s_and_saveexec_b64 s[4:5], vcc
	s_xor_b64 s[4:5], exec, s[4:5]
	s_cbranch_execz .LBB103_2239
; %bb.2234:
	s_mov_b32 s6, 0x3c7fffff
	v_cmp_lt_u32_e32 vcc, s6, v2
                                        ; implicit-def: $vgpr3
	s_and_saveexec_b64 s[6:7], vcc
	s_xor_b64 s[6:7], exec, s[6:7]
; %bb.2235:
	v_bfe_u32 v3, v2, 20, 1
	s_mov_b32 s8, 0x407ffff
	v_add3_u32 v2, v2, v3, s8
	v_lshrrev_b32_e32 v3, 20, v2
	v_and_b32_e32 v2, 0xff00000, v2
	s_mov_b32 s8, 0x7f00000
	v_mov_b32_e32 v4, 0x7e
	v_cmp_ne_u32_e32 vcc, s8, v2
	v_cndmask_b32_e32 v3, v4, v3, vcc
                                        ; implicit-def: $vgpr2
; %bb.2236:
	s_andn2_saveexec_b64 s[6:7], s[6:7]
; %bb.2237:
	v_add_f32_e32 v3, 0x46800000, v2
; %bb.2238:
	s_or_b64 exec, exec, s[6:7]
                                        ; implicit-def: $vgpr2
.LBB103_2239:
	s_andn2_saveexec_b64 s[4:5], s[4:5]
; %bb.2240:
	s_mov_b32 s6, 0x7f800000
	v_mov_b32_e32 v3, 0x7e
	v_mov_b32_e32 v4, 0x7f
	v_cmp_lt_u32_e32 vcc, s6, v2
	v_cndmask_b32_e32 v3, v3, v4, vcc
; %bb.2241:
	s_or_b64 exec, exec, s[4:5]
	global_store_byte v[0:1], v3, off
.LBB103_2242:
	s_mov_b64 s[4:5], 0
.LBB103_2243:
	s_andn2_b64 vcc, exec, s[4:5]
	s_cbranch_vccnz .LBB103_2253
; %bb.2244:
	v_cndmask_b32_e64 v2, 0, 1.0, s[10:11]
	s_mov_b32 s4, 0x47800000
	v_cmp_gt_u32_e32 vcc, s4, v2
                                        ; implicit-def: $vgpr3
	s_and_saveexec_b64 s[4:5], vcc
	s_xor_b64 s[4:5], exec, s[4:5]
	s_cbranch_execz .LBB103_2250
; %bb.2245:
	s_mov_b32 s6, 0x387fffff
	v_cmp_lt_u32_e32 vcc, s6, v2
                                        ; implicit-def: $vgpr3
	s_and_saveexec_b64 s[6:7], vcc
	s_xor_b64 s[6:7], exec, s[6:7]
; %bb.2246:
	v_bfe_u32 v3, v2, 21, 1
	s_mov_b32 s8, 0x80fffff
	v_add3_u32 v2, v2, v3, s8
	v_lshrrev_b32_e32 v3, 21, v2
                                        ; implicit-def: $vgpr2
; %bb.2247:
	s_andn2_saveexec_b64 s[6:7], s[6:7]
; %bb.2248:
	v_add_f32_e32 v3, 0x43000000, v2
; %bb.2249:
	s_or_b64 exec, exec, s[6:7]
                                        ; implicit-def: $vgpr2
.LBB103_2250:
	s_andn2_saveexec_b64 s[4:5], s[4:5]
; %bb.2251:
	s_mov_b32 s6, 0x7f800000
	v_mov_b32_e32 v3, 0x7c
	v_mov_b32_e32 v4, 0x7f
	v_cmp_lt_u32_e32 vcc, s6, v2
	v_cndmask_b32_e32 v3, v3, v4, vcc
; %bb.2252:
	s_or_b64 exec, exec, s[4:5]
	global_store_byte v[0:1], v3, off
.LBB103_2253:
	s_mov_b64 s[4:5], 0
.LBB103_2254:
	s_andn2_b64 vcc, exec, s[4:5]
	s_mov_b64 s[4:5], 0
	s_cbranch_vccnz .LBB103_2261
; %bb.2255:
	s_cmp_gt_i32 s20, 14
	s_mov_b64 s[6:7], -1
	s_cbranch_scc0 .LBB103_2259
; %bb.2256:
	s_cmp_eq_u32 s20, 15
	s_mov_b64 s[0:1], -1
	s_cbranch_scc0 .LBB103_2258
; %bb.2257:
	v_cndmask_b32_e64 v2, 0, 1.0, s[10:11]
	v_bfe_u32 v3, v2, 16, 1
	s_movk_i32 s0, 0x7fff
	v_add3_u32 v2, v2, v3, s0
	global_store_short_d16_hi v[0:1], v2, off
	s_mov_b64 s[0:1], 0
.LBB103_2258:
	s_mov_b64 s[6:7], 0
.LBB103_2259:
	s_and_b64 vcc, exec, s[6:7]
	s_cbranch_vccz .LBB103_2261
; %bb.2260:
	s_cmp_lg_u32 s20, 11
	s_mov_b64 s[4:5], -1
	s_cselect_b64 s[0:1], -1, 0
.LBB103_2261:
	s_and_b64 vcc, exec, s[0:1]
	s_cbranch_vccnz .LBB103_2283
.LBB103_2262:
	s_mov_b64 s[0:1], 0
	s_branch .LBB103_1773
.LBB103_2263:
	s_mov_b64 s[0:1], 0
	s_branch .LBB103_1772
.LBB103_2264:
	s_mov_b64 s[4:5], 0
	s_mov_b64 s[0:1], -1
	s_branch .LBB103_1773
.LBB103_2265:
	s_trap 2
	s_or_b64 s[2:3], s[2:3], exec
	s_cbranch_execz .LBB103_1715
	s_branch .LBB103_1716
.LBB103_2266:
	s_andn2_saveexec_b64 s[20:21], s[20:21]
	s_cbranch_execz .LBB103_1856
.LBB103_2267:
	v_add_f32_e32 v1, 0x46000000, v3
	v_and_b32_e32 v1, 0xff, v1
	v_cmp_ne_u32_e32 vcc, 0, v1
	s_andn2_b64 s[18:19], s[18:19], exec
	s_and_b64 s[24:25], vcc, exec
	s_or_b64 s[18:19], s[18:19], s[24:25]
	s_or_b64 exec, exec, s[20:21]
	v_mov_b32_e32 v7, 0
	s_and_saveexec_b64 s[20:21], s[18:19]
	s_cbranch_execnz .LBB103_1857
	s_branch .LBB103_1858
.LBB103_2268:
	s_trap 2
	s_or_b64 s[2:3], s[2:3], exec
	s_cbranch_execz .LBB103_1904
	s_branch .LBB103_1905
.LBB103_2269:
	s_andn2_saveexec_b64 s[18:19], s[18:19]
	s_cbranch_execz .LBB103_1869
.LBB103_2270:
	v_add_f32_e32 v1, 0x42800000, v3
	v_and_b32_e32 v1, 0xff, v1
	v_cmp_ne_u32_e32 vcc, 0, v1
	s_andn2_b64 s[16:17], s[16:17], exec
	s_and_b64 s[20:21], vcc, exec
	s_or_b64 s[16:17], s[16:17], s[20:21]
	s_or_b64 exec, exec, s[18:19]
	v_mov_b32_e32 v7, 0
	s_and_saveexec_b64 s[18:19], s[16:17]
	s_cbranch_execnz .LBB103_1870
	s_branch .LBB103_1871
.LBB103_2271:
	s_andn2_saveexec_b64 s[18:19], s[18:19]
	s_cbranch_execz .LBB103_1977
.LBB103_2272:
	v_add_f32_e32 v1, 0x46000000, v5
	v_and_b32_e32 v1, 0xff, v1
	v_cmp_ne_u32_e32 vcc, 0, v1
	s_andn2_b64 s[16:17], s[16:17], exec
	s_and_b64 s[24:25], vcc, exec
	s_or_b64 s[16:17], s[16:17], s[24:25]
	s_or_b64 exec, exec, s[18:19]
	v_mov_b32_e32 v6, 0
	s_and_saveexec_b64 s[18:19], s[16:17]
	s_cbranch_execnz .LBB103_1978
	s_branch .LBB103_1979
.LBB103_2273:
	s_trap 2
	s_or_b64 s[2:3], s[2:3], exec
	s_cbranch_execz .LBB103_2025
	s_branch .LBB103_2026
.LBB103_2274:
	s_andn2_saveexec_b64 s[16:17], s[16:17]
	s_cbranch_execz .LBB103_1990
.LBB103_2275:
	v_add_f32_e32 v1, 0x42800000, v5
	v_and_b32_e32 v1, 0xff, v1
	v_cmp_ne_u32_e32 vcc, 0, v1
	s_andn2_b64 s[14:15], s[14:15], exec
	s_and_b64 s[18:19], vcc, exec
	s_or_b64 s[14:15], s[14:15], s[18:19]
	s_or_b64 exec, exec, s[16:17]
	v_mov_b32_e32 v6, 0
	s_and_saveexec_b64 s[16:17], s[14:15]
	s_cbranch_execnz .LBB103_1991
	s_branch .LBB103_1992
.LBB103_2276:
	s_andn2_saveexec_b64 s[16:17], s[16:17]
	s_cbranch_execz .LBB103_2096
.LBB103_2277:
	v_add_f32_e32 v3, 0x46000000, v4
	v_and_b32_e32 v3, 0xff, v3
	v_cmp_ne_u32_e32 vcc, 0, v3
	s_andn2_b64 s[14:15], s[14:15], exec
	s_and_b64 s[18:19], vcc, exec
	s_or_b64 s[14:15], s[14:15], s[18:19]
	s_or_b64 exec, exec, s[16:17]
	v_mov_b32_e32 v5, 0
	s_and_saveexec_b64 s[16:17], s[14:15]
	s_cbranch_execnz .LBB103_2097
	s_branch .LBB103_2098
.LBB103_2278:
	s_trap 2
	s_or_b64 s[2:3], s[2:3], exec
	s_cbranch_execz .LBB103_2144
	s_branch .LBB103_2145
.LBB103_2279:
	s_andn2_saveexec_b64 s[14:15], s[14:15]
	s_cbranch_execz .LBB103_2109
.LBB103_2280:
	v_add_f32_e32 v3, 0x42800000, v4
	v_and_b32_e32 v3, 0xff, v3
	v_cmp_ne_u32_e32 vcc, 0, v3
	s_andn2_b64 s[6:7], s[6:7], exec
	s_and_b64 s[16:17], vcc, exec
	s_or_b64 s[6:7], s[6:7], s[16:17]
	s_or_b64 exec, exec, s[14:15]
	v_mov_b32_e32 v5, 0
	s_and_saveexec_b64 s[14:15], s[6:7]
	s_cbranch_execnz .LBB103_2110
	s_branch .LBB103_2111
.LBB103_2281:
	s_andn2_saveexec_b64 s[12:13], s[12:13]
	s_cbranch_execz .LBB103_2216
.LBB103_2282:
	v_add_f32_e32 v2, 0x46000000, v3
	v_and_b32_e32 v2, 0xff, v2
	v_cmp_ne_u32_e32 vcc, 0, v2
	s_andn2_b64 s[8:9], s[8:9], exec
	s_and_b64 s[14:15], vcc, exec
	s_or_b64 s[8:9], s[8:9], s[14:15]
	s_or_b64 exec, exec, s[12:13]
	v_mov_b32_e32 v4, 0
	s_and_saveexec_b64 s[12:13], s[8:9]
	s_cbranch_execnz .LBB103_2217
	s_branch .LBB103_2218
.LBB103_2283:
	s_mov_b64 s[4:5], 0
	s_or_b64 s[2:3], s[2:3], exec
	s_trap 2
	s_branch .LBB103_2262
.LBB103_2284:
	s_andn2_saveexec_b64 s[8:9], s[8:9]
	s_cbranch_execz .LBB103_2228
.LBB103_2285:
	v_add_f32_e32 v2, 0x42800000, v3
	v_and_b32_e32 v2, 0xff, v2
	v_cmp_ne_u32_e32 vcc, 0, v2
	s_andn2_b64 s[6:7], s[6:7], exec
	s_and_b64 s[12:13], vcc, exec
	s_or_b64 s[6:7], s[6:7], s[12:13]
	s_or_b64 exec, exec, s[8:9]
	v_mov_b32_e32 v4, 0
	s_and_saveexec_b64 s[8:9], s[6:7]
	s_cbranch_execnz .LBB103_2229
	s_branch .LBB103_2230
	.section	.rodata,"a",@progbits
	.p2align	6, 0x0
	.amdhsa_kernel _ZN2at6native32elementwise_kernel_manual_unrollILi128ELi4EZNS0_15gpu_kernel_implIZNS0_21compare_scalar_kernelIfEEvRNS_18TensorIteratorBaseENS0_12_GLOBAL__N_16OpTypeET_EUlfE_EEvS5_RKS8_EUlibE0_EEviT1_
		.amdhsa_group_segment_fixed_size 0
		.amdhsa_private_segment_fixed_size 0
		.amdhsa_kernarg_size 368
		.amdhsa_user_sgpr_count 6
		.amdhsa_user_sgpr_private_segment_buffer 1
		.amdhsa_user_sgpr_dispatch_ptr 0
		.amdhsa_user_sgpr_queue_ptr 0
		.amdhsa_user_sgpr_kernarg_segment_ptr 1
		.amdhsa_user_sgpr_dispatch_id 0
		.amdhsa_user_sgpr_flat_scratch_init 0
		.amdhsa_user_sgpr_private_segment_size 0
		.amdhsa_uses_dynamic_stack 0
		.amdhsa_system_sgpr_private_segment_wavefront_offset 0
		.amdhsa_system_sgpr_workgroup_id_x 1
		.amdhsa_system_sgpr_workgroup_id_y 0
		.amdhsa_system_sgpr_workgroup_id_z 0
		.amdhsa_system_sgpr_workgroup_info 0
		.amdhsa_system_vgpr_workitem_id 0
		.amdhsa_next_free_vgpr 18
		.amdhsa_next_free_sgpr 80
		.amdhsa_reserve_vcc 1
		.amdhsa_reserve_flat_scratch 0
		.amdhsa_float_round_mode_32 0
		.amdhsa_float_round_mode_16_64 0
		.amdhsa_float_denorm_mode_32 3
		.amdhsa_float_denorm_mode_16_64 3
		.amdhsa_dx10_clamp 1
		.amdhsa_ieee_mode 1
		.amdhsa_fp16_overflow 0
		.amdhsa_exception_fp_ieee_invalid_op 0
		.amdhsa_exception_fp_denorm_src 0
		.amdhsa_exception_fp_ieee_div_zero 0
		.amdhsa_exception_fp_ieee_overflow 0
		.amdhsa_exception_fp_ieee_underflow 0
		.amdhsa_exception_fp_ieee_inexact 0
		.amdhsa_exception_int_div_zero 0
	.end_amdhsa_kernel
	.section	.text._ZN2at6native32elementwise_kernel_manual_unrollILi128ELi4EZNS0_15gpu_kernel_implIZNS0_21compare_scalar_kernelIfEEvRNS_18TensorIteratorBaseENS0_12_GLOBAL__N_16OpTypeET_EUlfE_EEvS5_RKS8_EUlibE0_EEviT1_,"axG",@progbits,_ZN2at6native32elementwise_kernel_manual_unrollILi128ELi4EZNS0_15gpu_kernel_implIZNS0_21compare_scalar_kernelIfEEvRNS_18TensorIteratorBaseENS0_12_GLOBAL__N_16OpTypeET_EUlfE_EEvS5_RKS8_EUlibE0_EEviT1_,comdat
.Lfunc_end103:
	.size	_ZN2at6native32elementwise_kernel_manual_unrollILi128ELi4EZNS0_15gpu_kernel_implIZNS0_21compare_scalar_kernelIfEEvRNS_18TensorIteratorBaseENS0_12_GLOBAL__N_16OpTypeET_EUlfE_EEvS5_RKS8_EUlibE0_EEviT1_, .Lfunc_end103-_ZN2at6native32elementwise_kernel_manual_unrollILi128ELi4EZNS0_15gpu_kernel_implIZNS0_21compare_scalar_kernelIfEEvRNS_18TensorIteratorBaseENS0_12_GLOBAL__N_16OpTypeET_EUlfE_EEvS5_RKS8_EUlibE0_EEviT1_
                                        ; -- End function
	.set _ZN2at6native32elementwise_kernel_manual_unrollILi128ELi4EZNS0_15gpu_kernel_implIZNS0_21compare_scalar_kernelIfEEvRNS_18TensorIteratorBaseENS0_12_GLOBAL__N_16OpTypeET_EUlfE_EEvS5_RKS8_EUlibE0_EEviT1_.num_vgpr, 18
	.set _ZN2at6native32elementwise_kernel_manual_unrollILi128ELi4EZNS0_15gpu_kernel_implIZNS0_21compare_scalar_kernelIfEEvRNS_18TensorIteratorBaseENS0_12_GLOBAL__N_16OpTypeET_EUlfE_EEvS5_RKS8_EUlibE0_EEviT1_.num_agpr, 0
	.set _ZN2at6native32elementwise_kernel_manual_unrollILi128ELi4EZNS0_15gpu_kernel_implIZNS0_21compare_scalar_kernelIfEEvRNS_18TensorIteratorBaseENS0_12_GLOBAL__N_16OpTypeET_EUlfE_EEvS5_RKS8_EUlibE0_EEviT1_.numbered_sgpr, 80
	.set _ZN2at6native32elementwise_kernel_manual_unrollILi128ELi4EZNS0_15gpu_kernel_implIZNS0_21compare_scalar_kernelIfEEvRNS_18TensorIteratorBaseENS0_12_GLOBAL__N_16OpTypeET_EUlfE_EEvS5_RKS8_EUlibE0_EEviT1_.num_named_barrier, 0
	.set _ZN2at6native32elementwise_kernel_manual_unrollILi128ELi4EZNS0_15gpu_kernel_implIZNS0_21compare_scalar_kernelIfEEvRNS_18TensorIteratorBaseENS0_12_GLOBAL__N_16OpTypeET_EUlfE_EEvS5_RKS8_EUlibE0_EEviT1_.private_seg_size, 0
	.set _ZN2at6native32elementwise_kernel_manual_unrollILi128ELi4EZNS0_15gpu_kernel_implIZNS0_21compare_scalar_kernelIfEEvRNS_18TensorIteratorBaseENS0_12_GLOBAL__N_16OpTypeET_EUlfE_EEvS5_RKS8_EUlibE0_EEviT1_.uses_vcc, 1
	.set _ZN2at6native32elementwise_kernel_manual_unrollILi128ELi4EZNS0_15gpu_kernel_implIZNS0_21compare_scalar_kernelIfEEvRNS_18TensorIteratorBaseENS0_12_GLOBAL__N_16OpTypeET_EUlfE_EEvS5_RKS8_EUlibE0_EEviT1_.uses_flat_scratch, 0
	.set _ZN2at6native32elementwise_kernel_manual_unrollILi128ELi4EZNS0_15gpu_kernel_implIZNS0_21compare_scalar_kernelIfEEvRNS_18TensorIteratorBaseENS0_12_GLOBAL__N_16OpTypeET_EUlfE_EEvS5_RKS8_EUlibE0_EEviT1_.has_dyn_sized_stack, 0
	.set _ZN2at6native32elementwise_kernel_manual_unrollILi128ELi4EZNS0_15gpu_kernel_implIZNS0_21compare_scalar_kernelIfEEvRNS_18TensorIteratorBaseENS0_12_GLOBAL__N_16OpTypeET_EUlfE_EEvS5_RKS8_EUlibE0_EEviT1_.has_recursion, 0
	.set _ZN2at6native32elementwise_kernel_manual_unrollILi128ELi4EZNS0_15gpu_kernel_implIZNS0_21compare_scalar_kernelIfEEvRNS_18TensorIteratorBaseENS0_12_GLOBAL__N_16OpTypeET_EUlfE_EEvS5_RKS8_EUlibE0_EEviT1_.has_indirect_call, 0
	.section	.AMDGPU.csdata,"",@progbits
; Kernel info:
; codeLenInByte = 38024
; TotalNumSgprs: 84
; NumVgprs: 18
; ScratchSize: 0
; MemoryBound: 1
; FloatMode: 240
; IeeeMode: 1
; LDSByteSize: 0 bytes/workgroup (compile time only)
; SGPRBlocks: 10
; VGPRBlocks: 4
; NumSGPRsForWavesPerEU: 84
; NumVGPRsForWavesPerEU: 18
; Occupancy: 9
; WaveLimiterHint : 1
; COMPUTE_PGM_RSRC2:SCRATCH_EN: 0
; COMPUTE_PGM_RSRC2:USER_SGPR: 6
; COMPUTE_PGM_RSRC2:TRAP_HANDLER: 0
; COMPUTE_PGM_RSRC2:TGID_X_EN: 1
; COMPUTE_PGM_RSRC2:TGID_Y_EN: 0
; COMPUTE_PGM_RSRC2:TGID_Z_EN: 0
; COMPUTE_PGM_RSRC2:TIDIG_COMP_CNT: 0
	.section	.text._ZN2at6native29vectorized_elementwise_kernelILi16ENS0_12_GLOBAL__N_114CompareFunctorIfEESt5arrayIPcLm3EEEEviT0_T1_,"axG",@progbits,_ZN2at6native29vectorized_elementwise_kernelILi16ENS0_12_GLOBAL__N_114CompareFunctorIfEESt5arrayIPcLm3EEEEviT0_T1_,comdat
	.globl	_ZN2at6native29vectorized_elementwise_kernelILi16ENS0_12_GLOBAL__N_114CompareFunctorIfEESt5arrayIPcLm3EEEEviT0_T1_ ; -- Begin function _ZN2at6native29vectorized_elementwise_kernelILi16ENS0_12_GLOBAL__N_114CompareFunctorIfEESt5arrayIPcLm3EEEEviT0_T1_
	.p2align	8
	.type	_ZN2at6native29vectorized_elementwise_kernelILi16ENS0_12_GLOBAL__N_114CompareFunctorIfEESt5arrayIPcLm3EEEEviT0_T1_,@function
_ZN2at6native29vectorized_elementwise_kernelILi16ENS0_12_GLOBAL__N_114CompareFunctorIfEESt5arrayIPcLm3EEEEviT0_T1_: ; @_ZN2at6native29vectorized_elementwise_kernelILi16ENS0_12_GLOBAL__N_114CompareFunctorIfEESt5arrayIPcLm3EEEEviT0_T1_
; %bb.0:
	s_load_dwordx2 s[12:13], s[4:5], 0x0
	s_load_dwordx4 s[8:11], s[4:5], 0x8
	s_load_dwordx2 s[14:15], s[4:5], 0x18
	s_lshl_b32 s2, s6, 12
	s_mov_b64 s[0:1], -1
	s_waitcnt lgkmcnt(0)
	s_sub_i32 s12, s12, s2
	s_cmpk_gt_i32 s12, 0xfff
	s_cbranch_scc0 .LBB104_211
; %bb.1:
	s_ashr_i32 s3, s2, 31
	s_lshl_b64 s[0:1], s[2:3], 2
	s_add_u32 s4, s10, s0
	s_addc_u32 s5, s11, s1
	s_add_u32 s0, s14, s0
	v_lshlrev_b32_e32 v33, 6, v0
	s_addc_u32 s1, s15, s1
	global_load_dwordx4 v[1:4], v33, s[4:5] offset:48
	global_load_dwordx4 v[9:12], v33, s[4:5] offset:32
	;; [unrolled: 1-line block ×3, first 2 shown]
	global_load_dwordx4 v[25:28], v33, s[4:5]
	global_load_dwordx4 v[5:8], v33, s[0:1] offset:48
	global_load_dwordx4 v[13:16], v33, s[0:1] offset:32
	;; [unrolled: 1-line block ×3, first 2 shown]
	global_load_dwordx4 v[29:32], v33, s[0:1]
	s_cmp_lt_i32 s13, 1
	s_mov_b64 s[4:5], 0
	s_cbranch_scc1 .LBB104_5
; %bb.2:
	s_cmp_gt_i32 s13, 1
	s_cbranch_scc0 .LBB104_6
; %bb.3:
	s_cmp_eq_u32 s13, 2
	s_cbranch_scc0 .LBB104_7
; %bb.4:
	s_waitcnt vmcnt(0)
	v_cmp_le_f32_e64 s[0:1], v25, v29
	s_mov_b64 s[6:7], 0
	s_branch .LBB104_8
.LBB104_5:
                                        ; implicit-def: $sgpr0_sgpr1
	s_mov_b64 s[6:7], 0
	s_cbranch_execnz .LBB104_11
	s_branch .LBB104_12
.LBB104_6:
	s_mov_b64 s[6:7], 0
                                        ; implicit-def: $sgpr0_sgpr1
	s_cbranch_execnz .LBB104_9
	s_branch .LBB104_10
.LBB104_7:
	s_mov_b64 s[6:7], -1
                                        ; implicit-def: $sgpr0_sgpr1
.LBB104_8:
	s_branch .LBB104_10
.LBB104_9:
	s_waitcnt vmcnt(0)
	v_cmp_gt_f32_e32 vcc, v25, v29
	s_andn2_b64 s[0:1], s[0:1], exec
	s_and_b64 s[16:17], vcc, exec
	s_or_b64 s[0:1], s[0:1], s[16:17]
.LBB104_10:
	s_branch .LBB104_12
.LBB104_11:
	s_cmp_lg_u32 s13, 0
	s_mov_b64 s[4:5], -1
	s_cselect_b64 s[6:7], -1, 0
.LBB104_12:
	s_andn2_b64 vcc, exec, s[6:7]
	s_cbranch_vccz .LBB104_18
; %bb.13:
	s_andn2_b64 vcc, exec, s[4:5]
	s_cbranch_vccz .LBB104_19
.LBB104_14:
	s_cmp_lt_i32 s13, 1
	s_mov_b64 s[6:7], 0
	s_cbranch_scc1 .LBB104_20
.LBB104_15:
	s_cmp_gt_i32 s13, 1
	s_cbranch_scc0 .LBB104_21
; %bb.16:
	s_cmp_eq_u32 s13, 2
	s_cbranch_scc0 .LBB104_251
; %bb.17:
	s_waitcnt vmcnt(0)
	v_cmp_le_f32_e64 s[4:5], v26, v30
	s_mov_b64 s[16:17], 0
	s_branch .LBB104_23
.LBB104_18:
	s_waitcnt vmcnt(0)
	v_cmp_lt_f32_e32 vcc, v25, v29
	s_andn2_b64 s[0:1], s[0:1], exec
	s_and_b64 s[6:7], vcc, exec
	s_or_b64 s[0:1], s[0:1], s[6:7]
	s_cbranch_execnz .LBB104_14
.LBB104_19:
	s_waitcnt vmcnt(0)
	v_cmp_ge_f32_e32 vcc, v25, v29
	s_andn2_b64 s[0:1], s[0:1], exec
	s_and_b64 s[4:5], vcc, exec
	s_or_b64 s[0:1], s[0:1], s[4:5]
	s_cmp_lt_i32 s13, 1
	s_mov_b64 s[6:7], 0
	s_cbranch_scc0 .LBB104_15
.LBB104_20:
                                        ; implicit-def: $sgpr4_sgpr5
	s_mov_b64 s[16:17], 0
	s_cbranch_execnz .LBB104_24
	s_branch .LBB104_25
.LBB104_21:
	s_mov_b64 s[16:17], 0
                                        ; implicit-def: $sgpr4_sgpr5
	s_cbranch_execz .LBB104_23
; %bb.22:
	s_waitcnt vmcnt(0)
	v_cmp_gt_f32_e32 vcc, v26, v30
	s_andn2_b64 s[4:5], s[4:5], exec
	s_and_b64 s[18:19], vcc, exec
	s_or_b64 s[4:5], s[4:5], s[18:19]
.LBB104_23:
	s_branch .LBB104_25
.LBB104_24:
	s_cmp_lg_u32 s13, 0
	s_mov_b64 s[6:7], -1
	s_cselect_b64 s[16:17], -1, 0
.LBB104_25:
	s_andn2_b64 vcc, exec, s[16:17]
	s_cbranch_vccz .LBB104_31
; %bb.26:
	s_andn2_b64 vcc, exec, s[6:7]
	s_cbranch_vccz .LBB104_32
.LBB104_27:
	s_cmp_lt_i32 s13, 1
	s_mov_b64 s[16:17], 0
	s_cbranch_scc1 .LBB104_33
.LBB104_28:
	s_cmp_gt_i32 s13, 1
	s_cbranch_scc0 .LBB104_34
; %bb.29:
	s_cmp_eq_u32 s13, 2
	s_cbranch_scc0 .LBB104_252
; %bb.30:
	s_waitcnt vmcnt(0)
	v_cmp_le_f32_e64 s[6:7], v27, v31
	s_mov_b64 s[18:19], 0
	s_branch .LBB104_36
.LBB104_31:
	s_waitcnt vmcnt(0)
	v_cmp_lt_f32_e32 vcc, v26, v30
	s_andn2_b64 s[4:5], s[4:5], exec
	s_and_b64 s[16:17], vcc, exec
	s_or_b64 s[4:5], s[4:5], s[16:17]
	s_cbranch_execnz .LBB104_27
.LBB104_32:
	s_waitcnt vmcnt(0)
	v_cmp_ge_f32_e32 vcc, v26, v30
	s_andn2_b64 s[4:5], s[4:5], exec
	s_and_b64 s[6:7], vcc, exec
	s_or_b64 s[4:5], s[4:5], s[6:7]
	s_cmp_lt_i32 s13, 1
	s_mov_b64 s[16:17], 0
	s_cbranch_scc0 .LBB104_28
.LBB104_33:
                                        ; implicit-def: $sgpr6_sgpr7
	s_mov_b64 s[18:19], 0
	s_cbranch_execnz .LBB104_37
	s_branch .LBB104_38
.LBB104_34:
	s_mov_b64 s[18:19], 0
                                        ; implicit-def: $sgpr6_sgpr7
	s_cbranch_execz .LBB104_36
; %bb.35:
	s_waitcnt vmcnt(0)
	v_cmp_gt_f32_e32 vcc, v27, v31
	s_andn2_b64 s[6:7], s[6:7], exec
	s_and_b64 s[20:21], vcc, exec
	s_or_b64 s[6:7], s[6:7], s[20:21]
.LBB104_36:
	s_branch .LBB104_38
.LBB104_37:
	s_cmp_lg_u32 s13, 0
	s_mov_b64 s[16:17], -1
	s_cselect_b64 s[18:19], -1, 0
.LBB104_38:
	s_andn2_b64 vcc, exec, s[18:19]
	s_cbranch_vccz .LBB104_44
; %bb.39:
	s_andn2_b64 vcc, exec, s[16:17]
	s_cbranch_vccz .LBB104_45
.LBB104_40:
	s_cmp_lt_i32 s13, 1
	s_mov_b64 s[18:19], 0
	s_cbranch_scc1 .LBB104_46
.LBB104_41:
	s_cmp_gt_i32 s13, 1
	s_cbranch_scc0 .LBB104_47
; %bb.42:
	s_cmp_eq_u32 s13, 2
	s_cbranch_scc0 .LBB104_253
; %bb.43:
	s_waitcnt vmcnt(0)
	v_cmp_le_f32_e64 s[16:17], v28, v32
	s_mov_b64 s[20:21], 0
	s_branch .LBB104_49
.LBB104_44:
	s_waitcnt vmcnt(0)
	v_cmp_lt_f32_e32 vcc, v27, v31
	s_andn2_b64 s[6:7], s[6:7], exec
	s_and_b64 s[18:19], vcc, exec
	s_or_b64 s[6:7], s[6:7], s[18:19]
	s_cbranch_execnz .LBB104_40
.LBB104_45:
	s_waitcnt vmcnt(0)
	v_cmp_ge_f32_e32 vcc, v27, v31
	s_andn2_b64 s[6:7], s[6:7], exec
	s_and_b64 s[16:17], vcc, exec
	s_or_b64 s[6:7], s[6:7], s[16:17]
	s_cmp_lt_i32 s13, 1
	s_mov_b64 s[18:19], 0
	s_cbranch_scc0 .LBB104_41
.LBB104_46:
                                        ; implicit-def: $sgpr16_sgpr17
	s_mov_b64 s[20:21], 0
	s_cbranch_execnz .LBB104_50
	s_branch .LBB104_51
.LBB104_47:
	s_mov_b64 s[20:21], 0
                                        ; implicit-def: $sgpr16_sgpr17
	s_cbranch_execz .LBB104_49
; %bb.48:
	s_waitcnt vmcnt(0)
	v_cmp_gt_f32_e32 vcc, v28, v32
	s_andn2_b64 s[16:17], s[16:17], exec
	s_and_b64 s[22:23], vcc, exec
	s_or_b64 s[16:17], s[16:17], s[22:23]
.LBB104_49:
	s_branch .LBB104_51
.LBB104_50:
	s_cmp_lg_u32 s13, 0
	s_mov_b64 s[18:19], -1
	s_cselect_b64 s[20:21], -1, 0
.LBB104_51:
	s_andn2_b64 vcc, exec, s[20:21]
	s_cbranch_vccz .LBB104_57
; %bb.52:
	s_andn2_b64 vcc, exec, s[18:19]
	s_cbranch_vccz .LBB104_58
.LBB104_53:
	s_cmp_lt_i32 s13, 1
	s_mov_b64 s[20:21], 0
	s_cbranch_scc1 .LBB104_59
.LBB104_54:
	s_cmp_gt_i32 s13, 1
	s_cbranch_scc0 .LBB104_60
; %bb.55:
	s_cmp_eq_u32 s13, 2
	s_cbranch_scc0 .LBB104_254
; %bb.56:
	s_waitcnt vmcnt(1)
	v_cmp_le_f32_e64 s[18:19], v17, v21
	s_mov_b64 s[22:23], 0
	s_branch .LBB104_62
.LBB104_57:
	s_waitcnt vmcnt(0)
	v_cmp_lt_f32_e32 vcc, v28, v32
	s_andn2_b64 s[16:17], s[16:17], exec
	s_and_b64 s[20:21], vcc, exec
	s_or_b64 s[16:17], s[16:17], s[20:21]
	s_cbranch_execnz .LBB104_53
.LBB104_58:
	s_waitcnt vmcnt(0)
	v_cmp_ge_f32_e32 vcc, v28, v32
	s_andn2_b64 s[16:17], s[16:17], exec
	s_and_b64 s[18:19], vcc, exec
	s_or_b64 s[16:17], s[16:17], s[18:19]
	s_cmp_lt_i32 s13, 1
	s_mov_b64 s[20:21], 0
	s_cbranch_scc0 .LBB104_54
.LBB104_59:
                                        ; implicit-def: $sgpr18_sgpr19
	s_mov_b64 s[22:23], 0
	s_cbranch_execnz .LBB104_63
	s_branch .LBB104_64
.LBB104_60:
	s_mov_b64 s[22:23], 0
                                        ; implicit-def: $sgpr18_sgpr19
	s_cbranch_execz .LBB104_62
; %bb.61:
	s_waitcnt vmcnt(1)
	v_cmp_gt_f32_e32 vcc, v17, v21
	s_andn2_b64 s[18:19], s[18:19], exec
	s_and_b64 s[24:25], vcc, exec
	s_or_b64 s[18:19], s[18:19], s[24:25]
.LBB104_62:
	s_branch .LBB104_64
.LBB104_63:
	s_cmp_lg_u32 s13, 0
	s_mov_b64 s[20:21], -1
	s_cselect_b64 s[22:23], -1, 0
.LBB104_64:
	s_andn2_b64 vcc, exec, s[22:23]
	s_cbranch_vccz .LBB104_70
; %bb.65:
	s_andn2_b64 vcc, exec, s[20:21]
	s_cbranch_vccz .LBB104_71
.LBB104_66:
	s_cmp_lt_i32 s13, 1
	s_mov_b64 s[22:23], 0
	s_cbranch_scc1 .LBB104_72
.LBB104_67:
	s_cmp_gt_i32 s13, 1
	s_cbranch_scc0 .LBB104_73
; %bb.68:
	s_cmp_eq_u32 s13, 2
	s_cbranch_scc0 .LBB104_255
; %bb.69:
	s_waitcnt vmcnt(1)
	v_cmp_le_f32_e64 s[20:21], v18, v22
	s_mov_b64 s[24:25], 0
	s_branch .LBB104_75
.LBB104_70:
	s_waitcnt vmcnt(1)
	v_cmp_lt_f32_e32 vcc, v17, v21
	s_andn2_b64 s[18:19], s[18:19], exec
	s_and_b64 s[22:23], vcc, exec
	s_or_b64 s[18:19], s[18:19], s[22:23]
	s_cbranch_execnz .LBB104_66
.LBB104_71:
	s_waitcnt vmcnt(1)
	v_cmp_ge_f32_e32 vcc, v17, v21
	s_andn2_b64 s[18:19], s[18:19], exec
	s_and_b64 s[20:21], vcc, exec
	s_or_b64 s[18:19], s[18:19], s[20:21]
	s_cmp_lt_i32 s13, 1
	s_mov_b64 s[22:23], 0
	s_cbranch_scc0 .LBB104_67
.LBB104_72:
                                        ; implicit-def: $sgpr20_sgpr21
	s_mov_b64 s[24:25], 0
	s_cbranch_execnz .LBB104_76
	s_branch .LBB104_77
.LBB104_73:
	s_mov_b64 s[24:25], 0
                                        ; implicit-def: $sgpr20_sgpr21
	s_cbranch_execz .LBB104_75
; %bb.74:
	s_waitcnt vmcnt(1)
	v_cmp_gt_f32_e32 vcc, v18, v22
	s_andn2_b64 s[20:21], s[20:21], exec
	s_and_b64 s[26:27], vcc, exec
	s_or_b64 s[20:21], s[20:21], s[26:27]
.LBB104_75:
	s_branch .LBB104_77
.LBB104_76:
	s_cmp_lg_u32 s13, 0
	s_mov_b64 s[22:23], -1
	s_cselect_b64 s[24:25], -1, 0
.LBB104_77:
	s_andn2_b64 vcc, exec, s[24:25]
	s_cbranch_vccz .LBB104_83
; %bb.78:
	s_andn2_b64 vcc, exec, s[22:23]
	s_cbranch_vccz .LBB104_84
.LBB104_79:
	s_cmp_lt_i32 s13, 1
	s_mov_b64 s[24:25], 0
	s_cbranch_scc1 .LBB104_85
.LBB104_80:
	s_cmp_gt_i32 s13, 1
	s_cbranch_scc0 .LBB104_86
; %bb.81:
	s_cmp_eq_u32 s13, 2
	s_cbranch_scc0 .LBB104_256
; %bb.82:
	s_waitcnt vmcnt(1)
	v_cmp_le_f32_e64 s[22:23], v19, v23
	s_mov_b64 s[26:27], 0
	s_branch .LBB104_88
.LBB104_83:
	s_waitcnt vmcnt(1)
	v_cmp_lt_f32_e32 vcc, v18, v22
	s_andn2_b64 s[20:21], s[20:21], exec
	s_and_b64 s[24:25], vcc, exec
	s_or_b64 s[20:21], s[20:21], s[24:25]
	s_cbranch_execnz .LBB104_79
.LBB104_84:
	s_waitcnt vmcnt(1)
	v_cmp_ge_f32_e32 vcc, v18, v22
	s_andn2_b64 s[20:21], s[20:21], exec
	s_and_b64 s[22:23], vcc, exec
	s_or_b64 s[20:21], s[20:21], s[22:23]
	s_cmp_lt_i32 s13, 1
	s_mov_b64 s[24:25], 0
	s_cbranch_scc0 .LBB104_80
.LBB104_85:
                                        ; implicit-def: $sgpr22_sgpr23
	s_mov_b64 s[26:27], 0
	s_cbranch_execnz .LBB104_89
	s_branch .LBB104_90
.LBB104_86:
	s_mov_b64 s[26:27], 0
                                        ; implicit-def: $sgpr22_sgpr23
	s_cbranch_execz .LBB104_88
; %bb.87:
	s_waitcnt vmcnt(1)
	v_cmp_gt_f32_e32 vcc, v19, v23
	s_andn2_b64 s[22:23], s[22:23], exec
	s_and_b64 s[28:29], vcc, exec
	s_or_b64 s[22:23], s[22:23], s[28:29]
.LBB104_88:
	s_branch .LBB104_90
.LBB104_89:
	s_cmp_lg_u32 s13, 0
	s_mov_b64 s[24:25], -1
	s_cselect_b64 s[26:27], -1, 0
.LBB104_90:
	s_andn2_b64 vcc, exec, s[26:27]
	s_cbranch_vccz .LBB104_96
; %bb.91:
	s_andn2_b64 vcc, exec, s[24:25]
	s_cbranch_vccz .LBB104_97
.LBB104_92:
	s_cmp_lt_i32 s13, 1
	s_mov_b64 s[26:27], 0
	s_cbranch_scc1 .LBB104_98
.LBB104_93:
	s_cmp_gt_i32 s13, 1
	s_cbranch_scc0 .LBB104_99
; %bb.94:
	s_cmp_eq_u32 s13, 2
	s_cbranch_scc0 .LBB104_257
; %bb.95:
	s_waitcnt vmcnt(1)
	v_cmp_le_f32_e64 s[24:25], v20, v24
	s_mov_b64 s[28:29], 0
	s_branch .LBB104_101
.LBB104_96:
	s_waitcnt vmcnt(1)
	v_cmp_lt_f32_e32 vcc, v19, v23
	s_andn2_b64 s[22:23], s[22:23], exec
	s_and_b64 s[26:27], vcc, exec
	s_or_b64 s[22:23], s[22:23], s[26:27]
	s_cbranch_execnz .LBB104_92
.LBB104_97:
	s_waitcnt vmcnt(1)
	v_cmp_ge_f32_e32 vcc, v19, v23
	s_andn2_b64 s[22:23], s[22:23], exec
	s_and_b64 s[24:25], vcc, exec
	s_or_b64 s[22:23], s[22:23], s[24:25]
	s_cmp_lt_i32 s13, 1
	s_mov_b64 s[26:27], 0
	s_cbranch_scc0 .LBB104_93
.LBB104_98:
                                        ; implicit-def: $sgpr24_sgpr25
	s_mov_b64 s[28:29], 0
	s_cbranch_execnz .LBB104_102
	s_branch .LBB104_103
.LBB104_99:
	s_mov_b64 s[28:29], 0
                                        ; implicit-def: $sgpr24_sgpr25
	s_cbranch_execz .LBB104_101
; %bb.100:
	s_waitcnt vmcnt(1)
	v_cmp_gt_f32_e32 vcc, v20, v24
	s_andn2_b64 s[24:25], s[24:25], exec
	s_and_b64 s[30:31], vcc, exec
	s_or_b64 s[24:25], s[24:25], s[30:31]
.LBB104_101:
	s_branch .LBB104_103
.LBB104_102:
	s_cmp_lg_u32 s13, 0
	s_mov_b64 s[26:27], -1
	s_cselect_b64 s[28:29], -1, 0
.LBB104_103:
	s_andn2_b64 vcc, exec, s[28:29]
	s_cbranch_vccz .LBB104_109
; %bb.104:
	s_andn2_b64 vcc, exec, s[26:27]
	s_cbranch_vccz .LBB104_110
.LBB104_105:
	s_cmp_lt_i32 s13, 1
	s_mov_b64 s[28:29], 0
	s_cbranch_scc1 .LBB104_111
.LBB104_106:
	s_cmp_gt_i32 s13, 1
	s_cbranch_scc0 .LBB104_112
; %bb.107:
	s_cmp_eq_u32 s13, 2
	s_cbranch_scc0 .LBB104_258
; %bb.108:
	s_waitcnt vmcnt(2)
	v_cmp_le_f32_e64 s[26:27], v9, v13
	s_mov_b64 s[30:31], 0
	s_branch .LBB104_114
.LBB104_109:
	s_waitcnt vmcnt(1)
	v_cmp_lt_f32_e32 vcc, v20, v24
	s_andn2_b64 s[24:25], s[24:25], exec
	s_and_b64 s[28:29], vcc, exec
	s_or_b64 s[24:25], s[24:25], s[28:29]
	s_cbranch_execnz .LBB104_105
.LBB104_110:
	s_waitcnt vmcnt(1)
	v_cmp_ge_f32_e32 vcc, v20, v24
	s_andn2_b64 s[24:25], s[24:25], exec
	s_and_b64 s[26:27], vcc, exec
	s_or_b64 s[24:25], s[24:25], s[26:27]
	s_cmp_lt_i32 s13, 1
	s_mov_b64 s[28:29], 0
	s_cbranch_scc0 .LBB104_106
.LBB104_111:
                                        ; implicit-def: $sgpr26_sgpr27
	s_mov_b64 s[30:31], 0
	s_cbranch_execnz .LBB104_115
	s_branch .LBB104_116
.LBB104_112:
	s_mov_b64 s[30:31], 0
                                        ; implicit-def: $sgpr26_sgpr27
	s_cbranch_execz .LBB104_114
; %bb.113:
	s_waitcnt vmcnt(2)
	v_cmp_gt_f32_e32 vcc, v9, v13
	s_andn2_b64 s[26:27], s[26:27], exec
	s_and_b64 s[34:35], vcc, exec
	s_or_b64 s[26:27], s[26:27], s[34:35]
.LBB104_114:
	s_branch .LBB104_116
.LBB104_115:
	s_cmp_lg_u32 s13, 0
	s_mov_b64 s[28:29], -1
	s_cselect_b64 s[30:31], -1, 0
.LBB104_116:
	s_andn2_b64 vcc, exec, s[30:31]
	s_cbranch_vccz .LBB104_122
; %bb.117:
	s_andn2_b64 vcc, exec, s[28:29]
	s_cbranch_vccz .LBB104_123
.LBB104_118:
	s_cmp_lt_i32 s13, 1
	s_mov_b64 s[30:31], 0
	s_cbranch_scc1 .LBB104_124
.LBB104_119:
	s_cmp_gt_i32 s13, 1
	s_cbranch_scc0 .LBB104_125
; %bb.120:
	s_cmp_eq_u32 s13, 2
	s_cbranch_scc0 .LBB104_259
; %bb.121:
	s_waitcnt vmcnt(2)
	v_cmp_le_f32_e64 s[28:29], v10, v14
	s_mov_b64 s[34:35], 0
	s_branch .LBB104_127
.LBB104_122:
	s_waitcnt vmcnt(2)
	v_cmp_lt_f32_e32 vcc, v9, v13
	s_andn2_b64 s[26:27], s[26:27], exec
	s_and_b64 s[30:31], vcc, exec
	s_or_b64 s[26:27], s[26:27], s[30:31]
	s_cbranch_execnz .LBB104_118
.LBB104_123:
	s_waitcnt vmcnt(2)
	v_cmp_ge_f32_e32 vcc, v9, v13
	s_andn2_b64 s[26:27], s[26:27], exec
	s_and_b64 s[28:29], vcc, exec
	s_or_b64 s[26:27], s[26:27], s[28:29]
	s_cmp_lt_i32 s13, 1
	s_mov_b64 s[30:31], 0
	s_cbranch_scc0 .LBB104_119
.LBB104_124:
                                        ; implicit-def: $sgpr28_sgpr29
	s_mov_b64 s[34:35], 0
	s_cbranch_execnz .LBB104_128
	s_branch .LBB104_129
.LBB104_125:
	s_mov_b64 s[34:35], 0
                                        ; implicit-def: $sgpr28_sgpr29
	s_cbranch_execz .LBB104_127
; %bb.126:
	s_waitcnt vmcnt(2)
	v_cmp_gt_f32_e32 vcc, v10, v14
	s_andn2_b64 s[28:29], s[28:29], exec
	s_and_b64 s[36:37], vcc, exec
	s_or_b64 s[28:29], s[28:29], s[36:37]
.LBB104_127:
	s_branch .LBB104_129
.LBB104_128:
	s_cmp_lg_u32 s13, 0
	s_mov_b64 s[30:31], -1
	s_cselect_b64 s[34:35], -1, 0
.LBB104_129:
	s_andn2_b64 vcc, exec, s[34:35]
	s_cbranch_vccz .LBB104_135
; %bb.130:
	s_andn2_b64 vcc, exec, s[30:31]
	s_cbranch_vccz .LBB104_136
.LBB104_131:
	s_cmp_lt_i32 s13, 1
	s_mov_b64 s[34:35], 0
	s_cbranch_scc1 .LBB104_137
.LBB104_132:
	s_cmp_gt_i32 s13, 1
	s_cbranch_scc0 .LBB104_138
; %bb.133:
	s_cmp_eq_u32 s13, 2
	s_cbranch_scc0 .LBB104_260
; %bb.134:
	s_waitcnt vmcnt(2)
	v_cmp_le_f32_e64 s[30:31], v11, v15
	s_mov_b64 s[36:37], 0
	s_branch .LBB104_140
.LBB104_135:
	s_waitcnt vmcnt(2)
	v_cmp_lt_f32_e32 vcc, v10, v14
	s_andn2_b64 s[28:29], s[28:29], exec
	s_and_b64 s[34:35], vcc, exec
	s_or_b64 s[28:29], s[28:29], s[34:35]
	s_cbranch_execnz .LBB104_131
.LBB104_136:
	s_waitcnt vmcnt(2)
	v_cmp_ge_f32_e32 vcc, v10, v14
	s_andn2_b64 s[28:29], s[28:29], exec
	s_and_b64 s[30:31], vcc, exec
	s_or_b64 s[28:29], s[28:29], s[30:31]
	s_cmp_lt_i32 s13, 1
	s_mov_b64 s[34:35], 0
	s_cbranch_scc0 .LBB104_132
.LBB104_137:
                                        ; implicit-def: $sgpr30_sgpr31
	s_mov_b64 s[36:37], 0
	s_cbranch_execnz .LBB104_141
	s_branch .LBB104_142
.LBB104_138:
	s_mov_b64 s[36:37], 0
                                        ; implicit-def: $sgpr30_sgpr31
	s_cbranch_execz .LBB104_140
; %bb.139:
	s_waitcnt vmcnt(2)
	v_cmp_gt_f32_e32 vcc, v11, v15
	s_andn2_b64 s[30:31], s[30:31], exec
	s_and_b64 s[38:39], vcc, exec
	s_or_b64 s[30:31], s[30:31], s[38:39]
.LBB104_140:
	s_branch .LBB104_142
.LBB104_141:
	s_cmp_lg_u32 s13, 0
	s_mov_b64 s[34:35], -1
	s_cselect_b64 s[36:37], -1, 0
.LBB104_142:
	s_andn2_b64 vcc, exec, s[36:37]
	s_cbranch_vccz .LBB104_148
; %bb.143:
	s_andn2_b64 vcc, exec, s[34:35]
	s_cbranch_vccz .LBB104_149
.LBB104_144:
	s_cmp_lt_i32 s13, 1
	s_mov_b64 s[36:37], 0
	s_cbranch_scc1 .LBB104_150
.LBB104_145:
	s_cmp_gt_i32 s13, 1
	s_cbranch_scc0 .LBB104_151
; %bb.146:
	s_cmp_eq_u32 s13, 2
	s_cbranch_scc0 .LBB104_261
; %bb.147:
	s_waitcnt vmcnt(2)
	v_cmp_le_f32_e64 s[34:35], v12, v16
	s_mov_b64 s[38:39], 0
	s_branch .LBB104_153
.LBB104_148:
	s_waitcnt vmcnt(2)
	v_cmp_lt_f32_e32 vcc, v11, v15
	s_andn2_b64 s[30:31], s[30:31], exec
	s_and_b64 s[36:37], vcc, exec
	s_or_b64 s[30:31], s[30:31], s[36:37]
	s_cbranch_execnz .LBB104_144
.LBB104_149:
	s_waitcnt vmcnt(2)
	v_cmp_ge_f32_e32 vcc, v11, v15
	s_andn2_b64 s[30:31], s[30:31], exec
	s_and_b64 s[34:35], vcc, exec
	s_or_b64 s[30:31], s[30:31], s[34:35]
	s_cmp_lt_i32 s13, 1
	s_mov_b64 s[36:37], 0
	s_cbranch_scc0 .LBB104_145
.LBB104_150:
                                        ; implicit-def: $sgpr34_sgpr35
	s_mov_b64 s[38:39], 0
	s_cbranch_execnz .LBB104_154
	s_branch .LBB104_155
.LBB104_151:
	s_mov_b64 s[38:39], 0
                                        ; implicit-def: $sgpr34_sgpr35
	s_cbranch_execz .LBB104_153
; %bb.152:
	s_waitcnt vmcnt(2)
	v_cmp_gt_f32_e32 vcc, v12, v16
	s_andn2_b64 s[34:35], s[34:35], exec
	s_and_b64 s[40:41], vcc, exec
	s_or_b64 s[34:35], s[34:35], s[40:41]
.LBB104_153:
	s_branch .LBB104_155
.LBB104_154:
	s_cmp_lg_u32 s13, 0
	s_mov_b64 s[36:37], -1
	s_cselect_b64 s[38:39], -1, 0
.LBB104_155:
	s_andn2_b64 vcc, exec, s[38:39]
	s_cbranch_vccz .LBB104_161
; %bb.156:
	s_andn2_b64 vcc, exec, s[36:37]
	s_cbranch_vccz .LBB104_162
.LBB104_157:
	s_cmp_lt_i32 s13, 1
	s_mov_b64 s[38:39], 0
	s_cbranch_scc1 .LBB104_163
.LBB104_158:
	s_cmp_gt_i32 s13, 1
	s_cbranch_scc0 .LBB104_164
; %bb.159:
	s_cmp_eq_u32 s13, 2
	s_cbranch_scc0 .LBB104_262
; %bb.160:
	s_waitcnt vmcnt(3)
	v_cmp_le_f32_e64 s[36:37], v1, v5
	s_mov_b64 s[40:41], 0
	s_branch .LBB104_166
.LBB104_161:
	s_waitcnt vmcnt(2)
	v_cmp_lt_f32_e32 vcc, v12, v16
	s_andn2_b64 s[34:35], s[34:35], exec
	s_and_b64 s[38:39], vcc, exec
	s_or_b64 s[34:35], s[34:35], s[38:39]
	s_cbranch_execnz .LBB104_157
.LBB104_162:
	s_waitcnt vmcnt(2)
	v_cmp_ge_f32_e32 vcc, v12, v16
	s_andn2_b64 s[34:35], s[34:35], exec
	s_and_b64 s[36:37], vcc, exec
	s_or_b64 s[34:35], s[34:35], s[36:37]
	s_cmp_lt_i32 s13, 1
	s_mov_b64 s[38:39], 0
	s_cbranch_scc0 .LBB104_158
.LBB104_163:
                                        ; implicit-def: $sgpr36_sgpr37
	s_mov_b64 s[40:41], 0
	s_cbranch_execnz .LBB104_167
	s_branch .LBB104_168
.LBB104_164:
	s_mov_b64 s[40:41], 0
                                        ; implicit-def: $sgpr36_sgpr37
	s_cbranch_execz .LBB104_166
; %bb.165:
	s_waitcnt vmcnt(3)
	v_cmp_gt_f32_e32 vcc, v1, v5
	s_andn2_b64 s[36:37], s[36:37], exec
	s_and_b64 s[42:43], vcc, exec
	s_or_b64 s[36:37], s[36:37], s[42:43]
.LBB104_166:
	s_branch .LBB104_168
.LBB104_167:
	s_cmp_lg_u32 s13, 0
	s_mov_b64 s[38:39], -1
	s_cselect_b64 s[40:41], -1, 0
.LBB104_168:
	s_andn2_b64 vcc, exec, s[40:41]
	s_cbranch_vccz .LBB104_174
; %bb.169:
	s_andn2_b64 vcc, exec, s[38:39]
	s_cbranch_vccz .LBB104_175
.LBB104_170:
	s_cmp_lt_i32 s13, 1
	s_mov_b64 s[40:41], 0
	s_cbranch_scc1 .LBB104_176
.LBB104_171:
	s_cmp_gt_i32 s13, 1
	s_cbranch_scc0 .LBB104_177
; %bb.172:
	s_cmp_eq_u32 s13, 2
	s_cbranch_scc0 .LBB104_263
; %bb.173:
	s_waitcnt vmcnt(3)
	v_cmp_le_f32_e64 s[38:39], v2, v6
	s_mov_b64 s[42:43], 0
	s_branch .LBB104_179
.LBB104_174:
	s_waitcnt vmcnt(3)
	v_cmp_lt_f32_e32 vcc, v1, v5
	s_andn2_b64 s[36:37], s[36:37], exec
	s_and_b64 s[40:41], vcc, exec
	s_or_b64 s[36:37], s[36:37], s[40:41]
	s_cbranch_execnz .LBB104_170
.LBB104_175:
	s_waitcnt vmcnt(3)
	v_cmp_ge_f32_e32 vcc, v1, v5
	s_andn2_b64 s[36:37], s[36:37], exec
	s_and_b64 s[38:39], vcc, exec
	s_or_b64 s[36:37], s[36:37], s[38:39]
	s_cmp_lt_i32 s13, 1
	s_mov_b64 s[40:41], 0
	s_cbranch_scc0 .LBB104_171
.LBB104_176:
                                        ; implicit-def: $sgpr38_sgpr39
	s_mov_b64 s[42:43], 0
	s_cbranch_execnz .LBB104_180
	s_branch .LBB104_181
.LBB104_177:
	s_mov_b64 s[42:43], 0
                                        ; implicit-def: $sgpr38_sgpr39
	s_cbranch_execz .LBB104_179
; %bb.178:
	s_waitcnt vmcnt(3)
	v_cmp_gt_f32_e32 vcc, v2, v6
	s_andn2_b64 s[38:39], s[38:39], exec
	s_and_b64 s[44:45], vcc, exec
	s_or_b64 s[38:39], s[38:39], s[44:45]
.LBB104_179:
	s_branch .LBB104_181
.LBB104_180:
	s_cmp_lg_u32 s13, 0
	s_mov_b64 s[40:41], -1
	s_cselect_b64 s[42:43], -1, 0
.LBB104_181:
	s_andn2_b64 vcc, exec, s[42:43]
	s_cbranch_vccz .LBB104_187
; %bb.182:
	s_andn2_b64 vcc, exec, s[40:41]
	s_cbranch_vccz .LBB104_188
.LBB104_183:
	s_cmp_lt_i32 s13, 1
	s_mov_b64 s[42:43], 0
	s_cbranch_scc1 .LBB104_189
.LBB104_184:
	s_cmp_gt_i32 s13, 1
	s_cbranch_scc0 .LBB104_190
; %bb.185:
	s_cmp_eq_u32 s13, 2
	s_cbranch_scc0 .LBB104_264
; %bb.186:
	s_waitcnt vmcnt(3)
	v_cmp_le_f32_e64 s[40:41], v3, v7
	s_mov_b64 s[44:45], 0
	s_branch .LBB104_192
.LBB104_187:
	s_waitcnt vmcnt(3)
	v_cmp_lt_f32_e32 vcc, v2, v6
	s_andn2_b64 s[38:39], s[38:39], exec
	s_and_b64 s[42:43], vcc, exec
	s_or_b64 s[38:39], s[38:39], s[42:43]
	s_cbranch_execnz .LBB104_183
.LBB104_188:
	s_waitcnt vmcnt(3)
	v_cmp_ge_f32_e32 vcc, v2, v6
	s_andn2_b64 s[38:39], s[38:39], exec
	s_and_b64 s[40:41], vcc, exec
	s_or_b64 s[38:39], s[38:39], s[40:41]
	s_cmp_lt_i32 s13, 1
	s_mov_b64 s[42:43], 0
	s_cbranch_scc0 .LBB104_184
.LBB104_189:
                                        ; implicit-def: $sgpr40_sgpr41
	s_mov_b64 s[44:45], 0
	s_cbranch_execnz .LBB104_193
	s_branch .LBB104_194
.LBB104_190:
	s_mov_b64 s[44:45], 0
                                        ; implicit-def: $sgpr40_sgpr41
	s_cbranch_execz .LBB104_192
; %bb.191:
	s_waitcnt vmcnt(3)
	v_cmp_gt_f32_e32 vcc, v3, v7
	s_andn2_b64 s[40:41], s[40:41], exec
	s_and_b64 s[46:47], vcc, exec
	s_or_b64 s[40:41], s[40:41], s[46:47]
.LBB104_192:
	s_branch .LBB104_194
.LBB104_193:
	s_cmp_lg_u32 s13, 0
	s_mov_b64 s[42:43], -1
	s_cselect_b64 s[44:45], -1, 0
.LBB104_194:
	s_andn2_b64 vcc, exec, s[44:45]
	s_cbranch_vccz .LBB104_200
; %bb.195:
	s_andn2_b64 vcc, exec, s[42:43]
	s_cbranch_vccz .LBB104_201
.LBB104_196:
	s_cmp_lt_i32 s13, 1
	s_mov_b64 s[44:45], 0
	s_cbranch_scc1 .LBB104_202
.LBB104_197:
	s_cmp_gt_i32 s13, 1
	s_cbranch_scc0 .LBB104_203
; %bb.198:
	s_cmp_eq_u32 s13, 2
	s_cbranch_scc0 .LBB104_265
; %bb.199:
	s_waitcnt vmcnt(3)
	v_cmp_le_f32_e64 s[42:43], v4, v8
	s_mov_b64 s[46:47], 0
	s_branch .LBB104_205
.LBB104_200:
	s_waitcnt vmcnt(3)
	v_cmp_lt_f32_e32 vcc, v3, v7
	s_andn2_b64 s[40:41], s[40:41], exec
	s_and_b64 s[44:45], vcc, exec
	s_or_b64 s[40:41], s[40:41], s[44:45]
	s_cbranch_execnz .LBB104_196
.LBB104_201:
	s_waitcnt vmcnt(3)
	v_cmp_ge_f32_e32 vcc, v3, v7
	s_andn2_b64 s[40:41], s[40:41], exec
	s_and_b64 s[42:43], vcc, exec
	s_or_b64 s[40:41], s[40:41], s[42:43]
	s_cmp_lt_i32 s13, 1
	s_mov_b64 s[44:45], 0
	s_cbranch_scc0 .LBB104_197
.LBB104_202:
                                        ; implicit-def: $sgpr42_sgpr43
	s_mov_b64 s[46:47], 0
	s_cbranch_execnz .LBB104_206
	s_branch .LBB104_207
.LBB104_203:
	s_mov_b64 s[46:47], 0
                                        ; implicit-def: $sgpr42_sgpr43
	s_cbranch_execz .LBB104_205
; %bb.204:
	s_waitcnt vmcnt(3)
	v_cmp_gt_f32_e32 vcc, v4, v8
	s_andn2_b64 s[42:43], s[42:43], exec
	s_and_b64 s[48:49], vcc, exec
	s_or_b64 s[42:43], s[42:43], s[48:49]
.LBB104_205:
	s_branch .LBB104_207
.LBB104_206:
	s_cmp_lg_u32 s13, 0
	s_mov_b64 s[44:45], -1
	s_cselect_b64 s[46:47], -1, 0
.LBB104_207:
	s_andn2_b64 vcc, exec, s[46:47]
	s_cbranch_vccz .LBB104_249
; %bb.208:
	s_andn2_b64 vcc, exec, s[44:45]
	s_cbranch_vccnz .LBB104_210
.LBB104_209:
	s_waitcnt vmcnt(3)
	v_cmp_ge_f32_e32 vcc, v4, v8
	s_andn2_b64 s[42:43], s[42:43], exec
	s_and_b64 s[44:45], vcc, exec
	s_or_b64 s[42:43], s[42:43], s[44:45]
.LBB104_210:
	s_waitcnt vmcnt(7)
	v_cndmask_b32_e64 v1, 0, 1, s[4:5]
	v_lshlrev_b16_e32 v1, 8, v1
	v_cndmask_b32_e64 v2, 0, 1, s[0:1]
	v_or_b32_e32 v1, v2, v1
	v_cndmask_b32_e64 v2, 0, 1, s[16:17]
	v_lshlrev_b16_e32 v2, 8, v2
	v_cndmask_b32_e64 v3, 0, 1, s[6:7]
	v_or_b32_sdwa v2, v3, v2 dst_sel:WORD_1 dst_unused:UNUSED_PAD src0_sel:DWORD src1_sel:DWORD
	v_or_b32_sdwa v1, v1, v2 dst_sel:DWORD dst_unused:UNUSED_PAD src0_sel:WORD_0 src1_sel:DWORD
	v_cndmask_b32_e64 v2, 0, 1, s[20:21]
	v_lshlrev_b16_e32 v2, 8, v2
	v_cndmask_b32_e64 v3, 0, 1, s[18:19]
	v_or_b32_e32 v2, v3, v2
	v_cndmask_b32_e64 v3, 0, 1, s[24:25]
	v_lshlrev_b16_e32 v3, 8, v3
	v_cndmask_b32_e64 v4, 0, 1, s[22:23]
	v_or_b32_sdwa v3, v4, v3 dst_sel:WORD_1 dst_unused:UNUSED_PAD src0_sel:DWORD src1_sel:DWORD
	v_or_b32_sdwa v2, v2, v3 dst_sel:DWORD dst_unused:UNUSED_PAD src0_sel:WORD_0 src1_sel:DWORD
	v_cndmask_b32_e64 v3, 0, 1, s[28:29]
	v_lshlrev_b16_e32 v3, 8, v3
	v_cndmask_b32_e64 v4, 0, 1, s[26:27]
	v_or_b32_e32 v3, v4, v3
	v_cndmask_b32_e64 v4, 0, 1, s[34:35]
	v_lshlrev_b16_e32 v4, 8, v4
	s_waitcnt vmcnt(3)
	v_cndmask_b32_e64 v6, 0, 1, s[30:31]
	v_or_b32_sdwa v4, v6, v4 dst_sel:WORD_1 dst_unused:UNUSED_PAD src0_sel:DWORD src1_sel:DWORD
	v_or_b32_sdwa v3, v3, v4 dst_sel:DWORD dst_unused:UNUSED_PAD src0_sel:WORD_0 src1_sel:DWORD
	v_cndmask_b32_e64 v4, 0, 1, s[38:39]
	v_lshlrev_b16_e32 v4, 8, v4
	v_cndmask_b32_e64 v6, 0, 1, s[36:37]
	v_or_b32_e32 v4, v6, v4
	v_cndmask_b32_e64 v6, 0, 1, s[42:43]
	v_lshlrev_b16_e32 v6, 8, v6
	v_cndmask_b32_e64 v7, 0, 1, s[40:41]
	s_add_u32 s44, s8, s2
	v_or_b32_sdwa v6, v7, v6 dst_sel:WORD_1 dst_unused:UNUSED_PAD src0_sel:DWORD src1_sel:DWORD
	s_addc_u32 s45, s9, s3
	v_lshlrev_b32_e32 v5, 4, v0
	v_or_b32_sdwa v4, v4, v6 dst_sel:DWORD dst_unused:UNUSED_PAD src0_sel:WORD_0 src1_sel:DWORD
	global_store_dwordx4 v5, v[1:4], s[44:45]
	s_mov_b64 s[0:1], 0
.LBB104_211:
	s_and_b64 vcc, exec, s[0:1]
	s_cbranch_vccz .LBB104_519
; %bb.212:
	v_cmp_gt_i32_e64 s[0:1], s12, v0
	s_waitcnt vmcnt(3)
	v_mov_b32_e32 v14, 0
	v_or_b32_e32 v1, s2, v0
	v_mov_b32_e32 v7, 0
	v_mov_b32_e32 v10, 0
	;; [unrolled: 1-line block ×3, first 2 shown]
	s_and_saveexec_b64 s[4:5], s[0:1]
	s_cbranch_execz .LBB104_214
; %bb.213:
	v_mov_b32_e32 v2, 0
	v_lshlrev_b64 v[2:3], 2, v[1:2]
	v_mov_b32_e32 v5, s15
	v_add_co_u32_e32 v4, vcc, s14, v2
	v_addc_co_u32_e32 v5, vcc, v5, v3, vcc
	v_mov_b32_e32 v6, s11
	v_add_co_u32_e32 v2, vcc, s10, v2
	v_addc_co_u32_e32 v3, vcc, v6, v3, vcc
	global_load_dword v7, v[2:3], off
	global_load_dword v10, v[4:5], off
	v_or_b32_e32 v6, 0x100, v0
.LBB104_214:
	s_or_b64 exec, exec, s[4:5]
	v_cmp_gt_i32_e32 vcc, s12, v6
	v_mov_b32_e32 v34, 0
	s_and_saveexec_b64 s[4:5], vcc
	s_cbranch_execz .LBB104_216
; %bb.215:
	v_add_u32_e32 v2, s2, v6
	v_mov_b32_e32 v3, 0
	v_lshlrev_b64 v[2:3], 2, v[2:3]
	v_mov_b32_e32 v5, s15
	v_add_co_u32_e32 v4, vcc, s14, v2
	v_addc_co_u32_e32 v5, vcc, v5, v3, vcc
	v_mov_b32_e32 v8, s11
	v_add_co_u32_e32 v2, vcc, s10, v2
	v_addc_co_u32_e32 v3, vcc, v8, v3, vcc
	global_load_dword v14, v[2:3], off
	global_load_dword v34, v[4:5], off
	v_add_u32_e32 v6, 0x100, v6
.LBB104_216:
	s_or_b64 exec, exec, s[4:5]
	v_cmp_gt_i32_e32 vcc, s12, v6
	s_waitcnt vmcnt(2)
	v_mov_b32_e32 v21, 0
	v_mov_b32_e32 v16, 0
	;; [unrolled: 1-line block ×3, first 2 shown]
	s_and_saveexec_b64 s[4:5], vcc
	s_cbranch_execz .LBB104_218
; %bb.217:
	v_add_u32_e32 v2, s2, v6
	v_mov_b32_e32 v3, 0
	v_lshlrev_b64 v[2:3], 2, v[2:3]
	v_mov_b32_e32 v5, s15
	v_add_co_u32_e32 v4, vcc, s14, v2
	v_addc_co_u32_e32 v5, vcc, v5, v3, vcc
	v_mov_b32_e32 v8, s11
	v_add_co_u32_e32 v2, vcc, s10, v2
	v_addc_co_u32_e32 v3, vcc, v8, v3, vcc
	global_load_dword v16, v[2:3], off
	global_load_dword v33, v[4:5], off
	v_add_u32_e32 v6, 0x100, v6
.LBB104_218:
	s_or_b64 exec, exec, s[4:5]
	v_cmp_gt_i32_e32 vcc, s12, v6
	s_waitcnt vmcnt(1)
	v_mov_b32_e32 v32, 0
	s_and_saveexec_b64 s[4:5], vcc
	s_cbranch_execz .LBB104_220
; %bb.219:
	v_add_u32_e32 v2, s2, v6
	v_mov_b32_e32 v3, 0
	v_lshlrev_b64 v[2:3], 2, v[2:3]
	v_mov_b32_e32 v5, s15
	v_add_co_u32_e32 v4, vcc, s14, v2
	v_addc_co_u32_e32 v5, vcc, v5, v3, vcc
	v_mov_b32_e32 v8, s11
	v_add_co_u32_e32 v2, vcc, s10, v2
	v_addc_co_u32_e32 v3, vcc, v8, v3, vcc
	global_load_dword v21, v[2:3], off
	global_load_dword v32, v[4:5], off
	v_add_u32_e32 v6, 0x100, v6
.LBB104_220:
	s_or_b64 exec, exec, s[4:5]
	v_cmp_gt_i32_e32 vcc, s12, v6
	v_mov_b32_e32 v27, 0
	v_mov_b32_e32 v24, 0
	v_mov_b32_e32 v31, 0
	s_and_saveexec_b64 s[4:5], vcc
	s_cbranch_execz .LBB104_222
; %bb.221:
	v_add_u32_e32 v2, s2, v6
	v_mov_b32_e32 v3, 0
	v_lshlrev_b64 v[2:3], 2, v[2:3]
	v_mov_b32_e32 v5, s15
	v_add_co_u32_e32 v4, vcc, s14, v2
	v_addc_co_u32_e32 v5, vcc, v5, v3, vcc
	v_mov_b32_e32 v8, s11
	v_add_co_u32_e32 v2, vcc, s10, v2
	v_addc_co_u32_e32 v3, vcc, v8, v3, vcc
	global_load_dword v24, v[2:3], off
	global_load_dword v31, v[4:5], off
	v_add_u32_e32 v6, 0x100, v6
.LBB104_222:
	s_or_b64 exec, exec, s[4:5]
	v_cmp_gt_i32_e32 vcc, s12, v6
	v_mov_b32_e32 v30, 0
	s_and_saveexec_b64 s[4:5], vcc
	s_cbranch_execz .LBB104_224
; %bb.223:
	v_add_u32_e32 v2, s2, v6
	v_mov_b32_e32 v3, 0
	v_lshlrev_b64 v[2:3], 2, v[2:3]
	v_mov_b32_e32 v5, s15
	v_add_co_u32_e32 v4, vcc, s14, v2
	v_addc_co_u32_e32 v5, vcc, v5, v3, vcc
	v_mov_b32_e32 v8, s11
	v_add_co_u32_e32 v2, vcc, s10, v2
	v_addc_co_u32_e32 v3, vcc, v8, v3, vcc
	global_load_dword v27, v[2:3], off
	global_load_dword v30, v[4:5], off
	v_add_u32_e32 v6, 0x100, v6
.LBB104_224:
	s_or_b64 exec, exec, s[4:5]
	v_cmp_gt_i32_e32 vcc, s12, v6
	v_mov_b32_e32 v25, 0
	v_mov_b32_e32 v28, 0
	v_mov_b32_e32 v29, 0
	s_and_saveexec_b64 s[4:5], vcc
	s_cbranch_execz .LBB104_226
; %bb.225:
	v_add_u32_e32 v2, s2, v6
	v_mov_b32_e32 v3, 0
	v_lshlrev_b64 v[2:3], 2, v[2:3]
	v_mov_b32_e32 v5, s15
	v_add_co_u32_e32 v4, vcc, s14, v2
	v_addc_co_u32_e32 v5, vcc, v5, v3, vcc
	v_mov_b32_e32 v8, s11
	v_add_co_u32_e32 v2, vcc, s10, v2
	v_addc_co_u32_e32 v3, vcc, v8, v3, vcc
	global_load_dword v28, v[2:3], off
	global_load_dword v29, v[4:5], off
	v_add_u32_e32 v6, 0x100, v6
.LBB104_226:
	s_or_b64 exec, exec, s[4:5]
	v_cmp_gt_i32_e32 vcc, s12, v6
	;; [unrolled: 40-line block ×6, first 2 shown]
	v_mov_b32_e32 v3, 0
	s_and_saveexec_b64 s[4:5], vcc
	s_cbranch_execz .LBB104_244
; %bb.243:
	v_add_u32_e32 v2, s2, v6
	v_mov_b32_e32 v3, 0
	v_lshlrev_b64 v[2:3], 2, v[2:3]
	v_mov_b32_e32 v6, s15
	v_add_co_u32_e32 v35, vcc, s14, v2
	v_addc_co_u32_e32 v36, vcc, v6, v3, vcc
	v_mov_b32_e32 v6, s11
	v_add_co_u32_e32 v37, vcc, s10, v2
	v_addc_co_u32_e32 v38, vcc, v6, v3, vcc
	global_load_dword v2, v[37:38], off
	global_load_dword v3, v[35:36], off
.LBB104_244:
	s_or_b64 exec, exec, s[4:5]
                                        ; implicit-def: $vgpr6
	s_and_saveexec_b64 s[4:5], s[0:1]
	s_cbranch_execz .LBB104_276
; %bb.245:
	s_cmp_lt_i32 s13, 1
	s_mov_b64 s[6:7], 0
	s_cbranch_scc1 .LBB104_250
; %bb.246:
	s_cmp_gt_i32 s13, 1
	s_cbranch_scc0 .LBB104_266
; %bb.247:
	s_cmp_eq_u32 s13, 2
	s_cbranch_scc0 .LBB104_267
; %bb.248:
	s_waitcnt vmcnt(0)
	v_cmp_le_f32_e64 s[10:11], v7, v10
	s_mov_b64 s[14:15], 0
	s_branch .LBB104_268
.LBB104_249:
	s_waitcnt vmcnt(3)
	v_cmp_lt_f32_e32 vcc, v4, v8
	s_andn2_b64 s[42:43], s[42:43], exec
	s_and_b64 s[46:47], vcc, exec
	s_or_b64 s[42:43], s[42:43], s[46:47]
	s_cbranch_execz .LBB104_209
	s_branch .LBB104_210
.LBB104_250:
                                        ; implicit-def: $sgpr10_sgpr11
	s_mov_b64 s[14:15], 0
	s_cbranch_execnz .LBB104_271
	s_branch .LBB104_272
.LBB104_251:
	s_mov_b64 s[16:17], -1
                                        ; implicit-def: $sgpr4_sgpr5
	s_branch .LBB104_23
.LBB104_252:
	s_mov_b64 s[18:19], -1
                                        ; implicit-def: $sgpr6_sgpr7
	s_branch .LBB104_36
.LBB104_253:
	s_mov_b64 s[20:21], -1
                                        ; implicit-def: $sgpr16_sgpr17
	s_branch .LBB104_49
.LBB104_254:
	s_mov_b64 s[22:23], -1
                                        ; implicit-def: $sgpr18_sgpr19
	s_branch .LBB104_62
.LBB104_255:
	s_mov_b64 s[24:25], -1
                                        ; implicit-def: $sgpr20_sgpr21
	s_branch .LBB104_75
.LBB104_256:
	s_mov_b64 s[26:27], -1
                                        ; implicit-def: $sgpr22_sgpr23
	s_branch .LBB104_88
.LBB104_257:
	s_mov_b64 s[28:29], -1
                                        ; implicit-def: $sgpr24_sgpr25
	s_branch .LBB104_101
.LBB104_258:
	s_mov_b64 s[30:31], -1
                                        ; implicit-def: $sgpr26_sgpr27
	s_branch .LBB104_114
.LBB104_259:
	s_mov_b64 s[34:35], -1
                                        ; implicit-def: $sgpr28_sgpr29
	s_branch .LBB104_127
.LBB104_260:
	s_mov_b64 s[36:37], -1
                                        ; implicit-def: $sgpr30_sgpr31
	s_branch .LBB104_140
.LBB104_261:
	s_mov_b64 s[38:39], -1
                                        ; implicit-def: $sgpr34_sgpr35
	s_branch .LBB104_153
.LBB104_262:
	s_mov_b64 s[40:41], -1
                                        ; implicit-def: $sgpr36_sgpr37
	s_branch .LBB104_166
.LBB104_263:
	s_mov_b64 s[42:43], -1
                                        ; implicit-def: $sgpr38_sgpr39
	s_branch .LBB104_179
.LBB104_264:
	s_mov_b64 s[44:45], -1
                                        ; implicit-def: $sgpr40_sgpr41
	s_branch .LBB104_192
.LBB104_265:
	s_mov_b64 s[46:47], -1
                                        ; implicit-def: $sgpr42_sgpr43
	s_branch .LBB104_205
.LBB104_266:
	s_mov_b64 s[14:15], 0
                                        ; implicit-def: $sgpr10_sgpr11
	s_cbranch_execnz .LBB104_269
	s_branch .LBB104_270
.LBB104_267:
	s_mov_b64 s[14:15], -1
                                        ; implicit-def: $sgpr10_sgpr11
.LBB104_268:
	s_branch .LBB104_270
.LBB104_269:
	s_waitcnt vmcnt(0)
	v_cmp_gt_f32_e32 vcc, v7, v10
	s_andn2_b64 s[10:11], s[10:11], exec
	s_and_b64 s[16:17], vcc, exec
	s_or_b64 s[10:11], s[10:11], s[16:17]
.LBB104_270:
	s_branch .LBB104_272
.LBB104_271:
	s_cmp_lg_u32 s13, 0
	s_mov_b64 s[6:7], -1
	s_cselect_b64 s[14:15], -1, 0
.LBB104_272:
	s_andn2_b64 vcc, exec, s[14:15]
	s_cbranch_vccz .LBB104_281
; %bb.273:
	s_andn2_b64 vcc, exec, s[6:7]
	s_cbranch_vccnz .LBB104_275
.LBB104_274:
	s_waitcnt vmcnt(0)
	v_cmp_ge_f32_e32 vcc, v7, v10
	s_andn2_b64 s[6:7], s[10:11], exec
	s_and_b64 s[10:11], vcc, exec
	s_or_b64 s[10:11], s[6:7], s[10:11]
.LBB104_275:
	v_cndmask_b32_e64 v6, 0, 1, s[10:11]
.LBB104_276:
	s_or_b64 exec, exec, s[4:5]
	v_or_b32_e32 v7, 0x100, v0
	v_cmp_gt_i32_e32 vcc, s12, v7
                                        ; implicit-def: $vgpr10
	s_and_saveexec_b64 s[4:5], vcc
	s_cbranch_execz .LBB104_291
; %bb.277:
	s_cmp_lt_i32 s13, 1
	s_mov_b64 s[6:7], 0
	s_cbranch_scc1 .LBB104_282
; %bb.278:
	s_cmp_gt_i32 s13, 1
	s_cbranch_scc0 .LBB104_283
; %bb.279:
	s_cmp_eq_u32 s13, 2
	s_cbranch_scc0 .LBB104_535
; %bb.280:
	s_waitcnt vmcnt(0)
	v_cmp_le_f32_e64 s[10:11], v14, v34
	s_mov_b64 s[14:15], 0
	s_branch .LBB104_285
.LBB104_281:
	s_waitcnt vmcnt(0)
	v_cmp_lt_f32_e32 vcc, v7, v10
	s_andn2_b64 s[10:11], s[10:11], exec
	s_and_b64 s[14:15], vcc, exec
	s_or_b64 s[10:11], s[10:11], s[14:15]
	s_cbranch_execz .LBB104_274
	s_branch .LBB104_275
.LBB104_282:
                                        ; implicit-def: $sgpr10_sgpr11
	s_mov_b64 s[14:15], 0
	s_cbranch_execnz .LBB104_286
	s_branch .LBB104_287
.LBB104_283:
	s_mov_b64 s[14:15], 0
                                        ; implicit-def: $sgpr10_sgpr11
	s_cbranch_execz .LBB104_285
; %bb.284:
	s_waitcnt vmcnt(0)
	v_cmp_gt_f32_e32 vcc, v14, v34
	s_andn2_b64 s[10:11], s[10:11], exec
	s_and_b64 s[16:17], vcc, exec
	s_or_b64 s[10:11], s[10:11], s[16:17]
.LBB104_285:
	s_branch .LBB104_287
.LBB104_286:
	s_cmp_lg_u32 s13, 0
	s_mov_b64 s[6:7], -1
	s_cselect_b64 s[14:15], -1, 0
.LBB104_287:
	s_andn2_b64 vcc, exec, s[14:15]
	s_cbranch_vccz .LBB104_296
; %bb.288:
	s_andn2_b64 vcc, exec, s[6:7]
	s_cbranch_vccnz .LBB104_290
.LBB104_289:
	s_waitcnt vmcnt(0)
	v_cmp_ge_f32_e32 vcc, v14, v34
	s_andn2_b64 s[6:7], s[10:11], exec
	s_and_b64 s[10:11], vcc, exec
	s_or_b64 s[10:11], s[6:7], s[10:11]
.LBB104_290:
	s_waitcnt vmcnt(0)
	v_cndmask_b32_e64 v10, 0, 1, s[10:11]
.LBB104_291:
	s_or_b64 exec, exec, s[4:5]
	v_or_b32_e32 v14, 0x200, v0
	v_cmp_gt_i32_e32 vcc, s12, v14
                                        ; implicit-def: $vgpr14
	s_and_saveexec_b64 s[4:5], vcc
	s_cbranch_execz .LBB104_306
; %bb.292:
	s_cmp_lt_i32 s13, 1
	s_mov_b64 s[6:7], 0
	s_cbranch_scc1 .LBB104_297
; %bb.293:
	s_cmp_gt_i32 s13, 1
	s_cbranch_scc0 .LBB104_298
; %bb.294:
	s_cmp_eq_u32 s13, 2
	s_cbranch_scc0 .LBB104_536
; %bb.295:
	s_waitcnt vmcnt(0)
	v_cmp_le_f32_e64 s[10:11], v16, v33
	s_mov_b64 s[14:15], 0
	s_branch .LBB104_300
.LBB104_296:
	s_waitcnt vmcnt(0)
	v_cmp_lt_f32_e32 vcc, v14, v34
	s_andn2_b64 s[10:11], s[10:11], exec
	s_and_b64 s[14:15], vcc, exec
	s_or_b64 s[10:11], s[10:11], s[14:15]
	s_cbranch_execz .LBB104_289
	s_branch .LBB104_290
.LBB104_297:
                                        ; implicit-def: $sgpr10_sgpr11
	s_mov_b64 s[14:15], 0
	s_cbranch_execnz .LBB104_301
	s_branch .LBB104_302
.LBB104_298:
	s_mov_b64 s[14:15], 0
                                        ; implicit-def: $sgpr10_sgpr11
	s_cbranch_execz .LBB104_300
; %bb.299:
	s_waitcnt vmcnt(0)
	v_cmp_gt_f32_e32 vcc, v16, v33
	s_andn2_b64 s[10:11], s[10:11], exec
	s_and_b64 s[16:17], vcc, exec
	s_or_b64 s[10:11], s[10:11], s[16:17]
.LBB104_300:
	s_branch .LBB104_302
.LBB104_301:
	s_cmp_lg_u32 s13, 0
	s_mov_b64 s[6:7], -1
	s_cselect_b64 s[14:15], -1, 0
.LBB104_302:
	s_andn2_b64 vcc, exec, s[14:15]
	s_cbranch_vccz .LBB104_311
; %bb.303:
	s_andn2_b64 vcc, exec, s[6:7]
	s_cbranch_vccnz .LBB104_305
.LBB104_304:
	s_waitcnt vmcnt(0)
	v_cmp_ge_f32_e32 vcc, v16, v33
	s_andn2_b64 s[6:7], s[10:11], exec
	s_and_b64 s[10:11], vcc, exec
	s_or_b64 s[10:11], s[6:7], s[10:11]
.LBB104_305:
	v_cndmask_b32_e64 v14, 0, 1, s[10:11]
.LBB104_306:
	s_or_b64 exec, exec, s[4:5]
	v_or_b32_e32 v16, 0x300, v0
	v_cmp_gt_i32_e32 vcc, s12, v16
                                        ; implicit-def: $vgpr16
	s_and_saveexec_b64 s[4:5], vcc
	s_cbranch_execz .LBB104_321
; %bb.307:
	s_cmp_lt_i32 s13, 1
	s_mov_b64 s[6:7], 0
	s_cbranch_scc1 .LBB104_312
; %bb.308:
	s_cmp_gt_i32 s13, 1
	s_cbranch_scc0 .LBB104_313
; %bb.309:
	s_cmp_eq_u32 s13, 2
	s_cbranch_scc0 .LBB104_537
; %bb.310:
	s_waitcnt vmcnt(0)
	v_cmp_le_f32_e64 s[10:11], v21, v32
	s_mov_b64 s[14:15], 0
	s_branch .LBB104_315
.LBB104_311:
	s_waitcnt vmcnt(0)
	v_cmp_lt_f32_e32 vcc, v16, v33
	s_andn2_b64 s[10:11], s[10:11], exec
	s_and_b64 s[14:15], vcc, exec
	s_or_b64 s[10:11], s[10:11], s[14:15]
	s_cbranch_execz .LBB104_304
	s_branch .LBB104_305
.LBB104_312:
                                        ; implicit-def: $sgpr10_sgpr11
	s_mov_b64 s[14:15], 0
	s_cbranch_execnz .LBB104_316
	s_branch .LBB104_317
.LBB104_313:
	s_mov_b64 s[14:15], 0
                                        ; implicit-def: $sgpr10_sgpr11
	s_cbranch_execz .LBB104_315
; %bb.314:
	s_waitcnt vmcnt(0)
	v_cmp_gt_f32_e32 vcc, v21, v32
	s_andn2_b64 s[10:11], s[10:11], exec
	s_and_b64 s[16:17], vcc, exec
	s_or_b64 s[10:11], s[10:11], s[16:17]
.LBB104_315:
	s_branch .LBB104_317
.LBB104_316:
	s_cmp_lg_u32 s13, 0
	s_mov_b64 s[6:7], -1
	s_cselect_b64 s[14:15], -1, 0
.LBB104_317:
	s_andn2_b64 vcc, exec, s[14:15]
	s_cbranch_vccz .LBB104_326
; %bb.318:
	s_andn2_b64 vcc, exec, s[6:7]
	s_cbranch_vccnz .LBB104_320
.LBB104_319:
	s_waitcnt vmcnt(0)
	v_cmp_ge_f32_e32 vcc, v21, v32
	s_andn2_b64 s[6:7], s[10:11], exec
	s_and_b64 s[10:11], vcc, exec
	s_or_b64 s[10:11], s[6:7], s[10:11]
.LBB104_320:
	v_cndmask_b32_e64 v16, 0, 1, s[10:11]
.LBB104_321:
	s_or_b64 exec, exec, s[4:5]
	s_waitcnt vmcnt(1)
	v_or_b32_e32 v21, 0x400, v0
	v_cmp_gt_i32_e32 vcc, s12, v21
                                        ; implicit-def: $vgpr21
	s_and_saveexec_b64 s[4:5], vcc
	s_cbranch_execz .LBB104_336
; %bb.322:
	s_cmp_lt_i32 s13, 1
	s_mov_b64 s[6:7], 0
	s_cbranch_scc1 .LBB104_327
; %bb.323:
	s_cmp_gt_i32 s13, 1
	s_cbranch_scc0 .LBB104_328
; %bb.324:
	s_cmp_eq_u32 s13, 2
	s_cbranch_scc0 .LBB104_538
; %bb.325:
	s_waitcnt vmcnt(0)
	v_cmp_le_f32_e64 s[10:11], v24, v31
	s_mov_b64 s[14:15], 0
	s_branch .LBB104_330
.LBB104_326:
	s_waitcnt vmcnt(0)
	v_cmp_lt_f32_e32 vcc, v21, v32
	s_andn2_b64 s[10:11], s[10:11], exec
	s_and_b64 s[14:15], vcc, exec
	s_or_b64 s[10:11], s[10:11], s[14:15]
	s_cbranch_execz .LBB104_319
	s_branch .LBB104_320
.LBB104_327:
                                        ; implicit-def: $sgpr10_sgpr11
	s_mov_b64 s[14:15], 0
	s_cbranch_execnz .LBB104_331
	s_branch .LBB104_332
.LBB104_328:
	s_mov_b64 s[14:15], 0
                                        ; implicit-def: $sgpr10_sgpr11
	s_cbranch_execz .LBB104_330
; %bb.329:
	s_waitcnt vmcnt(0)
	v_cmp_gt_f32_e32 vcc, v24, v31
	s_andn2_b64 s[10:11], s[10:11], exec
	s_and_b64 s[16:17], vcc, exec
	s_or_b64 s[10:11], s[10:11], s[16:17]
.LBB104_330:
	s_branch .LBB104_332
.LBB104_331:
	s_cmp_lg_u32 s13, 0
	s_mov_b64 s[6:7], -1
	s_cselect_b64 s[14:15], -1, 0
.LBB104_332:
	s_andn2_b64 vcc, exec, s[14:15]
	s_cbranch_vccz .LBB104_341
; %bb.333:
	s_andn2_b64 vcc, exec, s[6:7]
	s_cbranch_vccnz .LBB104_335
.LBB104_334:
	s_waitcnt vmcnt(0)
	v_cmp_ge_f32_e32 vcc, v24, v31
	s_andn2_b64 s[6:7], s[10:11], exec
	s_and_b64 s[10:11], vcc, exec
	s_or_b64 s[10:11], s[6:7], s[10:11]
.LBB104_335:
	v_cndmask_b32_e64 v21, 0, 1, s[10:11]
.LBB104_336:
	s_or_b64 exec, exec, s[4:5]
	v_or_b32_e32 v24, 0x500, v0
	v_cmp_gt_i32_e32 vcc, s12, v24
                                        ; implicit-def: $vgpr24
	s_and_saveexec_b64 s[4:5], vcc
	s_cbranch_execz .LBB104_351
; %bb.337:
	s_cmp_lt_i32 s13, 1
	s_mov_b64 s[6:7], 0
	s_cbranch_scc1 .LBB104_342
; %bb.338:
	s_cmp_gt_i32 s13, 1
	s_cbranch_scc0 .LBB104_343
; %bb.339:
	s_cmp_eq_u32 s13, 2
	s_cbranch_scc0 .LBB104_539
; %bb.340:
	s_waitcnt vmcnt(0)
	v_cmp_le_f32_e64 s[10:11], v27, v30
	s_mov_b64 s[14:15], 0
	s_branch .LBB104_345
.LBB104_341:
	s_waitcnt vmcnt(0)
	v_cmp_lt_f32_e32 vcc, v24, v31
	s_andn2_b64 s[10:11], s[10:11], exec
	s_and_b64 s[14:15], vcc, exec
	s_or_b64 s[10:11], s[10:11], s[14:15]
	s_cbranch_execz .LBB104_334
	s_branch .LBB104_335
.LBB104_342:
                                        ; implicit-def: $sgpr10_sgpr11
	s_mov_b64 s[14:15], 0
	s_cbranch_execnz .LBB104_346
	s_branch .LBB104_347
.LBB104_343:
	s_mov_b64 s[14:15], 0
                                        ; implicit-def: $sgpr10_sgpr11
	s_cbranch_execz .LBB104_345
; %bb.344:
	s_waitcnt vmcnt(0)
	v_cmp_gt_f32_e32 vcc, v27, v30
	s_andn2_b64 s[10:11], s[10:11], exec
	s_and_b64 s[16:17], vcc, exec
	s_or_b64 s[10:11], s[10:11], s[16:17]
.LBB104_345:
	s_branch .LBB104_347
.LBB104_346:
	s_cmp_lg_u32 s13, 0
	s_mov_b64 s[6:7], -1
	s_cselect_b64 s[14:15], -1, 0
.LBB104_347:
	s_andn2_b64 vcc, exec, s[14:15]
	s_cbranch_vccz .LBB104_356
; %bb.348:
	s_andn2_b64 vcc, exec, s[6:7]
	s_cbranch_vccnz .LBB104_350
.LBB104_349:
	s_waitcnt vmcnt(0)
	v_cmp_ge_f32_e32 vcc, v27, v30
	s_andn2_b64 s[6:7], s[10:11], exec
	s_and_b64 s[10:11], vcc, exec
	s_or_b64 s[10:11], s[6:7], s[10:11]
.LBB104_350:
	v_cndmask_b32_e64 v24, 0, 1, s[10:11]
.LBB104_351:
	s_or_b64 exec, exec, s[4:5]
	v_or_b32_e32 v27, 0x600, v0
	v_cmp_gt_i32_e32 vcc, s12, v27
                                        ; implicit-def: $vgpr27
	s_and_saveexec_b64 s[4:5], vcc
	s_cbranch_execz .LBB104_366
; %bb.352:
	s_cmp_lt_i32 s13, 1
	s_mov_b64 s[6:7], 0
	s_cbranch_scc1 .LBB104_357
; %bb.353:
	s_cmp_gt_i32 s13, 1
	s_cbranch_scc0 .LBB104_358
; %bb.354:
	s_cmp_eq_u32 s13, 2
	s_cbranch_scc0 .LBB104_540
; %bb.355:
	s_waitcnt vmcnt(0)
	v_cmp_le_f32_e64 s[10:11], v28, v29
	s_mov_b64 s[14:15], 0
	s_branch .LBB104_360
.LBB104_356:
	s_waitcnt vmcnt(0)
	v_cmp_lt_f32_e32 vcc, v27, v30
	s_andn2_b64 s[10:11], s[10:11], exec
	s_and_b64 s[14:15], vcc, exec
	s_or_b64 s[10:11], s[10:11], s[14:15]
	s_cbranch_execz .LBB104_349
	s_branch .LBB104_350
.LBB104_357:
                                        ; implicit-def: $sgpr10_sgpr11
	s_mov_b64 s[14:15], 0
	s_cbranch_execnz .LBB104_361
	s_branch .LBB104_362
.LBB104_358:
	s_mov_b64 s[14:15], 0
                                        ; implicit-def: $sgpr10_sgpr11
	s_cbranch_execz .LBB104_360
; %bb.359:
	s_waitcnt vmcnt(0)
	v_cmp_gt_f32_e32 vcc, v28, v29
	s_andn2_b64 s[10:11], s[10:11], exec
	s_and_b64 s[16:17], vcc, exec
	s_or_b64 s[10:11], s[10:11], s[16:17]
.LBB104_360:
	s_branch .LBB104_362
.LBB104_361:
	s_cmp_lg_u32 s13, 0
	s_mov_b64 s[6:7], -1
	s_cselect_b64 s[14:15], -1, 0
.LBB104_362:
	s_andn2_b64 vcc, exec, s[14:15]
	s_cbranch_vccz .LBB104_371
; %bb.363:
	s_andn2_b64 vcc, exec, s[6:7]
	s_cbranch_vccnz .LBB104_365
.LBB104_364:
	s_waitcnt vmcnt(0)
	v_cmp_ge_f32_e32 vcc, v28, v29
	s_andn2_b64 s[6:7], s[10:11], exec
	s_and_b64 s[10:11], vcc, exec
	s_or_b64 s[10:11], s[6:7], s[10:11]
.LBB104_365:
	v_cndmask_b32_e64 v27, 0, 1, s[10:11]
.LBB104_366:
	s_or_b64 exec, exec, s[4:5]
	v_or_b32_e32 v28, 0x700, v0
	v_cmp_gt_i32_e32 vcc, s12, v28
                                        ; implicit-def: $vgpr28
	s_and_saveexec_b64 s[4:5], vcc
	s_cbranch_execz .LBB104_381
; %bb.367:
	s_cmp_lt_i32 s13, 1
	s_mov_b64 s[6:7], 0
	s_cbranch_scc1 .LBB104_372
; %bb.368:
	s_cmp_gt_i32 s13, 1
	s_cbranch_scc0 .LBB104_373
; %bb.369:
	s_cmp_eq_u32 s13, 2
	s_cbranch_scc0 .LBB104_541
; %bb.370:
	s_waitcnt vmcnt(0)
	v_cmp_le_f32_e64 s[10:11], v25, v26
	s_mov_b64 s[14:15], 0
	s_branch .LBB104_375
.LBB104_371:
	s_waitcnt vmcnt(0)
	v_cmp_lt_f32_e32 vcc, v28, v29
	s_andn2_b64 s[10:11], s[10:11], exec
	s_and_b64 s[14:15], vcc, exec
	s_or_b64 s[10:11], s[10:11], s[14:15]
	s_cbranch_execz .LBB104_364
	s_branch .LBB104_365
.LBB104_372:
                                        ; implicit-def: $sgpr10_sgpr11
	s_mov_b64 s[14:15], 0
	s_cbranch_execnz .LBB104_376
	s_branch .LBB104_377
.LBB104_373:
	s_mov_b64 s[14:15], 0
                                        ; implicit-def: $sgpr10_sgpr11
	s_cbranch_execz .LBB104_375
; %bb.374:
	s_waitcnt vmcnt(0)
	v_cmp_gt_f32_e32 vcc, v25, v26
	s_andn2_b64 s[10:11], s[10:11], exec
	s_and_b64 s[16:17], vcc, exec
	s_or_b64 s[10:11], s[10:11], s[16:17]
.LBB104_375:
	s_branch .LBB104_377
.LBB104_376:
	s_cmp_lg_u32 s13, 0
	s_mov_b64 s[6:7], -1
	s_cselect_b64 s[14:15], -1, 0
.LBB104_377:
	s_andn2_b64 vcc, exec, s[14:15]
	s_cbranch_vccz .LBB104_386
; %bb.378:
	s_andn2_b64 vcc, exec, s[6:7]
	s_cbranch_vccnz .LBB104_380
.LBB104_379:
	s_waitcnt vmcnt(0)
	v_cmp_ge_f32_e32 vcc, v25, v26
	s_andn2_b64 s[6:7], s[10:11], exec
	s_and_b64 s[10:11], vcc, exec
	s_or_b64 s[10:11], s[6:7], s[10:11]
.LBB104_380:
	v_cndmask_b32_e64 v28, 0, 1, s[10:11]
.LBB104_381:
	s_or_b64 exec, exec, s[4:5]
	v_or_b32_e32 v25, 0x800, v0
	v_cmp_gt_i32_e32 vcc, s12, v25
                                        ; implicit-def: $vgpr25
	s_and_saveexec_b64 s[4:5], vcc
	s_cbranch_execz .LBB104_396
; %bb.382:
	s_cmp_lt_i32 s13, 1
	s_mov_b64 s[6:7], 0
	s_cbranch_scc1 .LBB104_387
; %bb.383:
	s_cmp_gt_i32 s13, 1
	s_cbranch_scc0 .LBB104_388
; %bb.384:
	s_cmp_eq_u32 s13, 2
	s_cbranch_scc0 .LBB104_542
; %bb.385:
	s_waitcnt vmcnt(0)
	v_cmp_le_f32_e64 s[10:11], v22, v23
	s_mov_b64 s[14:15], 0
	s_branch .LBB104_390
.LBB104_386:
	s_waitcnt vmcnt(0)
	v_cmp_lt_f32_e32 vcc, v25, v26
	s_andn2_b64 s[10:11], s[10:11], exec
	s_and_b64 s[14:15], vcc, exec
	s_or_b64 s[10:11], s[10:11], s[14:15]
	s_cbranch_execz .LBB104_379
	s_branch .LBB104_380
.LBB104_387:
                                        ; implicit-def: $sgpr10_sgpr11
	s_mov_b64 s[14:15], 0
	s_cbranch_execnz .LBB104_391
	s_branch .LBB104_392
.LBB104_388:
	s_mov_b64 s[14:15], 0
                                        ; implicit-def: $sgpr10_sgpr11
	s_cbranch_execz .LBB104_390
; %bb.389:
	s_waitcnt vmcnt(0)
	v_cmp_gt_f32_e32 vcc, v22, v23
	s_andn2_b64 s[10:11], s[10:11], exec
	s_and_b64 s[16:17], vcc, exec
	s_or_b64 s[10:11], s[10:11], s[16:17]
.LBB104_390:
	s_branch .LBB104_392
.LBB104_391:
	s_cmp_lg_u32 s13, 0
	s_mov_b64 s[6:7], -1
	s_cselect_b64 s[14:15], -1, 0
.LBB104_392:
	s_andn2_b64 vcc, exec, s[14:15]
	s_cbranch_vccz .LBB104_401
; %bb.393:
	s_andn2_b64 vcc, exec, s[6:7]
	s_cbranch_vccnz .LBB104_395
.LBB104_394:
	s_waitcnt vmcnt(0)
	v_cmp_ge_f32_e32 vcc, v22, v23
	s_andn2_b64 s[6:7], s[10:11], exec
	s_and_b64 s[10:11], vcc, exec
	s_or_b64 s[10:11], s[6:7], s[10:11]
.LBB104_395:
	v_cndmask_b32_e64 v25, 0, 1, s[10:11]
.LBB104_396:
	s_or_b64 exec, exec, s[4:5]
	v_or_b32_e32 v22, 0x900, v0
	v_cmp_gt_i32_e32 vcc, s12, v22
                                        ; implicit-def: $vgpr22
	s_and_saveexec_b64 s[4:5], vcc
	s_cbranch_execz .LBB104_411
; %bb.397:
	s_cmp_lt_i32 s13, 1
	s_mov_b64 s[6:7], 0
	s_cbranch_scc1 .LBB104_402
; %bb.398:
	s_cmp_gt_i32 s13, 1
	s_cbranch_scc0 .LBB104_403
; %bb.399:
	s_cmp_eq_u32 s13, 2
	s_cbranch_scc0 .LBB104_543
; %bb.400:
	s_waitcnt vmcnt(0)
	v_cmp_le_f32_e64 s[10:11], v19, v20
	s_mov_b64 s[14:15], 0
	s_branch .LBB104_405
.LBB104_401:
	s_waitcnt vmcnt(0)
	v_cmp_lt_f32_e32 vcc, v22, v23
	s_andn2_b64 s[10:11], s[10:11], exec
	s_and_b64 s[14:15], vcc, exec
	s_or_b64 s[10:11], s[10:11], s[14:15]
	s_cbranch_execz .LBB104_394
	s_branch .LBB104_395
.LBB104_402:
                                        ; implicit-def: $sgpr10_sgpr11
	s_mov_b64 s[14:15], 0
	s_cbranch_execnz .LBB104_406
	s_branch .LBB104_407
.LBB104_403:
	s_mov_b64 s[14:15], 0
                                        ; implicit-def: $sgpr10_sgpr11
	s_cbranch_execz .LBB104_405
; %bb.404:
	s_waitcnt vmcnt(0)
	v_cmp_gt_f32_e32 vcc, v19, v20
	s_andn2_b64 s[10:11], s[10:11], exec
	s_and_b64 s[16:17], vcc, exec
	s_or_b64 s[10:11], s[10:11], s[16:17]
.LBB104_405:
	s_branch .LBB104_407
.LBB104_406:
	s_cmp_lg_u32 s13, 0
	s_mov_b64 s[6:7], -1
	s_cselect_b64 s[14:15], -1, 0
.LBB104_407:
	s_andn2_b64 vcc, exec, s[14:15]
	s_cbranch_vccz .LBB104_416
; %bb.408:
	s_andn2_b64 vcc, exec, s[6:7]
	s_cbranch_vccnz .LBB104_410
.LBB104_409:
	s_waitcnt vmcnt(0)
	v_cmp_ge_f32_e32 vcc, v19, v20
	s_andn2_b64 s[6:7], s[10:11], exec
	s_and_b64 s[10:11], vcc, exec
	s_or_b64 s[10:11], s[6:7], s[10:11]
.LBB104_410:
	v_cndmask_b32_e64 v22, 0, 1, s[10:11]
.LBB104_411:
	s_or_b64 exec, exec, s[4:5]
	v_or_b32_e32 v19, 0xa00, v0
	v_cmp_gt_i32_e32 vcc, s12, v19
                                        ; implicit-def: $vgpr19
	s_and_saveexec_b64 s[4:5], vcc
	s_cbranch_execz .LBB104_426
; %bb.412:
	s_cmp_lt_i32 s13, 1
	s_mov_b64 s[6:7], 0
	s_cbranch_scc1 .LBB104_417
; %bb.413:
	s_cmp_gt_i32 s13, 1
	s_cbranch_scc0 .LBB104_418
; %bb.414:
	s_cmp_eq_u32 s13, 2
	s_cbranch_scc0 .LBB104_544
; %bb.415:
	s_waitcnt vmcnt(0)
	v_cmp_le_f32_e64 s[10:11], v17, v18
	s_mov_b64 s[14:15], 0
	s_branch .LBB104_420
.LBB104_416:
	s_waitcnt vmcnt(0)
	v_cmp_lt_f32_e32 vcc, v19, v20
	s_andn2_b64 s[10:11], s[10:11], exec
	s_and_b64 s[14:15], vcc, exec
	s_or_b64 s[10:11], s[10:11], s[14:15]
	s_cbranch_execz .LBB104_409
	s_branch .LBB104_410
.LBB104_417:
                                        ; implicit-def: $sgpr10_sgpr11
	s_mov_b64 s[14:15], 0
	s_cbranch_execnz .LBB104_421
	s_branch .LBB104_422
.LBB104_418:
	s_mov_b64 s[14:15], 0
                                        ; implicit-def: $sgpr10_sgpr11
	s_cbranch_execz .LBB104_420
; %bb.419:
	s_waitcnt vmcnt(0)
	v_cmp_gt_f32_e32 vcc, v17, v18
	s_andn2_b64 s[10:11], s[10:11], exec
	s_and_b64 s[16:17], vcc, exec
	s_or_b64 s[10:11], s[10:11], s[16:17]
.LBB104_420:
	s_branch .LBB104_422
.LBB104_421:
	s_cmp_lg_u32 s13, 0
	s_mov_b64 s[6:7], -1
	s_cselect_b64 s[14:15], -1, 0
.LBB104_422:
	s_andn2_b64 vcc, exec, s[14:15]
	s_cbranch_vccz .LBB104_431
; %bb.423:
	s_andn2_b64 vcc, exec, s[6:7]
	s_cbranch_vccnz .LBB104_425
.LBB104_424:
	s_waitcnt vmcnt(0)
	v_cmp_ge_f32_e32 vcc, v17, v18
	s_andn2_b64 s[6:7], s[10:11], exec
	s_and_b64 s[10:11], vcc, exec
	s_or_b64 s[10:11], s[6:7], s[10:11]
.LBB104_425:
	v_cndmask_b32_e64 v19, 0, 1, s[10:11]
.LBB104_426:
	s_or_b64 exec, exec, s[4:5]
	v_or_b32_e32 v17, 0xb00, v0
	v_cmp_gt_i32_e32 vcc, s12, v17
                                        ; implicit-def: $vgpr17
	s_and_saveexec_b64 s[4:5], vcc
	s_cbranch_execz .LBB104_441
; %bb.427:
	s_cmp_lt_i32 s13, 1
	s_mov_b64 s[6:7], 0
	s_cbranch_scc1 .LBB104_432
; %bb.428:
	s_cmp_gt_i32 s13, 1
	s_cbranch_scc0 .LBB104_433
; %bb.429:
	s_cmp_eq_u32 s13, 2
	s_cbranch_scc0 .LBB104_545
; %bb.430:
	s_waitcnt vmcnt(0)
	v_cmp_le_f32_e64 s[10:11], v13, v15
	s_mov_b64 s[14:15], 0
	s_branch .LBB104_435
.LBB104_431:
	s_waitcnt vmcnt(0)
	v_cmp_lt_f32_e32 vcc, v17, v18
	s_andn2_b64 s[10:11], s[10:11], exec
	s_and_b64 s[14:15], vcc, exec
	s_or_b64 s[10:11], s[10:11], s[14:15]
	s_cbranch_execz .LBB104_424
	s_branch .LBB104_425
.LBB104_432:
                                        ; implicit-def: $sgpr10_sgpr11
	s_mov_b64 s[14:15], 0
	s_cbranch_execnz .LBB104_436
	s_branch .LBB104_437
.LBB104_433:
	s_mov_b64 s[14:15], 0
                                        ; implicit-def: $sgpr10_sgpr11
	s_cbranch_execz .LBB104_435
; %bb.434:
	s_waitcnt vmcnt(0)
	v_cmp_gt_f32_e32 vcc, v13, v15
	s_andn2_b64 s[10:11], s[10:11], exec
	s_and_b64 s[16:17], vcc, exec
	s_or_b64 s[10:11], s[10:11], s[16:17]
.LBB104_435:
	s_branch .LBB104_437
.LBB104_436:
	s_cmp_lg_u32 s13, 0
	s_mov_b64 s[6:7], -1
	s_cselect_b64 s[14:15], -1, 0
.LBB104_437:
	s_andn2_b64 vcc, exec, s[14:15]
	s_cbranch_vccz .LBB104_446
; %bb.438:
	s_andn2_b64 vcc, exec, s[6:7]
	s_cbranch_vccnz .LBB104_440
.LBB104_439:
	s_waitcnt vmcnt(0)
	v_cmp_ge_f32_e32 vcc, v13, v15
	s_andn2_b64 s[6:7], s[10:11], exec
	s_and_b64 s[10:11], vcc, exec
	s_or_b64 s[10:11], s[6:7], s[10:11]
.LBB104_440:
	v_cndmask_b32_e64 v17, 0, 1, s[10:11]
.LBB104_441:
	s_or_b64 exec, exec, s[4:5]
	v_or_b32_e32 v13, 0xc00, v0
	v_cmp_gt_i32_e32 vcc, s12, v13
                                        ; implicit-def: $vgpr13
	s_and_saveexec_b64 s[4:5], vcc
	s_cbranch_execz .LBB104_456
; %bb.442:
	s_cmp_lt_i32 s13, 1
	s_mov_b64 s[6:7], 0
	s_cbranch_scc1 .LBB104_447
; %bb.443:
	s_cmp_gt_i32 s13, 1
	s_cbranch_scc0 .LBB104_448
; %bb.444:
	s_cmp_eq_u32 s13, 2
	s_cbranch_scc0 .LBB104_546
; %bb.445:
	s_waitcnt vmcnt(0)
	v_cmp_le_f32_e64 s[10:11], v11, v12
	s_mov_b64 s[14:15], 0
	s_branch .LBB104_450
.LBB104_446:
	s_waitcnt vmcnt(0)
	v_cmp_lt_f32_e32 vcc, v13, v15
	s_andn2_b64 s[10:11], s[10:11], exec
	s_and_b64 s[14:15], vcc, exec
	s_or_b64 s[10:11], s[10:11], s[14:15]
	s_cbranch_execz .LBB104_439
	s_branch .LBB104_440
.LBB104_447:
                                        ; implicit-def: $sgpr10_sgpr11
	s_mov_b64 s[14:15], 0
	s_cbranch_execnz .LBB104_451
	s_branch .LBB104_452
.LBB104_448:
	s_mov_b64 s[14:15], 0
                                        ; implicit-def: $sgpr10_sgpr11
	s_cbranch_execz .LBB104_450
; %bb.449:
	s_waitcnt vmcnt(0)
	v_cmp_gt_f32_e32 vcc, v11, v12
	s_andn2_b64 s[10:11], s[10:11], exec
	s_and_b64 s[16:17], vcc, exec
	s_or_b64 s[10:11], s[10:11], s[16:17]
.LBB104_450:
	s_branch .LBB104_452
.LBB104_451:
	s_cmp_lg_u32 s13, 0
	s_mov_b64 s[6:7], -1
	s_cselect_b64 s[14:15], -1, 0
.LBB104_452:
	s_andn2_b64 vcc, exec, s[14:15]
	s_cbranch_vccz .LBB104_461
; %bb.453:
	s_andn2_b64 vcc, exec, s[6:7]
	s_cbranch_vccnz .LBB104_455
.LBB104_454:
	s_waitcnt vmcnt(0)
	v_cmp_ge_f32_e32 vcc, v11, v12
	s_andn2_b64 s[6:7], s[10:11], exec
	s_and_b64 s[10:11], vcc, exec
	s_or_b64 s[10:11], s[6:7], s[10:11]
.LBB104_455:
	v_cndmask_b32_e64 v13, 0, 1, s[10:11]
.LBB104_456:
	s_or_b64 exec, exec, s[4:5]
	v_or_b32_e32 v11, 0xd00, v0
	v_cmp_gt_i32_e32 vcc, s12, v11
                                        ; implicit-def: $vgpr11
	s_and_saveexec_b64 s[4:5], vcc
	s_cbranch_execz .LBB104_471
; %bb.457:
	s_cmp_lt_i32 s13, 1
	s_mov_b64 s[6:7], 0
	s_cbranch_scc1 .LBB104_462
; %bb.458:
	s_cmp_gt_i32 s13, 1
	s_cbranch_scc0 .LBB104_463
; %bb.459:
	s_cmp_eq_u32 s13, 2
	s_cbranch_scc0 .LBB104_547
; %bb.460:
	s_waitcnt vmcnt(0)
	v_cmp_le_f32_e64 s[10:11], v8, v9
	s_mov_b64 s[14:15], 0
	s_branch .LBB104_465
.LBB104_461:
	s_waitcnt vmcnt(0)
	v_cmp_lt_f32_e32 vcc, v11, v12
	s_andn2_b64 s[10:11], s[10:11], exec
	s_and_b64 s[14:15], vcc, exec
	s_or_b64 s[10:11], s[10:11], s[14:15]
	s_cbranch_execz .LBB104_454
	s_branch .LBB104_455
.LBB104_462:
                                        ; implicit-def: $sgpr10_sgpr11
	s_mov_b64 s[14:15], 0
	s_cbranch_execnz .LBB104_466
	s_branch .LBB104_467
.LBB104_463:
	s_mov_b64 s[14:15], 0
                                        ; implicit-def: $sgpr10_sgpr11
	s_cbranch_execz .LBB104_465
; %bb.464:
	s_waitcnt vmcnt(0)
	v_cmp_gt_f32_e32 vcc, v8, v9
	s_andn2_b64 s[10:11], s[10:11], exec
	s_and_b64 s[16:17], vcc, exec
	s_or_b64 s[10:11], s[10:11], s[16:17]
.LBB104_465:
	s_branch .LBB104_467
.LBB104_466:
	s_cmp_lg_u32 s13, 0
	s_mov_b64 s[6:7], -1
	s_cselect_b64 s[14:15], -1, 0
.LBB104_467:
	s_andn2_b64 vcc, exec, s[14:15]
	s_cbranch_vccz .LBB104_476
; %bb.468:
	s_andn2_b64 vcc, exec, s[6:7]
	s_cbranch_vccnz .LBB104_470
.LBB104_469:
	s_waitcnt vmcnt(0)
	v_cmp_ge_f32_e32 vcc, v8, v9
	s_andn2_b64 s[6:7], s[10:11], exec
	s_and_b64 s[10:11], vcc, exec
	s_or_b64 s[10:11], s[6:7], s[10:11]
.LBB104_470:
	v_cndmask_b32_e64 v11, 0, 1, s[10:11]
.LBB104_471:
	s_or_b64 exec, exec, s[4:5]
	v_or_b32_e32 v8, 0xe00, v0
	v_cmp_gt_i32_e32 vcc, s12, v8
                                        ; implicit-def: $vgpr8
	s_and_saveexec_b64 s[4:5], vcc
	s_cbranch_execz .LBB104_486
; %bb.472:
	s_cmp_lt_i32 s13, 1
	s_mov_b64 s[6:7], 0
	s_cbranch_scc1 .LBB104_477
; %bb.473:
	s_cmp_gt_i32 s13, 1
	s_cbranch_scc0 .LBB104_478
; %bb.474:
	s_cmp_eq_u32 s13, 2
	s_cbranch_scc0 .LBB104_548
; %bb.475:
	s_waitcnt vmcnt(0)
	v_cmp_le_f32_e64 s[10:11], v4, v5
	s_mov_b64 s[14:15], 0
	s_branch .LBB104_480
.LBB104_476:
	s_waitcnt vmcnt(0)
	v_cmp_lt_f32_e32 vcc, v8, v9
	s_andn2_b64 s[10:11], s[10:11], exec
	s_and_b64 s[14:15], vcc, exec
	s_or_b64 s[10:11], s[10:11], s[14:15]
	s_cbranch_execz .LBB104_469
	s_branch .LBB104_470
.LBB104_477:
                                        ; implicit-def: $sgpr10_sgpr11
	s_mov_b64 s[14:15], 0
	s_cbranch_execnz .LBB104_481
	s_branch .LBB104_482
.LBB104_478:
	s_mov_b64 s[14:15], 0
                                        ; implicit-def: $sgpr10_sgpr11
	s_cbranch_execz .LBB104_480
; %bb.479:
	s_waitcnt vmcnt(0)
	v_cmp_gt_f32_e32 vcc, v4, v5
	s_andn2_b64 s[10:11], s[10:11], exec
	s_and_b64 s[16:17], vcc, exec
	s_or_b64 s[10:11], s[10:11], s[16:17]
.LBB104_480:
	s_branch .LBB104_482
.LBB104_481:
	s_cmp_lg_u32 s13, 0
	s_mov_b64 s[6:7], -1
	s_cselect_b64 s[14:15], -1, 0
.LBB104_482:
	s_andn2_b64 vcc, exec, s[14:15]
	s_cbranch_vccz .LBB104_491
; %bb.483:
	s_andn2_b64 vcc, exec, s[6:7]
	s_cbranch_vccnz .LBB104_485
.LBB104_484:
	s_waitcnt vmcnt(0)
	v_cmp_ge_f32_e32 vcc, v4, v5
	s_andn2_b64 s[6:7], s[10:11], exec
	s_and_b64 s[10:11], vcc, exec
	s_or_b64 s[10:11], s[6:7], s[10:11]
.LBB104_485:
	v_cndmask_b32_e64 v8, 0, 1, s[10:11]
.LBB104_486:
	s_or_b64 exec, exec, s[4:5]
	v_or_b32_e32 v4, 0xf00, v0
	v_cmp_gt_i32_e32 vcc, s12, v4
                                        ; implicit-def: $vgpr4
	s_and_saveexec_b64 s[4:5], vcc
	s_cbranch_execz .LBB104_501
; %bb.487:
	s_cmp_lt_i32 s13, 1
	s_mov_b64 s[6:7], 0
	s_cbranch_scc1 .LBB104_492
; %bb.488:
	s_cmp_gt_i32 s13, 1
	s_cbranch_scc0 .LBB104_493
; %bb.489:
	s_cmp_eq_u32 s13, 2
	s_cbranch_scc0 .LBB104_549
; %bb.490:
	s_waitcnt vmcnt(0)
	v_cmp_le_f32_e64 s[10:11], v2, v3
	s_mov_b64 s[14:15], 0
	s_branch .LBB104_495
.LBB104_491:
	s_waitcnt vmcnt(0)
	v_cmp_lt_f32_e32 vcc, v4, v5
	s_andn2_b64 s[10:11], s[10:11], exec
	s_and_b64 s[14:15], vcc, exec
	s_or_b64 s[10:11], s[10:11], s[14:15]
	s_cbranch_execz .LBB104_484
	s_branch .LBB104_485
.LBB104_492:
                                        ; implicit-def: $sgpr10_sgpr11
	s_mov_b64 s[14:15], 0
	s_cbranch_execnz .LBB104_496
	s_branch .LBB104_497
.LBB104_493:
	s_mov_b64 s[14:15], 0
                                        ; implicit-def: $sgpr10_sgpr11
	s_cbranch_execz .LBB104_495
; %bb.494:
	s_waitcnt vmcnt(0)
	v_cmp_gt_f32_e32 vcc, v2, v3
	s_andn2_b64 s[10:11], s[10:11], exec
	s_and_b64 s[16:17], vcc, exec
	s_or_b64 s[10:11], s[10:11], s[16:17]
.LBB104_495:
	s_branch .LBB104_497
.LBB104_496:
	s_cmp_lg_u32 s13, 0
	s_mov_b64 s[6:7], -1
	s_cselect_b64 s[14:15], -1, 0
.LBB104_497:
	s_andn2_b64 vcc, exec, s[14:15]
	s_cbranch_vccz .LBB104_534
; %bb.498:
	s_andn2_b64 vcc, exec, s[6:7]
	s_cbranch_vccnz .LBB104_500
.LBB104_499:
	s_waitcnt vmcnt(0)
	v_cmp_ge_f32_e32 vcc, v2, v3
	s_andn2_b64 s[6:7], s[10:11], exec
	s_and_b64 s[10:11], vcc, exec
	s_or_b64 s[10:11], s[6:7], s[10:11]
.LBB104_500:
	v_cndmask_b32_e64 v4, 0, 1, s[10:11]
.LBB104_501:
	s_or_b64 exec, exec, s[4:5]
	s_and_saveexec_b64 s[4:5], s[0:1]
	s_xor_b64 s[0:1], exec, s[4:5]
	s_cbranch_execz .LBB104_503
; %bb.502:
	v_mov_b32_e32 v0, v7
	global_store_byte v1, v6, s[8:9]
.LBB104_503:
	s_or_b64 exec, exec, s[0:1]
	v_cmp_gt_i32_e32 vcc, s12, v0
	s_and_saveexec_b64 s[0:1], vcc
	s_cbranch_execnz .LBB104_520
; %bb.504:
	s_or_b64 exec, exec, s[0:1]
	v_cmp_gt_i32_e32 vcc, s12, v0
	s_and_saveexec_b64 s[0:1], vcc
	s_cbranch_execnz .LBB104_521
.LBB104_505:
	s_or_b64 exec, exec, s[0:1]
	v_cmp_gt_i32_e32 vcc, s12, v0
	s_and_saveexec_b64 s[0:1], vcc
	s_cbranch_execnz .LBB104_522
.LBB104_506:
	s_or_b64 exec, exec, s[0:1]
	v_cmp_gt_i32_e32 vcc, s12, v0
	s_and_saveexec_b64 s[0:1], vcc
	s_cbranch_execnz .LBB104_523
.LBB104_507:
	s_or_b64 exec, exec, s[0:1]
	v_cmp_gt_i32_e32 vcc, s12, v0
	s_and_saveexec_b64 s[0:1], vcc
	s_cbranch_execnz .LBB104_524
.LBB104_508:
	s_or_b64 exec, exec, s[0:1]
	v_cmp_gt_i32_e32 vcc, s12, v0
	s_and_saveexec_b64 s[0:1], vcc
	s_cbranch_execnz .LBB104_525
.LBB104_509:
	s_or_b64 exec, exec, s[0:1]
	v_cmp_gt_i32_e32 vcc, s12, v0
	s_and_saveexec_b64 s[0:1], vcc
	s_cbranch_execnz .LBB104_526
.LBB104_510:
	s_or_b64 exec, exec, s[0:1]
	v_cmp_gt_i32_e32 vcc, s12, v0
	s_and_saveexec_b64 s[0:1], vcc
	s_cbranch_execnz .LBB104_527
.LBB104_511:
	s_or_b64 exec, exec, s[0:1]
	v_cmp_gt_i32_e32 vcc, s12, v0
	s_and_saveexec_b64 s[0:1], vcc
	s_cbranch_execnz .LBB104_528
.LBB104_512:
	s_or_b64 exec, exec, s[0:1]
	v_cmp_gt_i32_e32 vcc, s12, v0
	s_and_saveexec_b64 s[0:1], vcc
	s_cbranch_execnz .LBB104_529
.LBB104_513:
	s_or_b64 exec, exec, s[0:1]
	v_cmp_gt_i32_e32 vcc, s12, v0
	s_and_saveexec_b64 s[0:1], vcc
	s_cbranch_execnz .LBB104_530
.LBB104_514:
	s_or_b64 exec, exec, s[0:1]
	v_cmp_gt_i32_e32 vcc, s12, v0
	s_and_saveexec_b64 s[0:1], vcc
	s_cbranch_execnz .LBB104_531
.LBB104_515:
	s_or_b64 exec, exec, s[0:1]
	v_cmp_gt_i32_e32 vcc, s12, v0
	s_and_saveexec_b64 s[0:1], vcc
	s_cbranch_execnz .LBB104_532
.LBB104_516:
	s_or_b64 exec, exec, s[0:1]
	v_cmp_gt_i32_e32 vcc, s12, v0
	s_and_saveexec_b64 s[0:1], vcc
	s_cbranch_execnz .LBB104_533
.LBB104_517:
	s_or_b64 exec, exec, s[0:1]
	v_cmp_gt_i32_e32 vcc, s12, v0
	s_and_saveexec_b64 s[0:1], vcc
	s_cbranch_execz .LBB104_519
.LBB104_518:
	v_add_u32_e32 v0, s2, v0
	global_store_byte v0, v4, s[8:9]
.LBB104_519:
	s_endpgm
.LBB104_520:
	v_add_u32_e32 v1, s2, v0
	v_add_u32_e32 v0, 0x100, v0
	s_waitcnt vmcnt(0)
	global_store_byte v1, v10, s[8:9]
	s_or_b64 exec, exec, s[0:1]
	v_cmp_gt_i32_e32 vcc, s12, v0
	s_and_saveexec_b64 s[0:1], vcc
	s_cbranch_execz .LBB104_505
.LBB104_521:
	v_add_u32_e32 v1, s2, v0
	v_add_u32_e32 v0, 0x100, v0
	global_store_byte v1, v14, s[8:9]
	s_or_b64 exec, exec, s[0:1]
	v_cmp_gt_i32_e32 vcc, s12, v0
	s_and_saveexec_b64 s[0:1], vcc
	s_cbranch_execz .LBB104_506
.LBB104_522:
	v_add_u32_e32 v1, s2, v0
	v_add_u32_e32 v0, 0x100, v0
	global_store_byte v1, v16, s[8:9]
	s_or_b64 exec, exec, s[0:1]
	v_cmp_gt_i32_e32 vcc, s12, v0
	s_and_saveexec_b64 s[0:1], vcc
	s_cbranch_execz .LBB104_507
.LBB104_523:
	v_add_u32_e32 v1, s2, v0
	v_add_u32_e32 v0, 0x100, v0
	global_store_byte v1, v21, s[8:9]
	s_or_b64 exec, exec, s[0:1]
	v_cmp_gt_i32_e32 vcc, s12, v0
	s_and_saveexec_b64 s[0:1], vcc
	s_cbranch_execz .LBB104_508
.LBB104_524:
	v_add_u32_e32 v1, s2, v0
	v_add_u32_e32 v0, 0x100, v0
	global_store_byte v1, v24, s[8:9]
	s_or_b64 exec, exec, s[0:1]
	v_cmp_gt_i32_e32 vcc, s12, v0
	s_and_saveexec_b64 s[0:1], vcc
	s_cbranch_execz .LBB104_509
.LBB104_525:
	v_add_u32_e32 v1, s2, v0
	v_add_u32_e32 v0, 0x100, v0
	global_store_byte v1, v27, s[8:9]
	s_or_b64 exec, exec, s[0:1]
	v_cmp_gt_i32_e32 vcc, s12, v0
	s_and_saveexec_b64 s[0:1], vcc
	s_cbranch_execz .LBB104_510
.LBB104_526:
	v_add_u32_e32 v1, s2, v0
	v_add_u32_e32 v0, 0x100, v0
	global_store_byte v1, v28, s[8:9]
	s_or_b64 exec, exec, s[0:1]
	v_cmp_gt_i32_e32 vcc, s12, v0
	s_and_saveexec_b64 s[0:1], vcc
	s_cbranch_execz .LBB104_511
.LBB104_527:
	v_add_u32_e32 v1, s2, v0
	v_add_u32_e32 v0, 0x100, v0
	global_store_byte v1, v25, s[8:9]
	s_or_b64 exec, exec, s[0:1]
	v_cmp_gt_i32_e32 vcc, s12, v0
	s_and_saveexec_b64 s[0:1], vcc
	s_cbranch_execz .LBB104_512
.LBB104_528:
	v_add_u32_e32 v1, s2, v0
	v_add_u32_e32 v0, 0x100, v0
	global_store_byte v1, v22, s[8:9]
	s_or_b64 exec, exec, s[0:1]
	v_cmp_gt_i32_e32 vcc, s12, v0
	s_and_saveexec_b64 s[0:1], vcc
	s_cbranch_execz .LBB104_513
.LBB104_529:
	v_add_u32_e32 v1, s2, v0
	v_add_u32_e32 v0, 0x100, v0
	global_store_byte v1, v19, s[8:9]
	s_or_b64 exec, exec, s[0:1]
	v_cmp_gt_i32_e32 vcc, s12, v0
	s_and_saveexec_b64 s[0:1], vcc
	s_cbranch_execz .LBB104_514
.LBB104_530:
	v_add_u32_e32 v1, s2, v0
	v_add_u32_e32 v0, 0x100, v0
	global_store_byte v1, v17, s[8:9]
	s_or_b64 exec, exec, s[0:1]
	v_cmp_gt_i32_e32 vcc, s12, v0
	s_and_saveexec_b64 s[0:1], vcc
	s_cbranch_execz .LBB104_515
.LBB104_531:
	v_add_u32_e32 v1, s2, v0
	v_add_u32_e32 v0, 0x100, v0
	global_store_byte v1, v13, s[8:9]
	s_or_b64 exec, exec, s[0:1]
	v_cmp_gt_i32_e32 vcc, s12, v0
	s_and_saveexec_b64 s[0:1], vcc
	s_cbranch_execz .LBB104_516
.LBB104_532:
	v_add_u32_e32 v1, s2, v0
	v_add_u32_e32 v0, 0x100, v0
	global_store_byte v1, v11, s[8:9]
	s_or_b64 exec, exec, s[0:1]
	v_cmp_gt_i32_e32 vcc, s12, v0
	s_and_saveexec_b64 s[0:1], vcc
	s_cbranch_execz .LBB104_517
.LBB104_533:
	v_add_u32_e32 v1, s2, v0
	v_add_u32_e32 v0, 0x100, v0
	global_store_byte v1, v8, s[8:9]
	s_or_b64 exec, exec, s[0:1]
	v_cmp_gt_i32_e32 vcc, s12, v0
	s_and_saveexec_b64 s[0:1], vcc
	s_cbranch_execnz .LBB104_518
	s_branch .LBB104_519
.LBB104_534:
	s_waitcnt vmcnt(0)
	v_cmp_lt_f32_e32 vcc, v2, v3
	s_andn2_b64 s[10:11], s[10:11], exec
	s_and_b64 s[14:15], vcc, exec
	s_or_b64 s[10:11], s[10:11], s[14:15]
	s_cbranch_execz .LBB104_499
	s_branch .LBB104_500
.LBB104_535:
	s_mov_b64 s[14:15], -1
                                        ; implicit-def: $sgpr10_sgpr11
	s_branch .LBB104_285
.LBB104_536:
	s_mov_b64 s[14:15], -1
                                        ; implicit-def: $sgpr10_sgpr11
	s_branch .LBB104_300
.LBB104_537:
	s_mov_b64 s[14:15], -1
                                        ; implicit-def: $sgpr10_sgpr11
	s_branch .LBB104_315
.LBB104_538:
	s_mov_b64 s[14:15], -1
                                        ; implicit-def: $sgpr10_sgpr11
	s_branch .LBB104_330
.LBB104_539:
	s_mov_b64 s[14:15], -1
                                        ; implicit-def: $sgpr10_sgpr11
	s_branch .LBB104_345
.LBB104_540:
	s_mov_b64 s[14:15], -1
                                        ; implicit-def: $sgpr10_sgpr11
	s_branch .LBB104_360
.LBB104_541:
	s_mov_b64 s[14:15], -1
                                        ; implicit-def: $sgpr10_sgpr11
	s_branch .LBB104_375
.LBB104_542:
	s_mov_b64 s[14:15], -1
                                        ; implicit-def: $sgpr10_sgpr11
	s_branch .LBB104_390
.LBB104_543:
	s_mov_b64 s[14:15], -1
                                        ; implicit-def: $sgpr10_sgpr11
	s_branch .LBB104_405
.LBB104_544:
	s_mov_b64 s[14:15], -1
                                        ; implicit-def: $sgpr10_sgpr11
	s_branch .LBB104_420
.LBB104_545:
	s_mov_b64 s[14:15], -1
                                        ; implicit-def: $sgpr10_sgpr11
	s_branch .LBB104_435
.LBB104_546:
	s_mov_b64 s[14:15], -1
                                        ; implicit-def: $sgpr10_sgpr11
	s_branch .LBB104_450
.LBB104_547:
	s_mov_b64 s[14:15], -1
                                        ; implicit-def: $sgpr10_sgpr11
	s_branch .LBB104_465
.LBB104_548:
	s_mov_b64 s[14:15], -1
                                        ; implicit-def: $sgpr10_sgpr11
	s_branch .LBB104_480
.LBB104_549:
	s_mov_b64 s[14:15], -1
                                        ; implicit-def: $sgpr10_sgpr11
	s_branch .LBB104_495
	.section	.rodata,"a",@progbits
	.p2align	6, 0x0
	.amdhsa_kernel _ZN2at6native29vectorized_elementwise_kernelILi16ENS0_12_GLOBAL__N_114CompareFunctorIfEESt5arrayIPcLm3EEEEviT0_T1_
		.amdhsa_group_segment_fixed_size 0
		.amdhsa_private_segment_fixed_size 0
		.amdhsa_kernarg_size 32
		.amdhsa_user_sgpr_count 6
		.amdhsa_user_sgpr_private_segment_buffer 1
		.amdhsa_user_sgpr_dispatch_ptr 0
		.amdhsa_user_sgpr_queue_ptr 0
		.amdhsa_user_sgpr_kernarg_segment_ptr 1
		.amdhsa_user_sgpr_dispatch_id 0
		.amdhsa_user_sgpr_flat_scratch_init 0
		.amdhsa_user_sgpr_private_segment_size 0
		.amdhsa_uses_dynamic_stack 0
		.amdhsa_system_sgpr_private_segment_wavefront_offset 0
		.amdhsa_system_sgpr_workgroup_id_x 1
		.amdhsa_system_sgpr_workgroup_id_y 0
		.amdhsa_system_sgpr_workgroup_id_z 0
		.amdhsa_system_sgpr_workgroup_info 0
		.amdhsa_system_vgpr_workitem_id 0
		.amdhsa_next_free_vgpr 39
		.amdhsa_next_free_sgpr 50
		.amdhsa_reserve_vcc 1
		.amdhsa_reserve_flat_scratch 0
		.amdhsa_float_round_mode_32 0
		.amdhsa_float_round_mode_16_64 0
		.amdhsa_float_denorm_mode_32 3
		.amdhsa_float_denorm_mode_16_64 3
		.amdhsa_dx10_clamp 1
		.amdhsa_ieee_mode 1
		.amdhsa_fp16_overflow 0
		.amdhsa_exception_fp_ieee_invalid_op 0
		.amdhsa_exception_fp_denorm_src 0
		.amdhsa_exception_fp_ieee_div_zero 0
		.amdhsa_exception_fp_ieee_overflow 0
		.amdhsa_exception_fp_ieee_underflow 0
		.amdhsa_exception_fp_ieee_inexact 0
		.amdhsa_exception_int_div_zero 0
	.end_amdhsa_kernel
	.section	.text._ZN2at6native29vectorized_elementwise_kernelILi16ENS0_12_GLOBAL__N_114CompareFunctorIfEESt5arrayIPcLm3EEEEviT0_T1_,"axG",@progbits,_ZN2at6native29vectorized_elementwise_kernelILi16ENS0_12_GLOBAL__N_114CompareFunctorIfEESt5arrayIPcLm3EEEEviT0_T1_,comdat
.Lfunc_end104:
	.size	_ZN2at6native29vectorized_elementwise_kernelILi16ENS0_12_GLOBAL__N_114CompareFunctorIfEESt5arrayIPcLm3EEEEviT0_T1_, .Lfunc_end104-_ZN2at6native29vectorized_elementwise_kernelILi16ENS0_12_GLOBAL__N_114CompareFunctorIfEESt5arrayIPcLm3EEEEviT0_T1_
                                        ; -- End function
	.set _ZN2at6native29vectorized_elementwise_kernelILi16ENS0_12_GLOBAL__N_114CompareFunctorIfEESt5arrayIPcLm3EEEEviT0_T1_.num_vgpr, 39
	.set _ZN2at6native29vectorized_elementwise_kernelILi16ENS0_12_GLOBAL__N_114CompareFunctorIfEESt5arrayIPcLm3EEEEviT0_T1_.num_agpr, 0
	.set _ZN2at6native29vectorized_elementwise_kernelILi16ENS0_12_GLOBAL__N_114CompareFunctorIfEESt5arrayIPcLm3EEEEviT0_T1_.numbered_sgpr, 50
	.set _ZN2at6native29vectorized_elementwise_kernelILi16ENS0_12_GLOBAL__N_114CompareFunctorIfEESt5arrayIPcLm3EEEEviT0_T1_.num_named_barrier, 0
	.set _ZN2at6native29vectorized_elementwise_kernelILi16ENS0_12_GLOBAL__N_114CompareFunctorIfEESt5arrayIPcLm3EEEEviT0_T1_.private_seg_size, 0
	.set _ZN2at6native29vectorized_elementwise_kernelILi16ENS0_12_GLOBAL__N_114CompareFunctorIfEESt5arrayIPcLm3EEEEviT0_T1_.uses_vcc, 1
	.set _ZN2at6native29vectorized_elementwise_kernelILi16ENS0_12_GLOBAL__N_114CompareFunctorIfEESt5arrayIPcLm3EEEEviT0_T1_.uses_flat_scratch, 0
	.set _ZN2at6native29vectorized_elementwise_kernelILi16ENS0_12_GLOBAL__N_114CompareFunctorIfEESt5arrayIPcLm3EEEEviT0_T1_.has_dyn_sized_stack, 0
	.set _ZN2at6native29vectorized_elementwise_kernelILi16ENS0_12_GLOBAL__N_114CompareFunctorIfEESt5arrayIPcLm3EEEEviT0_T1_.has_recursion, 0
	.set _ZN2at6native29vectorized_elementwise_kernelILi16ENS0_12_GLOBAL__N_114CompareFunctorIfEESt5arrayIPcLm3EEEEviT0_T1_.has_indirect_call, 0
	.section	.AMDGPU.csdata,"",@progbits
; Kernel info:
; codeLenInByte = 8900
; TotalNumSgprs: 54
; NumVgprs: 39
; ScratchSize: 0
; MemoryBound: 1
; FloatMode: 240
; IeeeMode: 1
; LDSByteSize: 0 bytes/workgroup (compile time only)
; SGPRBlocks: 6
; VGPRBlocks: 9
; NumSGPRsForWavesPerEU: 54
; NumVGPRsForWavesPerEU: 39
; Occupancy: 6
; WaveLimiterHint : 0
; COMPUTE_PGM_RSRC2:SCRATCH_EN: 0
; COMPUTE_PGM_RSRC2:USER_SGPR: 6
; COMPUTE_PGM_RSRC2:TRAP_HANDLER: 0
; COMPUTE_PGM_RSRC2:TGID_X_EN: 1
; COMPUTE_PGM_RSRC2:TGID_Y_EN: 0
; COMPUTE_PGM_RSRC2:TGID_Z_EN: 0
; COMPUTE_PGM_RSRC2:TIDIG_COMP_CNT: 0
	.section	.text._ZN2at6native29vectorized_elementwise_kernelILi8ENS0_12_GLOBAL__N_114CompareFunctorIfEESt5arrayIPcLm3EEEEviT0_T1_,"axG",@progbits,_ZN2at6native29vectorized_elementwise_kernelILi8ENS0_12_GLOBAL__N_114CompareFunctorIfEESt5arrayIPcLm3EEEEviT0_T1_,comdat
	.globl	_ZN2at6native29vectorized_elementwise_kernelILi8ENS0_12_GLOBAL__N_114CompareFunctorIfEESt5arrayIPcLm3EEEEviT0_T1_ ; -- Begin function _ZN2at6native29vectorized_elementwise_kernelILi8ENS0_12_GLOBAL__N_114CompareFunctorIfEESt5arrayIPcLm3EEEEviT0_T1_
	.p2align	8
	.type	_ZN2at6native29vectorized_elementwise_kernelILi8ENS0_12_GLOBAL__N_114CompareFunctorIfEESt5arrayIPcLm3EEEEviT0_T1_,@function
_ZN2at6native29vectorized_elementwise_kernelILi8ENS0_12_GLOBAL__N_114CompareFunctorIfEESt5arrayIPcLm3EEEEviT0_T1_: ; @_ZN2at6native29vectorized_elementwise_kernelILi8ENS0_12_GLOBAL__N_114CompareFunctorIfEESt5arrayIPcLm3EEEEviT0_T1_
; %bb.0:
	s_load_dwordx2 s[12:13], s[4:5], 0x0
	s_load_dwordx4 s[8:11], s[4:5], 0x8
	s_load_dwordx2 s[14:15], s[4:5], 0x18
	s_lshl_b32 s2, s6, 12
	s_mov_b64 s[0:1], -1
	s_waitcnt lgkmcnt(0)
	s_sub_i32 s12, s12, s2
	s_cmpk_gt_i32 s12, 0xfff
	s_cbranch_scc0 .LBB105_211
; %bb.1:
	s_ashr_i32 s3, s2, 31
	s_lshl_b64 s[4:5], s[2:3], 2
	s_add_u32 s0, s10, s4
	s_addc_u32 s1, s11, s5
	v_lshlrev_b32_e32 v13, 5, v0
	v_mov_b32_e32 v1, s1
	v_add_co_u32_e32 v2, vcc, s0, v13
	v_addc_co_u32_e32 v1, vcc, 0, v1, vcc
	v_add_co_u32_e32 v5, vcc, 0x2000, v2
	global_load_dwordx4 v[17:20], v13, s[0:1] offset:16
	global_load_dwordx4 v[25:28], v13, s[0:1]
	v_addc_co_u32_e64 v6, s[0:1], 0, v1, vcc
	s_add_u32 s0, s14, s4
	v_addc_co_u32_e32 v8, vcc, 0, v1, vcc
	v_mov_b32_e32 v7, v5
	s_addc_u32 s1, s15, s5
	global_load_dwordx4 v[9:12], v[7:8], off
	global_load_dwordx4 v[1:4], v[5:6], off offset:16
	v_mov_b32_e32 v5, s1
	v_add_co_u32_e32 v6, vcc, s0, v13
	v_addc_co_u32_e32 v5, vcc, 0, v5, vcc
	v_add_co_u32_e32 v33, vcc, 0x2000, v6
	global_load_dwordx4 v[21:24], v13, s[0:1] offset:16
	global_load_dwordx4 v[29:32], v13, s[0:1]
	v_addc_co_u32_e64 v34, s[0:1], 0, v5, vcc
	v_addc_co_u32_e32 v36, vcc, 0, v5, vcc
	v_mov_b32_e32 v35, v33
	global_load_dwordx4 v[13:16], v[35:36], off
	global_load_dwordx4 v[5:8], v[33:34], off offset:16
	s_cmp_lt_i32 s13, 1
	s_mov_b64 s[4:5], 0
	s_cbranch_scc1 .LBB105_5
; %bb.2:
	s_cmp_gt_i32 s13, 1
	s_cbranch_scc0 .LBB105_6
; %bb.3:
	s_cmp_eq_u32 s13, 2
	s_cbranch_scc0 .LBB105_7
; %bb.4:
	s_waitcnt vmcnt(2)
	v_cmp_le_f32_e64 s[0:1], v25, v29
	s_mov_b64 s[6:7], 0
	s_branch .LBB105_8
.LBB105_5:
                                        ; implicit-def: $sgpr0_sgpr1
	s_mov_b64 s[6:7], 0
	s_cbranch_execnz .LBB105_11
	s_branch .LBB105_12
.LBB105_6:
	s_mov_b64 s[6:7], 0
                                        ; implicit-def: $sgpr0_sgpr1
	s_cbranch_execnz .LBB105_9
	s_branch .LBB105_10
.LBB105_7:
	s_mov_b64 s[6:7], -1
                                        ; implicit-def: $sgpr0_sgpr1
.LBB105_8:
	s_branch .LBB105_10
.LBB105_9:
	s_waitcnt vmcnt(2)
	v_cmp_gt_f32_e32 vcc, v25, v29
	s_andn2_b64 s[0:1], s[0:1], exec
	s_and_b64 s[16:17], vcc, exec
	s_or_b64 s[0:1], s[0:1], s[16:17]
.LBB105_10:
	s_branch .LBB105_12
.LBB105_11:
	s_cmp_lg_u32 s13, 0
	s_mov_b64 s[4:5], -1
	s_cselect_b64 s[6:7], -1, 0
.LBB105_12:
	s_andn2_b64 vcc, exec, s[6:7]
	s_cbranch_vccz .LBB105_18
; %bb.13:
	s_andn2_b64 vcc, exec, s[4:5]
	s_cbranch_vccz .LBB105_19
.LBB105_14:
	s_cmp_lt_i32 s13, 1
	s_mov_b64 s[6:7], 0
	s_cbranch_scc1 .LBB105_20
.LBB105_15:
	s_cmp_gt_i32 s13, 1
	s_cbranch_scc0 .LBB105_21
; %bb.16:
	s_cmp_eq_u32 s13, 2
	s_cbranch_scc0 .LBB105_251
; %bb.17:
	s_waitcnt vmcnt(2)
	v_cmp_le_f32_e64 s[4:5], v26, v30
	s_mov_b64 s[16:17], 0
	s_branch .LBB105_23
.LBB105_18:
	s_waitcnt vmcnt(2)
	v_cmp_lt_f32_e32 vcc, v25, v29
	s_andn2_b64 s[0:1], s[0:1], exec
	s_and_b64 s[6:7], vcc, exec
	s_or_b64 s[0:1], s[0:1], s[6:7]
	s_cbranch_execnz .LBB105_14
.LBB105_19:
	s_waitcnt vmcnt(2)
	v_cmp_ge_f32_e32 vcc, v25, v29
	s_andn2_b64 s[0:1], s[0:1], exec
	s_and_b64 s[4:5], vcc, exec
	s_or_b64 s[0:1], s[0:1], s[4:5]
	s_cmp_lt_i32 s13, 1
	s_mov_b64 s[6:7], 0
	s_cbranch_scc0 .LBB105_15
.LBB105_20:
                                        ; implicit-def: $sgpr4_sgpr5
	s_mov_b64 s[16:17], 0
	s_cbranch_execnz .LBB105_24
	s_branch .LBB105_25
.LBB105_21:
	s_mov_b64 s[16:17], 0
                                        ; implicit-def: $sgpr4_sgpr5
	s_cbranch_execz .LBB105_23
; %bb.22:
	s_waitcnt vmcnt(2)
	v_cmp_gt_f32_e32 vcc, v26, v30
	s_andn2_b64 s[4:5], s[4:5], exec
	s_and_b64 s[18:19], vcc, exec
	s_or_b64 s[4:5], s[4:5], s[18:19]
.LBB105_23:
	s_branch .LBB105_25
.LBB105_24:
	s_cmp_lg_u32 s13, 0
	s_mov_b64 s[6:7], -1
	s_cselect_b64 s[16:17], -1, 0
.LBB105_25:
	s_andn2_b64 vcc, exec, s[16:17]
	s_cbranch_vccz .LBB105_31
; %bb.26:
	s_andn2_b64 vcc, exec, s[6:7]
	s_cbranch_vccz .LBB105_32
.LBB105_27:
	s_cmp_lt_i32 s13, 1
	s_mov_b64 s[16:17], 0
	s_cbranch_scc1 .LBB105_33
.LBB105_28:
	s_cmp_gt_i32 s13, 1
	s_cbranch_scc0 .LBB105_34
; %bb.29:
	s_cmp_eq_u32 s13, 2
	s_cbranch_scc0 .LBB105_252
; %bb.30:
	s_waitcnt vmcnt(2)
	v_cmp_le_f32_e64 s[6:7], v27, v31
	s_mov_b64 s[18:19], 0
	s_branch .LBB105_36
.LBB105_31:
	s_waitcnt vmcnt(2)
	v_cmp_lt_f32_e32 vcc, v26, v30
	s_andn2_b64 s[4:5], s[4:5], exec
	s_and_b64 s[16:17], vcc, exec
	s_or_b64 s[4:5], s[4:5], s[16:17]
	s_cbranch_execnz .LBB105_27
.LBB105_32:
	s_waitcnt vmcnt(2)
	v_cmp_ge_f32_e32 vcc, v26, v30
	s_andn2_b64 s[4:5], s[4:5], exec
	s_and_b64 s[6:7], vcc, exec
	s_or_b64 s[4:5], s[4:5], s[6:7]
	s_cmp_lt_i32 s13, 1
	s_mov_b64 s[16:17], 0
	s_cbranch_scc0 .LBB105_28
.LBB105_33:
                                        ; implicit-def: $sgpr6_sgpr7
	s_mov_b64 s[18:19], 0
	s_cbranch_execnz .LBB105_37
	s_branch .LBB105_38
.LBB105_34:
	s_mov_b64 s[18:19], 0
                                        ; implicit-def: $sgpr6_sgpr7
	s_cbranch_execz .LBB105_36
; %bb.35:
	s_waitcnt vmcnt(2)
	v_cmp_gt_f32_e32 vcc, v27, v31
	s_andn2_b64 s[6:7], s[6:7], exec
	s_and_b64 s[20:21], vcc, exec
	s_or_b64 s[6:7], s[6:7], s[20:21]
.LBB105_36:
	s_branch .LBB105_38
.LBB105_37:
	s_cmp_lg_u32 s13, 0
	s_mov_b64 s[16:17], -1
	s_cselect_b64 s[18:19], -1, 0
.LBB105_38:
	s_andn2_b64 vcc, exec, s[18:19]
	s_cbranch_vccz .LBB105_44
; %bb.39:
	s_andn2_b64 vcc, exec, s[16:17]
	s_cbranch_vccz .LBB105_45
.LBB105_40:
	s_cmp_lt_i32 s13, 1
	s_mov_b64 s[18:19], 0
	s_cbranch_scc1 .LBB105_46
.LBB105_41:
	s_cmp_gt_i32 s13, 1
	s_cbranch_scc0 .LBB105_47
; %bb.42:
	s_cmp_eq_u32 s13, 2
	s_cbranch_scc0 .LBB105_253
; %bb.43:
	s_waitcnt vmcnt(2)
	v_cmp_le_f32_e64 s[16:17], v28, v32
	s_mov_b64 s[20:21], 0
	s_branch .LBB105_49
.LBB105_44:
	s_waitcnt vmcnt(2)
	v_cmp_lt_f32_e32 vcc, v27, v31
	s_andn2_b64 s[6:7], s[6:7], exec
	s_and_b64 s[18:19], vcc, exec
	s_or_b64 s[6:7], s[6:7], s[18:19]
	s_cbranch_execnz .LBB105_40
.LBB105_45:
	s_waitcnt vmcnt(2)
	v_cmp_ge_f32_e32 vcc, v27, v31
	s_andn2_b64 s[6:7], s[6:7], exec
	s_and_b64 s[16:17], vcc, exec
	s_or_b64 s[6:7], s[6:7], s[16:17]
	s_cmp_lt_i32 s13, 1
	s_mov_b64 s[18:19], 0
	s_cbranch_scc0 .LBB105_41
.LBB105_46:
                                        ; implicit-def: $sgpr16_sgpr17
	s_mov_b64 s[20:21], 0
	s_cbranch_execnz .LBB105_50
	s_branch .LBB105_51
.LBB105_47:
	s_mov_b64 s[20:21], 0
                                        ; implicit-def: $sgpr16_sgpr17
	s_cbranch_execz .LBB105_49
; %bb.48:
	s_waitcnt vmcnt(2)
	v_cmp_gt_f32_e32 vcc, v28, v32
	s_andn2_b64 s[16:17], s[16:17], exec
	s_and_b64 s[22:23], vcc, exec
	s_or_b64 s[16:17], s[16:17], s[22:23]
.LBB105_49:
	s_branch .LBB105_51
.LBB105_50:
	s_cmp_lg_u32 s13, 0
	s_mov_b64 s[18:19], -1
	s_cselect_b64 s[20:21], -1, 0
.LBB105_51:
	s_andn2_b64 vcc, exec, s[20:21]
	s_cbranch_vccz .LBB105_57
; %bb.52:
	s_andn2_b64 vcc, exec, s[18:19]
	s_cbranch_vccz .LBB105_58
.LBB105_53:
	s_cmp_lt_i32 s13, 1
	s_mov_b64 s[20:21], 0
	s_cbranch_scc1 .LBB105_59
.LBB105_54:
	s_cmp_gt_i32 s13, 1
	s_cbranch_scc0 .LBB105_60
; %bb.55:
	s_cmp_eq_u32 s13, 2
	s_cbranch_scc0 .LBB105_254
; %bb.56:
	s_waitcnt vmcnt(3)
	v_cmp_le_f32_e64 s[18:19], v17, v21
	s_mov_b64 s[22:23], 0
	s_branch .LBB105_62
.LBB105_57:
	s_waitcnt vmcnt(2)
	v_cmp_lt_f32_e32 vcc, v28, v32
	s_andn2_b64 s[16:17], s[16:17], exec
	s_and_b64 s[20:21], vcc, exec
	s_or_b64 s[16:17], s[16:17], s[20:21]
	s_cbranch_execnz .LBB105_53
.LBB105_58:
	s_waitcnt vmcnt(2)
	v_cmp_ge_f32_e32 vcc, v28, v32
	s_andn2_b64 s[16:17], s[16:17], exec
	s_and_b64 s[18:19], vcc, exec
	s_or_b64 s[16:17], s[16:17], s[18:19]
	s_cmp_lt_i32 s13, 1
	s_mov_b64 s[20:21], 0
	s_cbranch_scc0 .LBB105_54
.LBB105_59:
                                        ; implicit-def: $sgpr18_sgpr19
	s_mov_b64 s[22:23], 0
	s_cbranch_execnz .LBB105_63
	s_branch .LBB105_64
.LBB105_60:
	s_mov_b64 s[22:23], 0
                                        ; implicit-def: $sgpr18_sgpr19
	s_cbranch_execz .LBB105_62
; %bb.61:
	s_waitcnt vmcnt(3)
	v_cmp_gt_f32_e32 vcc, v17, v21
	s_andn2_b64 s[18:19], s[18:19], exec
	s_and_b64 s[24:25], vcc, exec
	s_or_b64 s[18:19], s[18:19], s[24:25]
.LBB105_62:
	s_branch .LBB105_64
.LBB105_63:
	s_cmp_lg_u32 s13, 0
	s_mov_b64 s[20:21], -1
	s_cselect_b64 s[22:23], -1, 0
.LBB105_64:
	s_andn2_b64 vcc, exec, s[22:23]
	s_cbranch_vccz .LBB105_70
; %bb.65:
	s_andn2_b64 vcc, exec, s[20:21]
	s_cbranch_vccz .LBB105_71
.LBB105_66:
	s_cmp_lt_i32 s13, 1
	s_mov_b64 s[22:23], 0
	s_cbranch_scc1 .LBB105_72
.LBB105_67:
	s_cmp_gt_i32 s13, 1
	s_cbranch_scc0 .LBB105_73
; %bb.68:
	s_cmp_eq_u32 s13, 2
	s_cbranch_scc0 .LBB105_255
; %bb.69:
	s_waitcnt vmcnt(3)
	v_cmp_le_f32_e64 s[20:21], v18, v22
	s_mov_b64 s[24:25], 0
	s_branch .LBB105_75
.LBB105_70:
	s_waitcnt vmcnt(3)
	v_cmp_lt_f32_e32 vcc, v17, v21
	s_andn2_b64 s[18:19], s[18:19], exec
	s_and_b64 s[22:23], vcc, exec
	s_or_b64 s[18:19], s[18:19], s[22:23]
	s_cbranch_execnz .LBB105_66
.LBB105_71:
	s_waitcnt vmcnt(3)
	v_cmp_ge_f32_e32 vcc, v17, v21
	s_andn2_b64 s[18:19], s[18:19], exec
	s_and_b64 s[20:21], vcc, exec
	s_or_b64 s[18:19], s[18:19], s[20:21]
	s_cmp_lt_i32 s13, 1
	s_mov_b64 s[22:23], 0
	s_cbranch_scc0 .LBB105_67
.LBB105_72:
                                        ; implicit-def: $sgpr20_sgpr21
	s_mov_b64 s[24:25], 0
	s_cbranch_execnz .LBB105_76
	s_branch .LBB105_77
.LBB105_73:
	s_mov_b64 s[24:25], 0
                                        ; implicit-def: $sgpr20_sgpr21
	s_cbranch_execz .LBB105_75
; %bb.74:
	s_waitcnt vmcnt(3)
	v_cmp_gt_f32_e32 vcc, v18, v22
	s_andn2_b64 s[20:21], s[20:21], exec
	s_and_b64 s[26:27], vcc, exec
	s_or_b64 s[20:21], s[20:21], s[26:27]
.LBB105_75:
	s_branch .LBB105_77
.LBB105_76:
	s_cmp_lg_u32 s13, 0
	s_mov_b64 s[22:23], -1
	s_cselect_b64 s[24:25], -1, 0
.LBB105_77:
	s_andn2_b64 vcc, exec, s[24:25]
	s_cbranch_vccz .LBB105_83
; %bb.78:
	s_andn2_b64 vcc, exec, s[22:23]
	s_cbranch_vccz .LBB105_84
.LBB105_79:
	s_cmp_lt_i32 s13, 1
	s_mov_b64 s[24:25], 0
	s_cbranch_scc1 .LBB105_85
.LBB105_80:
	s_cmp_gt_i32 s13, 1
	s_cbranch_scc0 .LBB105_86
; %bb.81:
	s_cmp_eq_u32 s13, 2
	s_cbranch_scc0 .LBB105_256
; %bb.82:
	s_waitcnt vmcnt(3)
	v_cmp_le_f32_e64 s[22:23], v19, v23
	s_mov_b64 s[26:27], 0
	s_branch .LBB105_88
.LBB105_83:
	s_waitcnt vmcnt(3)
	v_cmp_lt_f32_e32 vcc, v18, v22
	s_andn2_b64 s[20:21], s[20:21], exec
	s_and_b64 s[24:25], vcc, exec
	s_or_b64 s[20:21], s[20:21], s[24:25]
	s_cbranch_execnz .LBB105_79
.LBB105_84:
	s_waitcnt vmcnt(3)
	v_cmp_ge_f32_e32 vcc, v18, v22
	s_andn2_b64 s[20:21], s[20:21], exec
	s_and_b64 s[22:23], vcc, exec
	s_or_b64 s[20:21], s[20:21], s[22:23]
	s_cmp_lt_i32 s13, 1
	s_mov_b64 s[24:25], 0
	s_cbranch_scc0 .LBB105_80
.LBB105_85:
                                        ; implicit-def: $sgpr22_sgpr23
	s_mov_b64 s[26:27], 0
	s_cbranch_execnz .LBB105_89
	s_branch .LBB105_90
.LBB105_86:
	s_mov_b64 s[26:27], 0
                                        ; implicit-def: $sgpr22_sgpr23
	s_cbranch_execz .LBB105_88
; %bb.87:
	s_waitcnt vmcnt(3)
	v_cmp_gt_f32_e32 vcc, v19, v23
	s_andn2_b64 s[22:23], s[22:23], exec
	s_and_b64 s[28:29], vcc, exec
	s_or_b64 s[22:23], s[22:23], s[28:29]
.LBB105_88:
	s_branch .LBB105_90
.LBB105_89:
	s_cmp_lg_u32 s13, 0
	s_mov_b64 s[24:25], -1
	s_cselect_b64 s[26:27], -1, 0
.LBB105_90:
	s_andn2_b64 vcc, exec, s[26:27]
	s_cbranch_vccz .LBB105_96
; %bb.91:
	s_andn2_b64 vcc, exec, s[24:25]
	s_cbranch_vccz .LBB105_97
.LBB105_92:
	s_cmp_lt_i32 s13, 1
	s_mov_b64 s[26:27], 0
	s_cbranch_scc1 .LBB105_98
.LBB105_93:
	s_cmp_gt_i32 s13, 1
	s_cbranch_scc0 .LBB105_99
; %bb.94:
	s_cmp_eq_u32 s13, 2
	s_cbranch_scc0 .LBB105_257
; %bb.95:
	s_waitcnt vmcnt(3)
	v_cmp_le_f32_e64 s[24:25], v20, v24
	s_mov_b64 s[28:29], 0
	s_branch .LBB105_101
.LBB105_96:
	s_waitcnt vmcnt(3)
	v_cmp_lt_f32_e32 vcc, v19, v23
	s_andn2_b64 s[22:23], s[22:23], exec
	s_and_b64 s[26:27], vcc, exec
	s_or_b64 s[22:23], s[22:23], s[26:27]
	s_cbranch_execnz .LBB105_92
.LBB105_97:
	s_waitcnt vmcnt(3)
	v_cmp_ge_f32_e32 vcc, v19, v23
	s_andn2_b64 s[22:23], s[22:23], exec
	s_and_b64 s[24:25], vcc, exec
	s_or_b64 s[22:23], s[22:23], s[24:25]
	s_cmp_lt_i32 s13, 1
	s_mov_b64 s[26:27], 0
	s_cbranch_scc0 .LBB105_93
.LBB105_98:
                                        ; implicit-def: $sgpr24_sgpr25
	s_mov_b64 s[28:29], 0
	s_cbranch_execnz .LBB105_102
	s_branch .LBB105_103
.LBB105_99:
	s_mov_b64 s[28:29], 0
                                        ; implicit-def: $sgpr24_sgpr25
	s_cbranch_execz .LBB105_101
; %bb.100:
	s_waitcnt vmcnt(3)
	v_cmp_gt_f32_e32 vcc, v20, v24
	s_andn2_b64 s[24:25], s[24:25], exec
	s_and_b64 s[30:31], vcc, exec
	s_or_b64 s[24:25], s[24:25], s[30:31]
.LBB105_101:
	s_branch .LBB105_103
.LBB105_102:
	s_cmp_lg_u32 s13, 0
	s_mov_b64 s[26:27], -1
	s_cselect_b64 s[28:29], -1, 0
.LBB105_103:
	s_andn2_b64 vcc, exec, s[28:29]
	s_cbranch_vccz .LBB105_109
; %bb.104:
	s_andn2_b64 vcc, exec, s[26:27]
	s_cbranch_vccz .LBB105_110
.LBB105_105:
	s_cmp_lt_i32 s13, 1
	s_mov_b64 s[28:29], 0
	s_cbranch_scc1 .LBB105_111
.LBB105_106:
	s_cmp_gt_i32 s13, 1
	s_cbranch_scc0 .LBB105_112
; %bb.107:
	s_cmp_eq_u32 s13, 2
	s_cbranch_scc0 .LBB105_258
; %bb.108:
	s_waitcnt vmcnt(1)
	v_cmp_le_f32_e64 s[26:27], v9, v13
	s_mov_b64 s[30:31], 0
	s_branch .LBB105_114
.LBB105_109:
	s_waitcnt vmcnt(3)
	v_cmp_lt_f32_e32 vcc, v20, v24
	s_andn2_b64 s[24:25], s[24:25], exec
	s_and_b64 s[28:29], vcc, exec
	s_or_b64 s[24:25], s[24:25], s[28:29]
	s_cbranch_execnz .LBB105_105
.LBB105_110:
	s_waitcnt vmcnt(3)
	v_cmp_ge_f32_e32 vcc, v20, v24
	s_andn2_b64 s[24:25], s[24:25], exec
	s_and_b64 s[26:27], vcc, exec
	s_or_b64 s[24:25], s[24:25], s[26:27]
	s_cmp_lt_i32 s13, 1
	s_mov_b64 s[28:29], 0
	s_cbranch_scc0 .LBB105_106
.LBB105_111:
                                        ; implicit-def: $sgpr26_sgpr27
	s_mov_b64 s[30:31], 0
	s_cbranch_execnz .LBB105_115
	s_branch .LBB105_116
.LBB105_112:
	s_mov_b64 s[30:31], 0
                                        ; implicit-def: $sgpr26_sgpr27
	s_cbranch_execz .LBB105_114
; %bb.113:
	s_waitcnt vmcnt(1)
	v_cmp_gt_f32_e32 vcc, v9, v13
	s_andn2_b64 s[26:27], s[26:27], exec
	s_and_b64 s[34:35], vcc, exec
	s_or_b64 s[26:27], s[26:27], s[34:35]
.LBB105_114:
	s_branch .LBB105_116
.LBB105_115:
	s_cmp_lg_u32 s13, 0
	s_mov_b64 s[28:29], -1
	s_cselect_b64 s[30:31], -1, 0
.LBB105_116:
	s_andn2_b64 vcc, exec, s[30:31]
	s_cbranch_vccz .LBB105_122
; %bb.117:
	s_andn2_b64 vcc, exec, s[28:29]
	s_cbranch_vccz .LBB105_123
.LBB105_118:
	s_cmp_lt_i32 s13, 1
	s_mov_b64 s[30:31], 0
	s_cbranch_scc1 .LBB105_124
.LBB105_119:
	s_cmp_gt_i32 s13, 1
	s_cbranch_scc0 .LBB105_125
; %bb.120:
	s_cmp_eq_u32 s13, 2
	s_cbranch_scc0 .LBB105_259
; %bb.121:
	s_waitcnt vmcnt(1)
	v_cmp_le_f32_e64 s[28:29], v10, v14
	s_mov_b64 s[34:35], 0
	s_branch .LBB105_127
.LBB105_122:
	s_waitcnt vmcnt(1)
	v_cmp_lt_f32_e32 vcc, v9, v13
	s_andn2_b64 s[26:27], s[26:27], exec
	s_and_b64 s[30:31], vcc, exec
	s_or_b64 s[26:27], s[26:27], s[30:31]
	s_cbranch_execnz .LBB105_118
.LBB105_123:
	s_waitcnt vmcnt(1)
	v_cmp_ge_f32_e32 vcc, v9, v13
	s_andn2_b64 s[26:27], s[26:27], exec
	s_and_b64 s[28:29], vcc, exec
	s_or_b64 s[26:27], s[26:27], s[28:29]
	s_cmp_lt_i32 s13, 1
	s_mov_b64 s[30:31], 0
	s_cbranch_scc0 .LBB105_119
.LBB105_124:
                                        ; implicit-def: $sgpr28_sgpr29
	s_mov_b64 s[34:35], 0
	s_cbranch_execnz .LBB105_128
	s_branch .LBB105_129
.LBB105_125:
	s_mov_b64 s[34:35], 0
                                        ; implicit-def: $sgpr28_sgpr29
	s_cbranch_execz .LBB105_127
; %bb.126:
	s_waitcnt vmcnt(1)
	v_cmp_gt_f32_e32 vcc, v10, v14
	s_andn2_b64 s[28:29], s[28:29], exec
	s_and_b64 s[36:37], vcc, exec
	s_or_b64 s[28:29], s[28:29], s[36:37]
.LBB105_127:
	s_branch .LBB105_129
.LBB105_128:
	s_cmp_lg_u32 s13, 0
	s_mov_b64 s[30:31], -1
	s_cselect_b64 s[34:35], -1, 0
.LBB105_129:
	s_andn2_b64 vcc, exec, s[34:35]
	s_cbranch_vccz .LBB105_135
; %bb.130:
	s_andn2_b64 vcc, exec, s[30:31]
	s_cbranch_vccz .LBB105_136
.LBB105_131:
	s_cmp_lt_i32 s13, 1
	s_mov_b64 s[34:35], 0
	s_cbranch_scc1 .LBB105_137
.LBB105_132:
	s_cmp_gt_i32 s13, 1
	s_cbranch_scc0 .LBB105_138
; %bb.133:
	s_cmp_eq_u32 s13, 2
	s_cbranch_scc0 .LBB105_260
; %bb.134:
	s_waitcnt vmcnt(1)
	v_cmp_le_f32_e64 s[30:31], v11, v15
	s_mov_b64 s[36:37], 0
	s_branch .LBB105_140
.LBB105_135:
	s_waitcnt vmcnt(1)
	v_cmp_lt_f32_e32 vcc, v10, v14
	s_andn2_b64 s[28:29], s[28:29], exec
	s_and_b64 s[34:35], vcc, exec
	s_or_b64 s[28:29], s[28:29], s[34:35]
	s_cbranch_execnz .LBB105_131
.LBB105_136:
	s_waitcnt vmcnt(1)
	v_cmp_ge_f32_e32 vcc, v10, v14
	s_andn2_b64 s[28:29], s[28:29], exec
	s_and_b64 s[30:31], vcc, exec
	s_or_b64 s[28:29], s[28:29], s[30:31]
	s_cmp_lt_i32 s13, 1
	s_mov_b64 s[34:35], 0
	s_cbranch_scc0 .LBB105_132
.LBB105_137:
                                        ; implicit-def: $sgpr30_sgpr31
	s_mov_b64 s[36:37], 0
	s_cbranch_execnz .LBB105_141
	s_branch .LBB105_142
.LBB105_138:
	s_mov_b64 s[36:37], 0
                                        ; implicit-def: $sgpr30_sgpr31
	s_cbranch_execz .LBB105_140
; %bb.139:
	s_waitcnt vmcnt(1)
	v_cmp_gt_f32_e32 vcc, v11, v15
	s_andn2_b64 s[30:31], s[30:31], exec
	s_and_b64 s[38:39], vcc, exec
	s_or_b64 s[30:31], s[30:31], s[38:39]
.LBB105_140:
	s_branch .LBB105_142
.LBB105_141:
	s_cmp_lg_u32 s13, 0
	s_mov_b64 s[34:35], -1
	s_cselect_b64 s[36:37], -1, 0
.LBB105_142:
	s_andn2_b64 vcc, exec, s[36:37]
	s_cbranch_vccz .LBB105_148
; %bb.143:
	s_andn2_b64 vcc, exec, s[34:35]
	s_cbranch_vccz .LBB105_149
.LBB105_144:
	s_cmp_lt_i32 s13, 1
	s_mov_b64 s[36:37], 0
	s_cbranch_scc1 .LBB105_150
.LBB105_145:
	s_cmp_gt_i32 s13, 1
	s_cbranch_scc0 .LBB105_151
; %bb.146:
	s_cmp_eq_u32 s13, 2
	s_cbranch_scc0 .LBB105_261
; %bb.147:
	s_waitcnt vmcnt(1)
	v_cmp_le_f32_e64 s[34:35], v12, v16
	s_mov_b64 s[38:39], 0
	s_branch .LBB105_153
.LBB105_148:
	s_waitcnt vmcnt(1)
	v_cmp_lt_f32_e32 vcc, v11, v15
	s_andn2_b64 s[30:31], s[30:31], exec
	s_and_b64 s[36:37], vcc, exec
	s_or_b64 s[30:31], s[30:31], s[36:37]
	s_cbranch_execnz .LBB105_144
.LBB105_149:
	s_waitcnt vmcnt(1)
	v_cmp_ge_f32_e32 vcc, v11, v15
	s_andn2_b64 s[30:31], s[30:31], exec
	s_and_b64 s[34:35], vcc, exec
	s_or_b64 s[30:31], s[30:31], s[34:35]
	s_cmp_lt_i32 s13, 1
	s_mov_b64 s[36:37], 0
	s_cbranch_scc0 .LBB105_145
.LBB105_150:
                                        ; implicit-def: $sgpr34_sgpr35
	s_mov_b64 s[38:39], 0
	s_cbranch_execnz .LBB105_154
	s_branch .LBB105_155
.LBB105_151:
	s_mov_b64 s[38:39], 0
                                        ; implicit-def: $sgpr34_sgpr35
	s_cbranch_execz .LBB105_153
; %bb.152:
	s_waitcnt vmcnt(1)
	v_cmp_gt_f32_e32 vcc, v12, v16
	s_andn2_b64 s[34:35], s[34:35], exec
	s_and_b64 s[40:41], vcc, exec
	s_or_b64 s[34:35], s[34:35], s[40:41]
.LBB105_153:
	s_branch .LBB105_155
.LBB105_154:
	s_cmp_lg_u32 s13, 0
	s_mov_b64 s[36:37], -1
	s_cselect_b64 s[38:39], -1, 0
.LBB105_155:
	s_andn2_b64 vcc, exec, s[38:39]
	s_cbranch_vccz .LBB105_161
; %bb.156:
	s_andn2_b64 vcc, exec, s[36:37]
	s_cbranch_vccz .LBB105_162
.LBB105_157:
	s_cmp_lt_i32 s13, 1
	s_mov_b64 s[38:39], 0
	s_cbranch_scc1 .LBB105_163
.LBB105_158:
	s_cmp_gt_i32 s13, 1
	s_cbranch_scc0 .LBB105_164
; %bb.159:
	s_cmp_eq_u32 s13, 2
	s_cbranch_scc0 .LBB105_262
; %bb.160:
	s_waitcnt vmcnt(0)
	v_cmp_le_f32_e64 s[36:37], v1, v5
	s_mov_b64 s[40:41], 0
	s_branch .LBB105_166
.LBB105_161:
	s_waitcnt vmcnt(1)
	v_cmp_lt_f32_e32 vcc, v12, v16
	s_andn2_b64 s[34:35], s[34:35], exec
	s_and_b64 s[38:39], vcc, exec
	s_or_b64 s[34:35], s[34:35], s[38:39]
	s_cbranch_execnz .LBB105_157
.LBB105_162:
	s_waitcnt vmcnt(1)
	v_cmp_ge_f32_e32 vcc, v12, v16
	s_andn2_b64 s[34:35], s[34:35], exec
	s_and_b64 s[36:37], vcc, exec
	s_or_b64 s[34:35], s[34:35], s[36:37]
	s_cmp_lt_i32 s13, 1
	s_mov_b64 s[38:39], 0
	s_cbranch_scc0 .LBB105_158
.LBB105_163:
                                        ; implicit-def: $sgpr36_sgpr37
	s_mov_b64 s[40:41], 0
	s_cbranch_execnz .LBB105_167
	s_branch .LBB105_168
.LBB105_164:
	s_mov_b64 s[40:41], 0
                                        ; implicit-def: $sgpr36_sgpr37
	s_cbranch_execz .LBB105_166
; %bb.165:
	s_waitcnt vmcnt(0)
	v_cmp_gt_f32_e32 vcc, v1, v5
	s_andn2_b64 s[36:37], s[36:37], exec
	s_and_b64 s[42:43], vcc, exec
	s_or_b64 s[36:37], s[36:37], s[42:43]
.LBB105_166:
	s_branch .LBB105_168
.LBB105_167:
	s_cmp_lg_u32 s13, 0
	s_mov_b64 s[38:39], -1
	s_cselect_b64 s[40:41], -1, 0
.LBB105_168:
	s_andn2_b64 vcc, exec, s[40:41]
	s_cbranch_vccz .LBB105_174
; %bb.169:
	s_andn2_b64 vcc, exec, s[38:39]
	s_cbranch_vccz .LBB105_175
.LBB105_170:
	s_cmp_lt_i32 s13, 1
	s_mov_b64 s[40:41], 0
	s_cbranch_scc1 .LBB105_176
.LBB105_171:
	s_cmp_gt_i32 s13, 1
	s_cbranch_scc0 .LBB105_177
; %bb.172:
	s_cmp_eq_u32 s13, 2
	s_cbranch_scc0 .LBB105_263
; %bb.173:
	s_waitcnt vmcnt(0)
	v_cmp_le_f32_e64 s[38:39], v2, v6
	s_mov_b64 s[42:43], 0
	s_branch .LBB105_179
.LBB105_174:
	s_waitcnt vmcnt(0)
	v_cmp_lt_f32_e32 vcc, v1, v5
	s_andn2_b64 s[36:37], s[36:37], exec
	s_and_b64 s[40:41], vcc, exec
	s_or_b64 s[36:37], s[36:37], s[40:41]
	s_cbranch_execnz .LBB105_170
.LBB105_175:
	s_waitcnt vmcnt(0)
	v_cmp_ge_f32_e32 vcc, v1, v5
	s_andn2_b64 s[36:37], s[36:37], exec
	s_and_b64 s[38:39], vcc, exec
	s_or_b64 s[36:37], s[36:37], s[38:39]
	s_cmp_lt_i32 s13, 1
	s_mov_b64 s[40:41], 0
	s_cbranch_scc0 .LBB105_171
.LBB105_176:
                                        ; implicit-def: $sgpr38_sgpr39
	s_mov_b64 s[42:43], 0
	s_cbranch_execnz .LBB105_180
	s_branch .LBB105_181
.LBB105_177:
	s_mov_b64 s[42:43], 0
                                        ; implicit-def: $sgpr38_sgpr39
	s_cbranch_execz .LBB105_179
; %bb.178:
	s_waitcnt vmcnt(0)
	v_cmp_gt_f32_e32 vcc, v2, v6
	s_andn2_b64 s[38:39], s[38:39], exec
	s_and_b64 s[44:45], vcc, exec
	s_or_b64 s[38:39], s[38:39], s[44:45]
.LBB105_179:
	s_branch .LBB105_181
.LBB105_180:
	s_cmp_lg_u32 s13, 0
	s_mov_b64 s[40:41], -1
	s_cselect_b64 s[42:43], -1, 0
.LBB105_181:
	s_andn2_b64 vcc, exec, s[42:43]
	s_cbranch_vccz .LBB105_187
; %bb.182:
	s_andn2_b64 vcc, exec, s[40:41]
	s_cbranch_vccz .LBB105_188
.LBB105_183:
	s_cmp_lt_i32 s13, 1
	s_mov_b64 s[42:43], 0
	s_cbranch_scc1 .LBB105_189
.LBB105_184:
	s_cmp_gt_i32 s13, 1
	s_cbranch_scc0 .LBB105_190
; %bb.185:
	s_cmp_eq_u32 s13, 2
	s_cbranch_scc0 .LBB105_264
; %bb.186:
	s_waitcnt vmcnt(0)
	v_cmp_le_f32_e64 s[40:41], v3, v7
	s_mov_b64 s[44:45], 0
	s_branch .LBB105_192
.LBB105_187:
	s_waitcnt vmcnt(0)
	v_cmp_lt_f32_e32 vcc, v2, v6
	s_andn2_b64 s[38:39], s[38:39], exec
	s_and_b64 s[42:43], vcc, exec
	s_or_b64 s[38:39], s[38:39], s[42:43]
	s_cbranch_execnz .LBB105_183
.LBB105_188:
	s_waitcnt vmcnt(0)
	v_cmp_ge_f32_e32 vcc, v2, v6
	s_andn2_b64 s[38:39], s[38:39], exec
	s_and_b64 s[40:41], vcc, exec
	s_or_b64 s[38:39], s[38:39], s[40:41]
	s_cmp_lt_i32 s13, 1
	s_mov_b64 s[42:43], 0
	s_cbranch_scc0 .LBB105_184
.LBB105_189:
                                        ; implicit-def: $sgpr40_sgpr41
	s_mov_b64 s[44:45], 0
	s_cbranch_execnz .LBB105_193
	s_branch .LBB105_194
.LBB105_190:
	s_mov_b64 s[44:45], 0
                                        ; implicit-def: $sgpr40_sgpr41
	s_cbranch_execz .LBB105_192
; %bb.191:
	s_waitcnt vmcnt(0)
	v_cmp_gt_f32_e32 vcc, v3, v7
	s_andn2_b64 s[40:41], s[40:41], exec
	s_and_b64 s[46:47], vcc, exec
	s_or_b64 s[40:41], s[40:41], s[46:47]
.LBB105_192:
	s_branch .LBB105_194
.LBB105_193:
	s_cmp_lg_u32 s13, 0
	s_mov_b64 s[42:43], -1
	s_cselect_b64 s[44:45], -1, 0
.LBB105_194:
	s_andn2_b64 vcc, exec, s[44:45]
	s_cbranch_vccz .LBB105_200
; %bb.195:
	s_andn2_b64 vcc, exec, s[42:43]
	s_cbranch_vccz .LBB105_201
.LBB105_196:
	s_cmp_lt_i32 s13, 1
	s_mov_b64 s[44:45], 0
	s_cbranch_scc1 .LBB105_202
.LBB105_197:
	s_cmp_gt_i32 s13, 1
	s_cbranch_scc0 .LBB105_203
; %bb.198:
	s_cmp_eq_u32 s13, 2
	s_cbranch_scc0 .LBB105_265
; %bb.199:
	s_waitcnt vmcnt(0)
	v_cmp_le_f32_e64 s[42:43], v4, v8
	s_mov_b64 s[46:47], 0
	s_branch .LBB105_205
.LBB105_200:
	s_waitcnt vmcnt(0)
	v_cmp_lt_f32_e32 vcc, v3, v7
	s_andn2_b64 s[40:41], s[40:41], exec
	s_and_b64 s[44:45], vcc, exec
	s_or_b64 s[40:41], s[40:41], s[44:45]
	s_cbranch_execnz .LBB105_196
.LBB105_201:
	s_waitcnt vmcnt(0)
	v_cmp_ge_f32_e32 vcc, v3, v7
	s_andn2_b64 s[40:41], s[40:41], exec
	s_and_b64 s[42:43], vcc, exec
	s_or_b64 s[40:41], s[40:41], s[42:43]
	s_cmp_lt_i32 s13, 1
	s_mov_b64 s[44:45], 0
	s_cbranch_scc0 .LBB105_197
.LBB105_202:
                                        ; implicit-def: $sgpr42_sgpr43
	s_mov_b64 s[46:47], 0
	s_cbranch_execnz .LBB105_206
	s_branch .LBB105_207
.LBB105_203:
	s_mov_b64 s[46:47], 0
                                        ; implicit-def: $sgpr42_sgpr43
	s_cbranch_execz .LBB105_205
; %bb.204:
	s_waitcnt vmcnt(0)
	v_cmp_gt_f32_e32 vcc, v4, v8
	s_andn2_b64 s[42:43], s[42:43], exec
	s_and_b64 s[48:49], vcc, exec
	s_or_b64 s[42:43], s[42:43], s[48:49]
.LBB105_205:
	s_branch .LBB105_207
.LBB105_206:
	s_cmp_lg_u32 s13, 0
	s_mov_b64 s[44:45], -1
	s_cselect_b64 s[46:47], -1, 0
.LBB105_207:
	s_andn2_b64 vcc, exec, s[46:47]
	s_cbranch_vccz .LBB105_249
; %bb.208:
	s_andn2_b64 vcc, exec, s[44:45]
	s_cbranch_vccnz .LBB105_210
.LBB105_209:
	s_waitcnt vmcnt(0)
	v_cmp_ge_f32_e32 vcc, v4, v8
	s_andn2_b64 s[42:43], s[42:43], exec
	s_and_b64 s[44:45], vcc, exec
	s_or_b64 s[42:43], s[42:43], s[44:45]
.LBB105_210:
	s_waitcnt vmcnt(4)
	v_mov_b32_e32 v1, 0x100
	v_cndmask_b32_e64 v2, 0, v1, s[28:29]
	v_cndmask_b32_e64 v3, 0, 1, s[26:27]
	v_or_b32_e32 v2, v2, v3
	v_mov_b32_e32 v3, 0x10000
	s_waitcnt vmcnt(0)
	v_mov_b32_e32 v5, 0x1000000
	v_cndmask_b32_e64 v4, 0, v3, s[30:31]
	v_cndmask_b32_e64 v6, 0, v5, s[34:35]
	v_or3_b32 v7, 0, 0, 0
	v_or3_b32 v2, v2, v4, v6
	v_cndmask_b32_e64 v4, 0, 1, s[36:37]
	v_cndmask_b32_e64 v6, 0, v1, s[38:39]
	v_or3_b32 v4, v7, v4, v6
	v_or3_b32 v6, v2, 0, 0
	v_cndmask_b32_e64 v2, 0, v1, s[4:5]
	v_cndmask_b32_e64 v9, 0, 1, s[0:1]
	v_or_b32_e32 v2, v2, v9
	v_cndmask_b32_e64 v9, 0, v3, s[6:7]
	v_cndmask_b32_e64 v10, 0, v5, s[16:17]
	v_or3_b32 v2, v2, v9, v10
	v_cndmask_b32_e64 v9, 0, 1, s[18:19]
	v_cndmask_b32_e64 v1, 0, v1, s[20:21]
	;; [unrolled: 1-line block ×3, first 2 shown]
	v_or3_b32 v1, v7, v9, v1
	v_or3_b32 v7, v2, 0, 0
	v_cndmask_b32_e64 v2, 0, v3, s[22:23]
	v_cndmask_b32_e64 v3, 0, v5, s[24:25]
	s_add_u32 s0, s8, s2
	v_or3_b32 v2, v1, v2, v3
	v_or3_b32 v1, v7, 0, 0
	v_cndmask_b32_e64 v3, 0, v5, s[42:43]
	s_addc_u32 s1, s9, s3
	v_lshlrev_b32_e32 v5, 3, v0
	v_or3_b32 v4, v4, v8, v3
	v_or3_b32 v3, v6, 0, 0
	global_store_dwordx2 v5, v[1:2], s[0:1]
	global_store_dwordx2 v5, v[3:4], s[0:1] offset:2048
	s_mov_b64 s[0:1], 0
.LBB105_211:
	s_and_b64 vcc, exec, s[0:1]
	s_cbranch_vccz .LBB105_519
; %bb.212:
	v_cmp_gt_i32_e64 s[0:1], s12, v0
	v_mov_b32_e32 v14, 0
	v_or_b32_e32 v1, s2, v0
	v_mov_b32_e32 v7, 0
	v_mov_b32_e32 v10, 0
	v_mov_b32_e32 v6, v0
	s_and_saveexec_b64 s[4:5], s[0:1]
	s_cbranch_execz .LBB105_214
; %bb.213:
	v_mov_b32_e32 v2, 0
	v_lshlrev_b64 v[2:3], 2, v[1:2]
	v_mov_b32_e32 v5, s15
	v_add_co_u32_e32 v4, vcc, s14, v2
	v_addc_co_u32_e32 v5, vcc, v5, v3, vcc
	v_mov_b32_e32 v6, s11
	v_add_co_u32_e32 v2, vcc, s10, v2
	v_addc_co_u32_e32 v3, vcc, v6, v3, vcc
	global_load_dword v7, v[2:3], off
	global_load_dword v10, v[4:5], off
	v_or_b32_e32 v6, 0x100, v0
.LBB105_214:
	s_or_b64 exec, exec, s[4:5]
	v_cmp_gt_i32_e32 vcc, s12, v6
	v_mov_b32_e32 v34, 0
	s_and_saveexec_b64 s[4:5], vcc
	s_cbranch_execz .LBB105_216
; %bb.215:
	v_add_u32_e32 v2, s2, v6
	v_mov_b32_e32 v3, 0
	v_lshlrev_b64 v[2:3], 2, v[2:3]
	v_mov_b32_e32 v5, s15
	v_add_co_u32_e32 v4, vcc, s14, v2
	v_addc_co_u32_e32 v5, vcc, v5, v3, vcc
	v_mov_b32_e32 v8, s11
	v_add_co_u32_e32 v2, vcc, s10, v2
	v_addc_co_u32_e32 v3, vcc, v8, v3, vcc
	global_load_dword v14, v[2:3], off
	global_load_dword v34, v[4:5], off
	v_add_u32_e32 v6, 0x100, v6
.LBB105_216:
	s_or_b64 exec, exec, s[4:5]
	v_cmp_gt_i32_e32 vcc, s12, v6
	v_mov_b32_e32 v21, 0
	v_mov_b32_e32 v16, 0
	v_mov_b32_e32 v33, 0
	s_and_saveexec_b64 s[4:5], vcc
	s_cbranch_execz .LBB105_218
; %bb.217:
	v_add_u32_e32 v2, s2, v6
	v_mov_b32_e32 v3, 0
	v_lshlrev_b64 v[2:3], 2, v[2:3]
	v_mov_b32_e32 v5, s15
	v_add_co_u32_e32 v4, vcc, s14, v2
	v_addc_co_u32_e32 v5, vcc, v5, v3, vcc
	v_mov_b32_e32 v8, s11
	v_add_co_u32_e32 v2, vcc, s10, v2
	v_addc_co_u32_e32 v3, vcc, v8, v3, vcc
	global_load_dword v16, v[2:3], off
	global_load_dword v33, v[4:5], off
	v_add_u32_e32 v6, 0x100, v6
.LBB105_218:
	s_or_b64 exec, exec, s[4:5]
	v_cmp_gt_i32_e32 vcc, s12, v6
	v_mov_b32_e32 v32, 0
	s_and_saveexec_b64 s[4:5], vcc
	s_cbranch_execz .LBB105_220
; %bb.219:
	v_add_u32_e32 v2, s2, v6
	v_mov_b32_e32 v3, 0
	v_lshlrev_b64 v[2:3], 2, v[2:3]
	v_mov_b32_e32 v5, s15
	v_add_co_u32_e32 v4, vcc, s14, v2
	v_addc_co_u32_e32 v5, vcc, v5, v3, vcc
	v_mov_b32_e32 v8, s11
	v_add_co_u32_e32 v2, vcc, s10, v2
	v_addc_co_u32_e32 v3, vcc, v8, v3, vcc
	global_load_dword v21, v[2:3], off
	global_load_dword v32, v[4:5], off
	v_add_u32_e32 v6, 0x100, v6
.LBB105_220:
	s_or_b64 exec, exec, s[4:5]
	v_cmp_gt_i32_e32 vcc, s12, v6
	v_mov_b32_e32 v27, 0
	v_mov_b32_e32 v24, 0
	v_mov_b32_e32 v31, 0
	s_and_saveexec_b64 s[4:5], vcc
	s_cbranch_execz .LBB105_222
; %bb.221:
	v_add_u32_e32 v2, s2, v6
	v_mov_b32_e32 v3, 0
	v_lshlrev_b64 v[2:3], 2, v[2:3]
	v_mov_b32_e32 v5, s15
	v_add_co_u32_e32 v4, vcc, s14, v2
	v_addc_co_u32_e32 v5, vcc, v5, v3, vcc
	v_mov_b32_e32 v8, s11
	v_add_co_u32_e32 v2, vcc, s10, v2
	v_addc_co_u32_e32 v3, vcc, v8, v3, vcc
	global_load_dword v24, v[2:3], off
	global_load_dword v31, v[4:5], off
	v_add_u32_e32 v6, 0x100, v6
.LBB105_222:
	;; [unrolled: 40-line block ×7, first 2 shown]
	s_or_b64 exec, exec, s[4:5]
	v_cmp_gt_i32_e32 vcc, s12, v6
	v_mov_b32_e32 v3, 0
	s_and_saveexec_b64 s[4:5], vcc
	s_cbranch_execz .LBB105_244
; %bb.243:
	v_add_u32_e32 v2, s2, v6
	v_mov_b32_e32 v3, 0
	v_lshlrev_b64 v[2:3], 2, v[2:3]
	v_mov_b32_e32 v6, s15
	v_add_co_u32_e32 v35, vcc, s14, v2
	v_addc_co_u32_e32 v36, vcc, v6, v3, vcc
	v_mov_b32_e32 v6, s11
	v_add_co_u32_e32 v37, vcc, s10, v2
	v_addc_co_u32_e32 v38, vcc, v6, v3, vcc
	global_load_dword v2, v[37:38], off
	global_load_dword v3, v[35:36], off
.LBB105_244:
	s_or_b64 exec, exec, s[4:5]
                                        ; implicit-def: $vgpr6
	s_and_saveexec_b64 s[4:5], s[0:1]
	s_cbranch_execz .LBB105_276
; %bb.245:
	s_cmp_lt_i32 s13, 1
	s_mov_b64 s[6:7], 0
	s_cbranch_scc1 .LBB105_250
; %bb.246:
	s_cmp_gt_i32 s13, 1
	s_cbranch_scc0 .LBB105_266
; %bb.247:
	s_cmp_eq_u32 s13, 2
	s_cbranch_scc0 .LBB105_267
; %bb.248:
	s_waitcnt vmcnt(0)
	v_cmp_le_f32_e64 s[10:11], v7, v10
	s_mov_b64 s[14:15], 0
	s_branch .LBB105_268
.LBB105_249:
	s_waitcnt vmcnt(0)
	v_cmp_lt_f32_e32 vcc, v4, v8
	s_andn2_b64 s[42:43], s[42:43], exec
	s_and_b64 s[46:47], vcc, exec
	s_or_b64 s[42:43], s[42:43], s[46:47]
	s_cbranch_execz .LBB105_209
	s_branch .LBB105_210
.LBB105_250:
                                        ; implicit-def: $sgpr10_sgpr11
	s_mov_b64 s[14:15], 0
	s_cbranch_execnz .LBB105_271
	s_branch .LBB105_272
.LBB105_251:
	s_mov_b64 s[16:17], -1
                                        ; implicit-def: $sgpr4_sgpr5
	s_branch .LBB105_23
.LBB105_252:
	s_mov_b64 s[18:19], -1
                                        ; implicit-def: $sgpr6_sgpr7
	s_branch .LBB105_36
.LBB105_253:
	s_mov_b64 s[20:21], -1
                                        ; implicit-def: $sgpr16_sgpr17
	s_branch .LBB105_49
.LBB105_254:
	s_mov_b64 s[22:23], -1
                                        ; implicit-def: $sgpr18_sgpr19
	s_branch .LBB105_62
.LBB105_255:
	s_mov_b64 s[24:25], -1
                                        ; implicit-def: $sgpr20_sgpr21
	s_branch .LBB105_75
.LBB105_256:
	s_mov_b64 s[26:27], -1
                                        ; implicit-def: $sgpr22_sgpr23
	s_branch .LBB105_88
.LBB105_257:
	s_mov_b64 s[28:29], -1
                                        ; implicit-def: $sgpr24_sgpr25
	s_branch .LBB105_101
.LBB105_258:
	s_mov_b64 s[30:31], -1
                                        ; implicit-def: $sgpr26_sgpr27
	s_branch .LBB105_114
.LBB105_259:
	s_mov_b64 s[34:35], -1
                                        ; implicit-def: $sgpr28_sgpr29
	s_branch .LBB105_127
.LBB105_260:
	s_mov_b64 s[36:37], -1
                                        ; implicit-def: $sgpr30_sgpr31
	s_branch .LBB105_140
.LBB105_261:
	s_mov_b64 s[38:39], -1
                                        ; implicit-def: $sgpr34_sgpr35
	s_branch .LBB105_153
.LBB105_262:
	s_mov_b64 s[40:41], -1
                                        ; implicit-def: $sgpr36_sgpr37
	s_branch .LBB105_166
.LBB105_263:
	s_mov_b64 s[42:43], -1
                                        ; implicit-def: $sgpr38_sgpr39
	s_branch .LBB105_179
.LBB105_264:
	s_mov_b64 s[44:45], -1
                                        ; implicit-def: $sgpr40_sgpr41
	s_branch .LBB105_192
.LBB105_265:
	s_mov_b64 s[46:47], -1
                                        ; implicit-def: $sgpr42_sgpr43
	s_branch .LBB105_205
.LBB105_266:
	s_mov_b64 s[14:15], 0
                                        ; implicit-def: $sgpr10_sgpr11
	s_cbranch_execnz .LBB105_269
	s_branch .LBB105_270
.LBB105_267:
	s_mov_b64 s[14:15], -1
                                        ; implicit-def: $sgpr10_sgpr11
.LBB105_268:
	s_branch .LBB105_270
.LBB105_269:
	s_waitcnt vmcnt(0)
	v_cmp_gt_f32_e32 vcc, v7, v10
	s_andn2_b64 s[10:11], s[10:11], exec
	s_and_b64 s[16:17], vcc, exec
	s_or_b64 s[10:11], s[10:11], s[16:17]
.LBB105_270:
	s_branch .LBB105_272
.LBB105_271:
	s_cmp_lg_u32 s13, 0
	s_mov_b64 s[6:7], -1
	s_cselect_b64 s[14:15], -1, 0
.LBB105_272:
	s_andn2_b64 vcc, exec, s[14:15]
	s_cbranch_vccz .LBB105_281
; %bb.273:
	s_andn2_b64 vcc, exec, s[6:7]
	s_cbranch_vccnz .LBB105_275
.LBB105_274:
	s_waitcnt vmcnt(0)
	v_cmp_ge_f32_e32 vcc, v7, v10
	s_andn2_b64 s[6:7], s[10:11], exec
	s_and_b64 s[10:11], vcc, exec
	s_or_b64 s[10:11], s[6:7], s[10:11]
.LBB105_275:
	v_cndmask_b32_e64 v6, 0, 1, s[10:11]
.LBB105_276:
	s_or_b64 exec, exec, s[4:5]
	s_waitcnt vmcnt(1)
	v_or_b32_e32 v7, 0x100, v0
	v_cmp_gt_i32_e32 vcc, s12, v7
                                        ; implicit-def: $vgpr10
	s_and_saveexec_b64 s[4:5], vcc
	s_cbranch_execz .LBB105_291
; %bb.277:
	s_cmp_lt_i32 s13, 1
	s_mov_b64 s[6:7], 0
	s_cbranch_scc1 .LBB105_282
; %bb.278:
	s_cmp_gt_i32 s13, 1
	s_cbranch_scc0 .LBB105_283
; %bb.279:
	s_cmp_eq_u32 s13, 2
	s_cbranch_scc0 .LBB105_535
; %bb.280:
	s_waitcnt vmcnt(0)
	v_cmp_le_f32_e64 s[10:11], v14, v34
	s_mov_b64 s[14:15], 0
	s_branch .LBB105_285
.LBB105_281:
	s_waitcnt vmcnt(0)
	v_cmp_lt_f32_e32 vcc, v7, v10
	s_andn2_b64 s[10:11], s[10:11], exec
	s_and_b64 s[14:15], vcc, exec
	s_or_b64 s[10:11], s[10:11], s[14:15]
	s_cbranch_execz .LBB105_274
	s_branch .LBB105_275
.LBB105_282:
                                        ; implicit-def: $sgpr10_sgpr11
	s_mov_b64 s[14:15], 0
	s_cbranch_execnz .LBB105_286
	s_branch .LBB105_287
.LBB105_283:
	s_mov_b64 s[14:15], 0
                                        ; implicit-def: $sgpr10_sgpr11
	s_cbranch_execz .LBB105_285
; %bb.284:
	s_waitcnt vmcnt(0)
	v_cmp_gt_f32_e32 vcc, v14, v34
	s_andn2_b64 s[10:11], s[10:11], exec
	s_and_b64 s[16:17], vcc, exec
	s_or_b64 s[10:11], s[10:11], s[16:17]
.LBB105_285:
	s_branch .LBB105_287
.LBB105_286:
	s_cmp_lg_u32 s13, 0
	s_mov_b64 s[6:7], -1
	s_cselect_b64 s[14:15], -1, 0
.LBB105_287:
	s_andn2_b64 vcc, exec, s[14:15]
	s_cbranch_vccz .LBB105_296
; %bb.288:
	s_andn2_b64 vcc, exec, s[6:7]
	s_cbranch_vccnz .LBB105_290
.LBB105_289:
	s_waitcnt vmcnt(0)
	v_cmp_ge_f32_e32 vcc, v14, v34
	s_andn2_b64 s[6:7], s[10:11], exec
	s_and_b64 s[10:11], vcc, exec
	s_or_b64 s[10:11], s[6:7], s[10:11]
.LBB105_290:
	s_waitcnt vmcnt(0)
	v_cndmask_b32_e64 v10, 0, 1, s[10:11]
.LBB105_291:
	s_or_b64 exec, exec, s[4:5]
	v_or_b32_e32 v14, 0x200, v0
	v_cmp_gt_i32_e32 vcc, s12, v14
                                        ; implicit-def: $vgpr14
	s_and_saveexec_b64 s[4:5], vcc
	s_cbranch_execz .LBB105_306
; %bb.292:
	s_cmp_lt_i32 s13, 1
	s_mov_b64 s[6:7], 0
	s_cbranch_scc1 .LBB105_297
; %bb.293:
	s_cmp_gt_i32 s13, 1
	s_cbranch_scc0 .LBB105_298
; %bb.294:
	s_cmp_eq_u32 s13, 2
	s_cbranch_scc0 .LBB105_536
; %bb.295:
	s_waitcnt vmcnt(0)
	v_cmp_le_f32_e64 s[10:11], v16, v33
	s_mov_b64 s[14:15], 0
	s_branch .LBB105_300
.LBB105_296:
	s_waitcnt vmcnt(0)
	v_cmp_lt_f32_e32 vcc, v14, v34
	s_andn2_b64 s[10:11], s[10:11], exec
	s_and_b64 s[14:15], vcc, exec
	s_or_b64 s[10:11], s[10:11], s[14:15]
	s_cbranch_execz .LBB105_289
	s_branch .LBB105_290
.LBB105_297:
                                        ; implicit-def: $sgpr10_sgpr11
	s_mov_b64 s[14:15], 0
	s_cbranch_execnz .LBB105_301
	s_branch .LBB105_302
.LBB105_298:
	s_mov_b64 s[14:15], 0
                                        ; implicit-def: $sgpr10_sgpr11
	s_cbranch_execz .LBB105_300
; %bb.299:
	s_waitcnt vmcnt(0)
	v_cmp_gt_f32_e32 vcc, v16, v33
	s_andn2_b64 s[10:11], s[10:11], exec
	s_and_b64 s[16:17], vcc, exec
	s_or_b64 s[10:11], s[10:11], s[16:17]
.LBB105_300:
	s_branch .LBB105_302
.LBB105_301:
	s_cmp_lg_u32 s13, 0
	s_mov_b64 s[6:7], -1
	s_cselect_b64 s[14:15], -1, 0
.LBB105_302:
	s_andn2_b64 vcc, exec, s[14:15]
	s_cbranch_vccz .LBB105_311
; %bb.303:
	s_andn2_b64 vcc, exec, s[6:7]
	s_cbranch_vccnz .LBB105_305
.LBB105_304:
	s_waitcnt vmcnt(0)
	v_cmp_ge_f32_e32 vcc, v16, v33
	s_andn2_b64 s[6:7], s[10:11], exec
	s_and_b64 s[10:11], vcc, exec
	s_or_b64 s[10:11], s[6:7], s[10:11]
.LBB105_305:
	v_cndmask_b32_e64 v14, 0, 1, s[10:11]
.LBB105_306:
	s_or_b64 exec, exec, s[4:5]
	v_or_b32_e32 v16, 0x300, v0
	v_cmp_gt_i32_e32 vcc, s12, v16
                                        ; implicit-def: $vgpr16
	s_and_saveexec_b64 s[4:5], vcc
	s_cbranch_execz .LBB105_321
; %bb.307:
	s_cmp_lt_i32 s13, 1
	s_mov_b64 s[6:7], 0
	s_cbranch_scc1 .LBB105_312
; %bb.308:
	s_cmp_gt_i32 s13, 1
	s_cbranch_scc0 .LBB105_313
; %bb.309:
	s_cmp_eq_u32 s13, 2
	s_cbranch_scc0 .LBB105_537
; %bb.310:
	s_waitcnt vmcnt(0)
	v_cmp_le_f32_e64 s[10:11], v21, v32
	s_mov_b64 s[14:15], 0
	s_branch .LBB105_315
.LBB105_311:
	s_waitcnt vmcnt(0)
	v_cmp_lt_f32_e32 vcc, v16, v33
	s_andn2_b64 s[10:11], s[10:11], exec
	s_and_b64 s[14:15], vcc, exec
	s_or_b64 s[10:11], s[10:11], s[14:15]
	s_cbranch_execz .LBB105_304
	s_branch .LBB105_305
.LBB105_312:
                                        ; implicit-def: $sgpr10_sgpr11
	s_mov_b64 s[14:15], 0
	s_cbranch_execnz .LBB105_316
	s_branch .LBB105_317
.LBB105_313:
	s_mov_b64 s[14:15], 0
                                        ; implicit-def: $sgpr10_sgpr11
	s_cbranch_execz .LBB105_315
; %bb.314:
	s_waitcnt vmcnt(0)
	v_cmp_gt_f32_e32 vcc, v21, v32
	s_andn2_b64 s[10:11], s[10:11], exec
	s_and_b64 s[16:17], vcc, exec
	s_or_b64 s[10:11], s[10:11], s[16:17]
.LBB105_315:
	s_branch .LBB105_317
.LBB105_316:
	s_cmp_lg_u32 s13, 0
	s_mov_b64 s[6:7], -1
	s_cselect_b64 s[14:15], -1, 0
.LBB105_317:
	s_andn2_b64 vcc, exec, s[14:15]
	s_cbranch_vccz .LBB105_326
; %bb.318:
	s_andn2_b64 vcc, exec, s[6:7]
	s_cbranch_vccnz .LBB105_320
.LBB105_319:
	s_waitcnt vmcnt(0)
	v_cmp_ge_f32_e32 vcc, v21, v32
	s_andn2_b64 s[6:7], s[10:11], exec
	s_and_b64 s[10:11], vcc, exec
	s_or_b64 s[10:11], s[6:7], s[10:11]
.LBB105_320:
	v_cndmask_b32_e64 v16, 0, 1, s[10:11]
.LBB105_321:
	s_or_b64 exec, exec, s[4:5]
	v_or_b32_e32 v21, 0x400, v0
	v_cmp_gt_i32_e32 vcc, s12, v21
                                        ; implicit-def: $vgpr21
	s_and_saveexec_b64 s[4:5], vcc
	s_cbranch_execz .LBB105_336
; %bb.322:
	s_cmp_lt_i32 s13, 1
	s_mov_b64 s[6:7], 0
	s_cbranch_scc1 .LBB105_327
; %bb.323:
	s_cmp_gt_i32 s13, 1
	s_cbranch_scc0 .LBB105_328
; %bb.324:
	s_cmp_eq_u32 s13, 2
	s_cbranch_scc0 .LBB105_538
; %bb.325:
	s_waitcnt vmcnt(0)
	v_cmp_le_f32_e64 s[10:11], v24, v31
	s_mov_b64 s[14:15], 0
	s_branch .LBB105_330
.LBB105_326:
	s_waitcnt vmcnt(0)
	v_cmp_lt_f32_e32 vcc, v21, v32
	s_andn2_b64 s[10:11], s[10:11], exec
	s_and_b64 s[14:15], vcc, exec
	s_or_b64 s[10:11], s[10:11], s[14:15]
	s_cbranch_execz .LBB105_319
	s_branch .LBB105_320
.LBB105_327:
                                        ; implicit-def: $sgpr10_sgpr11
	s_mov_b64 s[14:15], 0
	s_cbranch_execnz .LBB105_331
	s_branch .LBB105_332
.LBB105_328:
	s_mov_b64 s[14:15], 0
                                        ; implicit-def: $sgpr10_sgpr11
	s_cbranch_execz .LBB105_330
; %bb.329:
	s_waitcnt vmcnt(0)
	v_cmp_gt_f32_e32 vcc, v24, v31
	s_andn2_b64 s[10:11], s[10:11], exec
	s_and_b64 s[16:17], vcc, exec
	s_or_b64 s[10:11], s[10:11], s[16:17]
.LBB105_330:
	s_branch .LBB105_332
.LBB105_331:
	s_cmp_lg_u32 s13, 0
	s_mov_b64 s[6:7], -1
	s_cselect_b64 s[14:15], -1, 0
.LBB105_332:
	s_andn2_b64 vcc, exec, s[14:15]
	s_cbranch_vccz .LBB105_341
; %bb.333:
	s_andn2_b64 vcc, exec, s[6:7]
	s_cbranch_vccnz .LBB105_335
.LBB105_334:
	s_waitcnt vmcnt(0)
	v_cmp_ge_f32_e32 vcc, v24, v31
	s_andn2_b64 s[6:7], s[10:11], exec
	s_and_b64 s[10:11], vcc, exec
	s_or_b64 s[10:11], s[6:7], s[10:11]
.LBB105_335:
	v_cndmask_b32_e64 v21, 0, 1, s[10:11]
.LBB105_336:
	s_or_b64 exec, exec, s[4:5]
	v_or_b32_e32 v24, 0x500, v0
	v_cmp_gt_i32_e32 vcc, s12, v24
                                        ; implicit-def: $vgpr24
	s_and_saveexec_b64 s[4:5], vcc
	s_cbranch_execz .LBB105_351
; %bb.337:
	s_cmp_lt_i32 s13, 1
	s_mov_b64 s[6:7], 0
	s_cbranch_scc1 .LBB105_342
; %bb.338:
	s_cmp_gt_i32 s13, 1
	s_cbranch_scc0 .LBB105_343
; %bb.339:
	s_cmp_eq_u32 s13, 2
	s_cbranch_scc0 .LBB105_539
; %bb.340:
	s_waitcnt vmcnt(0)
	v_cmp_le_f32_e64 s[10:11], v27, v30
	s_mov_b64 s[14:15], 0
	s_branch .LBB105_345
.LBB105_341:
	s_waitcnt vmcnt(0)
	v_cmp_lt_f32_e32 vcc, v24, v31
	s_andn2_b64 s[10:11], s[10:11], exec
	s_and_b64 s[14:15], vcc, exec
	s_or_b64 s[10:11], s[10:11], s[14:15]
	s_cbranch_execz .LBB105_334
	s_branch .LBB105_335
.LBB105_342:
                                        ; implicit-def: $sgpr10_sgpr11
	s_mov_b64 s[14:15], 0
	s_cbranch_execnz .LBB105_346
	s_branch .LBB105_347
.LBB105_343:
	s_mov_b64 s[14:15], 0
                                        ; implicit-def: $sgpr10_sgpr11
	s_cbranch_execz .LBB105_345
; %bb.344:
	s_waitcnt vmcnt(0)
	v_cmp_gt_f32_e32 vcc, v27, v30
	s_andn2_b64 s[10:11], s[10:11], exec
	s_and_b64 s[16:17], vcc, exec
	s_or_b64 s[10:11], s[10:11], s[16:17]
.LBB105_345:
	s_branch .LBB105_347
.LBB105_346:
	s_cmp_lg_u32 s13, 0
	s_mov_b64 s[6:7], -1
	s_cselect_b64 s[14:15], -1, 0
.LBB105_347:
	s_andn2_b64 vcc, exec, s[14:15]
	s_cbranch_vccz .LBB105_356
; %bb.348:
	s_andn2_b64 vcc, exec, s[6:7]
	s_cbranch_vccnz .LBB105_350
.LBB105_349:
	s_waitcnt vmcnt(0)
	v_cmp_ge_f32_e32 vcc, v27, v30
	s_andn2_b64 s[6:7], s[10:11], exec
	s_and_b64 s[10:11], vcc, exec
	s_or_b64 s[10:11], s[6:7], s[10:11]
.LBB105_350:
	v_cndmask_b32_e64 v24, 0, 1, s[10:11]
.LBB105_351:
	s_or_b64 exec, exec, s[4:5]
	v_or_b32_e32 v27, 0x600, v0
	v_cmp_gt_i32_e32 vcc, s12, v27
                                        ; implicit-def: $vgpr27
	s_and_saveexec_b64 s[4:5], vcc
	s_cbranch_execz .LBB105_366
; %bb.352:
	s_cmp_lt_i32 s13, 1
	s_mov_b64 s[6:7], 0
	s_cbranch_scc1 .LBB105_357
; %bb.353:
	s_cmp_gt_i32 s13, 1
	s_cbranch_scc0 .LBB105_358
; %bb.354:
	s_cmp_eq_u32 s13, 2
	s_cbranch_scc0 .LBB105_540
; %bb.355:
	s_waitcnt vmcnt(0)
	v_cmp_le_f32_e64 s[10:11], v28, v29
	s_mov_b64 s[14:15], 0
	s_branch .LBB105_360
.LBB105_356:
	s_waitcnt vmcnt(0)
	v_cmp_lt_f32_e32 vcc, v27, v30
	s_andn2_b64 s[10:11], s[10:11], exec
	s_and_b64 s[14:15], vcc, exec
	s_or_b64 s[10:11], s[10:11], s[14:15]
	s_cbranch_execz .LBB105_349
	s_branch .LBB105_350
.LBB105_357:
                                        ; implicit-def: $sgpr10_sgpr11
	s_mov_b64 s[14:15], 0
	s_cbranch_execnz .LBB105_361
	s_branch .LBB105_362
.LBB105_358:
	s_mov_b64 s[14:15], 0
                                        ; implicit-def: $sgpr10_sgpr11
	s_cbranch_execz .LBB105_360
; %bb.359:
	s_waitcnt vmcnt(0)
	v_cmp_gt_f32_e32 vcc, v28, v29
	s_andn2_b64 s[10:11], s[10:11], exec
	s_and_b64 s[16:17], vcc, exec
	s_or_b64 s[10:11], s[10:11], s[16:17]
.LBB105_360:
	s_branch .LBB105_362
.LBB105_361:
	s_cmp_lg_u32 s13, 0
	s_mov_b64 s[6:7], -1
	s_cselect_b64 s[14:15], -1, 0
.LBB105_362:
	s_andn2_b64 vcc, exec, s[14:15]
	s_cbranch_vccz .LBB105_371
; %bb.363:
	s_andn2_b64 vcc, exec, s[6:7]
	s_cbranch_vccnz .LBB105_365
.LBB105_364:
	s_waitcnt vmcnt(0)
	v_cmp_ge_f32_e32 vcc, v28, v29
	s_andn2_b64 s[6:7], s[10:11], exec
	s_and_b64 s[10:11], vcc, exec
	s_or_b64 s[10:11], s[6:7], s[10:11]
.LBB105_365:
	v_cndmask_b32_e64 v27, 0, 1, s[10:11]
.LBB105_366:
	s_or_b64 exec, exec, s[4:5]
	v_or_b32_e32 v28, 0x700, v0
	v_cmp_gt_i32_e32 vcc, s12, v28
                                        ; implicit-def: $vgpr28
	s_and_saveexec_b64 s[4:5], vcc
	s_cbranch_execz .LBB105_381
; %bb.367:
	s_cmp_lt_i32 s13, 1
	s_mov_b64 s[6:7], 0
	s_cbranch_scc1 .LBB105_372
; %bb.368:
	s_cmp_gt_i32 s13, 1
	s_cbranch_scc0 .LBB105_373
; %bb.369:
	s_cmp_eq_u32 s13, 2
	s_cbranch_scc0 .LBB105_541
; %bb.370:
	s_waitcnt vmcnt(0)
	v_cmp_le_f32_e64 s[10:11], v25, v26
	s_mov_b64 s[14:15], 0
	s_branch .LBB105_375
.LBB105_371:
	s_waitcnt vmcnt(0)
	v_cmp_lt_f32_e32 vcc, v28, v29
	s_andn2_b64 s[10:11], s[10:11], exec
	s_and_b64 s[14:15], vcc, exec
	s_or_b64 s[10:11], s[10:11], s[14:15]
	s_cbranch_execz .LBB105_364
	s_branch .LBB105_365
.LBB105_372:
                                        ; implicit-def: $sgpr10_sgpr11
	s_mov_b64 s[14:15], 0
	s_cbranch_execnz .LBB105_376
	s_branch .LBB105_377
.LBB105_373:
	s_mov_b64 s[14:15], 0
                                        ; implicit-def: $sgpr10_sgpr11
	s_cbranch_execz .LBB105_375
; %bb.374:
	s_waitcnt vmcnt(0)
	v_cmp_gt_f32_e32 vcc, v25, v26
	s_andn2_b64 s[10:11], s[10:11], exec
	s_and_b64 s[16:17], vcc, exec
	s_or_b64 s[10:11], s[10:11], s[16:17]
.LBB105_375:
	s_branch .LBB105_377
.LBB105_376:
	s_cmp_lg_u32 s13, 0
	s_mov_b64 s[6:7], -1
	s_cselect_b64 s[14:15], -1, 0
.LBB105_377:
	s_andn2_b64 vcc, exec, s[14:15]
	s_cbranch_vccz .LBB105_386
; %bb.378:
	s_andn2_b64 vcc, exec, s[6:7]
	s_cbranch_vccnz .LBB105_380
.LBB105_379:
	s_waitcnt vmcnt(0)
	v_cmp_ge_f32_e32 vcc, v25, v26
	s_andn2_b64 s[6:7], s[10:11], exec
	s_and_b64 s[10:11], vcc, exec
	s_or_b64 s[10:11], s[6:7], s[10:11]
.LBB105_380:
	v_cndmask_b32_e64 v28, 0, 1, s[10:11]
.LBB105_381:
	s_or_b64 exec, exec, s[4:5]
	v_or_b32_e32 v25, 0x800, v0
	v_cmp_gt_i32_e32 vcc, s12, v25
                                        ; implicit-def: $vgpr25
	s_and_saveexec_b64 s[4:5], vcc
	s_cbranch_execz .LBB105_396
; %bb.382:
	s_cmp_lt_i32 s13, 1
	s_mov_b64 s[6:7], 0
	s_cbranch_scc1 .LBB105_387
; %bb.383:
	s_cmp_gt_i32 s13, 1
	s_cbranch_scc0 .LBB105_388
; %bb.384:
	s_cmp_eq_u32 s13, 2
	s_cbranch_scc0 .LBB105_542
; %bb.385:
	s_waitcnt vmcnt(0)
	v_cmp_le_f32_e64 s[10:11], v22, v23
	s_mov_b64 s[14:15], 0
	s_branch .LBB105_390
.LBB105_386:
	s_waitcnt vmcnt(0)
	v_cmp_lt_f32_e32 vcc, v25, v26
	s_andn2_b64 s[10:11], s[10:11], exec
	s_and_b64 s[14:15], vcc, exec
	s_or_b64 s[10:11], s[10:11], s[14:15]
	s_cbranch_execz .LBB105_379
	s_branch .LBB105_380
.LBB105_387:
                                        ; implicit-def: $sgpr10_sgpr11
	s_mov_b64 s[14:15], 0
	s_cbranch_execnz .LBB105_391
	s_branch .LBB105_392
.LBB105_388:
	s_mov_b64 s[14:15], 0
                                        ; implicit-def: $sgpr10_sgpr11
	s_cbranch_execz .LBB105_390
; %bb.389:
	s_waitcnt vmcnt(0)
	v_cmp_gt_f32_e32 vcc, v22, v23
	s_andn2_b64 s[10:11], s[10:11], exec
	s_and_b64 s[16:17], vcc, exec
	s_or_b64 s[10:11], s[10:11], s[16:17]
.LBB105_390:
	s_branch .LBB105_392
.LBB105_391:
	s_cmp_lg_u32 s13, 0
	s_mov_b64 s[6:7], -1
	s_cselect_b64 s[14:15], -1, 0
.LBB105_392:
	s_andn2_b64 vcc, exec, s[14:15]
	s_cbranch_vccz .LBB105_401
; %bb.393:
	s_andn2_b64 vcc, exec, s[6:7]
	s_cbranch_vccnz .LBB105_395
.LBB105_394:
	s_waitcnt vmcnt(0)
	v_cmp_ge_f32_e32 vcc, v22, v23
	s_andn2_b64 s[6:7], s[10:11], exec
	s_and_b64 s[10:11], vcc, exec
	s_or_b64 s[10:11], s[6:7], s[10:11]
.LBB105_395:
	v_cndmask_b32_e64 v25, 0, 1, s[10:11]
.LBB105_396:
	s_or_b64 exec, exec, s[4:5]
	v_or_b32_e32 v22, 0x900, v0
	v_cmp_gt_i32_e32 vcc, s12, v22
                                        ; implicit-def: $vgpr22
	s_and_saveexec_b64 s[4:5], vcc
	s_cbranch_execz .LBB105_411
; %bb.397:
	s_cmp_lt_i32 s13, 1
	s_mov_b64 s[6:7], 0
	s_cbranch_scc1 .LBB105_402
; %bb.398:
	s_cmp_gt_i32 s13, 1
	s_cbranch_scc0 .LBB105_403
; %bb.399:
	s_cmp_eq_u32 s13, 2
	s_cbranch_scc0 .LBB105_543
; %bb.400:
	s_waitcnt vmcnt(0)
	v_cmp_le_f32_e64 s[10:11], v19, v20
	s_mov_b64 s[14:15], 0
	s_branch .LBB105_405
.LBB105_401:
	s_waitcnt vmcnt(0)
	v_cmp_lt_f32_e32 vcc, v22, v23
	s_andn2_b64 s[10:11], s[10:11], exec
	s_and_b64 s[14:15], vcc, exec
	s_or_b64 s[10:11], s[10:11], s[14:15]
	s_cbranch_execz .LBB105_394
	s_branch .LBB105_395
.LBB105_402:
                                        ; implicit-def: $sgpr10_sgpr11
	s_mov_b64 s[14:15], 0
	s_cbranch_execnz .LBB105_406
	s_branch .LBB105_407
.LBB105_403:
	s_mov_b64 s[14:15], 0
                                        ; implicit-def: $sgpr10_sgpr11
	s_cbranch_execz .LBB105_405
; %bb.404:
	s_waitcnt vmcnt(0)
	v_cmp_gt_f32_e32 vcc, v19, v20
	s_andn2_b64 s[10:11], s[10:11], exec
	s_and_b64 s[16:17], vcc, exec
	s_or_b64 s[10:11], s[10:11], s[16:17]
.LBB105_405:
	s_branch .LBB105_407
.LBB105_406:
	s_cmp_lg_u32 s13, 0
	s_mov_b64 s[6:7], -1
	s_cselect_b64 s[14:15], -1, 0
.LBB105_407:
	s_andn2_b64 vcc, exec, s[14:15]
	s_cbranch_vccz .LBB105_416
; %bb.408:
	s_andn2_b64 vcc, exec, s[6:7]
	s_cbranch_vccnz .LBB105_410
.LBB105_409:
	s_waitcnt vmcnt(0)
	v_cmp_ge_f32_e32 vcc, v19, v20
	s_andn2_b64 s[6:7], s[10:11], exec
	s_and_b64 s[10:11], vcc, exec
	s_or_b64 s[10:11], s[6:7], s[10:11]
.LBB105_410:
	v_cndmask_b32_e64 v22, 0, 1, s[10:11]
.LBB105_411:
	s_or_b64 exec, exec, s[4:5]
	v_or_b32_e32 v19, 0xa00, v0
	v_cmp_gt_i32_e32 vcc, s12, v19
                                        ; implicit-def: $vgpr19
	s_and_saveexec_b64 s[4:5], vcc
	s_cbranch_execz .LBB105_426
; %bb.412:
	s_cmp_lt_i32 s13, 1
	s_mov_b64 s[6:7], 0
	s_cbranch_scc1 .LBB105_417
; %bb.413:
	s_cmp_gt_i32 s13, 1
	s_cbranch_scc0 .LBB105_418
; %bb.414:
	s_cmp_eq_u32 s13, 2
	s_cbranch_scc0 .LBB105_544
; %bb.415:
	s_waitcnt vmcnt(0)
	v_cmp_le_f32_e64 s[10:11], v17, v18
	s_mov_b64 s[14:15], 0
	s_branch .LBB105_420
.LBB105_416:
	s_waitcnt vmcnt(0)
	v_cmp_lt_f32_e32 vcc, v19, v20
	s_andn2_b64 s[10:11], s[10:11], exec
	s_and_b64 s[14:15], vcc, exec
	s_or_b64 s[10:11], s[10:11], s[14:15]
	s_cbranch_execz .LBB105_409
	s_branch .LBB105_410
.LBB105_417:
                                        ; implicit-def: $sgpr10_sgpr11
	s_mov_b64 s[14:15], 0
	s_cbranch_execnz .LBB105_421
	s_branch .LBB105_422
.LBB105_418:
	s_mov_b64 s[14:15], 0
                                        ; implicit-def: $sgpr10_sgpr11
	s_cbranch_execz .LBB105_420
; %bb.419:
	s_waitcnt vmcnt(0)
	v_cmp_gt_f32_e32 vcc, v17, v18
	s_andn2_b64 s[10:11], s[10:11], exec
	s_and_b64 s[16:17], vcc, exec
	s_or_b64 s[10:11], s[10:11], s[16:17]
.LBB105_420:
	s_branch .LBB105_422
.LBB105_421:
	s_cmp_lg_u32 s13, 0
	s_mov_b64 s[6:7], -1
	s_cselect_b64 s[14:15], -1, 0
.LBB105_422:
	s_andn2_b64 vcc, exec, s[14:15]
	s_cbranch_vccz .LBB105_431
; %bb.423:
	s_andn2_b64 vcc, exec, s[6:7]
	s_cbranch_vccnz .LBB105_425
.LBB105_424:
	s_waitcnt vmcnt(0)
	v_cmp_ge_f32_e32 vcc, v17, v18
	s_andn2_b64 s[6:7], s[10:11], exec
	s_and_b64 s[10:11], vcc, exec
	s_or_b64 s[10:11], s[6:7], s[10:11]
.LBB105_425:
	v_cndmask_b32_e64 v19, 0, 1, s[10:11]
.LBB105_426:
	s_or_b64 exec, exec, s[4:5]
	v_or_b32_e32 v17, 0xb00, v0
	v_cmp_gt_i32_e32 vcc, s12, v17
                                        ; implicit-def: $vgpr17
	s_and_saveexec_b64 s[4:5], vcc
	s_cbranch_execz .LBB105_441
; %bb.427:
	s_cmp_lt_i32 s13, 1
	s_mov_b64 s[6:7], 0
	s_cbranch_scc1 .LBB105_432
; %bb.428:
	s_cmp_gt_i32 s13, 1
	s_cbranch_scc0 .LBB105_433
; %bb.429:
	s_cmp_eq_u32 s13, 2
	s_cbranch_scc0 .LBB105_545
; %bb.430:
	s_waitcnt vmcnt(0)
	v_cmp_le_f32_e64 s[10:11], v13, v15
	s_mov_b64 s[14:15], 0
	s_branch .LBB105_435
.LBB105_431:
	s_waitcnt vmcnt(0)
	v_cmp_lt_f32_e32 vcc, v17, v18
	s_andn2_b64 s[10:11], s[10:11], exec
	s_and_b64 s[14:15], vcc, exec
	s_or_b64 s[10:11], s[10:11], s[14:15]
	s_cbranch_execz .LBB105_424
	s_branch .LBB105_425
.LBB105_432:
                                        ; implicit-def: $sgpr10_sgpr11
	s_mov_b64 s[14:15], 0
	s_cbranch_execnz .LBB105_436
	s_branch .LBB105_437
.LBB105_433:
	s_mov_b64 s[14:15], 0
                                        ; implicit-def: $sgpr10_sgpr11
	s_cbranch_execz .LBB105_435
; %bb.434:
	s_waitcnt vmcnt(0)
	v_cmp_gt_f32_e32 vcc, v13, v15
	s_andn2_b64 s[10:11], s[10:11], exec
	s_and_b64 s[16:17], vcc, exec
	s_or_b64 s[10:11], s[10:11], s[16:17]
.LBB105_435:
	s_branch .LBB105_437
.LBB105_436:
	s_cmp_lg_u32 s13, 0
	s_mov_b64 s[6:7], -1
	s_cselect_b64 s[14:15], -1, 0
.LBB105_437:
	s_andn2_b64 vcc, exec, s[14:15]
	s_cbranch_vccz .LBB105_446
; %bb.438:
	s_andn2_b64 vcc, exec, s[6:7]
	s_cbranch_vccnz .LBB105_440
.LBB105_439:
	s_waitcnt vmcnt(0)
	v_cmp_ge_f32_e32 vcc, v13, v15
	s_andn2_b64 s[6:7], s[10:11], exec
	s_and_b64 s[10:11], vcc, exec
	s_or_b64 s[10:11], s[6:7], s[10:11]
.LBB105_440:
	v_cndmask_b32_e64 v17, 0, 1, s[10:11]
.LBB105_441:
	s_or_b64 exec, exec, s[4:5]
	v_or_b32_e32 v13, 0xc00, v0
	v_cmp_gt_i32_e32 vcc, s12, v13
                                        ; implicit-def: $vgpr13
	s_and_saveexec_b64 s[4:5], vcc
	s_cbranch_execz .LBB105_456
; %bb.442:
	s_cmp_lt_i32 s13, 1
	s_mov_b64 s[6:7], 0
	s_cbranch_scc1 .LBB105_447
; %bb.443:
	s_cmp_gt_i32 s13, 1
	s_cbranch_scc0 .LBB105_448
; %bb.444:
	s_cmp_eq_u32 s13, 2
	s_cbranch_scc0 .LBB105_546
; %bb.445:
	s_waitcnt vmcnt(0)
	v_cmp_le_f32_e64 s[10:11], v11, v12
	s_mov_b64 s[14:15], 0
	s_branch .LBB105_450
.LBB105_446:
	s_waitcnt vmcnt(0)
	v_cmp_lt_f32_e32 vcc, v13, v15
	s_andn2_b64 s[10:11], s[10:11], exec
	s_and_b64 s[14:15], vcc, exec
	s_or_b64 s[10:11], s[10:11], s[14:15]
	s_cbranch_execz .LBB105_439
	s_branch .LBB105_440
.LBB105_447:
                                        ; implicit-def: $sgpr10_sgpr11
	s_mov_b64 s[14:15], 0
	s_cbranch_execnz .LBB105_451
	s_branch .LBB105_452
.LBB105_448:
	s_mov_b64 s[14:15], 0
                                        ; implicit-def: $sgpr10_sgpr11
	s_cbranch_execz .LBB105_450
; %bb.449:
	s_waitcnt vmcnt(0)
	v_cmp_gt_f32_e32 vcc, v11, v12
	s_andn2_b64 s[10:11], s[10:11], exec
	s_and_b64 s[16:17], vcc, exec
	s_or_b64 s[10:11], s[10:11], s[16:17]
.LBB105_450:
	s_branch .LBB105_452
.LBB105_451:
	s_cmp_lg_u32 s13, 0
	s_mov_b64 s[6:7], -1
	s_cselect_b64 s[14:15], -1, 0
.LBB105_452:
	s_andn2_b64 vcc, exec, s[14:15]
	s_cbranch_vccz .LBB105_461
; %bb.453:
	s_andn2_b64 vcc, exec, s[6:7]
	s_cbranch_vccnz .LBB105_455
.LBB105_454:
	s_waitcnt vmcnt(0)
	v_cmp_ge_f32_e32 vcc, v11, v12
	s_andn2_b64 s[6:7], s[10:11], exec
	s_and_b64 s[10:11], vcc, exec
	s_or_b64 s[10:11], s[6:7], s[10:11]
.LBB105_455:
	v_cndmask_b32_e64 v13, 0, 1, s[10:11]
.LBB105_456:
	s_or_b64 exec, exec, s[4:5]
	v_or_b32_e32 v11, 0xd00, v0
	v_cmp_gt_i32_e32 vcc, s12, v11
                                        ; implicit-def: $vgpr11
	s_and_saveexec_b64 s[4:5], vcc
	s_cbranch_execz .LBB105_471
; %bb.457:
	s_cmp_lt_i32 s13, 1
	s_mov_b64 s[6:7], 0
	s_cbranch_scc1 .LBB105_462
; %bb.458:
	s_cmp_gt_i32 s13, 1
	s_cbranch_scc0 .LBB105_463
; %bb.459:
	s_cmp_eq_u32 s13, 2
	s_cbranch_scc0 .LBB105_547
; %bb.460:
	s_waitcnt vmcnt(0)
	v_cmp_le_f32_e64 s[10:11], v8, v9
	s_mov_b64 s[14:15], 0
	s_branch .LBB105_465
.LBB105_461:
	s_waitcnt vmcnt(0)
	v_cmp_lt_f32_e32 vcc, v11, v12
	s_andn2_b64 s[10:11], s[10:11], exec
	s_and_b64 s[14:15], vcc, exec
	s_or_b64 s[10:11], s[10:11], s[14:15]
	s_cbranch_execz .LBB105_454
	s_branch .LBB105_455
.LBB105_462:
                                        ; implicit-def: $sgpr10_sgpr11
	s_mov_b64 s[14:15], 0
	s_cbranch_execnz .LBB105_466
	s_branch .LBB105_467
.LBB105_463:
	s_mov_b64 s[14:15], 0
                                        ; implicit-def: $sgpr10_sgpr11
	s_cbranch_execz .LBB105_465
; %bb.464:
	s_waitcnt vmcnt(0)
	v_cmp_gt_f32_e32 vcc, v8, v9
	s_andn2_b64 s[10:11], s[10:11], exec
	s_and_b64 s[16:17], vcc, exec
	s_or_b64 s[10:11], s[10:11], s[16:17]
.LBB105_465:
	s_branch .LBB105_467
.LBB105_466:
	s_cmp_lg_u32 s13, 0
	s_mov_b64 s[6:7], -1
	s_cselect_b64 s[14:15], -1, 0
.LBB105_467:
	s_andn2_b64 vcc, exec, s[14:15]
	s_cbranch_vccz .LBB105_476
; %bb.468:
	s_andn2_b64 vcc, exec, s[6:7]
	s_cbranch_vccnz .LBB105_470
.LBB105_469:
	s_waitcnt vmcnt(0)
	v_cmp_ge_f32_e32 vcc, v8, v9
	s_andn2_b64 s[6:7], s[10:11], exec
	s_and_b64 s[10:11], vcc, exec
	s_or_b64 s[10:11], s[6:7], s[10:11]
.LBB105_470:
	v_cndmask_b32_e64 v11, 0, 1, s[10:11]
.LBB105_471:
	s_or_b64 exec, exec, s[4:5]
	v_or_b32_e32 v8, 0xe00, v0
	v_cmp_gt_i32_e32 vcc, s12, v8
                                        ; implicit-def: $vgpr8
	s_and_saveexec_b64 s[4:5], vcc
	s_cbranch_execz .LBB105_486
; %bb.472:
	s_cmp_lt_i32 s13, 1
	s_mov_b64 s[6:7], 0
	s_cbranch_scc1 .LBB105_477
; %bb.473:
	s_cmp_gt_i32 s13, 1
	s_cbranch_scc0 .LBB105_478
; %bb.474:
	s_cmp_eq_u32 s13, 2
	s_cbranch_scc0 .LBB105_548
; %bb.475:
	s_waitcnt vmcnt(0)
	v_cmp_le_f32_e64 s[10:11], v4, v5
	s_mov_b64 s[14:15], 0
	s_branch .LBB105_480
.LBB105_476:
	s_waitcnt vmcnt(0)
	v_cmp_lt_f32_e32 vcc, v8, v9
	s_andn2_b64 s[10:11], s[10:11], exec
	s_and_b64 s[14:15], vcc, exec
	s_or_b64 s[10:11], s[10:11], s[14:15]
	s_cbranch_execz .LBB105_469
	s_branch .LBB105_470
.LBB105_477:
                                        ; implicit-def: $sgpr10_sgpr11
	s_mov_b64 s[14:15], 0
	s_cbranch_execnz .LBB105_481
	s_branch .LBB105_482
.LBB105_478:
	s_mov_b64 s[14:15], 0
                                        ; implicit-def: $sgpr10_sgpr11
	s_cbranch_execz .LBB105_480
; %bb.479:
	s_waitcnt vmcnt(0)
	v_cmp_gt_f32_e32 vcc, v4, v5
	s_andn2_b64 s[10:11], s[10:11], exec
	s_and_b64 s[16:17], vcc, exec
	s_or_b64 s[10:11], s[10:11], s[16:17]
.LBB105_480:
	s_branch .LBB105_482
.LBB105_481:
	s_cmp_lg_u32 s13, 0
	s_mov_b64 s[6:7], -1
	s_cselect_b64 s[14:15], -1, 0
.LBB105_482:
	s_andn2_b64 vcc, exec, s[14:15]
	s_cbranch_vccz .LBB105_491
; %bb.483:
	s_andn2_b64 vcc, exec, s[6:7]
	s_cbranch_vccnz .LBB105_485
.LBB105_484:
	s_waitcnt vmcnt(0)
	v_cmp_ge_f32_e32 vcc, v4, v5
	s_andn2_b64 s[6:7], s[10:11], exec
	s_and_b64 s[10:11], vcc, exec
	s_or_b64 s[10:11], s[6:7], s[10:11]
.LBB105_485:
	v_cndmask_b32_e64 v8, 0, 1, s[10:11]
.LBB105_486:
	s_or_b64 exec, exec, s[4:5]
	v_or_b32_e32 v4, 0xf00, v0
	v_cmp_gt_i32_e32 vcc, s12, v4
                                        ; implicit-def: $vgpr4
	s_and_saveexec_b64 s[4:5], vcc
	s_cbranch_execz .LBB105_501
; %bb.487:
	s_cmp_lt_i32 s13, 1
	s_mov_b64 s[6:7], 0
	s_cbranch_scc1 .LBB105_492
; %bb.488:
	s_cmp_gt_i32 s13, 1
	s_cbranch_scc0 .LBB105_493
; %bb.489:
	s_cmp_eq_u32 s13, 2
	s_cbranch_scc0 .LBB105_549
; %bb.490:
	s_waitcnt vmcnt(0)
	v_cmp_le_f32_e64 s[10:11], v2, v3
	s_mov_b64 s[14:15], 0
	s_branch .LBB105_495
.LBB105_491:
	s_waitcnt vmcnt(0)
	v_cmp_lt_f32_e32 vcc, v4, v5
	s_andn2_b64 s[10:11], s[10:11], exec
	s_and_b64 s[14:15], vcc, exec
	s_or_b64 s[10:11], s[10:11], s[14:15]
	s_cbranch_execz .LBB105_484
	s_branch .LBB105_485
.LBB105_492:
                                        ; implicit-def: $sgpr10_sgpr11
	s_mov_b64 s[14:15], 0
	s_cbranch_execnz .LBB105_496
	s_branch .LBB105_497
.LBB105_493:
	s_mov_b64 s[14:15], 0
                                        ; implicit-def: $sgpr10_sgpr11
	s_cbranch_execz .LBB105_495
; %bb.494:
	s_waitcnt vmcnt(0)
	v_cmp_gt_f32_e32 vcc, v2, v3
	s_andn2_b64 s[10:11], s[10:11], exec
	s_and_b64 s[16:17], vcc, exec
	s_or_b64 s[10:11], s[10:11], s[16:17]
.LBB105_495:
	s_branch .LBB105_497
.LBB105_496:
	s_cmp_lg_u32 s13, 0
	s_mov_b64 s[6:7], -1
	s_cselect_b64 s[14:15], -1, 0
.LBB105_497:
	s_andn2_b64 vcc, exec, s[14:15]
	s_cbranch_vccz .LBB105_534
; %bb.498:
	s_andn2_b64 vcc, exec, s[6:7]
	s_cbranch_vccnz .LBB105_500
.LBB105_499:
	s_waitcnt vmcnt(0)
	v_cmp_ge_f32_e32 vcc, v2, v3
	s_andn2_b64 s[6:7], s[10:11], exec
	s_and_b64 s[10:11], vcc, exec
	s_or_b64 s[10:11], s[6:7], s[10:11]
.LBB105_500:
	v_cndmask_b32_e64 v4, 0, 1, s[10:11]
.LBB105_501:
	s_or_b64 exec, exec, s[4:5]
	s_and_saveexec_b64 s[4:5], s[0:1]
	s_xor_b64 s[0:1], exec, s[4:5]
	s_cbranch_execz .LBB105_503
; %bb.502:
	v_mov_b32_e32 v0, v7
	global_store_byte v1, v6, s[8:9]
.LBB105_503:
	s_or_b64 exec, exec, s[0:1]
	v_cmp_gt_i32_e32 vcc, s12, v0
	s_and_saveexec_b64 s[0:1], vcc
	s_cbranch_execnz .LBB105_520
; %bb.504:
	s_or_b64 exec, exec, s[0:1]
	v_cmp_gt_i32_e32 vcc, s12, v0
	s_and_saveexec_b64 s[0:1], vcc
	s_cbranch_execnz .LBB105_521
.LBB105_505:
	s_or_b64 exec, exec, s[0:1]
	v_cmp_gt_i32_e32 vcc, s12, v0
	s_and_saveexec_b64 s[0:1], vcc
	s_cbranch_execnz .LBB105_522
.LBB105_506:
	s_or_b64 exec, exec, s[0:1]
	v_cmp_gt_i32_e32 vcc, s12, v0
	s_and_saveexec_b64 s[0:1], vcc
	s_cbranch_execnz .LBB105_523
.LBB105_507:
	s_or_b64 exec, exec, s[0:1]
	v_cmp_gt_i32_e32 vcc, s12, v0
	s_and_saveexec_b64 s[0:1], vcc
	s_cbranch_execnz .LBB105_524
.LBB105_508:
	s_or_b64 exec, exec, s[0:1]
	v_cmp_gt_i32_e32 vcc, s12, v0
	s_and_saveexec_b64 s[0:1], vcc
	s_cbranch_execnz .LBB105_525
.LBB105_509:
	s_or_b64 exec, exec, s[0:1]
	v_cmp_gt_i32_e32 vcc, s12, v0
	s_and_saveexec_b64 s[0:1], vcc
	s_cbranch_execnz .LBB105_526
.LBB105_510:
	s_or_b64 exec, exec, s[0:1]
	v_cmp_gt_i32_e32 vcc, s12, v0
	s_and_saveexec_b64 s[0:1], vcc
	s_cbranch_execnz .LBB105_527
.LBB105_511:
	s_or_b64 exec, exec, s[0:1]
	v_cmp_gt_i32_e32 vcc, s12, v0
	s_and_saveexec_b64 s[0:1], vcc
	s_cbranch_execnz .LBB105_528
.LBB105_512:
	s_or_b64 exec, exec, s[0:1]
	v_cmp_gt_i32_e32 vcc, s12, v0
	s_and_saveexec_b64 s[0:1], vcc
	s_cbranch_execnz .LBB105_529
.LBB105_513:
	s_or_b64 exec, exec, s[0:1]
	v_cmp_gt_i32_e32 vcc, s12, v0
	s_and_saveexec_b64 s[0:1], vcc
	s_cbranch_execnz .LBB105_530
.LBB105_514:
	s_or_b64 exec, exec, s[0:1]
	v_cmp_gt_i32_e32 vcc, s12, v0
	s_and_saveexec_b64 s[0:1], vcc
	s_cbranch_execnz .LBB105_531
.LBB105_515:
	s_or_b64 exec, exec, s[0:1]
	v_cmp_gt_i32_e32 vcc, s12, v0
	s_and_saveexec_b64 s[0:1], vcc
	s_cbranch_execnz .LBB105_532
.LBB105_516:
	s_or_b64 exec, exec, s[0:1]
	v_cmp_gt_i32_e32 vcc, s12, v0
	s_and_saveexec_b64 s[0:1], vcc
	s_cbranch_execnz .LBB105_533
.LBB105_517:
	s_or_b64 exec, exec, s[0:1]
	v_cmp_gt_i32_e32 vcc, s12, v0
	s_and_saveexec_b64 s[0:1], vcc
	s_cbranch_execz .LBB105_519
.LBB105_518:
	v_add_u32_e32 v0, s2, v0
	global_store_byte v0, v4, s[8:9]
.LBB105_519:
	s_endpgm
.LBB105_520:
	v_add_u32_e32 v1, s2, v0
	v_add_u32_e32 v0, 0x100, v0
	s_waitcnt vmcnt(0)
	global_store_byte v1, v10, s[8:9]
	s_or_b64 exec, exec, s[0:1]
	v_cmp_gt_i32_e32 vcc, s12, v0
	s_and_saveexec_b64 s[0:1], vcc
	s_cbranch_execz .LBB105_505
.LBB105_521:
	v_add_u32_e32 v1, s2, v0
	v_add_u32_e32 v0, 0x100, v0
	global_store_byte v1, v14, s[8:9]
	s_or_b64 exec, exec, s[0:1]
	v_cmp_gt_i32_e32 vcc, s12, v0
	s_and_saveexec_b64 s[0:1], vcc
	s_cbranch_execz .LBB105_506
.LBB105_522:
	v_add_u32_e32 v1, s2, v0
	v_add_u32_e32 v0, 0x100, v0
	global_store_byte v1, v16, s[8:9]
	s_or_b64 exec, exec, s[0:1]
	v_cmp_gt_i32_e32 vcc, s12, v0
	s_and_saveexec_b64 s[0:1], vcc
	s_cbranch_execz .LBB105_507
.LBB105_523:
	v_add_u32_e32 v1, s2, v0
	v_add_u32_e32 v0, 0x100, v0
	global_store_byte v1, v21, s[8:9]
	s_or_b64 exec, exec, s[0:1]
	v_cmp_gt_i32_e32 vcc, s12, v0
	s_and_saveexec_b64 s[0:1], vcc
	s_cbranch_execz .LBB105_508
.LBB105_524:
	v_add_u32_e32 v1, s2, v0
	v_add_u32_e32 v0, 0x100, v0
	global_store_byte v1, v24, s[8:9]
	s_or_b64 exec, exec, s[0:1]
	v_cmp_gt_i32_e32 vcc, s12, v0
	s_and_saveexec_b64 s[0:1], vcc
	s_cbranch_execz .LBB105_509
.LBB105_525:
	v_add_u32_e32 v1, s2, v0
	v_add_u32_e32 v0, 0x100, v0
	global_store_byte v1, v27, s[8:9]
	s_or_b64 exec, exec, s[0:1]
	v_cmp_gt_i32_e32 vcc, s12, v0
	s_and_saveexec_b64 s[0:1], vcc
	s_cbranch_execz .LBB105_510
.LBB105_526:
	v_add_u32_e32 v1, s2, v0
	v_add_u32_e32 v0, 0x100, v0
	global_store_byte v1, v28, s[8:9]
	s_or_b64 exec, exec, s[0:1]
	v_cmp_gt_i32_e32 vcc, s12, v0
	s_and_saveexec_b64 s[0:1], vcc
	s_cbranch_execz .LBB105_511
.LBB105_527:
	v_add_u32_e32 v1, s2, v0
	v_add_u32_e32 v0, 0x100, v0
	global_store_byte v1, v25, s[8:9]
	s_or_b64 exec, exec, s[0:1]
	v_cmp_gt_i32_e32 vcc, s12, v0
	s_and_saveexec_b64 s[0:1], vcc
	s_cbranch_execz .LBB105_512
.LBB105_528:
	v_add_u32_e32 v1, s2, v0
	v_add_u32_e32 v0, 0x100, v0
	global_store_byte v1, v22, s[8:9]
	s_or_b64 exec, exec, s[0:1]
	v_cmp_gt_i32_e32 vcc, s12, v0
	s_and_saveexec_b64 s[0:1], vcc
	s_cbranch_execz .LBB105_513
.LBB105_529:
	v_add_u32_e32 v1, s2, v0
	v_add_u32_e32 v0, 0x100, v0
	global_store_byte v1, v19, s[8:9]
	s_or_b64 exec, exec, s[0:1]
	v_cmp_gt_i32_e32 vcc, s12, v0
	s_and_saveexec_b64 s[0:1], vcc
	s_cbranch_execz .LBB105_514
.LBB105_530:
	v_add_u32_e32 v1, s2, v0
	v_add_u32_e32 v0, 0x100, v0
	global_store_byte v1, v17, s[8:9]
	s_or_b64 exec, exec, s[0:1]
	v_cmp_gt_i32_e32 vcc, s12, v0
	s_and_saveexec_b64 s[0:1], vcc
	s_cbranch_execz .LBB105_515
.LBB105_531:
	v_add_u32_e32 v1, s2, v0
	v_add_u32_e32 v0, 0x100, v0
	global_store_byte v1, v13, s[8:9]
	s_or_b64 exec, exec, s[0:1]
	v_cmp_gt_i32_e32 vcc, s12, v0
	s_and_saveexec_b64 s[0:1], vcc
	s_cbranch_execz .LBB105_516
.LBB105_532:
	v_add_u32_e32 v1, s2, v0
	v_add_u32_e32 v0, 0x100, v0
	global_store_byte v1, v11, s[8:9]
	s_or_b64 exec, exec, s[0:1]
	v_cmp_gt_i32_e32 vcc, s12, v0
	s_and_saveexec_b64 s[0:1], vcc
	s_cbranch_execz .LBB105_517
.LBB105_533:
	v_add_u32_e32 v1, s2, v0
	v_add_u32_e32 v0, 0x100, v0
	global_store_byte v1, v8, s[8:9]
	s_or_b64 exec, exec, s[0:1]
	v_cmp_gt_i32_e32 vcc, s12, v0
	s_and_saveexec_b64 s[0:1], vcc
	s_cbranch_execnz .LBB105_518
	s_branch .LBB105_519
.LBB105_534:
	s_waitcnt vmcnt(0)
	v_cmp_lt_f32_e32 vcc, v2, v3
	s_andn2_b64 s[10:11], s[10:11], exec
	s_and_b64 s[14:15], vcc, exec
	s_or_b64 s[10:11], s[10:11], s[14:15]
	s_cbranch_execz .LBB105_499
	s_branch .LBB105_500
.LBB105_535:
	s_mov_b64 s[14:15], -1
                                        ; implicit-def: $sgpr10_sgpr11
	s_branch .LBB105_285
.LBB105_536:
	s_mov_b64 s[14:15], -1
                                        ; implicit-def: $sgpr10_sgpr11
	s_branch .LBB105_300
.LBB105_537:
	s_mov_b64 s[14:15], -1
                                        ; implicit-def: $sgpr10_sgpr11
	s_branch .LBB105_315
.LBB105_538:
	s_mov_b64 s[14:15], -1
                                        ; implicit-def: $sgpr10_sgpr11
	s_branch .LBB105_330
.LBB105_539:
	s_mov_b64 s[14:15], -1
                                        ; implicit-def: $sgpr10_sgpr11
	s_branch .LBB105_345
.LBB105_540:
	s_mov_b64 s[14:15], -1
                                        ; implicit-def: $sgpr10_sgpr11
	s_branch .LBB105_360
.LBB105_541:
	s_mov_b64 s[14:15], -1
                                        ; implicit-def: $sgpr10_sgpr11
	s_branch .LBB105_375
.LBB105_542:
	s_mov_b64 s[14:15], -1
                                        ; implicit-def: $sgpr10_sgpr11
	s_branch .LBB105_390
.LBB105_543:
	s_mov_b64 s[14:15], -1
                                        ; implicit-def: $sgpr10_sgpr11
	s_branch .LBB105_405
.LBB105_544:
	s_mov_b64 s[14:15], -1
                                        ; implicit-def: $sgpr10_sgpr11
	s_branch .LBB105_420
.LBB105_545:
	s_mov_b64 s[14:15], -1
                                        ; implicit-def: $sgpr10_sgpr11
	s_branch .LBB105_435
.LBB105_546:
	s_mov_b64 s[14:15], -1
                                        ; implicit-def: $sgpr10_sgpr11
	s_branch .LBB105_450
.LBB105_547:
	s_mov_b64 s[14:15], -1
                                        ; implicit-def: $sgpr10_sgpr11
	s_branch .LBB105_465
.LBB105_548:
	s_mov_b64 s[14:15], -1
                                        ; implicit-def: $sgpr10_sgpr11
	s_branch .LBB105_480
.LBB105_549:
	s_mov_b64 s[14:15], -1
                                        ; implicit-def: $sgpr10_sgpr11
	s_branch .LBB105_495
	.section	.rodata,"a",@progbits
	.p2align	6, 0x0
	.amdhsa_kernel _ZN2at6native29vectorized_elementwise_kernelILi8ENS0_12_GLOBAL__N_114CompareFunctorIfEESt5arrayIPcLm3EEEEviT0_T1_
		.amdhsa_group_segment_fixed_size 0
		.amdhsa_private_segment_fixed_size 0
		.amdhsa_kernarg_size 32
		.amdhsa_user_sgpr_count 6
		.amdhsa_user_sgpr_private_segment_buffer 1
		.amdhsa_user_sgpr_dispatch_ptr 0
		.amdhsa_user_sgpr_queue_ptr 0
		.amdhsa_user_sgpr_kernarg_segment_ptr 1
		.amdhsa_user_sgpr_dispatch_id 0
		.amdhsa_user_sgpr_flat_scratch_init 0
		.amdhsa_user_sgpr_private_segment_size 0
		.amdhsa_uses_dynamic_stack 0
		.amdhsa_system_sgpr_private_segment_wavefront_offset 0
		.amdhsa_system_sgpr_workgroup_id_x 1
		.amdhsa_system_sgpr_workgroup_id_y 0
		.amdhsa_system_sgpr_workgroup_id_z 0
		.amdhsa_system_sgpr_workgroup_info 0
		.amdhsa_system_vgpr_workitem_id 0
		.amdhsa_next_free_vgpr 39
		.amdhsa_next_free_sgpr 50
		.amdhsa_reserve_vcc 1
		.amdhsa_reserve_flat_scratch 0
		.amdhsa_float_round_mode_32 0
		.amdhsa_float_round_mode_16_64 0
		.amdhsa_float_denorm_mode_32 3
		.amdhsa_float_denorm_mode_16_64 3
		.amdhsa_dx10_clamp 1
		.amdhsa_ieee_mode 1
		.amdhsa_fp16_overflow 0
		.amdhsa_exception_fp_ieee_invalid_op 0
		.amdhsa_exception_fp_denorm_src 0
		.amdhsa_exception_fp_ieee_div_zero 0
		.amdhsa_exception_fp_ieee_overflow 0
		.amdhsa_exception_fp_ieee_underflow 0
		.amdhsa_exception_fp_ieee_inexact 0
		.amdhsa_exception_int_div_zero 0
	.end_amdhsa_kernel
	.section	.text._ZN2at6native29vectorized_elementwise_kernelILi8ENS0_12_GLOBAL__N_114CompareFunctorIfEESt5arrayIPcLm3EEEEviT0_T1_,"axG",@progbits,_ZN2at6native29vectorized_elementwise_kernelILi8ENS0_12_GLOBAL__N_114CompareFunctorIfEESt5arrayIPcLm3EEEEviT0_T1_,comdat
.Lfunc_end105:
	.size	_ZN2at6native29vectorized_elementwise_kernelILi8ENS0_12_GLOBAL__N_114CompareFunctorIfEESt5arrayIPcLm3EEEEviT0_T1_, .Lfunc_end105-_ZN2at6native29vectorized_elementwise_kernelILi8ENS0_12_GLOBAL__N_114CompareFunctorIfEESt5arrayIPcLm3EEEEviT0_T1_
                                        ; -- End function
	.set _ZN2at6native29vectorized_elementwise_kernelILi8ENS0_12_GLOBAL__N_114CompareFunctorIfEESt5arrayIPcLm3EEEEviT0_T1_.num_vgpr, 39
	.set _ZN2at6native29vectorized_elementwise_kernelILi8ENS0_12_GLOBAL__N_114CompareFunctorIfEESt5arrayIPcLm3EEEEviT0_T1_.num_agpr, 0
	.set _ZN2at6native29vectorized_elementwise_kernelILi8ENS0_12_GLOBAL__N_114CompareFunctorIfEESt5arrayIPcLm3EEEEviT0_T1_.numbered_sgpr, 50
	.set _ZN2at6native29vectorized_elementwise_kernelILi8ENS0_12_GLOBAL__N_114CompareFunctorIfEESt5arrayIPcLm3EEEEviT0_T1_.num_named_barrier, 0
	.set _ZN2at6native29vectorized_elementwise_kernelILi8ENS0_12_GLOBAL__N_114CompareFunctorIfEESt5arrayIPcLm3EEEEviT0_T1_.private_seg_size, 0
	.set _ZN2at6native29vectorized_elementwise_kernelILi8ENS0_12_GLOBAL__N_114CompareFunctorIfEESt5arrayIPcLm3EEEEviT0_T1_.uses_vcc, 1
	.set _ZN2at6native29vectorized_elementwise_kernelILi8ENS0_12_GLOBAL__N_114CompareFunctorIfEESt5arrayIPcLm3EEEEviT0_T1_.uses_flat_scratch, 0
	.set _ZN2at6native29vectorized_elementwise_kernelILi8ENS0_12_GLOBAL__N_114CompareFunctorIfEESt5arrayIPcLm3EEEEviT0_T1_.has_dyn_sized_stack, 0
	.set _ZN2at6native29vectorized_elementwise_kernelILi8ENS0_12_GLOBAL__N_114CompareFunctorIfEESt5arrayIPcLm3EEEEviT0_T1_.has_recursion, 0
	.set _ZN2at6native29vectorized_elementwise_kernelILi8ENS0_12_GLOBAL__N_114CompareFunctorIfEESt5arrayIPcLm3EEEEviT0_T1_.has_indirect_call, 0
	.section	.AMDGPU.csdata,"",@progbits
; Kernel info:
; codeLenInByte = 8976
; TotalNumSgprs: 54
; NumVgprs: 39
; ScratchSize: 0
; MemoryBound: 1
; FloatMode: 240
; IeeeMode: 1
; LDSByteSize: 0 bytes/workgroup (compile time only)
; SGPRBlocks: 6
; VGPRBlocks: 9
; NumSGPRsForWavesPerEU: 54
; NumVGPRsForWavesPerEU: 39
; Occupancy: 6
; WaveLimiterHint : 1
; COMPUTE_PGM_RSRC2:SCRATCH_EN: 0
; COMPUTE_PGM_RSRC2:USER_SGPR: 6
; COMPUTE_PGM_RSRC2:TRAP_HANDLER: 0
; COMPUTE_PGM_RSRC2:TGID_X_EN: 1
; COMPUTE_PGM_RSRC2:TGID_Y_EN: 0
; COMPUTE_PGM_RSRC2:TGID_Z_EN: 0
; COMPUTE_PGM_RSRC2:TIDIG_COMP_CNT: 0
	.section	.text._ZN2at6native29vectorized_elementwise_kernelILi4ENS0_12_GLOBAL__N_114CompareFunctorIfEESt5arrayIPcLm3EEEEviT0_T1_,"axG",@progbits,_ZN2at6native29vectorized_elementwise_kernelILi4ENS0_12_GLOBAL__N_114CompareFunctorIfEESt5arrayIPcLm3EEEEviT0_T1_,comdat
	.globl	_ZN2at6native29vectorized_elementwise_kernelILi4ENS0_12_GLOBAL__N_114CompareFunctorIfEESt5arrayIPcLm3EEEEviT0_T1_ ; -- Begin function _ZN2at6native29vectorized_elementwise_kernelILi4ENS0_12_GLOBAL__N_114CompareFunctorIfEESt5arrayIPcLm3EEEEviT0_T1_
	.p2align	8
	.type	_ZN2at6native29vectorized_elementwise_kernelILi4ENS0_12_GLOBAL__N_114CompareFunctorIfEESt5arrayIPcLm3EEEEviT0_T1_,@function
_ZN2at6native29vectorized_elementwise_kernelILi4ENS0_12_GLOBAL__N_114CompareFunctorIfEESt5arrayIPcLm3EEEEviT0_T1_: ; @_ZN2at6native29vectorized_elementwise_kernelILi4ENS0_12_GLOBAL__N_114CompareFunctorIfEESt5arrayIPcLm3EEEEviT0_T1_
; %bb.0:
	s_load_dwordx2 s[12:13], s[4:5], 0x0
	s_load_dwordx4 s[8:11], s[4:5], 0x8
	s_load_dwordx2 s[14:15], s[4:5], 0x18
	s_lshl_b32 s2, s6, 12
	s_mov_b64 s[0:1], -1
	s_waitcnt lgkmcnt(0)
	s_sub_i32 s12, s12, s2
	s_cmpk_gt_i32 s12, 0xfff
	s_cbranch_scc0 .LBB106_211
; %bb.1:
	s_ashr_i32 s3, s2, 31
	s_lshl_b64 s[0:1], s[2:3], 2
	s_add_u32 s4, s10, s0
	s_addc_u32 s5, s11, s1
	v_lshlrev_b32_e32 v5, 4, v0
	v_mov_b32_e32 v1, s5
	v_add_co_u32_e32 v6, vcc, s4, v5
	v_addc_co_u32_e32 v7, vcc, 0, v1, vcc
	v_add_co_u32_e32 v1, vcc, 0x1000, v6
	v_addc_co_u32_e32 v2, vcc, 0, v7, vcc
	;; [unrolled: 2-line block ×3, first 2 shown]
	global_load_dwordx4 v[17:20], v[1:2], off
	global_load_dwordx4 v[9:12], v[3:4], off
	v_add_co_u32_e32 v1, vcc, 0x3000, v6
	s_add_u32 s0, s14, s0
	v_addc_co_u32_e32 v2, vcc, 0, v7, vcc
	s_addc_u32 s1, s15, s1
	v_mov_b32_e32 v6, s1
	v_add_co_u32_e32 v33, vcc, s0, v5
	s_movk_i32 s6, 0x1000
	v_addc_co_u32_e32 v34, vcc, 0, v6, vcc
	global_load_dwordx4 v[1:4], v[1:2], off
	s_nop 0
	global_load_dwordx4 v[25:28], v5, s[4:5]
	global_load_dwordx4 v[29:32], v5, s[0:1]
	v_add_co_u32_e32 v5, vcc, s6, v33
	v_addc_co_u32_e32 v6, vcc, 0, v34, vcc
	v_add_co_u32_e32 v7, vcc, 0x2000, v33
	v_addc_co_u32_e32 v8, vcc, 0, v34, vcc
	global_load_dwordx4 v[21:24], v[5:6], off
	global_load_dwordx4 v[13:16], v[7:8], off
	v_add_co_u32_e32 v5, vcc, 0x3000, v33
	v_addc_co_u32_e32 v6, vcc, 0, v34, vcc
	global_load_dwordx4 v[5:8], v[5:6], off
	s_cmp_lt_i32 s13, 1
	s_mov_b64 s[4:5], 0
	s_cbranch_scc1 .LBB106_5
; %bb.2:
	s_cmp_gt_i32 s13, 1
	s_cbranch_scc0 .LBB106_6
; %bb.3:
	s_cmp_eq_u32 s13, 2
	s_cbranch_scc0 .LBB106_7
; %bb.4:
	s_waitcnt vmcnt(3)
	v_cmp_le_f32_e64 s[0:1], v25, v29
	s_mov_b64 s[6:7], 0
	s_branch .LBB106_8
.LBB106_5:
                                        ; implicit-def: $sgpr0_sgpr1
	s_mov_b64 s[6:7], 0
	s_cbranch_execnz .LBB106_11
	s_branch .LBB106_12
.LBB106_6:
	s_mov_b64 s[6:7], 0
                                        ; implicit-def: $sgpr0_sgpr1
	s_cbranch_execnz .LBB106_9
	s_branch .LBB106_10
.LBB106_7:
	s_mov_b64 s[6:7], -1
                                        ; implicit-def: $sgpr0_sgpr1
.LBB106_8:
	s_branch .LBB106_10
.LBB106_9:
	s_waitcnt vmcnt(3)
	v_cmp_gt_f32_e32 vcc, v25, v29
	s_andn2_b64 s[0:1], s[0:1], exec
	s_and_b64 s[16:17], vcc, exec
	s_or_b64 s[0:1], s[0:1], s[16:17]
.LBB106_10:
	s_branch .LBB106_12
.LBB106_11:
	s_cmp_lg_u32 s13, 0
	s_mov_b64 s[4:5], -1
	s_cselect_b64 s[6:7], -1, 0
.LBB106_12:
	s_andn2_b64 vcc, exec, s[6:7]
	s_cbranch_vccz .LBB106_18
; %bb.13:
	s_andn2_b64 vcc, exec, s[4:5]
	s_cbranch_vccz .LBB106_19
.LBB106_14:
	s_cmp_lt_i32 s13, 1
	s_mov_b64 s[6:7], 0
	s_cbranch_scc1 .LBB106_20
.LBB106_15:
	s_cmp_gt_i32 s13, 1
	s_cbranch_scc0 .LBB106_21
; %bb.16:
	s_cmp_eq_u32 s13, 2
	s_cbranch_scc0 .LBB106_251
; %bb.17:
	s_waitcnt vmcnt(3)
	v_cmp_le_f32_e64 s[4:5], v26, v30
	s_mov_b64 s[16:17], 0
	s_branch .LBB106_23
.LBB106_18:
	s_waitcnt vmcnt(3)
	v_cmp_lt_f32_e32 vcc, v25, v29
	s_andn2_b64 s[0:1], s[0:1], exec
	s_and_b64 s[6:7], vcc, exec
	s_or_b64 s[0:1], s[0:1], s[6:7]
	s_cbranch_execnz .LBB106_14
.LBB106_19:
	s_waitcnt vmcnt(3)
	v_cmp_ge_f32_e32 vcc, v25, v29
	s_andn2_b64 s[0:1], s[0:1], exec
	s_and_b64 s[4:5], vcc, exec
	s_or_b64 s[0:1], s[0:1], s[4:5]
	s_cmp_lt_i32 s13, 1
	s_mov_b64 s[6:7], 0
	s_cbranch_scc0 .LBB106_15
.LBB106_20:
                                        ; implicit-def: $sgpr4_sgpr5
	s_mov_b64 s[16:17], 0
	s_cbranch_execnz .LBB106_24
	s_branch .LBB106_25
.LBB106_21:
	s_mov_b64 s[16:17], 0
                                        ; implicit-def: $sgpr4_sgpr5
	s_cbranch_execz .LBB106_23
; %bb.22:
	s_waitcnt vmcnt(3)
	v_cmp_gt_f32_e32 vcc, v26, v30
	s_andn2_b64 s[4:5], s[4:5], exec
	s_and_b64 s[18:19], vcc, exec
	s_or_b64 s[4:5], s[4:5], s[18:19]
.LBB106_23:
	s_branch .LBB106_25
.LBB106_24:
	s_cmp_lg_u32 s13, 0
	s_mov_b64 s[6:7], -1
	s_cselect_b64 s[16:17], -1, 0
.LBB106_25:
	s_andn2_b64 vcc, exec, s[16:17]
	s_cbranch_vccz .LBB106_31
; %bb.26:
	s_andn2_b64 vcc, exec, s[6:7]
	s_cbranch_vccz .LBB106_32
.LBB106_27:
	s_cmp_lt_i32 s13, 1
	s_mov_b64 s[16:17], 0
	s_cbranch_scc1 .LBB106_33
.LBB106_28:
	s_cmp_gt_i32 s13, 1
	s_cbranch_scc0 .LBB106_34
; %bb.29:
	s_cmp_eq_u32 s13, 2
	s_cbranch_scc0 .LBB106_252
; %bb.30:
	s_waitcnt vmcnt(3)
	v_cmp_le_f32_e64 s[6:7], v27, v31
	s_mov_b64 s[18:19], 0
	s_branch .LBB106_36
.LBB106_31:
	s_waitcnt vmcnt(3)
	v_cmp_lt_f32_e32 vcc, v26, v30
	s_andn2_b64 s[4:5], s[4:5], exec
	s_and_b64 s[16:17], vcc, exec
	s_or_b64 s[4:5], s[4:5], s[16:17]
	s_cbranch_execnz .LBB106_27
.LBB106_32:
	s_waitcnt vmcnt(3)
	v_cmp_ge_f32_e32 vcc, v26, v30
	s_andn2_b64 s[4:5], s[4:5], exec
	s_and_b64 s[6:7], vcc, exec
	s_or_b64 s[4:5], s[4:5], s[6:7]
	s_cmp_lt_i32 s13, 1
	s_mov_b64 s[16:17], 0
	s_cbranch_scc0 .LBB106_28
.LBB106_33:
                                        ; implicit-def: $sgpr6_sgpr7
	s_mov_b64 s[18:19], 0
	s_cbranch_execnz .LBB106_37
	s_branch .LBB106_38
.LBB106_34:
	s_mov_b64 s[18:19], 0
                                        ; implicit-def: $sgpr6_sgpr7
	s_cbranch_execz .LBB106_36
; %bb.35:
	s_waitcnt vmcnt(3)
	v_cmp_gt_f32_e32 vcc, v27, v31
	s_andn2_b64 s[6:7], s[6:7], exec
	s_and_b64 s[20:21], vcc, exec
	s_or_b64 s[6:7], s[6:7], s[20:21]
.LBB106_36:
	s_branch .LBB106_38
.LBB106_37:
	s_cmp_lg_u32 s13, 0
	s_mov_b64 s[16:17], -1
	s_cselect_b64 s[18:19], -1, 0
.LBB106_38:
	s_andn2_b64 vcc, exec, s[18:19]
	s_cbranch_vccz .LBB106_44
; %bb.39:
	s_andn2_b64 vcc, exec, s[16:17]
	s_cbranch_vccz .LBB106_45
.LBB106_40:
	s_cmp_lt_i32 s13, 1
	s_mov_b64 s[18:19], 0
	s_cbranch_scc1 .LBB106_46
.LBB106_41:
	s_cmp_gt_i32 s13, 1
	s_cbranch_scc0 .LBB106_47
; %bb.42:
	s_cmp_eq_u32 s13, 2
	s_cbranch_scc0 .LBB106_253
; %bb.43:
	s_waitcnt vmcnt(3)
	v_cmp_le_f32_e64 s[16:17], v28, v32
	s_mov_b64 s[20:21], 0
	s_branch .LBB106_49
.LBB106_44:
	s_waitcnt vmcnt(3)
	v_cmp_lt_f32_e32 vcc, v27, v31
	s_andn2_b64 s[6:7], s[6:7], exec
	s_and_b64 s[18:19], vcc, exec
	s_or_b64 s[6:7], s[6:7], s[18:19]
	s_cbranch_execnz .LBB106_40
.LBB106_45:
	s_waitcnt vmcnt(3)
	v_cmp_ge_f32_e32 vcc, v27, v31
	s_andn2_b64 s[6:7], s[6:7], exec
	s_and_b64 s[16:17], vcc, exec
	s_or_b64 s[6:7], s[6:7], s[16:17]
	s_cmp_lt_i32 s13, 1
	s_mov_b64 s[18:19], 0
	s_cbranch_scc0 .LBB106_41
.LBB106_46:
                                        ; implicit-def: $sgpr16_sgpr17
	s_mov_b64 s[20:21], 0
	s_cbranch_execnz .LBB106_50
	s_branch .LBB106_51
.LBB106_47:
	s_mov_b64 s[20:21], 0
                                        ; implicit-def: $sgpr16_sgpr17
	s_cbranch_execz .LBB106_49
; %bb.48:
	s_waitcnt vmcnt(3)
	v_cmp_gt_f32_e32 vcc, v28, v32
	s_andn2_b64 s[16:17], s[16:17], exec
	s_and_b64 s[22:23], vcc, exec
	s_or_b64 s[16:17], s[16:17], s[22:23]
.LBB106_49:
	s_branch .LBB106_51
.LBB106_50:
	s_cmp_lg_u32 s13, 0
	s_mov_b64 s[18:19], -1
	s_cselect_b64 s[20:21], -1, 0
.LBB106_51:
	s_andn2_b64 vcc, exec, s[20:21]
	s_cbranch_vccz .LBB106_57
; %bb.52:
	s_andn2_b64 vcc, exec, s[18:19]
	s_cbranch_vccz .LBB106_58
.LBB106_53:
	s_cmp_lt_i32 s13, 1
	s_mov_b64 s[20:21], 0
	s_cbranch_scc1 .LBB106_59
.LBB106_54:
	s_cmp_gt_i32 s13, 1
	s_cbranch_scc0 .LBB106_60
; %bb.55:
	s_cmp_eq_u32 s13, 2
	s_cbranch_scc0 .LBB106_254
; %bb.56:
	s_waitcnt vmcnt(2)
	v_cmp_le_f32_e64 s[18:19], v17, v21
	s_mov_b64 s[22:23], 0
	s_branch .LBB106_62
.LBB106_57:
	s_waitcnt vmcnt(3)
	v_cmp_lt_f32_e32 vcc, v28, v32
	s_andn2_b64 s[16:17], s[16:17], exec
	s_and_b64 s[20:21], vcc, exec
	s_or_b64 s[16:17], s[16:17], s[20:21]
	s_cbranch_execnz .LBB106_53
.LBB106_58:
	s_waitcnt vmcnt(3)
	v_cmp_ge_f32_e32 vcc, v28, v32
	s_andn2_b64 s[16:17], s[16:17], exec
	s_and_b64 s[18:19], vcc, exec
	s_or_b64 s[16:17], s[16:17], s[18:19]
	s_cmp_lt_i32 s13, 1
	s_mov_b64 s[20:21], 0
	s_cbranch_scc0 .LBB106_54
.LBB106_59:
                                        ; implicit-def: $sgpr18_sgpr19
	s_mov_b64 s[22:23], 0
	s_cbranch_execnz .LBB106_63
	s_branch .LBB106_64
.LBB106_60:
	s_mov_b64 s[22:23], 0
                                        ; implicit-def: $sgpr18_sgpr19
	s_cbranch_execz .LBB106_62
; %bb.61:
	s_waitcnt vmcnt(2)
	v_cmp_gt_f32_e32 vcc, v17, v21
	s_andn2_b64 s[18:19], s[18:19], exec
	s_and_b64 s[24:25], vcc, exec
	s_or_b64 s[18:19], s[18:19], s[24:25]
.LBB106_62:
	s_branch .LBB106_64
.LBB106_63:
	s_cmp_lg_u32 s13, 0
	s_mov_b64 s[20:21], -1
	s_cselect_b64 s[22:23], -1, 0
.LBB106_64:
	s_andn2_b64 vcc, exec, s[22:23]
	s_cbranch_vccz .LBB106_70
; %bb.65:
	s_andn2_b64 vcc, exec, s[20:21]
	s_cbranch_vccz .LBB106_71
.LBB106_66:
	s_cmp_lt_i32 s13, 1
	s_mov_b64 s[22:23], 0
	s_cbranch_scc1 .LBB106_72
.LBB106_67:
	s_cmp_gt_i32 s13, 1
	s_cbranch_scc0 .LBB106_73
; %bb.68:
	s_cmp_eq_u32 s13, 2
	s_cbranch_scc0 .LBB106_255
; %bb.69:
	s_waitcnt vmcnt(2)
	v_cmp_le_f32_e64 s[20:21], v18, v22
	s_mov_b64 s[24:25], 0
	s_branch .LBB106_75
.LBB106_70:
	s_waitcnt vmcnt(2)
	v_cmp_lt_f32_e32 vcc, v17, v21
	s_andn2_b64 s[18:19], s[18:19], exec
	s_and_b64 s[22:23], vcc, exec
	s_or_b64 s[18:19], s[18:19], s[22:23]
	s_cbranch_execnz .LBB106_66
.LBB106_71:
	s_waitcnt vmcnt(2)
	v_cmp_ge_f32_e32 vcc, v17, v21
	s_andn2_b64 s[18:19], s[18:19], exec
	s_and_b64 s[20:21], vcc, exec
	s_or_b64 s[18:19], s[18:19], s[20:21]
	s_cmp_lt_i32 s13, 1
	s_mov_b64 s[22:23], 0
	s_cbranch_scc0 .LBB106_67
.LBB106_72:
                                        ; implicit-def: $sgpr20_sgpr21
	s_mov_b64 s[24:25], 0
	s_cbranch_execnz .LBB106_76
	s_branch .LBB106_77
.LBB106_73:
	s_mov_b64 s[24:25], 0
                                        ; implicit-def: $sgpr20_sgpr21
	s_cbranch_execz .LBB106_75
; %bb.74:
	s_waitcnt vmcnt(2)
	v_cmp_gt_f32_e32 vcc, v18, v22
	s_andn2_b64 s[20:21], s[20:21], exec
	s_and_b64 s[26:27], vcc, exec
	s_or_b64 s[20:21], s[20:21], s[26:27]
.LBB106_75:
	s_branch .LBB106_77
.LBB106_76:
	s_cmp_lg_u32 s13, 0
	s_mov_b64 s[22:23], -1
	s_cselect_b64 s[24:25], -1, 0
.LBB106_77:
	s_andn2_b64 vcc, exec, s[24:25]
	s_cbranch_vccz .LBB106_83
; %bb.78:
	s_andn2_b64 vcc, exec, s[22:23]
	s_cbranch_vccz .LBB106_84
.LBB106_79:
	s_cmp_lt_i32 s13, 1
	s_mov_b64 s[24:25], 0
	s_cbranch_scc1 .LBB106_85
.LBB106_80:
	s_cmp_gt_i32 s13, 1
	s_cbranch_scc0 .LBB106_86
; %bb.81:
	s_cmp_eq_u32 s13, 2
	s_cbranch_scc0 .LBB106_256
; %bb.82:
	s_waitcnt vmcnt(2)
	v_cmp_le_f32_e64 s[22:23], v19, v23
	s_mov_b64 s[26:27], 0
	s_branch .LBB106_88
.LBB106_83:
	s_waitcnt vmcnt(2)
	v_cmp_lt_f32_e32 vcc, v18, v22
	s_andn2_b64 s[20:21], s[20:21], exec
	s_and_b64 s[24:25], vcc, exec
	s_or_b64 s[20:21], s[20:21], s[24:25]
	s_cbranch_execnz .LBB106_79
.LBB106_84:
	s_waitcnt vmcnt(2)
	v_cmp_ge_f32_e32 vcc, v18, v22
	s_andn2_b64 s[20:21], s[20:21], exec
	s_and_b64 s[22:23], vcc, exec
	s_or_b64 s[20:21], s[20:21], s[22:23]
	s_cmp_lt_i32 s13, 1
	s_mov_b64 s[24:25], 0
	s_cbranch_scc0 .LBB106_80
.LBB106_85:
                                        ; implicit-def: $sgpr22_sgpr23
	s_mov_b64 s[26:27], 0
	s_cbranch_execnz .LBB106_89
	s_branch .LBB106_90
.LBB106_86:
	s_mov_b64 s[26:27], 0
                                        ; implicit-def: $sgpr22_sgpr23
	s_cbranch_execz .LBB106_88
; %bb.87:
	s_waitcnt vmcnt(2)
	v_cmp_gt_f32_e32 vcc, v19, v23
	s_andn2_b64 s[22:23], s[22:23], exec
	s_and_b64 s[28:29], vcc, exec
	s_or_b64 s[22:23], s[22:23], s[28:29]
.LBB106_88:
	s_branch .LBB106_90
.LBB106_89:
	s_cmp_lg_u32 s13, 0
	s_mov_b64 s[24:25], -1
	s_cselect_b64 s[26:27], -1, 0
.LBB106_90:
	s_andn2_b64 vcc, exec, s[26:27]
	s_cbranch_vccz .LBB106_96
; %bb.91:
	s_andn2_b64 vcc, exec, s[24:25]
	s_cbranch_vccz .LBB106_97
.LBB106_92:
	s_cmp_lt_i32 s13, 1
	s_mov_b64 s[26:27], 0
	s_cbranch_scc1 .LBB106_98
.LBB106_93:
	s_cmp_gt_i32 s13, 1
	s_cbranch_scc0 .LBB106_99
; %bb.94:
	s_cmp_eq_u32 s13, 2
	s_cbranch_scc0 .LBB106_257
; %bb.95:
	s_waitcnt vmcnt(2)
	v_cmp_le_f32_e64 s[24:25], v20, v24
	s_mov_b64 s[28:29], 0
	s_branch .LBB106_101
.LBB106_96:
	s_waitcnt vmcnt(2)
	v_cmp_lt_f32_e32 vcc, v19, v23
	s_andn2_b64 s[22:23], s[22:23], exec
	s_and_b64 s[26:27], vcc, exec
	s_or_b64 s[22:23], s[22:23], s[26:27]
	s_cbranch_execnz .LBB106_92
.LBB106_97:
	s_waitcnt vmcnt(2)
	v_cmp_ge_f32_e32 vcc, v19, v23
	s_andn2_b64 s[22:23], s[22:23], exec
	s_and_b64 s[24:25], vcc, exec
	s_or_b64 s[22:23], s[22:23], s[24:25]
	s_cmp_lt_i32 s13, 1
	s_mov_b64 s[26:27], 0
	s_cbranch_scc0 .LBB106_93
.LBB106_98:
                                        ; implicit-def: $sgpr24_sgpr25
	s_mov_b64 s[28:29], 0
	s_cbranch_execnz .LBB106_102
	s_branch .LBB106_103
.LBB106_99:
	s_mov_b64 s[28:29], 0
                                        ; implicit-def: $sgpr24_sgpr25
	s_cbranch_execz .LBB106_101
; %bb.100:
	s_waitcnt vmcnt(2)
	v_cmp_gt_f32_e32 vcc, v20, v24
	s_andn2_b64 s[24:25], s[24:25], exec
	s_and_b64 s[30:31], vcc, exec
	s_or_b64 s[24:25], s[24:25], s[30:31]
.LBB106_101:
	s_branch .LBB106_103
.LBB106_102:
	s_cmp_lg_u32 s13, 0
	s_mov_b64 s[26:27], -1
	s_cselect_b64 s[28:29], -1, 0
.LBB106_103:
	s_andn2_b64 vcc, exec, s[28:29]
	s_cbranch_vccz .LBB106_109
; %bb.104:
	s_andn2_b64 vcc, exec, s[26:27]
	s_cbranch_vccz .LBB106_110
.LBB106_105:
	s_cmp_lt_i32 s13, 1
	s_mov_b64 s[28:29], 0
	s_cbranch_scc1 .LBB106_111
.LBB106_106:
	s_cmp_gt_i32 s13, 1
	s_cbranch_scc0 .LBB106_112
; %bb.107:
	s_cmp_eq_u32 s13, 2
	s_cbranch_scc0 .LBB106_258
; %bb.108:
	s_waitcnt vmcnt(1)
	v_cmp_le_f32_e64 s[26:27], v9, v13
	s_mov_b64 s[30:31], 0
	s_branch .LBB106_114
.LBB106_109:
	s_waitcnt vmcnt(2)
	v_cmp_lt_f32_e32 vcc, v20, v24
	s_andn2_b64 s[24:25], s[24:25], exec
	s_and_b64 s[28:29], vcc, exec
	s_or_b64 s[24:25], s[24:25], s[28:29]
	s_cbranch_execnz .LBB106_105
.LBB106_110:
	s_waitcnt vmcnt(2)
	v_cmp_ge_f32_e32 vcc, v20, v24
	s_andn2_b64 s[24:25], s[24:25], exec
	s_and_b64 s[26:27], vcc, exec
	s_or_b64 s[24:25], s[24:25], s[26:27]
	s_cmp_lt_i32 s13, 1
	s_mov_b64 s[28:29], 0
	s_cbranch_scc0 .LBB106_106
.LBB106_111:
                                        ; implicit-def: $sgpr26_sgpr27
	s_mov_b64 s[30:31], 0
	s_cbranch_execnz .LBB106_115
	s_branch .LBB106_116
.LBB106_112:
	s_mov_b64 s[30:31], 0
                                        ; implicit-def: $sgpr26_sgpr27
	s_cbranch_execz .LBB106_114
; %bb.113:
	s_waitcnt vmcnt(1)
	v_cmp_gt_f32_e32 vcc, v9, v13
	s_andn2_b64 s[26:27], s[26:27], exec
	s_and_b64 s[34:35], vcc, exec
	s_or_b64 s[26:27], s[26:27], s[34:35]
.LBB106_114:
	s_branch .LBB106_116
.LBB106_115:
	s_cmp_lg_u32 s13, 0
	s_mov_b64 s[28:29], -1
	s_cselect_b64 s[30:31], -1, 0
.LBB106_116:
	s_andn2_b64 vcc, exec, s[30:31]
	s_cbranch_vccz .LBB106_122
; %bb.117:
	s_andn2_b64 vcc, exec, s[28:29]
	s_cbranch_vccz .LBB106_123
.LBB106_118:
	s_cmp_lt_i32 s13, 1
	s_mov_b64 s[30:31], 0
	s_cbranch_scc1 .LBB106_124
.LBB106_119:
	s_cmp_gt_i32 s13, 1
	s_cbranch_scc0 .LBB106_125
; %bb.120:
	s_cmp_eq_u32 s13, 2
	s_cbranch_scc0 .LBB106_259
; %bb.121:
	s_waitcnt vmcnt(1)
	v_cmp_le_f32_e64 s[28:29], v10, v14
	s_mov_b64 s[34:35], 0
	s_branch .LBB106_127
.LBB106_122:
	s_waitcnt vmcnt(1)
	v_cmp_lt_f32_e32 vcc, v9, v13
	s_andn2_b64 s[26:27], s[26:27], exec
	s_and_b64 s[30:31], vcc, exec
	s_or_b64 s[26:27], s[26:27], s[30:31]
	s_cbranch_execnz .LBB106_118
.LBB106_123:
	s_waitcnt vmcnt(1)
	v_cmp_ge_f32_e32 vcc, v9, v13
	s_andn2_b64 s[26:27], s[26:27], exec
	s_and_b64 s[28:29], vcc, exec
	s_or_b64 s[26:27], s[26:27], s[28:29]
	s_cmp_lt_i32 s13, 1
	s_mov_b64 s[30:31], 0
	s_cbranch_scc0 .LBB106_119
.LBB106_124:
                                        ; implicit-def: $sgpr28_sgpr29
	s_mov_b64 s[34:35], 0
	s_cbranch_execnz .LBB106_128
	s_branch .LBB106_129
.LBB106_125:
	s_mov_b64 s[34:35], 0
                                        ; implicit-def: $sgpr28_sgpr29
	s_cbranch_execz .LBB106_127
; %bb.126:
	s_waitcnt vmcnt(1)
	v_cmp_gt_f32_e32 vcc, v10, v14
	s_andn2_b64 s[28:29], s[28:29], exec
	s_and_b64 s[36:37], vcc, exec
	s_or_b64 s[28:29], s[28:29], s[36:37]
.LBB106_127:
	s_branch .LBB106_129
.LBB106_128:
	s_cmp_lg_u32 s13, 0
	s_mov_b64 s[30:31], -1
	s_cselect_b64 s[34:35], -1, 0
.LBB106_129:
	s_andn2_b64 vcc, exec, s[34:35]
	s_cbranch_vccz .LBB106_135
; %bb.130:
	s_andn2_b64 vcc, exec, s[30:31]
	s_cbranch_vccz .LBB106_136
.LBB106_131:
	s_cmp_lt_i32 s13, 1
	s_mov_b64 s[34:35], 0
	s_cbranch_scc1 .LBB106_137
.LBB106_132:
	s_cmp_gt_i32 s13, 1
	s_cbranch_scc0 .LBB106_138
; %bb.133:
	s_cmp_eq_u32 s13, 2
	s_cbranch_scc0 .LBB106_260
; %bb.134:
	s_waitcnt vmcnt(1)
	v_cmp_le_f32_e64 s[30:31], v11, v15
	s_mov_b64 s[36:37], 0
	s_branch .LBB106_140
.LBB106_135:
	s_waitcnt vmcnt(1)
	v_cmp_lt_f32_e32 vcc, v10, v14
	s_andn2_b64 s[28:29], s[28:29], exec
	s_and_b64 s[34:35], vcc, exec
	s_or_b64 s[28:29], s[28:29], s[34:35]
	s_cbranch_execnz .LBB106_131
.LBB106_136:
	s_waitcnt vmcnt(1)
	v_cmp_ge_f32_e32 vcc, v10, v14
	s_andn2_b64 s[28:29], s[28:29], exec
	s_and_b64 s[30:31], vcc, exec
	s_or_b64 s[28:29], s[28:29], s[30:31]
	s_cmp_lt_i32 s13, 1
	s_mov_b64 s[34:35], 0
	s_cbranch_scc0 .LBB106_132
.LBB106_137:
                                        ; implicit-def: $sgpr30_sgpr31
	s_mov_b64 s[36:37], 0
	s_cbranch_execnz .LBB106_141
	s_branch .LBB106_142
.LBB106_138:
	s_mov_b64 s[36:37], 0
                                        ; implicit-def: $sgpr30_sgpr31
	s_cbranch_execz .LBB106_140
; %bb.139:
	s_waitcnt vmcnt(1)
	v_cmp_gt_f32_e32 vcc, v11, v15
	s_andn2_b64 s[30:31], s[30:31], exec
	s_and_b64 s[38:39], vcc, exec
	s_or_b64 s[30:31], s[30:31], s[38:39]
.LBB106_140:
	s_branch .LBB106_142
.LBB106_141:
	s_cmp_lg_u32 s13, 0
	s_mov_b64 s[34:35], -1
	s_cselect_b64 s[36:37], -1, 0
.LBB106_142:
	s_andn2_b64 vcc, exec, s[36:37]
	s_cbranch_vccz .LBB106_148
; %bb.143:
	s_andn2_b64 vcc, exec, s[34:35]
	s_cbranch_vccz .LBB106_149
.LBB106_144:
	s_cmp_lt_i32 s13, 1
	s_mov_b64 s[36:37], 0
	s_cbranch_scc1 .LBB106_150
.LBB106_145:
	s_cmp_gt_i32 s13, 1
	s_cbranch_scc0 .LBB106_151
; %bb.146:
	s_cmp_eq_u32 s13, 2
	s_cbranch_scc0 .LBB106_261
; %bb.147:
	s_waitcnt vmcnt(1)
	v_cmp_le_f32_e64 s[34:35], v12, v16
	s_mov_b64 s[38:39], 0
	s_branch .LBB106_153
.LBB106_148:
	s_waitcnt vmcnt(1)
	v_cmp_lt_f32_e32 vcc, v11, v15
	s_andn2_b64 s[30:31], s[30:31], exec
	s_and_b64 s[36:37], vcc, exec
	s_or_b64 s[30:31], s[30:31], s[36:37]
	s_cbranch_execnz .LBB106_144
.LBB106_149:
	s_waitcnt vmcnt(1)
	v_cmp_ge_f32_e32 vcc, v11, v15
	s_andn2_b64 s[30:31], s[30:31], exec
	s_and_b64 s[34:35], vcc, exec
	s_or_b64 s[30:31], s[30:31], s[34:35]
	s_cmp_lt_i32 s13, 1
	s_mov_b64 s[36:37], 0
	s_cbranch_scc0 .LBB106_145
.LBB106_150:
                                        ; implicit-def: $sgpr34_sgpr35
	s_mov_b64 s[38:39], 0
	s_cbranch_execnz .LBB106_154
	s_branch .LBB106_155
.LBB106_151:
	s_mov_b64 s[38:39], 0
                                        ; implicit-def: $sgpr34_sgpr35
	s_cbranch_execz .LBB106_153
; %bb.152:
	s_waitcnt vmcnt(1)
	v_cmp_gt_f32_e32 vcc, v12, v16
	s_andn2_b64 s[34:35], s[34:35], exec
	s_and_b64 s[40:41], vcc, exec
	s_or_b64 s[34:35], s[34:35], s[40:41]
.LBB106_153:
	s_branch .LBB106_155
.LBB106_154:
	s_cmp_lg_u32 s13, 0
	s_mov_b64 s[36:37], -1
	s_cselect_b64 s[38:39], -1, 0
.LBB106_155:
	s_andn2_b64 vcc, exec, s[38:39]
	s_cbranch_vccz .LBB106_161
; %bb.156:
	s_andn2_b64 vcc, exec, s[36:37]
	s_cbranch_vccz .LBB106_162
.LBB106_157:
	s_cmp_lt_i32 s13, 1
	s_mov_b64 s[38:39], 0
	s_cbranch_scc1 .LBB106_163
.LBB106_158:
	s_cmp_gt_i32 s13, 1
	s_cbranch_scc0 .LBB106_164
; %bb.159:
	s_cmp_eq_u32 s13, 2
	s_cbranch_scc0 .LBB106_262
; %bb.160:
	s_waitcnt vmcnt(0)
	v_cmp_le_f32_e64 s[36:37], v1, v5
	s_mov_b64 s[40:41], 0
	s_branch .LBB106_166
.LBB106_161:
	s_waitcnt vmcnt(1)
	v_cmp_lt_f32_e32 vcc, v12, v16
	s_andn2_b64 s[34:35], s[34:35], exec
	s_and_b64 s[38:39], vcc, exec
	s_or_b64 s[34:35], s[34:35], s[38:39]
	s_cbranch_execnz .LBB106_157
.LBB106_162:
	s_waitcnt vmcnt(1)
	v_cmp_ge_f32_e32 vcc, v12, v16
	s_andn2_b64 s[34:35], s[34:35], exec
	s_and_b64 s[36:37], vcc, exec
	s_or_b64 s[34:35], s[34:35], s[36:37]
	s_cmp_lt_i32 s13, 1
	s_mov_b64 s[38:39], 0
	s_cbranch_scc0 .LBB106_158
.LBB106_163:
                                        ; implicit-def: $sgpr36_sgpr37
	s_mov_b64 s[40:41], 0
	s_cbranch_execnz .LBB106_167
	s_branch .LBB106_168
.LBB106_164:
	s_mov_b64 s[40:41], 0
                                        ; implicit-def: $sgpr36_sgpr37
	s_cbranch_execz .LBB106_166
; %bb.165:
	s_waitcnt vmcnt(0)
	v_cmp_gt_f32_e32 vcc, v1, v5
	s_andn2_b64 s[36:37], s[36:37], exec
	s_and_b64 s[42:43], vcc, exec
	s_or_b64 s[36:37], s[36:37], s[42:43]
.LBB106_166:
	s_branch .LBB106_168
.LBB106_167:
	s_cmp_lg_u32 s13, 0
	s_mov_b64 s[38:39], -1
	s_cselect_b64 s[40:41], -1, 0
.LBB106_168:
	s_andn2_b64 vcc, exec, s[40:41]
	s_cbranch_vccz .LBB106_174
; %bb.169:
	s_andn2_b64 vcc, exec, s[38:39]
	s_cbranch_vccz .LBB106_175
.LBB106_170:
	s_cmp_lt_i32 s13, 1
	s_mov_b64 s[40:41], 0
	s_cbranch_scc1 .LBB106_176
.LBB106_171:
	s_cmp_gt_i32 s13, 1
	s_cbranch_scc0 .LBB106_177
; %bb.172:
	s_cmp_eq_u32 s13, 2
	s_cbranch_scc0 .LBB106_263
; %bb.173:
	s_waitcnt vmcnt(0)
	v_cmp_le_f32_e64 s[38:39], v2, v6
	s_mov_b64 s[42:43], 0
	s_branch .LBB106_179
.LBB106_174:
	s_waitcnt vmcnt(0)
	v_cmp_lt_f32_e32 vcc, v1, v5
	s_andn2_b64 s[36:37], s[36:37], exec
	s_and_b64 s[40:41], vcc, exec
	s_or_b64 s[36:37], s[36:37], s[40:41]
	s_cbranch_execnz .LBB106_170
.LBB106_175:
	s_waitcnt vmcnt(0)
	v_cmp_ge_f32_e32 vcc, v1, v5
	s_andn2_b64 s[36:37], s[36:37], exec
	s_and_b64 s[38:39], vcc, exec
	s_or_b64 s[36:37], s[36:37], s[38:39]
	s_cmp_lt_i32 s13, 1
	s_mov_b64 s[40:41], 0
	s_cbranch_scc0 .LBB106_171
.LBB106_176:
                                        ; implicit-def: $sgpr38_sgpr39
	s_mov_b64 s[42:43], 0
	s_cbranch_execnz .LBB106_180
	s_branch .LBB106_181
.LBB106_177:
	s_mov_b64 s[42:43], 0
                                        ; implicit-def: $sgpr38_sgpr39
	s_cbranch_execz .LBB106_179
; %bb.178:
	s_waitcnt vmcnt(0)
	v_cmp_gt_f32_e32 vcc, v2, v6
	s_andn2_b64 s[38:39], s[38:39], exec
	s_and_b64 s[44:45], vcc, exec
	s_or_b64 s[38:39], s[38:39], s[44:45]
.LBB106_179:
	s_branch .LBB106_181
.LBB106_180:
	s_cmp_lg_u32 s13, 0
	s_mov_b64 s[40:41], -1
	s_cselect_b64 s[42:43], -1, 0
.LBB106_181:
	s_andn2_b64 vcc, exec, s[42:43]
	s_cbranch_vccz .LBB106_187
; %bb.182:
	s_andn2_b64 vcc, exec, s[40:41]
	s_cbranch_vccz .LBB106_188
.LBB106_183:
	s_cmp_lt_i32 s13, 1
	s_mov_b64 s[42:43], 0
	s_cbranch_scc1 .LBB106_189
.LBB106_184:
	s_cmp_gt_i32 s13, 1
	s_cbranch_scc0 .LBB106_190
; %bb.185:
	s_cmp_eq_u32 s13, 2
	s_cbranch_scc0 .LBB106_264
; %bb.186:
	s_waitcnt vmcnt(0)
	v_cmp_le_f32_e64 s[40:41], v3, v7
	s_mov_b64 s[44:45], 0
	s_branch .LBB106_192
.LBB106_187:
	s_waitcnt vmcnt(0)
	v_cmp_lt_f32_e32 vcc, v2, v6
	s_andn2_b64 s[38:39], s[38:39], exec
	s_and_b64 s[42:43], vcc, exec
	s_or_b64 s[38:39], s[38:39], s[42:43]
	s_cbranch_execnz .LBB106_183
.LBB106_188:
	s_waitcnt vmcnt(0)
	v_cmp_ge_f32_e32 vcc, v2, v6
	s_andn2_b64 s[38:39], s[38:39], exec
	s_and_b64 s[40:41], vcc, exec
	s_or_b64 s[38:39], s[38:39], s[40:41]
	s_cmp_lt_i32 s13, 1
	s_mov_b64 s[42:43], 0
	s_cbranch_scc0 .LBB106_184
.LBB106_189:
                                        ; implicit-def: $sgpr40_sgpr41
	s_mov_b64 s[44:45], 0
	s_cbranch_execnz .LBB106_193
	s_branch .LBB106_194
.LBB106_190:
	s_mov_b64 s[44:45], 0
                                        ; implicit-def: $sgpr40_sgpr41
	s_cbranch_execz .LBB106_192
; %bb.191:
	s_waitcnt vmcnt(0)
	v_cmp_gt_f32_e32 vcc, v3, v7
	s_andn2_b64 s[40:41], s[40:41], exec
	s_and_b64 s[46:47], vcc, exec
	s_or_b64 s[40:41], s[40:41], s[46:47]
.LBB106_192:
	s_branch .LBB106_194
.LBB106_193:
	s_cmp_lg_u32 s13, 0
	s_mov_b64 s[42:43], -1
	s_cselect_b64 s[44:45], -1, 0
.LBB106_194:
	s_andn2_b64 vcc, exec, s[44:45]
	s_cbranch_vccz .LBB106_200
; %bb.195:
	s_andn2_b64 vcc, exec, s[42:43]
	s_cbranch_vccz .LBB106_201
.LBB106_196:
	s_cmp_lt_i32 s13, 1
	s_mov_b64 s[44:45], 0
	s_cbranch_scc1 .LBB106_202
.LBB106_197:
	s_cmp_gt_i32 s13, 1
	s_cbranch_scc0 .LBB106_203
; %bb.198:
	s_cmp_eq_u32 s13, 2
	s_cbranch_scc0 .LBB106_265
; %bb.199:
	s_waitcnt vmcnt(0)
	v_cmp_le_f32_e64 s[42:43], v4, v8
	s_mov_b64 s[46:47], 0
	s_branch .LBB106_205
.LBB106_200:
	s_waitcnt vmcnt(0)
	v_cmp_lt_f32_e32 vcc, v3, v7
	s_andn2_b64 s[40:41], s[40:41], exec
	s_and_b64 s[44:45], vcc, exec
	s_or_b64 s[40:41], s[40:41], s[44:45]
	s_cbranch_execnz .LBB106_196
.LBB106_201:
	s_waitcnt vmcnt(0)
	v_cmp_ge_f32_e32 vcc, v3, v7
	s_andn2_b64 s[40:41], s[40:41], exec
	s_and_b64 s[42:43], vcc, exec
	s_or_b64 s[40:41], s[40:41], s[42:43]
	s_cmp_lt_i32 s13, 1
	s_mov_b64 s[44:45], 0
	s_cbranch_scc0 .LBB106_197
.LBB106_202:
                                        ; implicit-def: $sgpr42_sgpr43
	s_mov_b64 s[46:47], 0
	s_cbranch_execnz .LBB106_206
	s_branch .LBB106_207
.LBB106_203:
	s_mov_b64 s[46:47], 0
                                        ; implicit-def: $sgpr42_sgpr43
	s_cbranch_execz .LBB106_205
; %bb.204:
	s_waitcnt vmcnt(0)
	v_cmp_gt_f32_e32 vcc, v4, v8
	s_andn2_b64 s[42:43], s[42:43], exec
	s_and_b64 s[48:49], vcc, exec
	s_or_b64 s[42:43], s[42:43], s[48:49]
.LBB106_205:
	s_branch .LBB106_207
.LBB106_206:
	s_cmp_lg_u32 s13, 0
	s_mov_b64 s[44:45], -1
	s_cselect_b64 s[46:47], -1, 0
.LBB106_207:
	s_andn2_b64 vcc, exec, s[46:47]
	s_cbranch_vccz .LBB106_249
; %bb.208:
	s_andn2_b64 vcc, exec, s[44:45]
	s_cbranch_vccnz .LBB106_210
.LBB106_209:
	s_waitcnt vmcnt(0)
	v_cmp_ge_f32_e32 vcc, v4, v8
	s_andn2_b64 s[42:43], s[42:43], exec
	s_and_b64 s[44:45], vcc, exec
	s_or_b64 s[42:43], s[42:43], s[44:45]
.LBB106_210:
	s_waitcnt vmcnt(5)
	v_mov_b32_e32 v1, 0x100
	v_cndmask_b32_e64 v2, 0, v1, s[38:39]
	v_cndmask_b32_e64 v3, 0, 1, s[36:37]
	v_or_b32_e32 v2, v2, v3
	v_mov_b32_e32 v3, 0x10000
	s_waitcnt vmcnt(0)
	v_cndmask_b32_e64 v5, 0, v1, s[28:29]
	v_cndmask_b32_e64 v6, 0, 1, s[26:27]
	v_mov_b32_e32 v7, 0x1000000
	v_or_b32_e32 v5, v5, v6
	v_cndmask_b32_e64 v6, 0, v3, s[30:31]
	v_cndmask_b32_e64 v8, 0, v7, s[34:35]
	v_or3_b32 v5, v5, v6, v8
	v_cndmask_b32_e64 v6, 0, v1, s[20:21]
	v_cndmask_b32_e64 v8, 0, 1, s[18:19]
	v_or_b32_e32 v6, v6, v8
	v_cndmask_b32_e64 v8, 0, v3, s[22:23]
	v_cndmask_b32_e64 v9, 0, v7, s[24:25]
	v_or3_b32 v6, v6, v8, v9
	v_cndmask_b32_e64 v1, 0, v1, s[4:5]
	v_cndmask_b32_e64 v8, 0, 1, s[0:1]
	;; [unrolled: 1-line block ×3, first 2 shown]
	v_or_b32_e32 v1, v1, v8
	v_cndmask_b32_e64 v3, 0, v3, s[6:7]
	v_cndmask_b32_e64 v8, 0, v7, s[16:17]
	v_or3_b32 v1, v1, v3, v8
	v_cndmask_b32_e64 v3, 0, v7, s[42:43]
	s_add_u32 s0, s8, s2
	v_or3_b32 v2, v2, v4, v3
	s_addc_u32 s1, s9, s3
	v_lshlrev_b32_e32 v3, 2, v0
	global_store_dword v3, v1, s[0:1]
	global_store_dword v3, v6, s[0:1] offset:1024
	global_store_dword v3, v5, s[0:1] offset:2048
	;; [unrolled: 1-line block ×3, first 2 shown]
	s_mov_b64 s[0:1], 0
.LBB106_211:
	s_and_b64 vcc, exec, s[0:1]
	s_cbranch_vccz .LBB106_519
; %bb.212:
	v_cmp_gt_i32_e64 s[0:1], s12, v0
	v_mov_b32_e32 v14, 0
	v_or_b32_e32 v1, s2, v0
	v_mov_b32_e32 v7, 0
	v_mov_b32_e32 v10, 0
	;; [unrolled: 1-line block ×3, first 2 shown]
	s_and_saveexec_b64 s[4:5], s[0:1]
	s_cbranch_execz .LBB106_214
; %bb.213:
	v_mov_b32_e32 v2, 0
	v_lshlrev_b64 v[2:3], 2, v[1:2]
	v_mov_b32_e32 v5, s15
	v_add_co_u32_e32 v4, vcc, s14, v2
	v_addc_co_u32_e32 v5, vcc, v5, v3, vcc
	v_mov_b32_e32 v6, s11
	v_add_co_u32_e32 v2, vcc, s10, v2
	v_addc_co_u32_e32 v3, vcc, v6, v3, vcc
	global_load_dword v7, v[2:3], off
	global_load_dword v10, v[4:5], off
	v_or_b32_e32 v6, 0x100, v0
.LBB106_214:
	s_or_b64 exec, exec, s[4:5]
	v_cmp_gt_i32_e32 vcc, s12, v6
	v_mov_b32_e32 v34, 0
	s_and_saveexec_b64 s[4:5], vcc
	s_cbranch_execz .LBB106_216
; %bb.215:
	v_add_u32_e32 v2, s2, v6
	v_mov_b32_e32 v3, 0
	v_lshlrev_b64 v[2:3], 2, v[2:3]
	v_mov_b32_e32 v5, s15
	v_add_co_u32_e32 v4, vcc, s14, v2
	v_addc_co_u32_e32 v5, vcc, v5, v3, vcc
	v_mov_b32_e32 v8, s11
	v_add_co_u32_e32 v2, vcc, s10, v2
	v_addc_co_u32_e32 v3, vcc, v8, v3, vcc
	global_load_dword v14, v[2:3], off
	global_load_dword v34, v[4:5], off
	v_add_u32_e32 v6, 0x100, v6
.LBB106_216:
	s_or_b64 exec, exec, s[4:5]
	v_cmp_gt_i32_e32 vcc, s12, v6
	v_mov_b32_e32 v21, 0
	v_mov_b32_e32 v16, 0
	v_mov_b32_e32 v33, 0
	s_and_saveexec_b64 s[4:5], vcc
	s_cbranch_execz .LBB106_218
; %bb.217:
	v_add_u32_e32 v2, s2, v6
	v_mov_b32_e32 v3, 0
	v_lshlrev_b64 v[2:3], 2, v[2:3]
	v_mov_b32_e32 v5, s15
	v_add_co_u32_e32 v4, vcc, s14, v2
	v_addc_co_u32_e32 v5, vcc, v5, v3, vcc
	v_mov_b32_e32 v8, s11
	v_add_co_u32_e32 v2, vcc, s10, v2
	v_addc_co_u32_e32 v3, vcc, v8, v3, vcc
	global_load_dword v16, v[2:3], off
	global_load_dword v33, v[4:5], off
	v_add_u32_e32 v6, 0x100, v6
.LBB106_218:
	s_or_b64 exec, exec, s[4:5]
	v_cmp_gt_i32_e32 vcc, s12, v6
	v_mov_b32_e32 v32, 0
	s_and_saveexec_b64 s[4:5], vcc
	s_cbranch_execz .LBB106_220
; %bb.219:
	v_add_u32_e32 v2, s2, v6
	v_mov_b32_e32 v3, 0
	v_lshlrev_b64 v[2:3], 2, v[2:3]
	v_mov_b32_e32 v5, s15
	v_add_co_u32_e32 v4, vcc, s14, v2
	v_addc_co_u32_e32 v5, vcc, v5, v3, vcc
	v_mov_b32_e32 v8, s11
	v_add_co_u32_e32 v2, vcc, s10, v2
	v_addc_co_u32_e32 v3, vcc, v8, v3, vcc
	global_load_dword v21, v[2:3], off
	global_load_dword v32, v[4:5], off
	v_add_u32_e32 v6, 0x100, v6
.LBB106_220:
	s_or_b64 exec, exec, s[4:5]
	v_cmp_gt_i32_e32 vcc, s12, v6
	v_mov_b32_e32 v27, 0
	v_mov_b32_e32 v24, 0
	v_mov_b32_e32 v31, 0
	s_and_saveexec_b64 s[4:5], vcc
	s_cbranch_execz .LBB106_222
; %bb.221:
	v_add_u32_e32 v2, s2, v6
	v_mov_b32_e32 v3, 0
	v_lshlrev_b64 v[2:3], 2, v[2:3]
	v_mov_b32_e32 v5, s15
	v_add_co_u32_e32 v4, vcc, s14, v2
	v_addc_co_u32_e32 v5, vcc, v5, v3, vcc
	v_mov_b32_e32 v8, s11
	v_add_co_u32_e32 v2, vcc, s10, v2
	v_addc_co_u32_e32 v3, vcc, v8, v3, vcc
	global_load_dword v24, v[2:3], off
	global_load_dword v31, v[4:5], off
	v_add_u32_e32 v6, 0x100, v6
.LBB106_222:
	;; [unrolled: 40-line block ×7, first 2 shown]
	s_or_b64 exec, exec, s[4:5]
	v_cmp_gt_i32_e32 vcc, s12, v6
	v_mov_b32_e32 v3, 0
	s_and_saveexec_b64 s[4:5], vcc
	s_cbranch_execz .LBB106_244
; %bb.243:
	v_add_u32_e32 v2, s2, v6
	v_mov_b32_e32 v3, 0
	v_lshlrev_b64 v[2:3], 2, v[2:3]
	v_mov_b32_e32 v6, s15
	v_add_co_u32_e32 v35, vcc, s14, v2
	v_addc_co_u32_e32 v36, vcc, v6, v3, vcc
	v_mov_b32_e32 v6, s11
	v_add_co_u32_e32 v37, vcc, s10, v2
	v_addc_co_u32_e32 v38, vcc, v6, v3, vcc
	global_load_dword v2, v[37:38], off
	global_load_dword v3, v[35:36], off
.LBB106_244:
	s_or_b64 exec, exec, s[4:5]
                                        ; implicit-def: $vgpr6
	s_and_saveexec_b64 s[4:5], s[0:1]
	s_cbranch_execz .LBB106_276
; %bb.245:
	s_cmp_lt_i32 s13, 1
	s_mov_b64 s[6:7], 0
	s_cbranch_scc1 .LBB106_250
; %bb.246:
	s_cmp_gt_i32 s13, 1
	s_cbranch_scc0 .LBB106_266
; %bb.247:
	s_cmp_eq_u32 s13, 2
	s_cbranch_scc0 .LBB106_267
; %bb.248:
	s_waitcnt vmcnt(0)
	v_cmp_le_f32_e64 s[10:11], v7, v10
	s_mov_b64 s[14:15], 0
	s_branch .LBB106_268
.LBB106_249:
	s_waitcnt vmcnt(0)
	v_cmp_lt_f32_e32 vcc, v4, v8
	s_andn2_b64 s[42:43], s[42:43], exec
	s_and_b64 s[46:47], vcc, exec
	s_or_b64 s[42:43], s[42:43], s[46:47]
	s_cbranch_execz .LBB106_209
	s_branch .LBB106_210
.LBB106_250:
                                        ; implicit-def: $sgpr10_sgpr11
	s_mov_b64 s[14:15], 0
	s_cbranch_execnz .LBB106_271
	s_branch .LBB106_272
.LBB106_251:
	s_mov_b64 s[16:17], -1
                                        ; implicit-def: $sgpr4_sgpr5
	s_branch .LBB106_23
.LBB106_252:
	s_mov_b64 s[18:19], -1
                                        ; implicit-def: $sgpr6_sgpr7
	s_branch .LBB106_36
.LBB106_253:
	s_mov_b64 s[20:21], -1
                                        ; implicit-def: $sgpr16_sgpr17
	s_branch .LBB106_49
.LBB106_254:
	s_mov_b64 s[22:23], -1
                                        ; implicit-def: $sgpr18_sgpr19
	s_branch .LBB106_62
.LBB106_255:
	s_mov_b64 s[24:25], -1
                                        ; implicit-def: $sgpr20_sgpr21
	s_branch .LBB106_75
.LBB106_256:
	s_mov_b64 s[26:27], -1
                                        ; implicit-def: $sgpr22_sgpr23
	s_branch .LBB106_88
.LBB106_257:
	s_mov_b64 s[28:29], -1
                                        ; implicit-def: $sgpr24_sgpr25
	s_branch .LBB106_101
.LBB106_258:
	s_mov_b64 s[30:31], -1
                                        ; implicit-def: $sgpr26_sgpr27
	s_branch .LBB106_114
.LBB106_259:
	s_mov_b64 s[34:35], -1
                                        ; implicit-def: $sgpr28_sgpr29
	s_branch .LBB106_127
.LBB106_260:
	s_mov_b64 s[36:37], -1
                                        ; implicit-def: $sgpr30_sgpr31
	s_branch .LBB106_140
.LBB106_261:
	s_mov_b64 s[38:39], -1
                                        ; implicit-def: $sgpr34_sgpr35
	s_branch .LBB106_153
.LBB106_262:
	s_mov_b64 s[40:41], -1
                                        ; implicit-def: $sgpr36_sgpr37
	s_branch .LBB106_166
.LBB106_263:
	s_mov_b64 s[42:43], -1
                                        ; implicit-def: $sgpr38_sgpr39
	s_branch .LBB106_179
.LBB106_264:
	s_mov_b64 s[44:45], -1
                                        ; implicit-def: $sgpr40_sgpr41
	s_branch .LBB106_192
.LBB106_265:
	s_mov_b64 s[46:47], -1
                                        ; implicit-def: $sgpr42_sgpr43
	s_branch .LBB106_205
.LBB106_266:
	s_mov_b64 s[14:15], 0
                                        ; implicit-def: $sgpr10_sgpr11
	s_cbranch_execnz .LBB106_269
	s_branch .LBB106_270
.LBB106_267:
	s_mov_b64 s[14:15], -1
                                        ; implicit-def: $sgpr10_sgpr11
.LBB106_268:
	s_branch .LBB106_270
.LBB106_269:
	s_waitcnt vmcnt(0)
	v_cmp_gt_f32_e32 vcc, v7, v10
	s_andn2_b64 s[10:11], s[10:11], exec
	s_and_b64 s[16:17], vcc, exec
	s_or_b64 s[10:11], s[10:11], s[16:17]
.LBB106_270:
	s_branch .LBB106_272
.LBB106_271:
	s_cmp_lg_u32 s13, 0
	s_mov_b64 s[6:7], -1
	s_cselect_b64 s[14:15], -1, 0
.LBB106_272:
	s_andn2_b64 vcc, exec, s[14:15]
	s_cbranch_vccz .LBB106_281
; %bb.273:
	s_andn2_b64 vcc, exec, s[6:7]
	s_cbranch_vccnz .LBB106_275
.LBB106_274:
	s_waitcnt vmcnt(0)
	v_cmp_ge_f32_e32 vcc, v7, v10
	s_andn2_b64 s[6:7], s[10:11], exec
	s_and_b64 s[10:11], vcc, exec
	s_or_b64 s[10:11], s[6:7], s[10:11]
.LBB106_275:
	v_cndmask_b32_e64 v6, 0, 1, s[10:11]
.LBB106_276:
	s_or_b64 exec, exec, s[4:5]
	s_waitcnt vmcnt(1)
	v_or_b32_e32 v7, 0x100, v0
	v_cmp_gt_i32_e32 vcc, s12, v7
                                        ; implicit-def: $vgpr10
	s_and_saveexec_b64 s[4:5], vcc
	s_cbranch_execz .LBB106_291
; %bb.277:
	s_cmp_lt_i32 s13, 1
	s_mov_b64 s[6:7], 0
	s_cbranch_scc1 .LBB106_282
; %bb.278:
	s_cmp_gt_i32 s13, 1
	s_cbranch_scc0 .LBB106_283
; %bb.279:
	s_cmp_eq_u32 s13, 2
	s_cbranch_scc0 .LBB106_535
; %bb.280:
	s_waitcnt vmcnt(0)
	v_cmp_le_f32_e64 s[10:11], v14, v34
	s_mov_b64 s[14:15], 0
	s_branch .LBB106_285
.LBB106_281:
	s_waitcnt vmcnt(0)
	v_cmp_lt_f32_e32 vcc, v7, v10
	s_andn2_b64 s[10:11], s[10:11], exec
	s_and_b64 s[14:15], vcc, exec
	s_or_b64 s[10:11], s[10:11], s[14:15]
	s_cbranch_execz .LBB106_274
	s_branch .LBB106_275
.LBB106_282:
                                        ; implicit-def: $sgpr10_sgpr11
	s_mov_b64 s[14:15], 0
	s_cbranch_execnz .LBB106_286
	s_branch .LBB106_287
.LBB106_283:
	s_mov_b64 s[14:15], 0
                                        ; implicit-def: $sgpr10_sgpr11
	s_cbranch_execz .LBB106_285
; %bb.284:
	s_waitcnt vmcnt(0)
	v_cmp_gt_f32_e32 vcc, v14, v34
	s_andn2_b64 s[10:11], s[10:11], exec
	s_and_b64 s[16:17], vcc, exec
	s_or_b64 s[10:11], s[10:11], s[16:17]
.LBB106_285:
	s_branch .LBB106_287
.LBB106_286:
	s_cmp_lg_u32 s13, 0
	s_mov_b64 s[6:7], -1
	s_cselect_b64 s[14:15], -1, 0
.LBB106_287:
	s_andn2_b64 vcc, exec, s[14:15]
	s_cbranch_vccz .LBB106_296
; %bb.288:
	s_andn2_b64 vcc, exec, s[6:7]
	s_cbranch_vccnz .LBB106_290
.LBB106_289:
	s_waitcnt vmcnt(0)
	v_cmp_ge_f32_e32 vcc, v14, v34
	s_andn2_b64 s[6:7], s[10:11], exec
	s_and_b64 s[10:11], vcc, exec
	s_or_b64 s[10:11], s[6:7], s[10:11]
.LBB106_290:
	s_waitcnt vmcnt(0)
	v_cndmask_b32_e64 v10, 0, 1, s[10:11]
.LBB106_291:
	s_or_b64 exec, exec, s[4:5]
	v_or_b32_e32 v14, 0x200, v0
	v_cmp_gt_i32_e32 vcc, s12, v14
                                        ; implicit-def: $vgpr14
	s_and_saveexec_b64 s[4:5], vcc
	s_cbranch_execz .LBB106_306
; %bb.292:
	s_cmp_lt_i32 s13, 1
	s_mov_b64 s[6:7], 0
	s_cbranch_scc1 .LBB106_297
; %bb.293:
	s_cmp_gt_i32 s13, 1
	s_cbranch_scc0 .LBB106_298
; %bb.294:
	s_cmp_eq_u32 s13, 2
	s_cbranch_scc0 .LBB106_536
; %bb.295:
	s_waitcnt vmcnt(0)
	v_cmp_le_f32_e64 s[10:11], v16, v33
	s_mov_b64 s[14:15], 0
	s_branch .LBB106_300
.LBB106_296:
	s_waitcnt vmcnt(0)
	v_cmp_lt_f32_e32 vcc, v14, v34
	s_andn2_b64 s[10:11], s[10:11], exec
	s_and_b64 s[14:15], vcc, exec
	s_or_b64 s[10:11], s[10:11], s[14:15]
	s_cbranch_execz .LBB106_289
	s_branch .LBB106_290
.LBB106_297:
                                        ; implicit-def: $sgpr10_sgpr11
	s_mov_b64 s[14:15], 0
	s_cbranch_execnz .LBB106_301
	s_branch .LBB106_302
.LBB106_298:
	s_mov_b64 s[14:15], 0
                                        ; implicit-def: $sgpr10_sgpr11
	s_cbranch_execz .LBB106_300
; %bb.299:
	s_waitcnt vmcnt(0)
	v_cmp_gt_f32_e32 vcc, v16, v33
	s_andn2_b64 s[10:11], s[10:11], exec
	s_and_b64 s[16:17], vcc, exec
	s_or_b64 s[10:11], s[10:11], s[16:17]
.LBB106_300:
	s_branch .LBB106_302
.LBB106_301:
	s_cmp_lg_u32 s13, 0
	s_mov_b64 s[6:7], -1
	s_cselect_b64 s[14:15], -1, 0
.LBB106_302:
	s_andn2_b64 vcc, exec, s[14:15]
	s_cbranch_vccz .LBB106_311
; %bb.303:
	s_andn2_b64 vcc, exec, s[6:7]
	s_cbranch_vccnz .LBB106_305
.LBB106_304:
	s_waitcnt vmcnt(0)
	v_cmp_ge_f32_e32 vcc, v16, v33
	s_andn2_b64 s[6:7], s[10:11], exec
	s_and_b64 s[10:11], vcc, exec
	s_or_b64 s[10:11], s[6:7], s[10:11]
.LBB106_305:
	v_cndmask_b32_e64 v14, 0, 1, s[10:11]
.LBB106_306:
	s_or_b64 exec, exec, s[4:5]
	v_or_b32_e32 v16, 0x300, v0
	v_cmp_gt_i32_e32 vcc, s12, v16
                                        ; implicit-def: $vgpr16
	s_and_saveexec_b64 s[4:5], vcc
	s_cbranch_execz .LBB106_321
; %bb.307:
	s_cmp_lt_i32 s13, 1
	s_mov_b64 s[6:7], 0
	s_cbranch_scc1 .LBB106_312
; %bb.308:
	s_cmp_gt_i32 s13, 1
	s_cbranch_scc0 .LBB106_313
; %bb.309:
	s_cmp_eq_u32 s13, 2
	s_cbranch_scc0 .LBB106_537
; %bb.310:
	s_waitcnt vmcnt(0)
	v_cmp_le_f32_e64 s[10:11], v21, v32
	s_mov_b64 s[14:15], 0
	s_branch .LBB106_315
.LBB106_311:
	s_waitcnt vmcnt(0)
	v_cmp_lt_f32_e32 vcc, v16, v33
	s_andn2_b64 s[10:11], s[10:11], exec
	s_and_b64 s[14:15], vcc, exec
	s_or_b64 s[10:11], s[10:11], s[14:15]
	s_cbranch_execz .LBB106_304
	s_branch .LBB106_305
.LBB106_312:
                                        ; implicit-def: $sgpr10_sgpr11
	s_mov_b64 s[14:15], 0
	s_cbranch_execnz .LBB106_316
	s_branch .LBB106_317
.LBB106_313:
	s_mov_b64 s[14:15], 0
                                        ; implicit-def: $sgpr10_sgpr11
	s_cbranch_execz .LBB106_315
; %bb.314:
	s_waitcnt vmcnt(0)
	v_cmp_gt_f32_e32 vcc, v21, v32
	s_andn2_b64 s[10:11], s[10:11], exec
	s_and_b64 s[16:17], vcc, exec
	s_or_b64 s[10:11], s[10:11], s[16:17]
.LBB106_315:
	s_branch .LBB106_317
.LBB106_316:
	s_cmp_lg_u32 s13, 0
	s_mov_b64 s[6:7], -1
	s_cselect_b64 s[14:15], -1, 0
.LBB106_317:
	s_andn2_b64 vcc, exec, s[14:15]
	s_cbranch_vccz .LBB106_326
; %bb.318:
	s_andn2_b64 vcc, exec, s[6:7]
	s_cbranch_vccnz .LBB106_320
.LBB106_319:
	s_waitcnt vmcnt(0)
	v_cmp_ge_f32_e32 vcc, v21, v32
	s_andn2_b64 s[6:7], s[10:11], exec
	s_and_b64 s[10:11], vcc, exec
	s_or_b64 s[10:11], s[6:7], s[10:11]
.LBB106_320:
	v_cndmask_b32_e64 v16, 0, 1, s[10:11]
.LBB106_321:
	s_or_b64 exec, exec, s[4:5]
	v_or_b32_e32 v21, 0x400, v0
	v_cmp_gt_i32_e32 vcc, s12, v21
                                        ; implicit-def: $vgpr21
	s_and_saveexec_b64 s[4:5], vcc
	s_cbranch_execz .LBB106_336
; %bb.322:
	s_cmp_lt_i32 s13, 1
	s_mov_b64 s[6:7], 0
	s_cbranch_scc1 .LBB106_327
; %bb.323:
	s_cmp_gt_i32 s13, 1
	s_cbranch_scc0 .LBB106_328
; %bb.324:
	s_cmp_eq_u32 s13, 2
	s_cbranch_scc0 .LBB106_538
; %bb.325:
	s_waitcnt vmcnt(0)
	v_cmp_le_f32_e64 s[10:11], v24, v31
	s_mov_b64 s[14:15], 0
	s_branch .LBB106_330
.LBB106_326:
	s_waitcnt vmcnt(0)
	v_cmp_lt_f32_e32 vcc, v21, v32
	s_andn2_b64 s[10:11], s[10:11], exec
	s_and_b64 s[14:15], vcc, exec
	s_or_b64 s[10:11], s[10:11], s[14:15]
	s_cbranch_execz .LBB106_319
	s_branch .LBB106_320
.LBB106_327:
                                        ; implicit-def: $sgpr10_sgpr11
	s_mov_b64 s[14:15], 0
	s_cbranch_execnz .LBB106_331
	s_branch .LBB106_332
.LBB106_328:
	s_mov_b64 s[14:15], 0
                                        ; implicit-def: $sgpr10_sgpr11
	s_cbranch_execz .LBB106_330
; %bb.329:
	s_waitcnt vmcnt(0)
	v_cmp_gt_f32_e32 vcc, v24, v31
	s_andn2_b64 s[10:11], s[10:11], exec
	s_and_b64 s[16:17], vcc, exec
	s_or_b64 s[10:11], s[10:11], s[16:17]
.LBB106_330:
	s_branch .LBB106_332
.LBB106_331:
	s_cmp_lg_u32 s13, 0
	s_mov_b64 s[6:7], -1
	s_cselect_b64 s[14:15], -1, 0
.LBB106_332:
	s_andn2_b64 vcc, exec, s[14:15]
	s_cbranch_vccz .LBB106_341
; %bb.333:
	s_andn2_b64 vcc, exec, s[6:7]
	s_cbranch_vccnz .LBB106_335
.LBB106_334:
	s_waitcnt vmcnt(0)
	v_cmp_ge_f32_e32 vcc, v24, v31
	s_andn2_b64 s[6:7], s[10:11], exec
	s_and_b64 s[10:11], vcc, exec
	s_or_b64 s[10:11], s[6:7], s[10:11]
.LBB106_335:
	v_cndmask_b32_e64 v21, 0, 1, s[10:11]
.LBB106_336:
	s_or_b64 exec, exec, s[4:5]
	v_or_b32_e32 v24, 0x500, v0
	v_cmp_gt_i32_e32 vcc, s12, v24
                                        ; implicit-def: $vgpr24
	s_and_saveexec_b64 s[4:5], vcc
	s_cbranch_execz .LBB106_351
; %bb.337:
	s_cmp_lt_i32 s13, 1
	s_mov_b64 s[6:7], 0
	s_cbranch_scc1 .LBB106_342
; %bb.338:
	s_cmp_gt_i32 s13, 1
	s_cbranch_scc0 .LBB106_343
; %bb.339:
	s_cmp_eq_u32 s13, 2
	s_cbranch_scc0 .LBB106_539
; %bb.340:
	s_waitcnt vmcnt(0)
	v_cmp_le_f32_e64 s[10:11], v27, v30
	s_mov_b64 s[14:15], 0
	s_branch .LBB106_345
.LBB106_341:
	s_waitcnt vmcnt(0)
	v_cmp_lt_f32_e32 vcc, v24, v31
	s_andn2_b64 s[10:11], s[10:11], exec
	s_and_b64 s[14:15], vcc, exec
	s_or_b64 s[10:11], s[10:11], s[14:15]
	s_cbranch_execz .LBB106_334
	s_branch .LBB106_335
.LBB106_342:
                                        ; implicit-def: $sgpr10_sgpr11
	s_mov_b64 s[14:15], 0
	s_cbranch_execnz .LBB106_346
	s_branch .LBB106_347
.LBB106_343:
	s_mov_b64 s[14:15], 0
                                        ; implicit-def: $sgpr10_sgpr11
	s_cbranch_execz .LBB106_345
; %bb.344:
	s_waitcnt vmcnt(0)
	v_cmp_gt_f32_e32 vcc, v27, v30
	s_andn2_b64 s[10:11], s[10:11], exec
	s_and_b64 s[16:17], vcc, exec
	s_or_b64 s[10:11], s[10:11], s[16:17]
.LBB106_345:
	s_branch .LBB106_347
.LBB106_346:
	s_cmp_lg_u32 s13, 0
	s_mov_b64 s[6:7], -1
	s_cselect_b64 s[14:15], -1, 0
.LBB106_347:
	s_andn2_b64 vcc, exec, s[14:15]
	s_cbranch_vccz .LBB106_356
; %bb.348:
	s_andn2_b64 vcc, exec, s[6:7]
	s_cbranch_vccnz .LBB106_350
.LBB106_349:
	s_waitcnt vmcnt(0)
	v_cmp_ge_f32_e32 vcc, v27, v30
	s_andn2_b64 s[6:7], s[10:11], exec
	s_and_b64 s[10:11], vcc, exec
	s_or_b64 s[10:11], s[6:7], s[10:11]
.LBB106_350:
	v_cndmask_b32_e64 v24, 0, 1, s[10:11]
.LBB106_351:
	s_or_b64 exec, exec, s[4:5]
	v_or_b32_e32 v27, 0x600, v0
	v_cmp_gt_i32_e32 vcc, s12, v27
                                        ; implicit-def: $vgpr27
	s_and_saveexec_b64 s[4:5], vcc
	s_cbranch_execz .LBB106_366
; %bb.352:
	s_cmp_lt_i32 s13, 1
	s_mov_b64 s[6:7], 0
	s_cbranch_scc1 .LBB106_357
; %bb.353:
	s_cmp_gt_i32 s13, 1
	s_cbranch_scc0 .LBB106_358
; %bb.354:
	s_cmp_eq_u32 s13, 2
	s_cbranch_scc0 .LBB106_540
; %bb.355:
	s_waitcnt vmcnt(0)
	v_cmp_le_f32_e64 s[10:11], v28, v29
	s_mov_b64 s[14:15], 0
	s_branch .LBB106_360
.LBB106_356:
	s_waitcnt vmcnt(0)
	v_cmp_lt_f32_e32 vcc, v27, v30
	s_andn2_b64 s[10:11], s[10:11], exec
	s_and_b64 s[14:15], vcc, exec
	s_or_b64 s[10:11], s[10:11], s[14:15]
	s_cbranch_execz .LBB106_349
	s_branch .LBB106_350
.LBB106_357:
                                        ; implicit-def: $sgpr10_sgpr11
	s_mov_b64 s[14:15], 0
	s_cbranch_execnz .LBB106_361
	s_branch .LBB106_362
.LBB106_358:
	s_mov_b64 s[14:15], 0
                                        ; implicit-def: $sgpr10_sgpr11
	s_cbranch_execz .LBB106_360
; %bb.359:
	s_waitcnt vmcnt(0)
	v_cmp_gt_f32_e32 vcc, v28, v29
	s_andn2_b64 s[10:11], s[10:11], exec
	s_and_b64 s[16:17], vcc, exec
	s_or_b64 s[10:11], s[10:11], s[16:17]
.LBB106_360:
	s_branch .LBB106_362
.LBB106_361:
	s_cmp_lg_u32 s13, 0
	s_mov_b64 s[6:7], -1
	s_cselect_b64 s[14:15], -1, 0
.LBB106_362:
	s_andn2_b64 vcc, exec, s[14:15]
	s_cbranch_vccz .LBB106_371
; %bb.363:
	s_andn2_b64 vcc, exec, s[6:7]
	s_cbranch_vccnz .LBB106_365
.LBB106_364:
	s_waitcnt vmcnt(0)
	v_cmp_ge_f32_e32 vcc, v28, v29
	s_andn2_b64 s[6:7], s[10:11], exec
	s_and_b64 s[10:11], vcc, exec
	s_or_b64 s[10:11], s[6:7], s[10:11]
.LBB106_365:
	v_cndmask_b32_e64 v27, 0, 1, s[10:11]
.LBB106_366:
	s_or_b64 exec, exec, s[4:5]
	v_or_b32_e32 v28, 0x700, v0
	v_cmp_gt_i32_e32 vcc, s12, v28
                                        ; implicit-def: $vgpr28
	s_and_saveexec_b64 s[4:5], vcc
	s_cbranch_execz .LBB106_381
; %bb.367:
	s_cmp_lt_i32 s13, 1
	s_mov_b64 s[6:7], 0
	s_cbranch_scc1 .LBB106_372
; %bb.368:
	s_cmp_gt_i32 s13, 1
	s_cbranch_scc0 .LBB106_373
; %bb.369:
	s_cmp_eq_u32 s13, 2
	s_cbranch_scc0 .LBB106_541
; %bb.370:
	s_waitcnt vmcnt(0)
	v_cmp_le_f32_e64 s[10:11], v25, v26
	s_mov_b64 s[14:15], 0
	s_branch .LBB106_375
.LBB106_371:
	s_waitcnt vmcnt(0)
	v_cmp_lt_f32_e32 vcc, v28, v29
	s_andn2_b64 s[10:11], s[10:11], exec
	s_and_b64 s[14:15], vcc, exec
	s_or_b64 s[10:11], s[10:11], s[14:15]
	s_cbranch_execz .LBB106_364
	s_branch .LBB106_365
.LBB106_372:
                                        ; implicit-def: $sgpr10_sgpr11
	s_mov_b64 s[14:15], 0
	s_cbranch_execnz .LBB106_376
	s_branch .LBB106_377
.LBB106_373:
	s_mov_b64 s[14:15], 0
                                        ; implicit-def: $sgpr10_sgpr11
	s_cbranch_execz .LBB106_375
; %bb.374:
	s_waitcnt vmcnt(0)
	v_cmp_gt_f32_e32 vcc, v25, v26
	s_andn2_b64 s[10:11], s[10:11], exec
	s_and_b64 s[16:17], vcc, exec
	s_or_b64 s[10:11], s[10:11], s[16:17]
.LBB106_375:
	s_branch .LBB106_377
.LBB106_376:
	s_cmp_lg_u32 s13, 0
	s_mov_b64 s[6:7], -1
	s_cselect_b64 s[14:15], -1, 0
.LBB106_377:
	s_andn2_b64 vcc, exec, s[14:15]
	s_cbranch_vccz .LBB106_386
; %bb.378:
	s_andn2_b64 vcc, exec, s[6:7]
	s_cbranch_vccnz .LBB106_380
.LBB106_379:
	s_waitcnt vmcnt(0)
	v_cmp_ge_f32_e32 vcc, v25, v26
	s_andn2_b64 s[6:7], s[10:11], exec
	s_and_b64 s[10:11], vcc, exec
	s_or_b64 s[10:11], s[6:7], s[10:11]
.LBB106_380:
	v_cndmask_b32_e64 v28, 0, 1, s[10:11]
.LBB106_381:
	s_or_b64 exec, exec, s[4:5]
	v_or_b32_e32 v25, 0x800, v0
	v_cmp_gt_i32_e32 vcc, s12, v25
                                        ; implicit-def: $vgpr25
	s_and_saveexec_b64 s[4:5], vcc
	s_cbranch_execz .LBB106_396
; %bb.382:
	s_cmp_lt_i32 s13, 1
	s_mov_b64 s[6:7], 0
	s_cbranch_scc1 .LBB106_387
; %bb.383:
	s_cmp_gt_i32 s13, 1
	s_cbranch_scc0 .LBB106_388
; %bb.384:
	s_cmp_eq_u32 s13, 2
	s_cbranch_scc0 .LBB106_542
; %bb.385:
	s_waitcnt vmcnt(0)
	v_cmp_le_f32_e64 s[10:11], v22, v23
	s_mov_b64 s[14:15], 0
	s_branch .LBB106_390
.LBB106_386:
	s_waitcnt vmcnt(0)
	v_cmp_lt_f32_e32 vcc, v25, v26
	s_andn2_b64 s[10:11], s[10:11], exec
	s_and_b64 s[14:15], vcc, exec
	s_or_b64 s[10:11], s[10:11], s[14:15]
	s_cbranch_execz .LBB106_379
	s_branch .LBB106_380
.LBB106_387:
                                        ; implicit-def: $sgpr10_sgpr11
	s_mov_b64 s[14:15], 0
	s_cbranch_execnz .LBB106_391
	s_branch .LBB106_392
.LBB106_388:
	s_mov_b64 s[14:15], 0
                                        ; implicit-def: $sgpr10_sgpr11
	s_cbranch_execz .LBB106_390
; %bb.389:
	s_waitcnt vmcnt(0)
	v_cmp_gt_f32_e32 vcc, v22, v23
	s_andn2_b64 s[10:11], s[10:11], exec
	s_and_b64 s[16:17], vcc, exec
	s_or_b64 s[10:11], s[10:11], s[16:17]
.LBB106_390:
	s_branch .LBB106_392
.LBB106_391:
	s_cmp_lg_u32 s13, 0
	s_mov_b64 s[6:7], -1
	s_cselect_b64 s[14:15], -1, 0
.LBB106_392:
	s_andn2_b64 vcc, exec, s[14:15]
	s_cbranch_vccz .LBB106_401
; %bb.393:
	s_andn2_b64 vcc, exec, s[6:7]
	s_cbranch_vccnz .LBB106_395
.LBB106_394:
	s_waitcnt vmcnt(0)
	v_cmp_ge_f32_e32 vcc, v22, v23
	s_andn2_b64 s[6:7], s[10:11], exec
	s_and_b64 s[10:11], vcc, exec
	s_or_b64 s[10:11], s[6:7], s[10:11]
.LBB106_395:
	v_cndmask_b32_e64 v25, 0, 1, s[10:11]
.LBB106_396:
	s_or_b64 exec, exec, s[4:5]
	v_or_b32_e32 v22, 0x900, v0
	v_cmp_gt_i32_e32 vcc, s12, v22
                                        ; implicit-def: $vgpr22
	s_and_saveexec_b64 s[4:5], vcc
	s_cbranch_execz .LBB106_411
; %bb.397:
	s_cmp_lt_i32 s13, 1
	s_mov_b64 s[6:7], 0
	s_cbranch_scc1 .LBB106_402
; %bb.398:
	s_cmp_gt_i32 s13, 1
	s_cbranch_scc0 .LBB106_403
; %bb.399:
	s_cmp_eq_u32 s13, 2
	s_cbranch_scc0 .LBB106_543
; %bb.400:
	s_waitcnt vmcnt(0)
	v_cmp_le_f32_e64 s[10:11], v19, v20
	s_mov_b64 s[14:15], 0
	s_branch .LBB106_405
.LBB106_401:
	s_waitcnt vmcnt(0)
	v_cmp_lt_f32_e32 vcc, v22, v23
	s_andn2_b64 s[10:11], s[10:11], exec
	s_and_b64 s[14:15], vcc, exec
	s_or_b64 s[10:11], s[10:11], s[14:15]
	s_cbranch_execz .LBB106_394
	s_branch .LBB106_395
.LBB106_402:
                                        ; implicit-def: $sgpr10_sgpr11
	s_mov_b64 s[14:15], 0
	s_cbranch_execnz .LBB106_406
	s_branch .LBB106_407
.LBB106_403:
	s_mov_b64 s[14:15], 0
                                        ; implicit-def: $sgpr10_sgpr11
	s_cbranch_execz .LBB106_405
; %bb.404:
	s_waitcnt vmcnt(0)
	v_cmp_gt_f32_e32 vcc, v19, v20
	s_andn2_b64 s[10:11], s[10:11], exec
	s_and_b64 s[16:17], vcc, exec
	s_or_b64 s[10:11], s[10:11], s[16:17]
.LBB106_405:
	s_branch .LBB106_407
.LBB106_406:
	s_cmp_lg_u32 s13, 0
	s_mov_b64 s[6:7], -1
	s_cselect_b64 s[14:15], -1, 0
.LBB106_407:
	s_andn2_b64 vcc, exec, s[14:15]
	s_cbranch_vccz .LBB106_416
; %bb.408:
	s_andn2_b64 vcc, exec, s[6:7]
	s_cbranch_vccnz .LBB106_410
.LBB106_409:
	s_waitcnt vmcnt(0)
	v_cmp_ge_f32_e32 vcc, v19, v20
	s_andn2_b64 s[6:7], s[10:11], exec
	s_and_b64 s[10:11], vcc, exec
	s_or_b64 s[10:11], s[6:7], s[10:11]
.LBB106_410:
	v_cndmask_b32_e64 v22, 0, 1, s[10:11]
.LBB106_411:
	s_or_b64 exec, exec, s[4:5]
	v_or_b32_e32 v19, 0xa00, v0
	v_cmp_gt_i32_e32 vcc, s12, v19
                                        ; implicit-def: $vgpr19
	s_and_saveexec_b64 s[4:5], vcc
	s_cbranch_execz .LBB106_426
; %bb.412:
	s_cmp_lt_i32 s13, 1
	s_mov_b64 s[6:7], 0
	s_cbranch_scc1 .LBB106_417
; %bb.413:
	s_cmp_gt_i32 s13, 1
	s_cbranch_scc0 .LBB106_418
; %bb.414:
	s_cmp_eq_u32 s13, 2
	s_cbranch_scc0 .LBB106_544
; %bb.415:
	s_waitcnt vmcnt(0)
	v_cmp_le_f32_e64 s[10:11], v17, v18
	s_mov_b64 s[14:15], 0
	s_branch .LBB106_420
.LBB106_416:
	s_waitcnt vmcnt(0)
	v_cmp_lt_f32_e32 vcc, v19, v20
	s_andn2_b64 s[10:11], s[10:11], exec
	s_and_b64 s[14:15], vcc, exec
	s_or_b64 s[10:11], s[10:11], s[14:15]
	s_cbranch_execz .LBB106_409
	s_branch .LBB106_410
.LBB106_417:
                                        ; implicit-def: $sgpr10_sgpr11
	s_mov_b64 s[14:15], 0
	s_cbranch_execnz .LBB106_421
	s_branch .LBB106_422
.LBB106_418:
	s_mov_b64 s[14:15], 0
                                        ; implicit-def: $sgpr10_sgpr11
	s_cbranch_execz .LBB106_420
; %bb.419:
	s_waitcnt vmcnt(0)
	v_cmp_gt_f32_e32 vcc, v17, v18
	s_andn2_b64 s[10:11], s[10:11], exec
	s_and_b64 s[16:17], vcc, exec
	s_or_b64 s[10:11], s[10:11], s[16:17]
.LBB106_420:
	s_branch .LBB106_422
.LBB106_421:
	s_cmp_lg_u32 s13, 0
	s_mov_b64 s[6:7], -1
	s_cselect_b64 s[14:15], -1, 0
.LBB106_422:
	s_andn2_b64 vcc, exec, s[14:15]
	s_cbranch_vccz .LBB106_431
; %bb.423:
	s_andn2_b64 vcc, exec, s[6:7]
	s_cbranch_vccnz .LBB106_425
.LBB106_424:
	s_waitcnt vmcnt(0)
	v_cmp_ge_f32_e32 vcc, v17, v18
	s_andn2_b64 s[6:7], s[10:11], exec
	s_and_b64 s[10:11], vcc, exec
	s_or_b64 s[10:11], s[6:7], s[10:11]
.LBB106_425:
	v_cndmask_b32_e64 v19, 0, 1, s[10:11]
.LBB106_426:
	s_or_b64 exec, exec, s[4:5]
	v_or_b32_e32 v17, 0xb00, v0
	v_cmp_gt_i32_e32 vcc, s12, v17
                                        ; implicit-def: $vgpr17
	s_and_saveexec_b64 s[4:5], vcc
	s_cbranch_execz .LBB106_441
; %bb.427:
	s_cmp_lt_i32 s13, 1
	s_mov_b64 s[6:7], 0
	s_cbranch_scc1 .LBB106_432
; %bb.428:
	s_cmp_gt_i32 s13, 1
	s_cbranch_scc0 .LBB106_433
; %bb.429:
	s_cmp_eq_u32 s13, 2
	s_cbranch_scc0 .LBB106_545
; %bb.430:
	s_waitcnt vmcnt(0)
	v_cmp_le_f32_e64 s[10:11], v13, v15
	s_mov_b64 s[14:15], 0
	s_branch .LBB106_435
.LBB106_431:
	s_waitcnt vmcnt(0)
	v_cmp_lt_f32_e32 vcc, v17, v18
	s_andn2_b64 s[10:11], s[10:11], exec
	s_and_b64 s[14:15], vcc, exec
	s_or_b64 s[10:11], s[10:11], s[14:15]
	s_cbranch_execz .LBB106_424
	s_branch .LBB106_425
.LBB106_432:
                                        ; implicit-def: $sgpr10_sgpr11
	s_mov_b64 s[14:15], 0
	s_cbranch_execnz .LBB106_436
	s_branch .LBB106_437
.LBB106_433:
	s_mov_b64 s[14:15], 0
                                        ; implicit-def: $sgpr10_sgpr11
	s_cbranch_execz .LBB106_435
; %bb.434:
	s_waitcnt vmcnt(0)
	v_cmp_gt_f32_e32 vcc, v13, v15
	s_andn2_b64 s[10:11], s[10:11], exec
	s_and_b64 s[16:17], vcc, exec
	s_or_b64 s[10:11], s[10:11], s[16:17]
.LBB106_435:
	s_branch .LBB106_437
.LBB106_436:
	s_cmp_lg_u32 s13, 0
	s_mov_b64 s[6:7], -1
	s_cselect_b64 s[14:15], -1, 0
.LBB106_437:
	s_andn2_b64 vcc, exec, s[14:15]
	s_cbranch_vccz .LBB106_446
; %bb.438:
	s_andn2_b64 vcc, exec, s[6:7]
	s_cbranch_vccnz .LBB106_440
.LBB106_439:
	s_waitcnt vmcnt(0)
	v_cmp_ge_f32_e32 vcc, v13, v15
	s_andn2_b64 s[6:7], s[10:11], exec
	s_and_b64 s[10:11], vcc, exec
	s_or_b64 s[10:11], s[6:7], s[10:11]
.LBB106_440:
	v_cndmask_b32_e64 v17, 0, 1, s[10:11]
.LBB106_441:
	s_or_b64 exec, exec, s[4:5]
	v_or_b32_e32 v13, 0xc00, v0
	v_cmp_gt_i32_e32 vcc, s12, v13
                                        ; implicit-def: $vgpr13
	s_and_saveexec_b64 s[4:5], vcc
	s_cbranch_execz .LBB106_456
; %bb.442:
	s_cmp_lt_i32 s13, 1
	s_mov_b64 s[6:7], 0
	s_cbranch_scc1 .LBB106_447
; %bb.443:
	s_cmp_gt_i32 s13, 1
	s_cbranch_scc0 .LBB106_448
; %bb.444:
	s_cmp_eq_u32 s13, 2
	s_cbranch_scc0 .LBB106_546
; %bb.445:
	s_waitcnt vmcnt(0)
	v_cmp_le_f32_e64 s[10:11], v11, v12
	s_mov_b64 s[14:15], 0
	s_branch .LBB106_450
.LBB106_446:
	s_waitcnt vmcnt(0)
	v_cmp_lt_f32_e32 vcc, v13, v15
	s_andn2_b64 s[10:11], s[10:11], exec
	s_and_b64 s[14:15], vcc, exec
	s_or_b64 s[10:11], s[10:11], s[14:15]
	s_cbranch_execz .LBB106_439
	s_branch .LBB106_440
.LBB106_447:
                                        ; implicit-def: $sgpr10_sgpr11
	s_mov_b64 s[14:15], 0
	s_cbranch_execnz .LBB106_451
	s_branch .LBB106_452
.LBB106_448:
	s_mov_b64 s[14:15], 0
                                        ; implicit-def: $sgpr10_sgpr11
	s_cbranch_execz .LBB106_450
; %bb.449:
	s_waitcnt vmcnt(0)
	v_cmp_gt_f32_e32 vcc, v11, v12
	s_andn2_b64 s[10:11], s[10:11], exec
	s_and_b64 s[16:17], vcc, exec
	s_or_b64 s[10:11], s[10:11], s[16:17]
.LBB106_450:
	s_branch .LBB106_452
.LBB106_451:
	s_cmp_lg_u32 s13, 0
	s_mov_b64 s[6:7], -1
	s_cselect_b64 s[14:15], -1, 0
.LBB106_452:
	s_andn2_b64 vcc, exec, s[14:15]
	s_cbranch_vccz .LBB106_461
; %bb.453:
	s_andn2_b64 vcc, exec, s[6:7]
	s_cbranch_vccnz .LBB106_455
.LBB106_454:
	s_waitcnt vmcnt(0)
	v_cmp_ge_f32_e32 vcc, v11, v12
	s_andn2_b64 s[6:7], s[10:11], exec
	s_and_b64 s[10:11], vcc, exec
	s_or_b64 s[10:11], s[6:7], s[10:11]
.LBB106_455:
	v_cndmask_b32_e64 v13, 0, 1, s[10:11]
.LBB106_456:
	s_or_b64 exec, exec, s[4:5]
	v_or_b32_e32 v11, 0xd00, v0
	v_cmp_gt_i32_e32 vcc, s12, v11
                                        ; implicit-def: $vgpr11
	s_and_saveexec_b64 s[4:5], vcc
	s_cbranch_execz .LBB106_471
; %bb.457:
	s_cmp_lt_i32 s13, 1
	s_mov_b64 s[6:7], 0
	s_cbranch_scc1 .LBB106_462
; %bb.458:
	s_cmp_gt_i32 s13, 1
	s_cbranch_scc0 .LBB106_463
; %bb.459:
	s_cmp_eq_u32 s13, 2
	s_cbranch_scc0 .LBB106_547
; %bb.460:
	s_waitcnt vmcnt(0)
	v_cmp_le_f32_e64 s[10:11], v8, v9
	s_mov_b64 s[14:15], 0
	s_branch .LBB106_465
.LBB106_461:
	s_waitcnt vmcnt(0)
	v_cmp_lt_f32_e32 vcc, v11, v12
	s_andn2_b64 s[10:11], s[10:11], exec
	s_and_b64 s[14:15], vcc, exec
	s_or_b64 s[10:11], s[10:11], s[14:15]
	s_cbranch_execz .LBB106_454
	s_branch .LBB106_455
.LBB106_462:
                                        ; implicit-def: $sgpr10_sgpr11
	s_mov_b64 s[14:15], 0
	s_cbranch_execnz .LBB106_466
	s_branch .LBB106_467
.LBB106_463:
	s_mov_b64 s[14:15], 0
                                        ; implicit-def: $sgpr10_sgpr11
	s_cbranch_execz .LBB106_465
; %bb.464:
	s_waitcnt vmcnt(0)
	v_cmp_gt_f32_e32 vcc, v8, v9
	s_andn2_b64 s[10:11], s[10:11], exec
	s_and_b64 s[16:17], vcc, exec
	s_or_b64 s[10:11], s[10:11], s[16:17]
.LBB106_465:
	s_branch .LBB106_467
.LBB106_466:
	s_cmp_lg_u32 s13, 0
	s_mov_b64 s[6:7], -1
	s_cselect_b64 s[14:15], -1, 0
.LBB106_467:
	s_andn2_b64 vcc, exec, s[14:15]
	s_cbranch_vccz .LBB106_476
; %bb.468:
	s_andn2_b64 vcc, exec, s[6:7]
	s_cbranch_vccnz .LBB106_470
.LBB106_469:
	s_waitcnt vmcnt(0)
	v_cmp_ge_f32_e32 vcc, v8, v9
	s_andn2_b64 s[6:7], s[10:11], exec
	s_and_b64 s[10:11], vcc, exec
	s_or_b64 s[10:11], s[6:7], s[10:11]
.LBB106_470:
	v_cndmask_b32_e64 v11, 0, 1, s[10:11]
.LBB106_471:
	s_or_b64 exec, exec, s[4:5]
	v_or_b32_e32 v8, 0xe00, v0
	v_cmp_gt_i32_e32 vcc, s12, v8
                                        ; implicit-def: $vgpr8
	s_and_saveexec_b64 s[4:5], vcc
	s_cbranch_execz .LBB106_486
; %bb.472:
	s_cmp_lt_i32 s13, 1
	s_mov_b64 s[6:7], 0
	s_cbranch_scc1 .LBB106_477
; %bb.473:
	s_cmp_gt_i32 s13, 1
	s_cbranch_scc0 .LBB106_478
; %bb.474:
	s_cmp_eq_u32 s13, 2
	s_cbranch_scc0 .LBB106_548
; %bb.475:
	s_waitcnt vmcnt(0)
	v_cmp_le_f32_e64 s[10:11], v4, v5
	s_mov_b64 s[14:15], 0
	s_branch .LBB106_480
.LBB106_476:
	s_waitcnt vmcnt(0)
	v_cmp_lt_f32_e32 vcc, v8, v9
	s_andn2_b64 s[10:11], s[10:11], exec
	s_and_b64 s[14:15], vcc, exec
	s_or_b64 s[10:11], s[10:11], s[14:15]
	s_cbranch_execz .LBB106_469
	s_branch .LBB106_470
.LBB106_477:
                                        ; implicit-def: $sgpr10_sgpr11
	s_mov_b64 s[14:15], 0
	s_cbranch_execnz .LBB106_481
	s_branch .LBB106_482
.LBB106_478:
	s_mov_b64 s[14:15], 0
                                        ; implicit-def: $sgpr10_sgpr11
	s_cbranch_execz .LBB106_480
; %bb.479:
	s_waitcnt vmcnt(0)
	v_cmp_gt_f32_e32 vcc, v4, v5
	s_andn2_b64 s[10:11], s[10:11], exec
	s_and_b64 s[16:17], vcc, exec
	s_or_b64 s[10:11], s[10:11], s[16:17]
.LBB106_480:
	s_branch .LBB106_482
.LBB106_481:
	s_cmp_lg_u32 s13, 0
	s_mov_b64 s[6:7], -1
	s_cselect_b64 s[14:15], -1, 0
.LBB106_482:
	s_andn2_b64 vcc, exec, s[14:15]
	s_cbranch_vccz .LBB106_491
; %bb.483:
	s_andn2_b64 vcc, exec, s[6:7]
	s_cbranch_vccnz .LBB106_485
.LBB106_484:
	s_waitcnt vmcnt(0)
	v_cmp_ge_f32_e32 vcc, v4, v5
	s_andn2_b64 s[6:7], s[10:11], exec
	s_and_b64 s[10:11], vcc, exec
	s_or_b64 s[10:11], s[6:7], s[10:11]
.LBB106_485:
	v_cndmask_b32_e64 v8, 0, 1, s[10:11]
.LBB106_486:
	s_or_b64 exec, exec, s[4:5]
	v_or_b32_e32 v4, 0xf00, v0
	v_cmp_gt_i32_e32 vcc, s12, v4
                                        ; implicit-def: $vgpr4
	s_and_saveexec_b64 s[4:5], vcc
	s_cbranch_execz .LBB106_501
; %bb.487:
	s_cmp_lt_i32 s13, 1
	s_mov_b64 s[6:7], 0
	s_cbranch_scc1 .LBB106_492
; %bb.488:
	s_cmp_gt_i32 s13, 1
	s_cbranch_scc0 .LBB106_493
; %bb.489:
	s_cmp_eq_u32 s13, 2
	s_cbranch_scc0 .LBB106_549
; %bb.490:
	s_waitcnt vmcnt(0)
	v_cmp_le_f32_e64 s[10:11], v2, v3
	s_mov_b64 s[14:15], 0
	s_branch .LBB106_495
.LBB106_491:
	s_waitcnt vmcnt(0)
	v_cmp_lt_f32_e32 vcc, v4, v5
	s_andn2_b64 s[10:11], s[10:11], exec
	s_and_b64 s[14:15], vcc, exec
	s_or_b64 s[10:11], s[10:11], s[14:15]
	s_cbranch_execz .LBB106_484
	s_branch .LBB106_485
.LBB106_492:
                                        ; implicit-def: $sgpr10_sgpr11
	s_mov_b64 s[14:15], 0
	s_cbranch_execnz .LBB106_496
	s_branch .LBB106_497
.LBB106_493:
	s_mov_b64 s[14:15], 0
                                        ; implicit-def: $sgpr10_sgpr11
	s_cbranch_execz .LBB106_495
; %bb.494:
	s_waitcnt vmcnt(0)
	v_cmp_gt_f32_e32 vcc, v2, v3
	s_andn2_b64 s[10:11], s[10:11], exec
	s_and_b64 s[16:17], vcc, exec
	s_or_b64 s[10:11], s[10:11], s[16:17]
.LBB106_495:
	s_branch .LBB106_497
.LBB106_496:
	s_cmp_lg_u32 s13, 0
	s_mov_b64 s[6:7], -1
	s_cselect_b64 s[14:15], -1, 0
.LBB106_497:
	s_andn2_b64 vcc, exec, s[14:15]
	s_cbranch_vccz .LBB106_534
; %bb.498:
	s_andn2_b64 vcc, exec, s[6:7]
	s_cbranch_vccnz .LBB106_500
.LBB106_499:
	s_waitcnt vmcnt(0)
	v_cmp_ge_f32_e32 vcc, v2, v3
	s_andn2_b64 s[6:7], s[10:11], exec
	s_and_b64 s[10:11], vcc, exec
	s_or_b64 s[10:11], s[6:7], s[10:11]
.LBB106_500:
	v_cndmask_b32_e64 v4, 0, 1, s[10:11]
.LBB106_501:
	s_or_b64 exec, exec, s[4:5]
	s_and_saveexec_b64 s[4:5], s[0:1]
	s_xor_b64 s[0:1], exec, s[4:5]
	s_cbranch_execz .LBB106_503
; %bb.502:
	v_mov_b32_e32 v0, v7
	global_store_byte v1, v6, s[8:9]
.LBB106_503:
	s_or_b64 exec, exec, s[0:1]
	v_cmp_gt_i32_e32 vcc, s12, v0
	s_and_saveexec_b64 s[0:1], vcc
	s_cbranch_execnz .LBB106_520
; %bb.504:
	s_or_b64 exec, exec, s[0:1]
	v_cmp_gt_i32_e32 vcc, s12, v0
	s_and_saveexec_b64 s[0:1], vcc
	s_cbranch_execnz .LBB106_521
.LBB106_505:
	s_or_b64 exec, exec, s[0:1]
	v_cmp_gt_i32_e32 vcc, s12, v0
	s_and_saveexec_b64 s[0:1], vcc
	s_cbranch_execnz .LBB106_522
.LBB106_506:
	s_or_b64 exec, exec, s[0:1]
	v_cmp_gt_i32_e32 vcc, s12, v0
	s_and_saveexec_b64 s[0:1], vcc
	s_cbranch_execnz .LBB106_523
.LBB106_507:
	s_or_b64 exec, exec, s[0:1]
	v_cmp_gt_i32_e32 vcc, s12, v0
	s_and_saveexec_b64 s[0:1], vcc
	s_cbranch_execnz .LBB106_524
.LBB106_508:
	s_or_b64 exec, exec, s[0:1]
	v_cmp_gt_i32_e32 vcc, s12, v0
	s_and_saveexec_b64 s[0:1], vcc
	s_cbranch_execnz .LBB106_525
.LBB106_509:
	s_or_b64 exec, exec, s[0:1]
	v_cmp_gt_i32_e32 vcc, s12, v0
	s_and_saveexec_b64 s[0:1], vcc
	s_cbranch_execnz .LBB106_526
.LBB106_510:
	s_or_b64 exec, exec, s[0:1]
	v_cmp_gt_i32_e32 vcc, s12, v0
	s_and_saveexec_b64 s[0:1], vcc
	s_cbranch_execnz .LBB106_527
.LBB106_511:
	s_or_b64 exec, exec, s[0:1]
	v_cmp_gt_i32_e32 vcc, s12, v0
	s_and_saveexec_b64 s[0:1], vcc
	s_cbranch_execnz .LBB106_528
.LBB106_512:
	s_or_b64 exec, exec, s[0:1]
	v_cmp_gt_i32_e32 vcc, s12, v0
	s_and_saveexec_b64 s[0:1], vcc
	s_cbranch_execnz .LBB106_529
.LBB106_513:
	s_or_b64 exec, exec, s[0:1]
	v_cmp_gt_i32_e32 vcc, s12, v0
	s_and_saveexec_b64 s[0:1], vcc
	s_cbranch_execnz .LBB106_530
.LBB106_514:
	s_or_b64 exec, exec, s[0:1]
	v_cmp_gt_i32_e32 vcc, s12, v0
	s_and_saveexec_b64 s[0:1], vcc
	s_cbranch_execnz .LBB106_531
.LBB106_515:
	s_or_b64 exec, exec, s[0:1]
	v_cmp_gt_i32_e32 vcc, s12, v0
	s_and_saveexec_b64 s[0:1], vcc
	s_cbranch_execnz .LBB106_532
.LBB106_516:
	s_or_b64 exec, exec, s[0:1]
	v_cmp_gt_i32_e32 vcc, s12, v0
	s_and_saveexec_b64 s[0:1], vcc
	s_cbranch_execnz .LBB106_533
.LBB106_517:
	s_or_b64 exec, exec, s[0:1]
	v_cmp_gt_i32_e32 vcc, s12, v0
	s_and_saveexec_b64 s[0:1], vcc
	s_cbranch_execz .LBB106_519
.LBB106_518:
	v_add_u32_e32 v0, s2, v0
	global_store_byte v0, v4, s[8:9]
.LBB106_519:
	s_endpgm
.LBB106_520:
	v_add_u32_e32 v1, s2, v0
	v_add_u32_e32 v0, 0x100, v0
	s_waitcnt vmcnt(0)
	global_store_byte v1, v10, s[8:9]
	s_or_b64 exec, exec, s[0:1]
	v_cmp_gt_i32_e32 vcc, s12, v0
	s_and_saveexec_b64 s[0:1], vcc
	s_cbranch_execz .LBB106_505
.LBB106_521:
	v_add_u32_e32 v1, s2, v0
	v_add_u32_e32 v0, 0x100, v0
	global_store_byte v1, v14, s[8:9]
	s_or_b64 exec, exec, s[0:1]
	v_cmp_gt_i32_e32 vcc, s12, v0
	s_and_saveexec_b64 s[0:1], vcc
	s_cbranch_execz .LBB106_506
.LBB106_522:
	v_add_u32_e32 v1, s2, v0
	v_add_u32_e32 v0, 0x100, v0
	global_store_byte v1, v16, s[8:9]
	s_or_b64 exec, exec, s[0:1]
	v_cmp_gt_i32_e32 vcc, s12, v0
	s_and_saveexec_b64 s[0:1], vcc
	s_cbranch_execz .LBB106_507
.LBB106_523:
	v_add_u32_e32 v1, s2, v0
	v_add_u32_e32 v0, 0x100, v0
	global_store_byte v1, v21, s[8:9]
	s_or_b64 exec, exec, s[0:1]
	v_cmp_gt_i32_e32 vcc, s12, v0
	s_and_saveexec_b64 s[0:1], vcc
	s_cbranch_execz .LBB106_508
.LBB106_524:
	v_add_u32_e32 v1, s2, v0
	v_add_u32_e32 v0, 0x100, v0
	global_store_byte v1, v24, s[8:9]
	s_or_b64 exec, exec, s[0:1]
	v_cmp_gt_i32_e32 vcc, s12, v0
	s_and_saveexec_b64 s[0:1], vcc
	s_cbranch_execz .LBB106_509
.LBB106_525:
	v_add_u32_e32 v1, s2, v0
	v_add_u32_e32 v0, 0x100, v0
	global_store_byte v1, v27, s[8:9]
	s_or_b64 exec, exec, s[0:1]
	v_cmp_gt_i32_e32 vcc, s12, v0
	s_and_saveexec_b64 s[0:1], vcc
	s_cbranch_execz .LBB106_510
.LBB106_526:
	v_add_u32_e32 v1, s2, v0
	v_add_u32_e32 v0, 0x100, v0
	global_store_byte v1, v28, s[8:9]
	s_or_b64 exec, exec, s[0:1]
	v_cmp_gt_i32_e32 vcc, s12, v0
	s_and_saveexec_b64 s[0:1], vcc
	s_cbranch_execz .LBB106_511
.LBB106_527:
	v_add_u32_e32 v1, s2, v0
	v_add_u32_e32 v0, 0x100, v0
	global_store_byte v1, v25, s[8:9]
	s_or_b64 exec, exec, s[0:1]
	v_cmp_gt_i32_e32 vcc, s12, v0
	s_and_saveexec_b64 s[0:1], vcc
	s_cbranch_execz .LBB106_512
.LBB106_528:
	v_add_u32_e32 v1, s2, v0
	v_add_u32_e32 v0, 0x100, v0
	global_store_byte v1, v22, s[8:9]
	s_or_b64 exec, exec, s[0:1]
	v_cmp_gt_i32_e32 vcc, s12, v0
	s_and_saveexec_b64 s[0:1], vcc
	s_cbranch_execz .LBB106_513
.LBB106_529:
	v_add_u32_e32 v1, s2, v0
	v_add_u32_e32 v0, 0x100, v0
	global_store_byte v1, v19, s[8:9]
	s_or_b64 exec, exec, s[0:1]
	v_cmp_gt_i32_e32 vcc, s12, v0
	s_and_saveexec_b64 s[0:1], vcc
	s_cbranch_execz .LBB106_514
.LBB106_530:
	v_add_u32_e32 v1, s2, v0
	v_add_u32_e32 v0, 0x100, v0
	global_store_byte v1, v17, s[8:9]
	s_or_b64 exec, exec, s[0:1]
	v_cmp_gt_i32_e32 vcc, s12, v0
	s_and_saveexec_b64 s[0:1], vcc
	s_cbranch_execz .LBB106_515
.LBB106_531:
	v_add_u32_e32 v1, s2, v0
	v_add_u32_e32 v0, 0x100, v0
	global_store_byte v1, v13, s[8:9]
	s_or_b64 exec, exec, s[0:1]
	v_cmp_gt_i32_e32 vcc, s12, v0
	s_and_saveexec_b64 s[0:1], vcc
	s_cbranch_execz .LBB106_516
.LBB106_532:
	v_add_u32_e32 v1, s2, v0
	v_add_u32_e32 v0, 0x100, v0
	global_store_byte v1, v11, s[8:9]
	s_or_b64 exec, exec, s[0:1]
	v_cmp_gt_i32_e32 vcc, s12, v0
	s_and_saveexec_b64 s[0:1], vcc
	s_cbranch_execz .LBB106_517
.LBB106_533:
	v_add_u32_e32 v1, s2, v0
	v_add_u32_e32 v0, 0x100, v0
	global_store_byte v1, v8, s[8:9]
	s_or_b64 exec, exec, s[0:1]
	v_cmp_gt_i32_e32 vcc, s12, v0
	s_and_saveexec_b64 s[0:1], vcc
	s_cbranch_execnz .LBB106_518
	s_branch .LBB106_519
.LBB106_534:
	s_waitcnt vmcnt(0)
	v_cmp_lt_f32_e32 vcc, v2, v3
	s_andn2_b64 s[10:11], s[10:11], exec
	s_and_b64 s[14:15], vcc, exec
	s_or_b64 s[10:11], s[10:11], s[14:15]
	s_cbranch_execz .LBB106_499
	s_branch .LBB106_500
.LBB106_535:
	s_mov_b64 s[14:15], -1
                                        ; implicit-def: $sgpr10_sgpr11
	s_branch .LBB106_285
.LBB106_536:
	s_mov_b64 s[14:15], -1
                                        ; implicit-def: $sgpr10_sgpr11
	s_branch .LBB106_300
.LBB106_537:
	s_mov_b64 s[14:15], -1
                                        ; implicit-def: $sgpr10_sgpr11
	s_branch .LBB106_315
.LBB106_538:
	s_mov_b64 s[14:15], -1
                                        ; implicit-def: $sgpr10_sgpr11
	s_branch .LBB106_330
.LBB106_539:
	s_mov_b64 s[14:15], -1
                                        ; implicit-def: $sgpr10_sgpr11
	s_branch .LBB106_345
.LBB106_540:
	s_mov_b64 s[14:15], -1
                                        ; implicit-def: $sgpr10_sgpr11
	s_branch .LBB106_360
.LBB106_541:
	s_mov_b64 s[14:15], -1
                                        ; implicit-def: $sgpr10_sgpr11
	s_branch .LBB106_375
.LBB106_542:
	s_mov_b64 s[14:15], -1
                                        ; implicit-def: $sgpr10_sgpr11
	s_branch .LBB106_390
.LBB106_543:
	s_mov_b64 s[14:15], -1
                                        ; implicit-def: $sgpr10_sgpr11
	s_branch .LBB106_405
.LBB106_544:
	s_mov_b64 s[14:15], -1
                                        ; implicit-def: $sgpr10_sgpr11
	s_branch .LBB106_420
.LBB106_545:
	s_mov_b64 s[14:15], -1
                                        ; implicit-def: $sgpr10_sgpr11
	s_branch .LBB106_435
.LBB106_546:
	s_mov_b64 s[14:15], -1
                                        ; implicit-def: $sgpr10_sgpr11
	s_branch .LBB106_450
.LBB106_547:
	s_mov_b64 s[14:15], -1
                                        ; implicit-def: $sgpr10_sgpr11
	s_branch .LBB106_465
.LBB106_548:
	s_mov_b64 s[14:15], -1
                                        ; implicit-def: $sgpr10_sgpr11
	s_branch .LBB106_480
.LBB106_549:
	s_mov_b64 s[14:15], -1
                                        ; implicit-def: $sgpr10_sgpr11
	s_branch .LBB106_495
	.section	.rodata,"a",@progbits
	.p2align	6, 0x0
	.amdhsa_kernel _ZN2at6native29vectorized_elementwise_kernelILi4ENS0_12_GLOBAL__N_114CompareFunctorIfEESt5arrayIPcLm3EEEEviT0_T1_
		.amdhsa_group_segment_fixed_size 0
		.amdhsa_private_segment_fixed_size 0
		.amdhsa_kernarg_size 32
		.amdhsa_user_sgpr_count 6
		.amdhsa_user_sgpr_private_segment_buffer 1
		.amdhsa_user_sgpr_dispatch_ptr 0
		.amdhsa_user_sgpr_queue_ptr 0
		.amdhsa_user_sgpr_kernarg_segment_ptr 1
		.amdhsa_user_sgpr_dispatch_id 0
		.amdhsa_user_sgpr_flat_scratch_init 0
		.amdhsa_user_sgpr_private_segment_size 0
		.amdhsa_uses_dynamic_stack 0
		.amdhsa_system_sgpr_private_segment_wavefront_offset 0
		.amdhsa_system_sgpr_workgroup_id_x 1
		.amdhsa_system_sgpr_workgroup_id_y 0
		.amdhsa_system_sgpr_workgroup_id_z 0
		.amdhsa_system_sgpr_workgroup_info 0
		.amdhsa_system_vgpr_workitem_id 0
		.amdhsa_next_free_vgpr 39
		.amdhsa_next_free_sgpr 50
		.amdhsa_reserve_vcc 1
		.amdhsa_reserve_flat_scratch 0
		.amdhsa_float_round_mode_32 0
		.amdhsa_float_round_mode_16_64 0
		.amdhsa_float_denorm_mode_32 3
		.amdhsa_float_denorm_mode_16_64 3
		.amdhsa_dx10_clamp 1
		.amdhsa_ieee_mode 1
		.amdhsa_fp16_overflow 0
		.amdhsa_exception_fp_ieee_invalid_op 0
		.amdhsa_exception_fp_denorm_src 0
		.amdhsa_exception_fp_ieee_div_zero 0
		.amdhsa_exception_fp_ieee_overflow 0
		.amdhsa_exception_fp_ieee_underflow 0
		.amdhsa_exception_fp_ieee_inexact 0
		.amdhsa_exception_int_div_zero 0
	.end_amdhsa_kernel
	.section	.text._ZN2at6native29vectorized_elementwise_kernelILi4ENS0_12_GLOBAL__N_114CompareFunctorIfEESt5arrayIPcLm3EEEEviT0_T1_,"axG",@progbits,_ZN2at6native29vectorized_elementwise_kernelILi4ENS0_12_GLOBAL__N_114CompareFunctorIfEESt5arrayIPcLm3EEEEviT0_T1_,comdat
.Lfunc_end106:
	.size	_ZN2at6native29vectorized_elementwise_kernelILi4ENS0_12_GLOBAL__N_114CompareFunctorIfEESt5arrayIPcLm3EEEEviT0_T1_, .Lfunc_end106-_ZN2at6native29vectorized_elementwise_kernelILi4ENS0_12_GLOBAL__N_114CompareFunctorIfEESt5arrayIPcLm3EEEEviT0_T1_
                                        ; -- End function
	.set _ZN2at6native29vectorized_elementwise_kernelILi4ENS0_12_GLOBAL__N_114CompareFunctorIfEESt5arrayIPcLm3EEEEviT0_T1_.num_vgpr, 39
	.set _ZN2at6native29vectorized_elementwise_kernelILi4ENS0_12_GLOBAL__N_114CompareFunctorIfEESt5arrayIPcLm3EEEEviT0_T1_.num_agpr, 0
	.set _ZN2at6native29vectorized_elementwise_kernelILi4ENS0_12_GLOBAL__N_114CompareFunctorIfEESt5arrayIPcLm3EEEEviT0_T1_.numbered_sgpr, 50
	.set _ZN2at6native29vectorized_elementwise_kernelILi4ENS0_12_GLOBAL__N_114CompareFunctorIfEESt5arrayIPcLm3EEEEviT0_T1_.num_named_barrier, 0
	.set _ZN2at6native29vectorized_elementwise_kernelILi4ENS0_12_GLOBAL__N_114CompareFunctorIfEESt5arrayIPcLm3EEEEviT0_T1_.private_seg_size, 0
	.set _ZN2at6native29vectorized_elementwise_kernelILi4ENS0_12_GLOBAL__N_114CompareFunctorIfEESt5arrayIPcLm3EEEEviT0_T1_.uses_vcc, 1
	.set _ZN2at6native29vectorized_elementwise_kernelILi4ENS0_12_GLOBAL__N_114CompareFunctorIfEESt5arrayIPcLm3EEEEviT0_T1_.uses_flat_scratch, 0
	.set _ZN2at6native29vectorized_elementwise_kernelILi4ENS0_12_GLOBAL__N_114CompareFunctorIfEESt5arrayIPcLm3EEEEviT0_T1_.has_dyn_sized_stack, 0
	.set _ZN2at6native29vectorized_elementwise_kernelILi4ENS0_12_GLOBAL__N_114CompareFunctorIfEESt5arrayIPcLm3EEEEviT0_T1_.has_recursion, 0
	.set _ZN2at6native29vectorized_elementwise_kernelILi4ENS0_12_GLOBAL__N_114CompareFunctorIfEESt5arrayIPcLm3EEEEviT0_T1_.has_indirect_call, 0
	.section	.AMDGPU.csdata,"",@progbits
; Kernel info:
; codeLenInByte = 8972
; TotalNumSgprs: 54
; NumVgprs: 39
; ScratchSize: 0
; MemoryBound: 0
; FloatMode: 240
; IeeeMode: 1
; LDSByteSize: 0 bytes/workgroup (compile time only)
; SGPRBlocks: 6
; VGPRBlocks: 9
; NumSGPRsForWavesPerEU: 54
; NumVGPRsForWavesPerEU: 39
; Occupancy: 6
; WaveLimiterHint : 1
; COMPUTE_PGM_RSRC2:SCRATCH_EN: 0
; COMPUTE_PGM_RSRC2:USER_SGPR: 6
; COMPUTE_PGM_RSRC2:TRAP_HANDLER: 0
; COMPUTE_PGM_RSRC2:TGID_X_EN: 1
; COMPUTE_PGM_RSRC2:TGID_Y_EN: 0
; COMPUTE_PGM_RSRC2:TGID_Z_EN: 0
; COMPUTE_PGM_RSRC2:TIDIG_COMP_CNT: 0
	.section	.text._ZN2at6native29vectorized_elementwise_kernelILi2ENS0_12_GLOBAL__N_114CompareFunctorIfEESt5arrayIPcLm3EEEEviT0_T1_,"axG",@progbits,_ZN2at6native29vectorized_elementwise_kernelILi2ENS0_12_GLOBAL__N_114CompareFunctorIfEESt5arrayIPcLm3EEEEviT0_T1_,comdat
	.globl	_ZN2at6native29vectorized_elementwise_kernelILi2ENS0_12_GLOBAL__N_114CompareFunctorIfEESt5arrayIPcLm3EEEEviT0_T1_ ; -- Begin function _ZN2at6native29vectorized_elementwise_kernelILi2ENS0_12_GLOBAL__N_114CompareFunctorIfEESt5arrayIPcLm3EEEEviT0_T1_
	.p2align	8
	.type	_ZN2at6native29vectorized_elementwise_kernelILi2ENS0_12_GLOBAL__N_114CompareFunctorIfEESt5arrayIPcLm3EEEEviT0_T1_,@function
_ZN2at6native29vectorized_elementwise_kernelILi2ENS0_12_GLOBAL__N_114CompareFunctorIfEESt5arrayIPcLm3EEEEviT0_T1_: ; @_ZN2at6native29vectorized_elementwise_kernelILi2ENS0_12_GLOBAL__N_114CompareFunctorIfEESt5arrayIPcLm3EEEEviT0_T1_
; %bb.0:
	s_load_dwordx2 s[12:13], s[4:5], 0x0
	s_load_dwordx4 s[8:11], s[4:5], 0x8
	s_load_dwordx2 s[14:15], s[4:5], 0x18
	s_lshl_b32 s2, s6, 12
	s_mov_b64 s[0:1], -1
	s_waitcnt lgkmcnt(0)
	s_sub_i32 s12, s12, s2
	s_cmpk_gt_i32 s12, 0xfff
	s_cbranch_scc0 .LBB107_211
; %bb.1:
	s_ashr_i32 s3, s2, 31
	s_lshl_b64 s[0:1], s[2:3], 2
	s_add_u32 s4, s10, s0
	s_addc_u32 s5, s11, s1
	v_lshlrev_b32_e32 v7, 3, v0
	v_mov_b32_e32 v1, s5
	v_add_co_u32_e32 v5, vcc, s4, v7
	v_addc_co_u32_e32 v6, vcc, 0, v1, vcc
	v_add_co_u32_e32 v1, vcc, 0x1000, v5
	v_addc_co_u32_e32 v2, vcc, 0, v6, vcc
	;; [unrolled: 2-line block ×3, first 2 shown]
	global_load_dwordx2 v[21:22], v[1:2], off
	global_load_dwordx2 v[17:18], v[1:2], off offset:2048
	global_load_dwordx2 v[13:14], v[3:4], off
	global_load_dwordx2 v[9:10], v[3:4], off offset:2048
	v_add_co_u32_e32 v3, vcc, 0x3000, v5
	s_add_u32 s0, s14, s0
	v_addc_co_u32_e32 v4, vcc, 0, v6, vcc
	s_addc_u32 s1, s15, s1
	global_load_dwordx2 v[5:6], v[3:4], off
	global_load_dwordx2 v[1:2], v[3:4], off offset:2048
	v_mov_b32_e32 v3, s1
	v_add_co_u32_e32 v33, vcc, s0, v7
	s_movk_i32 s6, 0x1000
	v_addc_co_u32_e32 v34, vcc, 0, v3, vcc
	v_add_co_u32_e32 v3, vcc, s6, v33
	v_addc_co_u32_e32 v4, vcc, 0, v34, vcc
	global_load_dwordx2 v[29:30], v7, s[4:5]
	global_load_dwordx2 v[25:26], v7, s[4:5] offset:2048
	global_load_dwordx2 v[31:32], v7, s[0:1]
	global_load_dwordx2 v[27:28], v7, s[0:1] offset:2048
	v_add_co_u32_e32 v7, vcc, 0x2000, v33
	v_addc_co_u32_e32 v8, vcc, 0, v34, vcc
	global_load_dwordx2 v[23:24], v[3:4], off
	global_load_dwordx2 v[19:20], v[3:4], off offset:2048
	global_load_dwordx2 v[15:16], v[7:8], off
	global_load_dwordx2 v[11:12], v[7:8], off offset:2048
	v_add_co_u32_e32 v33, vcc, 0x3000, v33
	v_addc_co_u32_e32 v34, vcc, 0, v34, vcc
	global_load_dwordx2 v[7:8], v[33:34], off
	global_load_dwordx2 v[3:4], v[33:34], off offset:2048
	s_cmp_lt_i32 s13, 1
	s_mov_b64 s[4:5], 0
	s_cbranch_scc1 .LBB107_5
; %bb.2:
	s_cmp_gt_i32 s13, 1
	s_cbranch_scc0 .LBB107_6
; %bb.3:
	s_cmp_eq_u32 s13, 2
	s_cbranch_scc0 .LBB107_7
; %bb.4:
	s_waitcnt vmcnt(7)
	v_cmp_le_f32_e64 s[0:1], v29, v31
	s_mov_b64 s[6:7], 0
	s_branch .LBB107_8
.LBB107_5:
                                        ; implicit-def: $sgpr0_sgpr1
	s_mov_b64 s[6:7], 0
	s_cbranch_execnz .LBB107_11
	s_branch .LBB107_12
.LBB107_6:
	s_mov_b64 s[6:7], 0
                                        ; implicit-def: $sgpr0_sgpr1
	s_cbranch_execnz .LBB107_9
	s_branch .LBB107_10
.LBB107_7:
	s_mov_b64 s[6:7], -1
                                        ; implicit-def: $sgpr0_sgpr1
.LBB107_8:
	s_branch .LBB107_10
.LBB107_9:
	s_waitcnt vmcnt(7)
	v_cmp_gt_f32_e32 vcc, v29, v31
	s_andn2_b64 s[0:1], s[0:1], exec
	s_and_b64 s[16:17], vcc, exec
	s_or_b64 s[0:1], s[0:1], s[16:17]
.LBB107_10:
	s_branch .LBB107_12
.LBB107_11:
	s_cmp_lg_u32 s13, 0
	s_mov_b64 s[4:5], -1
	s_cselect_b64 s[6:7], -1, 0
.LBB107_12:
	s_andn2_b64 vcc, exec, s[6:7]
	s_cbranch_vccz .LBB107_18
; %bb.13:
	s_andn2_b64 vcc, exec, s[4:5]
	s_cbranch_vccz .LBB107_19
.LBB107_14:
	s_cmp_lt_i32 s13, 1
	s_mov_b64 s[6:7], 0
	s_cbranch_scc1 .LBB107_20
.LBB107_15:
	s_cmp_gt_i32 s13, 1
	s_cbranch_scc0 .LBB107_21
; %bb.16:
	s_cmp_eq_u32 s13, 2
	s_cbranch_scc0 .LBB107_251
; %bb.17:
	s_waitcnt vmcnt(7)
	v_cmp_le_f32_e64 s[4:5], v30, v32
	s_mov_b64 s[16:17], 0
	s_branch .LBB107_23
.LBB107_18:
	s_waitcnt vmcnt(7)
	v_cmp_lt_f32_e32 vcc, v29, v31
	s_andn2_b64 s[0:1], s[0:1], exec
	s_and_b64 s[6:7], vcc, exec
	s_or_b64 s[0:1], s[0:1], s[6:7]
	s_cbranch_execnz .LBB107_14
.LBB107_19:
	s_waitcnt vmcnt(7)
	v_cmp_ge_f32_e32 vcc, v29, v31
	s_andn2_b64 s[0:1], s[0:1], exec
	s_and_b64 s[4:5], vcc, exec
	s_or_b64 s[0:1], s[0:1], s[4:5]
	s_cmp_lt_i32 s13, 1
	s_mov_b64 s[6:7], 0
	s_cbranch_scc0 .LBB107_15
.LBB107_20:
                                        ; implicit-def: $sgpr4_sgpr5
	s_mov_b64 s[16:17], 0
	s_cbranch_execnz .LBB107_24
	s_branch .LBB107_25
.LBB107_21:
	s_mov_b64 s[16:17], 0
                                        ; implicit-def: $sgpr4_sgpr5
	s_cbranch_execz .LBB107_23
; %bb.22:
	s_waitcnt vmcnt(7)
	v_cmp_gt_f32_e32 vcc, v30, v32
	s_andn2_b64 s[4:5], s[4:5], exec
	s_and_b64 s[18:19], vcc, exec
	s_or_b64 s[4:5], s[4:5], s[18:19]
.LBB107_23:
	s_branch .LBB107_25
.LBB107_24:
	s_cmp_lg_u32 s13, 0
	s_mov_b64 s[6:7], -1
	s_cselect_b64 s[16:17], -1, 0
.LBB107_25:
	s_andn2_b64 vcc, exec, s[16:17]
	s_cbranch_vccz .LBB107_31
; %bb.26:
	s_andn2_b64 vcc, exec, s[6:7]
	s_cbranch_vccz .LBB107_32
.LBB107_27:
	s_cmp_lt_i32 s13, 1
	s_mov_b64 s[16:17], 0
	s_cbranch_scc1 .LBB107_33
.LBB107_28:
	s_cmp_gt_i32 s13, 1
	s_cbranch_scc0 .LBB107_34
; %bb.29:
	s_cmp_eq_u32 s13, 2
	s_cbranch_scc0 .LBB107_252
; %bb.30:
	s_waitcnt vmcnt(6)
	v_cmp_le_f32_e64 s[6:7], v25, v27
	s_mov_b64 s[18:19], 0
	s_branch .LBB107_36
.LBB107_31:
	s_waitcnt vmcnt(7)
	v_cmp_lt_f32_e32 vcc, v30, v32
	s_andn2_b64 s[4:5], s[4:5], exec
	s_and_b64 s[16:17], vcc, exec
	s_or_b64 s[4:5], s[4:5], s[16:17]
	s_cbranch_execnz .LBB107_27
.LBB107_32:
	s_waitcnt vmcnt(7)
	v_cmp_ge_f32_e32 vcc, v30, v32
	s_andn2_b64 s[4:5], s[4:5], exec
	s_and_b64 s[6:7], vcc, exec
	s_or_b64 s[4:5], s[4:5], s[6:7]
	s_cmp_lt_i32 s13, 1
	s_mov_b64 s[16:17], 0
	s_cbranch_scc0 .LBB107_28
.LBB107_33:
                                        ; implicit-def: $sgpr6_sgpr7
	s_mov_b64 s[18:19], 0
	s_cbranch_execnz .LBB107_37
	s_branch .LBB107_38
.LBB107_34:
	s_mov_b64 s[18:19], 0
                                        ; implicit-def: $sgpr6_sgpr7
	s_cbranch_execz .LBB107_36
; %bb.35:
	s_waitcnt vmcnt(6)
	v_cmp_gt_f32_e32 vcc, v25, v27
	s_andn2_b64 s[6:7], s[6:7], exec
	s_and_b64 s[20:21], vcc, exec
	s_or_b64 s[6:7], s[6:7], s[20:21]
.LBB107_36:
	s_branch .LBB107_38
.LBB107_37:
	s_cmp_lg_u32 s13, 0
	s_mov_b64 s[16:17], -1
	s_cselect_b64 s[18:19], -1, 0
.LBB107_38:
	s_andn2_b64 vcc, exec, s[18:19]
	s_cbranch_vccz .LBB107_44
; %bb.39:
	s_andn2_b64 vcc, exec, s[16:17]
	s_cbranch_vccz .LBB107_45
.LBB107_40:
	s_cmp_lt_i32 s13, 1
	s_mov_b64 s[18:19], 0
	s_cbranch_scc1 .LBB107_46
.LBB107_41:
	s_cmp_gt_i32 s13, 1
	s_cbranch_scc0 .LBB107_47
; %bb.42:
	s_cmp_eq_u32 s13, 2
	s_cbranch_scc0 .LBB107_253
; %bb.43:
	s_waitcnt vmcnt(6)
	v_cmp_le_f32_e64 s[16:17], v26, v28
	s_mov_b64 s[20:21], 0
	s_branch .LBB107_49
.LBB107_44:
	s_waitcnt vmcnt(6)
	v_cmp_lt_f32_e32 vcc, v25, v27
	s_andn2_b64 s[6:7], s[6:7], exec
	s_and_b64 s[18:19], vcc, exec
	s_or_b64 s[6:7], s[6:7], s[18:19]
	s_cbranch_execnz .LBB107_40
.LBB107_45:
	s_waitcnt vmcnt(6)
	v_cmp_ge_f32_e32 vcc, v25, v27
	s_andn2_b64 s[6:7], s[6:7], exec
	s_and_b64 s[16:17], vcc, exec
	s_or_b64 s[6:7], s[6:7], s[16:17]
	s_cmp_lt_i32 s13, 1
	s_mov_b64 s[18:19], 0
	s_cbranch_scc0 .LBB107_41
.LBB107_46:
                                        ; implicit-def: $sgpr16_sgpr17
	s_mov_b64 s[20:21], 0
	s_cbranch_execnz .LBB107_50
	s_branch .LBB107_51
.LBB107_47:
	s_mov_b64 s[20:21], 0
                                        ; implicit-def: $sgpr16_sgpr17
	s_cbranch_execz .LBB107_49
; %bb.48:
	s_waitcnt vmcnt(6)
	v_cmp_gt_f32_e32 vcc, v26, v28
	s_andn2_b64 s[16:17], s[16:17], exec
	s_and_b64 s[22:23], vcc, exec
	s_or_b64 s[16:17], s[16:17], s[22:23]
.LBB107_49:
	s_branch .LBB107_51
.LBB107_50:
	s_cmp_lg_u32 s13, 0
	s_mov_b64 s[18:19], -1
	s_cselect_b64 s[20:21], -1, 0
.LBB107_51:
	s_andn2_b64 vcc, exec, s[20:21]
	s_cbranch_vccz .LBB107_57
; %bb.52:
	s_andn2_b64 vcc, exec, s[18:19]
	s_cbranch_vccz .LBB107_58
.LBB107_53:
	s_cmp_lt_i32 s13, 1
	s_mov_b64 s[20:21], 0
	s_cbranch_scc1 .LBB107_59
.LBB107_54:
	s_cmp_gt_i32 s13, 1
	s_cbranch_scc0 .LBB107_60
; %bb.55:
	s_cmp_eq_u32 s13, 2
	s_cbranch_scc0 .LBB107_254
; %bb.56:
	s_waitcnt vmcnt(5)
	v_cmp_le_f32_e64 s[18:19], v21, v23
	s_mov_b64 s[22:23], 0
	s_branch .LBB107_62
.LBB107_57:
	s_waitcnt vmcnt(6)
	v_cmp_lt_f32_e32 vcc, v26, v28
	s_andn2_b64 s[16:17], s[16:17], exec
	s_and_b64 s[20:21], vcc, exec
	s_or_b64 s[16:17], s[16:17], s[20:21]
	s_cbranch_execnz .LBB107_53
.LBB107_58:
	s_waitcnt vmcnt(6)
	v_cmp_ge_f32_e32 vcc, v26, v28
	s_andn2_b64 s[16:17], s[16:17], exec
	s_and_b64 s[18:19], vcc, exec
	s_or_b64 s[16:17], s[16:17], s[18:19]
	s_cmp_lt_i32 s13, 1
	s_mov_b64 s[20:21], 0
	s_cbranch_scc0 .LBB107_54
.LBB107_59:
                                        ; implicit-def: $sgpr18_sgpr19
	s_mov_b64 s[22:23], 0
	s_cbranch_execnz .LBB107_63
	s_branch .LBB107_64
.LBB107_60:
	s_mov_b64 s[22:23], 0
                                        ; implicit-def: $sgpr18_sgpr19
	s_cbranch_execz .LBB107_62
; %bb.61:
	s_waitcnt vmcnt(5)
	v_cmp_gt_f32_e32 vcc, v21, v23
	s_andn2_b64 s[18:19], s[18:19], exec
	s_and_b64 s[24:25], vcc, exec
	s_or_b64 s[18:19], s[18:19], s[24:25]
.LBB107_62:
	s_branch .LBB107_64
.LBB107_63:
	s_cmp_lg_u32 s13, 0
	s_mov_b64 s[20:21], -1
	s_cselect_b64 s[22:23], -1, 0
.LBB107_64:
	s_andn2_b64 vcc, exec, s[22:23]
	s_cbranch_vccz .LBB107_70
; %bb.65:
	s_andn2_b64 vcc, exec, s[20:21]
	s_cbranch_vccz .LBB107_71
.LBB107_66:
	s_cmp_lt_i32 s13, 1
	s_mov_b64 s[22:23], 0
	s_cbranch_scc1 .LBB107_72
.LBB107_67:
	s_cmp_gt_i32 s13, 1
	s_cbranch_scc0 .LBB107_73
; %bb.68:
	s_cmp_eq_u32 s13, 2
	s_cbranch_scc0 .LBB107_255
; %bb.69:
	s_waitcnt vmcnt(5)
	v_cmp_le_f32_e64 s[20:21], v22, v24
	s_mov_b64 s[24:25], 0
	s_branch .LBB107_75
.LBB107_70:
	s_waitcnt vmcnt(5)
	v_cmp_lt_f32_e32 vcc, v21, v23
	s_andn2_b64 s[18:19], s[18:19], exec
	s_and_b64 s[22:23], vcc, exec
	s_or_b64 s[18:19], s[18:19], s[22:23]
	s_cbranch_execnz .LBB107_66
.LBB107_71:
	s_waitcnt vmcnt(5)
	v_cmp_ge_f32_e32 vcc, v21, v23
	s_andn2_b64 s[18:19], s[18:19], exec
	s_and_b64 s[20:21], vcc, exec
	s_or_b64 s[18:19], s[18:19], s[20:21]
	s_cmp_lt_i32 s13, 1
	s_mov_b64 s[22:23], 0
	s_cbranch_scc0 .LBB107_67
.LBB107_72:
                                        ; implicit-def: $sgpr20_sgpr21
	s_mov_b64 s[24:25], 0
	s_cbranch_execnz .LBB107_76
	s_branch .LBB107_77
.LBB107_73:
	s_mov_b64 s[24:25], 0
                                        ; implicit-def: $sgpr20_sgpr21
	s_cbranch_execz .LBB107_75
; %bb.74:
	s_waitcnt vmcnt(5)
	v_cmp_gt_f32_e32 vcc, v22, v24
	s_andn2_b64 s[20:21], s[20:21], exec
	s_and_b64 s[26:27], vcc, exec
	s_or_b64 s[20:21], s[20:21], s[26:27]
.LBB107_75:
	s_branch .LBB107_77
.LBB107_76:
	s_cmp_lg_u32 s13, 0
	s_mov_b64 s[22:23], -1
	s_cselect_b64 s[24:25], -1, 0
.LBB107_77:
	s_andn2_b64 vcc, exec, s[24:25]
	s_cbranch_vccz .LBB107_83
; %bb.78:
	s_andn2_b64 vcc, exec, s[22:23]
	s_cbranch_vccz .LBB107_84
.LBB107_79:
	s_cmp_lt_i32 s13, 1
	s_mov_b64 s[24:25], 0
	s_cbranch_scc1 .LBB107_85
.LBB107_80:
	s_cmp_gt_i32 s13, 1
	s_cbranch_scc0 .LBB107_86
; %bb.81:
	s_cmp_eq_u32 s13, 2
	s_cbranch_scc0 .LBB107_256
; %bb.82:
	s_waitcnt vmcnt(4)
	v_cmp_le_f32_e64 s[22:23], v17, v19
	s_mov_b64 s[26:27], 0
	s_branch .LBB107_88
.LBB107_83:
	s_waitcnt vmcnt(5)
	v_cmp_lt_f32_e32 vcc, v22, v24
	s_andn2_b64 s[20:21], s[20:21], exec
	s_and_b64 s[24:25], vcc, exec
	s_or_b64 s[20:21], s[20:21], s[24:25]
	s_cbranch_execnz .LBB107_79
.LBB107_84:
	s_waitcnt vmcnt(5)
	v_cmp_ge_f32_e32 vcc, v22, v24
	s_andn2_b64 s[20:21], s[20:21], exec
	s_and_b64 s[22:23], vcc, exec
	s_or_b64 s[20:21], s[20:21], s[22:23]
	s_cmp_lt_i32 s13, 1
	s_mov_b64 s[24:25], 0
	s_cbranch_scc0 .LBB107_80
.LBB107_85:
                                        ; implicit-def: $sgpr22_sgpr23
	s_mov_b64 s[26:27], 0
	s_cbranch_execnz .LBB107_89
	s_branch .LBB107_90
.LBB107_86:
	s_mov_b64 s[26:27], 0
                                        ; implicit-def: $sgpr22_sgpr23
	s_cbranch_execz .LBB107_88
; %bb.87:
	s_waitcnt vmcnt(4)
	v_cmp_gt_f32_e32 vcc, v17, v19
	s_andn2_b64 s[22:23], s[22:23], exec
	s_and_b64 s[28:29], vcc, exec
	s_or_b64 s[22:23], s[22:23], s[28:29]
.LBB107_88:
	s_branch .LBB107_90
.LBB107_89:
	s_cmp_lg_u32 s13, 0
	s_mov_b64 s[24:25], -1
	s_cselect_b64 s[26:27], -1, 0
.LBB107_90:
	s_andn2_b64 vcc, exec, s[26:27]
	s_cbranch_vccz .LBB107_96
; %bb.91:
	s_andn2_b64 vcc, exec, s[24:25]
	s_cbranch_vccz .LBB107_97
.LBB107_92:
	s_cmp_lt_i32 s13, 1
	s_mov_b64 s[26:27], 0
	s_cbranch_scc1 .LBB107_98
.LBB107_93:
	s_cmp_gt_i32 s13, 1
	s_cbranch_scc0 .LBB107_99
; %bb.94:
	s_cmp_eq_u32 s13, 2
	s_cbranch_scc0 .LBB107_257
; %bb.95:
	s_waitcnt vmcnt(4)
	v_cmp_le_f32_e64 s[24:25], v18, v20
	s_mov_b64 s[28:29], 0
	s_branch .LBB107_101
.LBB107_96:
	s_waitcnt vmcnt(4)
	v_cmp_lt_f32_e32 vcc, v17, v19
	s_andn2_b64 s[22:23], s[22:23], exec
	s_and_b64 s[26:27], vcc, exec
	s_or_b64 s[22:23], s[22:23], s[26:27]
	s_cbranch_execnz .LBB107_92
.LBB107_97:
	s_waitcnt vmcnt(4)
	v_cmp_ge_f32_e32 vcc, v17, v19
	s_andn2_b64 s[22:23], s[22:23], exec
	s_and_b64 s[24:25], vcc, exec
	s_or_b64 s[22:23], s[22:23], s[24:25]
	s_cmp_lt_i32 s13, 1
	s_mov_b64 s[26:27], 0
	s_cbranch_scc0 .LBB107_93
.LBB107_98:
                                        ; implicit-def: $sgpr24_sgpr25
	s_mov_b64 s[28:29], 0
	s_cbranch_execnz .LBB107_102
	s_branch .LBB107_103
.LBB107_99:
	s_mov_b64 s[28:29], 0
                                        ; implicit-def: $sgpr24_sgpr25
	s_cbranch_execz .LBB107_101
; %bb.100:
	s_waitcnt vmcnt(4)
	v_cmp_gt_f32_e32 vcc, v18, v20
	s_andn2_b64 s[24:25], s[24:25], exec
	s_and_b64 s[30:31], vcc, exec
	s_or_b64 s[24:25], s[24:25], s[30:31]
.LBB107_101:
	s_branch .LBB107_103
.LBB107_102:
	s_cmp_lg_u32 s13, 0
	s_mov_b64 s[26:27], -1
	s_cselect_b64 s[28:29], -1, 0
.LBB107_103:
	s_andn2_b64 vcc, exec, s[28:29]
	s_cbranch_vccz .LBB107_109
; %bb.104:
	s_andn2_b64 vcc, exec, s[26:27]
	s_cbranch_vccz .LBB107_110
.LBB107_105:
	s_cmp_lt_i32 s13, 1
	s_mov_b64 s[28:29], 0
	s_cbranch_scc1 .LBB107_111
.LBB107_106:
	s_cmp_gt_i32 s13, 1
	s_cbranch_scc0 .LBB107_112
; %bb.107:
	s_cmp_eq_u32 s13, 2
	s_cbranch_scc0 .LBB107_258
; %bb.108:
	s_waitcnt vmcnt(3)
	v_cmp_le_f32_e64 s[26:27], v13, v15
	s_mov_b64 s[30:31], 0
	s_branch .LBB107_114
.LBB107_109:
	s_waitcnt vmcnt(4)
	v_cmp_lt_f32_e32 vcc, v18, v20
	s_andn2_b64 s[24:25], s[24:25], exec
	s_and_b64 s[28:29], vcc, exec
	s_or_b64 s[24:25], s[24:25], s[28:29]
	s_cbranch_execnz .LBB107_105
.LBB107_110:
	s_waitcnt vmcnt(4)
	v_cmp_ge_f32_e32 vcc, v18, v20
	s_andn2_b64 s[24:25], s[24:25], exec
	s_and_b64 s[26:27], vcc, exec
	s_or_b64 s[24:25], s[24:25], s[26:27]
	s_cmp_lt_i32 s13, 1
	s_mov_b64 s[28:29], 0
	s_cbranch_scc0 .LBB107_106
.LBB107_111:
                                        ; implicit-def: $sgpr26_sgpr27
	s_mov_b64 s[30:31], 0
	s_cbranch_execnz .LBB107_115
	s_branch .LBB107_116
.LBB107_112:
	s_mov_b64 s[30:31], 0
                                        ; implicit-def: $sgpr26_sgpr27
	s_cbranch_execz .LBB107_114
; %bb.113:
	s_waitcnt vmcnt(3)
	v_cmp_gt_f32_e32 vcc, v13, v15
	s_andn2_b64 s[26:27], s[26:27], exec
	s_and_b64 s[34:35], vcc, exec
	s_or_b64 s[26:27], s[26:27], s[34:35]
.LBB107_114:
	s_branch .LBB107_116
.LBB107_115:
	s_cmp_lg_u32 s13, 0
	s_mov_b64 s[28:29], -1
	s_cselect_b64 s[30:31], -1, 0
.LBB107_116:
	s_andn2_b64 vcc, exec, s[30:31]
	s_cbranch_vccz .LBB107_122
; %bb.117:
	s_andn2_b64 vcc, exec, s[28:29]
	s_cbranch_vccz .LBB107_123
.LBB107_118:
	s_cmp_lt_i32 s13, 1
	s_mov_b64 s[30:31], 0
	s_cbranch_scc1 .LBB107_124
.LBB107_119:
	s_cmp_gt_i32 s13, 1
	s_cbranch_scc0 .LBB107_125
; %bb.120:
	s_cmp_eq_u32 s13, 2
	s_cbranch_scc0 .LBB107_259
; %bb.121:
	s_waitcnt vmcnt(3)
	v_cmp_le_f32_e64 s[28:29], v14, v16
	s_mov_b64 s[34:35], 0
	s_branch .LBB107_127
.LBB107_122:
	s_waitcnt vmcnt(3)
	v_cmp_lt_f32_e32 vcc, v13, v15
	s_andn2_b64 s[26:27], s[26:27], exec
	s_and_b64 s[30:31], vcc, exec
	s_or_b64 s[26:27], s[26:27], s[30:31]
	s_cbranch_execnz .LBB107_118
.LBB107_123:
	s_waitcnt vmcnt(3)
	v_cmp_ge_f32_e32 vcc, v13, v15
	s_andn2_b64 s[26:27], s[26:27], exec
	s_and_b64 s[28:29], vcc, exec
	s_or_b64 s[26:27], s[26:27], s[28:29]
	s_cmp_lt_i32 s13, 1
	s_mov_b64 s[30:31], 0
	s_cbranch_scc0 .LBB107_119
.LBB107_124:
                                        ; implicit-def: $sgpr28_sgpr29
	s_mov_b64 s[34:35], 0
	s_cbranch_execnz .LBB107_128
	s_branch .LBB107_129
.LBB107_125:
	s_mov_b64 s[34:35], 0
                                        ; implicit-def: $sgpr28_sgpr29
	s_cbranch_execz .LBB107_127
; %bb.126:
	s_waitcnt vmcnt(3)
	v_cmp_gt_f32_e32 vcc, v14, v16
	s_andn2_b64 s[28:29], s[28:29], exec
	s_and_b64 s[36:37], vcc, exec
	s_or_b64 s[28:29], s[28:29], s[36:37]
.LBB107_127:
	s_branch .LBB107_129
.LBB107_128:
	s_cmp_lg_u32 s13, 0
	s_mov_b64 s[30:31], -1
	s_cselect_b64 s[34:35], -1, 0
.LBB107_129:
	s_andn2_b64 vcc, exec, s[34:35]
	s_cbranch_vccz .LBB107_135
; %bb.130:
	s_andn2_b64 vcc, exec, s[30:31]
	s_cbranch_vccz .LBB107_136
.LBB107_131:
	s_cmp_lt_i32 s13, 1
	s_mov_b64 s[34:35], 0
	s_cbranch_scc1 .LBB107_137
.LBB107_132:
	s_cmp_gt_i32 s13, 1
	s_cbranch_scc0 .LBB107_138
; %bb.133:
	s_cmp_eq_u32 s13, 2
	s_cbranch_scc0 .LBB107_260
; %bb.134:
	s_waitcnt vmcnt(2)
	v_cmp_le_f32_e64 s[30:31], v9, v11
	s_mov_b64 s[36:37], 0
	s_branch .LBB107_140
.LBB107_135:
	s_waitcnt vmcnt(3)
	v_cmp_lt_f32_e32 vcc, v14, v16
	s_andn2_b64 s[28:29], s[28:29], exec
	s_and_b64 s[34:35], vcc, exec
	s_or_b64 s[28:29], s[28:29], s[34:35]
	s_cbranch_execnz .LBB107_131
.LBB107_136:
	s_waitcnt vmcnt(3)
	v_cmp_ge_f32_e32 vcc, v14, v16
	s_andn2_b64 s[28:29], s[28:29], exec
	s_and_b64 s[30:31], vcc, exec
	s_or_b64 s[28:29], s[28:29], s[30:31]
	s_cmp_lt_i32 s13, 1
	s_mov_b64 s[34:35], 0
	s_cbranch_scc0 .LBB107_132
.LBB107_137:
                                        ; implicit-def: $sgpr30_sgpr31
	s_mov_b64 s[36:37], 0
	s_cbranch_execnz .LBB107_141
	s_branch .LBB107_142
.LBB107_138:
	s_mov_b64 s[36:37], 0
                                        ; implicit-def: $sgpr30_sgpr31
	s_cbranch_execz .LBB107_140
; %bb.139:
	s_waitcnt vmcnt(2)
	v_cmp_gt_f32_e32 vcc, v9, v11
	s_andn2_b64 s[30:31], s[30:31], exec
	s_and_b64 s[38:39], vcc, exec
	s_or_b64 s[30:31], s[30:31], s[38:39]
.LBB107_140:
	s_branch .LBB107_142
.LBB107_141:
	s_cmp_lg_u32 s13, 0
	s_mov_b64 s[34:35], -1
	s_cselect_b64 s[36:37], -1, 0
.LBB107_142:
	s_andn2_b64 vcc, exec, s[36:37]
	s_cbranch_vccz .LBB107_148
; %bb.143:
	s_andn2_b64 vcc, exec, s[34:35]
	s_cbranch_vccz .LBB107_149
.LBB107_144:
	s_cmp_lt_i32 s13, 1
	s_mov_b64 s[36:37], 0
	s_cbranch_scc1 .LBB107_150
.LBB107_145:
	s_cmp_gt_i32 s13, 1
	s_cbranch_scc0 .LBB107_151
; %bb.146:
	s_cmp_eq_u32 s13, 2
	s_cbranch_scc0 .LBB107_261
; %bb.147:
	s_waitcnt vmcnt(2)
	v_cmp_le_f32_e64 s[34:35], v10, v12
	s_mov_b64 s[38:39], 0
	s_branch .LBB107_153
.LBB107_148:
	s_waitcnt vmcnt(2)
	v_cmp_lt_f32_e32 vcc, v9, v11
	s_andn2_b64 s[30:31], s[30:31], exec
	s_and_b64 s[36:37], vcc, exec
	s_or_b64 s[30:31], s[30:31], s[36:37]
	s_cbranch_execnz .LBB107_144
.LBB107_149:
	s_waitcnt vmcnt(2)
	v_cmp_ge_f32_e32 vcc, v9, v11
	s_andn2_b64 s[30:31], s[30:31], exec
	s_and_b64 s[34:35], vcc, exec
	s_or_b64 s[30:31], s[30:31], s[34:35]
	s_cmp_lt_i32 s13, 1
	s_mov_b64 s[36:37], 0
	s_cbranch_scc0 .LBB107_145
.LBB107_150:
                                        ; implicit-def: $sgpr34_sgpr35
	s_mov_b64 s[38:39], 0
	s_cbranch_execnz .LBB107_154
	s_branch .LBB107_155
.LBB107_151:
	s_mov_b64 s[38:39], 0
                                        ; implicit-def: $sgpr34_sgpr35
	s_cbranch_execz .LBB107_153
; %bb.152:
	s_waitcnt vmcnt(2)
	v_cmp_gt_f32_e32 vcc, v10, v12
	s_andn2_b64 s[34:35], s[34:35], exec
	s_and_b64 s[40:41], vcc, exec
	s_or_b64 s[34:35], s[34:35], s[40:41]
.LBB107_153:
	s_branch .LBB107_155
.LBB107_154:
	s_cmp_lg_u32 s13, 0
	s_mov_b64 s[36:37], -1
	s_cselect_b64 s[38:39], -1, 0
.LBB107_155:
	s_andn2_b64 vcc, exec, s[38:39]
	s_cbranch_vccz .LBB107_161
; %bb.156:
	s_andn2_b64 vcc, exec, s[36:37]
	s_cbranch_vccz .LBB107_162
.LBB107_157:
	s_cmp_lt_i32 s13, 1
	s_mov_b64 s[38:39], 0
	s_cbranch_scc1 .LBB107_163
.LBB107_158:
	s_cmp_gt_i32 s13, 1
	s_cbranch_scc0 .LBB107_164
; %bb.159:
	s_cmp_eq_u32 s13, 2
	s_cbranch_scc0 .LBB107_262
; %bb.160:
	s_waitcnt vmcnt(1)
	v_cmp_le_f32_e64 s[36:37], v5, v7
	s_mov_b64 s[40:41], 0
	s_branch .LBB107_166
.LBB107_161:
	s_waitcnt vmcnt(2)
	v_cmp_lt_f32_e32 vcc, v10, v12
	s_andn2_b64 s[34:35], s[34:35], exec
	s_and_b64 s[38:39], vcc, exec
	s_or_b64 s[34:35], s[34:35], s[38:39]
	s_cbranch_execnz .LBB107_157
.LBB107_162:
	s_waitcnt vmcnt(2)
	v_cmp_ge_f32_e32 vcc, v10, v12
	s_andn2_b64 s[34:35], s[34:35], exec
	s_and_b64 s[36:37], vcc, exec
	s_or_b64 s[34:35], s[34:35], s[36:37]
	s_cmp_lt_i32 s13, 1
	s_mov_b64 s[38:39], 0
	s_cbranch_scc0 .LBB107_158
.LBB107_163:
                                        ; implicit-def: $sgpr36_sgpr37
	s_mov_b64 s[40:41], 0
	s_cbranch_execnz .LBB107_167
	s_branch .LBB107_168
.LBB107_164:
	s_mov_b64 s[40:41], 0
                                        ; implicit-def: $sgpr36_sgpr37
	s_cbranch_execz .LBB107_166
; %bb.165:
	s_waitcnt vmcnt(1)
	v_cmp_gt_f32_e32 vcc, v5, v7
	s_andn2_b64 s[36:37], s[36:37], exec
	s_and_b64 s[42:43], vcc, exec
	s_or_b64 s[36:37], s[36:37], s[42:43]
.LBB107_166:
	s_branch .LBB107_168
.LBB107_167:
	s_cmp_lg_u32 s13, 0
	s_mov_b64 s[38:39], -1
	s_cselect_b64 s[40:41], -1, 0
.LBB107_168:
	s_andn2_b64 vcc, exec, s[40:41]
	s_cbranch_vccz .LBB107_174
; %bb.169:
	s_andn2_b64 vcc, exec, s[38:39]
	s_cbranch_vccz .LBB107_175
.LBB107_170:
	s_cmp_lt_i32 s13, 1
	s_mov_b64 s[40:41], 0
	s_cbranch_scc1 .LBB107_176
.LBB107_171:
	s_cmp_gt_i32 s13, 1
	s_cbranch_scc0 .LBB107_177
; %bb.172:
	s_cmp_eq_u32 s13, 2
	s_cbranch_scc0 .LBB107_263
; %bb.173:
	s_waitcnt vmcnt(1)
	v_cmp_le_f32_e64 s[38:39], v6, v8
	s_mov_b64 s[42:43], 0
	s_branch .LBB107_179
.LBB107_174:
	s_waitcnt vmcnt(1)
	v_cmp_lt_f32_e32 vcc, v5, v7
	s_andn2_b64 s[36:37], s[36:37], exec
	s_and_b64 s[40:41], vcc, exec
	s_or_b64 s[36:37], s[36:37], s[40:41]
	s_cbranch_execnz .LBB107_170
.LBB107_175:
	s_waitcnt vmcnt(1)
	v_cmp_ge_f32_e32 vcc, v5, v7
	s_andn2_b64 s[36:37], s[36:37], exec
	s_and_b64 s[38:39], vcc, exec
	s_or_b64 s[36:37], s[36:37], s[38:39]
	s_cmp_lt_i32 s13, 1
	s_mov_b64 s[40:41], 0
	s_cbranch_scc0 .LBB107_171
.LBB107_176:
                                        ; implicit-def: $sgpr38_sgpr39
	s_mov_b64 s[42:43], 0
	s_cbranch_execnz .LBB107_180
	s_branch .LBB107_181
.LBB107_177:
	s_mov_b64 s[42:43], 0
                                        ; implicit-def: $sgpr38_sgpr39
	s_cbranch_execz .LBB107_179
; %bb.178:
	s_waitcnt vmcnt(1)
	v_cmp_gt_f32_e32 vcc, v6, v8
	s_andn2_b64 s[38:39], s[38:39], exec
	s_and_b64 s[44:45], vcc, exec
	s_or_b64 s[38:39], s[38:39], s[44:45]
.LBB107_179:
	s_branch .LBB107_181
.LBB107_180:
	s_cmp_lg_u32 s13, 0
	s_mov_b64 s[40:41], -1
	s_cselect_b64 s[42:43], -1, 0
.LBB107_181:
	s_andn2_b64 vcc, exec, s[42:43]
	s_cbranch_vccz .LBB107_187
; %bb.182:
	s_andn2_b64 vcc, exec, s[40:41]
	s_cbranch_vccz .LBB107_188
.LBB107_183:
	s_cmp_lt_i32 s13, 1
	s_mov_b64 s[42:43], 0
	s_cbranch_scc1 .LBB107_189
.LBB107_184:
	s_cmp_gt_i32 s13, 1
	s_cbranch_scc0 .LBB107_190
; %bb.185:
	s_cmp_eq_u32 s13, 2
	s_cbranch_scc0 .LBB107_264
; %bb.186:
	s_waitcnt vmcnt(0)
	v_cmp_le_f32_e64 s[40:41], v1, v3
	s_mov_b64 s[44:45], 0
	s_branch .LBB107_192
.LBB107_187:
	s_waitcnt vmcnt(1)
	v_cmp_lt_f32_e32 vcc, v6, v8
	s_andn2_b64 s[38:39], s[38:39], exec
	s_and_b64 s[42:43], vcc, exec
	s_or_b64 s[38:39], s[38:39], s[42:43]
	s_cbranch_execnz .LBB107_183
.LBB107_188:
	s_waitcnt vmcnt(1)
	v_cmp_ge_f32_e32 vcc, v6, v8
	s_andn2_b64 s[38:39], s[38:39], exec
	s_and_b64 s[40:41], vcc, exec
	s_or_b64 s[38:39], s[38:39], s[40:41]
	s_cmp_lt_i32 s13, 1
	s_mov_b64 s[42:43], 0
	s_cbranch_scc0 .LBB107_184
.LBB107_189:
                                        ; implicit-def: $sgpr40_sgpr41
	s_mov_b64 s[44:45], 0
	s_cbranch_execnz .LBB107_193
	s_branch .LBB107_194
.LBB107_190:
	s_mov_b64 s[44:45], 0
                                        ; implicit-def: $sgpr40_sgpr41
	s_cbranch_execz .LBB107_192
; %bb.191:
	s_waitcnt vmcnt(0)
	v_cmp_gt_f32_e32 vcc, v1, v3
	s_andn2_b64 s[40:41], s[40:41], exec
	s_and_b64 s[46:47], vcc, exec
	s_or_b64 s[40:41], s[40:41], s[46:47]
.LBB107_192:
	s_branch .LBB107_194
.LBB107_193:
	s_cmp_lg_u32 s13, 0
	s_mov_b64 s[42:43], -1
	s_cselect_b64 s[44:45], -1, 0
.LBB107_194:
	s_andn2_b64 vcc, exec, s[44:45]
	s_cbranch_vccz .LBB107_200
; %bb.195:
	s_andn2_b64 vcc, exec, s[42:43]
	s_cbranch_vccz .LBB107_201
.LBB107_196:
	s_cmp_lt_i32 s13, 1
	s_mov_b64 s[44:45], 0
	s_cbranch_scc1 .LBB107_202
.LBB107_197:
	s_cmp_gt_i32 s13, 1
	s_cbranch_scc0 .LBB107_203
; %bb.198:
	s_cmp_eq_u32 s13, 2
	s_cbranch_scc0 .LBB107_265
; %bb.199:
	s_waitcnt vmcnt(0)
	v_cmp_le_f32_e64 s[42:43], v2, v4
	s_mov_b64 s[46:47], 0
	s_branch .LBB107_205
.LBB107_200:
	s_waitcnt vmcnt(0)
	v_cmp_lt_f32_e32 vcc, v1, v3
	s_andn2_b64 s[40:41], s[40:41], exec
	s_and_b64 s[44:45], vcc, exec
	s_or_b64 s[40:41], s[40:41], s[44:45]
	s_cbranch_execnz .LBB107_196
.LBB107_201:
	s_waitcnt vmcnt(0)
	v_cmp_ge_f32_e32 vcc, v1, v3
	s_andn2_b64 s[40:41], s[40:41], exec
	s_and_b64 s[42:43], vcc, exec
	s_or_b64 s[40:41], s[40:41], s[42:43]
	s_cmp_lt_i32 s13, 1
	s_mov_b64 s[44:45], 0
	s_cbranch_scc0 .LBB107_197
.LBB107_202:
                                        ; implicit-def: $sgpr42_sgpr43
	s_mov_b64 s[46:47], 0
	s_cbranch_execnz .LBB107_206
	s_branch .LBB107_207
.LBB107_203:
	s_mov_b64 s[46:47], 0
                                        ; implicit-def: $sgpr42_sgpr43
	s_cbranch_execz .LBB107_205
; %bb.204:
	s_waitcnt vmcnt(0)
	v_cmp_gt_f32_e32 vcc, v2, v4
	s_andn2_b64 s[42:43], s[42:43], exec
	s_and_b64 s[48:49], vcc, exec
	s_or_b64 s[42:43], s[42:43], s[48:49]
.LBB107_205:
	s_branch .LBB107_207
.LBB107_206:
	s_cmp_lg_u32 s13, 0
	s_mov_b64 s[44:45], -1
	s_cselect_b64 s[46:47], -1, 0
.LBB107_207:
	s_andn2_b64 vcc, exec, s[46:47]
	s_cbranch_vccz .LBB107_249
; %bb.208:
	s_andn2_b64 vcc, exec, s[44:45]
	s_cbranch_vccnz .LBB107_210
.LBB107_209:
	s_waitcnt vmcnt(0)
	v_cmp_ge_f32_e32 vcc, v2, v4
	s_andn2_b64 s[42:43], s[42:43], exec
	s_and_b64 s[44:45], vcc, exec
	s_or_b64 s[42:43], s[42:43], s[44:45]
.LBB107_210:
	s_waitcnt vmcnt(0)
	v_mov_b32_e32 v3, 0x100
	v_cndmask_b32_e64 v2, 0, 1, s[36:37]
	v_cndmask_b32_e64 v4, 0, v3, s[38:39]
	v_or_b32_e32 v2, v4, v2
	v_cndmask_b32_e64 v4, 0, 1, s[30:31]
	v_cndmask_b32_e64 v5, 0, v3, s[34:35]
	v_or_b32_e32 v4, v5, v4
	;; [unrolled: 3-line block ×5, first 2 shown]
	v_cndmask_b32_e64 v8, 0, 1, s[6:7]
	v_cndmask_b32_e64 v9, 0, v3, s[16:17]
	;; [unrolled: 1-line block ×3, first 2 shown]
	v_or_b32_e32 v8, v9, v8
	v_cndmask_b32_e64 v9, 0, 1, s[0:1]
	v_cndmask_b32_e64 v10, 0, v3, s[4:5]
	;; [unrolled: 1-line block ×3, first 2 shown]
	s_add_u32 s0, s8, s2
	v_or_b32_e32 v9, v10, v9
	v_or_b32_e32 v1, v3, v1
	s_addc_u32 s1, s9, s3
	v_lshlrev_b32_e32 v3, 1, v0
	global_store_short v3, v9, s[0:1]
	global_store_short v3, v8, s[0:1] offset:512
	global_store_short v3, v7, s[0:1] offset:1024
	global_store_short v3, v6, s[0:1] offset:1536
	global_store_short v3, v5, s[0:1] offset:2048
	global_store_short v3, v4, s[0:1] offset:2560
	global_store_short v3, v2, s[0:1] offset:3072
	global_store_short v3, v1, s[0:1] offset:3584
	s_mov_b64 s[0:1], 0
.LBB107_211:
	s_and_b64 vcc, exec, s[0:1]
	s_cbranch_vccz .LBB107_519
; %bb.212:
	v_cmp_gt_i32_e64 s[0:1], s12, v0
	v_mov_b32_e32 v14, 0
	v_or_b32_e32 v1, s2, v0
	v_mov_b32_e32 v7, 0
	v_mov_b32_e32 v10, 0
	;; [unrolled: 1-line block ×3, first 2 shown]
	s_and_saveexec_b64 s[4:5], s[0:1]
	s_cbranch_execz .LBB107_214
; %bb.213:
	v_mov_b32_e32 v2, 0
	v_lshlrev_b64 v[2:3], 2, v[1:2]
	v_mov_b32_e32 v5, s15
	v_add_co_u32_e32 v4, vcc, s14, v2
	v_addc_co_u32_e32 v5, vcc, v5, v3, vcc
	v_mov_b32_e32 v6, s11
	v_add_co_u32_e32 v2, vcc, s10, v2
	v_addc_co_u32_e32 v3, vcc, v6, v3, vcc
	global_load_dword v7, v[2:3], off
	global_load_dword v10, v[4:5], off
	v_or_b32_e32 v6, 0x100, v0
.LBB107_214:
	s_or_b64 exec, exec, s[4:5]
	v_cmp_gt_i32_e32 vcc, s12, v6
	v_mov_b32_e32 v34, 0
	s_and_saveexec_b64 s[4:5], vcc
	s_cbranch_execz .LBB107_216
; %bb.215:
	v_add_u32_e32 v2, s2, v6
	v_mov_b32_e32 v3, 0
	v_lshlrev_b64 v[2:3], 2, v[2:3]
	v_mov_b32_e32 v5, s15
	v_add_co_u32_e32 v4, vcc, s14, v2
	v_addc_co_u32_e32 v5, vcc, v5, v3, vcc
	v_mov_b32_e32 v8, s11
	v_add_co_u32_e32 v2, vcc, s10, v2
	v_addc_co_u32_e32 v3, vcc, v8, v3, vcc
	global_load_dword v14, v[2:3], off
	global_load_dword v34, v[4:5], off
	v_add_u32_e32 v6, 0x100, v6
.LBB107_216:
	s_or_b64 exec, exec, s[4:5]
	v_cmp_gt_i32_e32 vcc, s12, v6
	v_mov_b32_e32 v21, 0
	v_mov_b32_e32 v16, 0
	v_mov_b32_e32 v33, 0
	s_and_saveexec_b64 s[4:5], vcc
	s_cbranch_execz .LBB107_218
; %bb.217:
	v_add_u32_e32 v2, s2, v6
	v_mov_b32_e32 v3, 0
	v_lshlrev_b64 v[2:3], 2, v[2:3]
	v_mov_b32_e32 v5, s15
	v_add_co_u32_e32 v4, vcc, s14, v2
	v_addc_co_u32_e32 v5, vcc, v5, v3, vcc
	v_mov_b32_e32 v8, s11
	v_add_co_u32_e32 v2, vcc, s10, v2
	v_addc_co_u32_e32 v3, vcc, v8, v3, vcc
	global_load_dword v16, v[2:3], off
	global_load_dword v33, v[4:5], off
	v_add_u32_e32 v6, 0x100, v6
.LBB107_218:
	s_or_b64 exec, exec, s[4:5]
	v_cmp_gt_i32_e32 vcc, s12, v6
	v_mov_b32_e32 v32, 0
	s_and_saveexec_b64 s[4:5], vcc
	s_cbranch_execz .LBB107_220
; %bb.219:
	v_add_u32_e32 v2, s2, v6
	v_mov_b32_e32 v3, 0
	v_lshlrev_b64 v[2:3], 2, v[2:3]
	v_mov_b32_e32 v5, s15
	v_add_co_u32_e32 v4, vcc, s14, v2
	v_addc_co_u32_e32 v5, vcc, v5, v3, vcc
	v_mov_b32_e32 v8, s11
	v_add_co_u32_e32 v2, vcc, s10, v2
	v_addc_co_u32_e32 v3, vcc, v8, v3, vcc
	global_load_dword v21, v[2:3], off
	global_load_dword v32, v[4:5], off
	v_add_u32_e32 v6, 0x100, v6
.LBB107_220:
	s_or_b64 exec, exec, s[4:5]
	v_cmp_gt_i32_e32 vcc, s12, v6
	v_mov_b32_e32 v27, 0
	v_mov_b32_e32 v24, 0
	v_mov_b32_e32 v31, 0
	s_and_saveexec_b64 s[4:5], vcc
	s_cbranch_execz .LBB107_222
; %bb.221:
	v_add_u32_e32 v2, s2, v6
	v_mov_b32_e32 v3, 0
	v_lshlrev_b64 v[2:3], 2, v[2:3]
	v_mov_b32_e32 v5, s15
	v_add_co_u32_e32 v4, vcc, s14, v2
	v_addc_co_u32_e32 v5, vcc, v5, v3, vcc
	v_mov_b32_e32 v8, s11
	v_add_co_u32_e32 v2, vcc, s10, v2
	v_addc_co_u32_e32 v3, vcc, v8, v3, vcc
	global_load_dword v24, v[2:3], off
	global_load_dword v31, v[4:5], off
	v_add_u32_e32 v6, 0x100, v6
.LBB107_222:
	;; [unrolled: 40-line block ×7, first 2 shown]
	s_or_b64 exec, exec, s[4:5]
	v_cmp_gt_i32_e32 vcc, s12, v6
	v_mov_b32_e32 v3, 0
	s_and_saveexec_b64 s[4:5], vcc
	s_cbranch_execz .LBB107_244
; %bb.243:
	v_add_u32_e32 v2, s2, v6
	v_mov_b32_e32 v3, 0
	v_lshlrev_b64 v[2:3], 2, v[2:3]
	v_mov_b32_e32 v6, s15
	v_add_co_u32_e32 v35, vcc, s14, v2
	v_addc_co_u32_e32 v36, vcc, v6, v3, vcc
	v_mov_b32_e32 v6, s11
	v_add_co_u32_e32 v37, vcc, s10, v2
	v_addc_co_u32_e32 v38, vcc, v6, v3, vcc
	global_load_dword v2, v[37:38], off
	global_load_dword v3, v[35:36], off
.LBB107_244:
	s_or_b64 exec, exec, s[4:5]
                                        ; implicit-def: $vgpr6
	s_and_saveexec_b64 s[4:5], s[0:1]
	s_cbranch_execz .LBB107_276
; %bb.245:
	s_cmp_lt_i32 s13, 1
	s_mov_b64 s[6:7], 0
	s_cbranch_scc1 .LBB107_250
; %bb.246:
	s_cmp_gt_i32 s13, 1
	s_cbranch_scc0 .LBB107_266
; %bb.247:
	s_cmp_eq_u32 s13, 2
	s_cbranch_scc0 .LBB107_267
; %bb.248:
	s_waitcnt vmcnt(0)
	v_cmp_le_f32_e64 s[10:11], v7, v10
	s_mov_b64 s[14:15], 0
	s_branch .LBB107_268
.LBB107_249:
	s_waitcnt vmcnt(0)
	v_cmp_lt_f32_e32 vcc, v2, v4
	s_andn2_b64 s[42:43], s[42:43], exec
	s_and_b64 s[46:47], vcc, exec
	s_or_b64 s[42:43], s[42:43], s[46:47]
	s_cbranch_execz .LBB107_209
	s_branch .LBB107_210
.LBB107_250:
                                        ; implicit-def: $sgpr10_sgpr11
	s_mov_b64 s[14:15], 0
	s_cbranch_execnz .LBB107_271
	s_branch .LBB107_272
.LBB107_251:
	s_mov_b64 s[16:17], -1
                                        ; implicit-def: $sgpr4_sgpr5
	s_branch .LBB107_23
.LBB107_252:
	s_mov_b64 s[18:19], -1
                                        ; implicit-def: $sgpr6_sgpr7
	s_branch .LBB107_36
.LBB107_253:
	s_mov_b64 s[20:21], -1
                                        ; implicit-def: $sgpr16_sgpr17
	s_branch .LBB107_49
.LBB107_254:
	s_mov_b64 s[22:23], -1
                                        ; implicit-def: $sgpr18_sgpr19
	s_branch .LBB107_62
.LBB107_255:
	s_mov_b64 s[24:25], -1
                                        ; implicit-def: $sgpr20_sgpr21
	s_branch .LBB107_75
.LBB107_256:
	s_mov_b64 s[26:27], -1
                                        ; implicit-def: $sgpr22_sgpr23
	s_branch .LBB107_88
.LBB107_257:
	s_mov_b64 s[28:29], -1
                                        ; implicit-def: $sgpr24_sgpr25
	s_branch .LBB107_101
.LBB107_258:
	s_mov_b64 s[30:31], -1
                                        ; implicit-def: $sgpr26_sgpr27
	s_branch .LBB107_114
.LBB107_259:
	s_mov_b64 s[34:35], -1
                                        ; implicit-def: $sgpr28_sgpr29
	s_branch .LBB107_127
.LBB107_260:
	s_mov_b64 s[36:37], -1
                                        ; implicit-def: $sgpr30_sgpr31
	s_branch .LBB107_140
.LBB107_261:
	s_mov_b64 s[38:39], -1
                                        ; implicit-def: $sgpr34_sgpr35
	s_branch .LBB107_153
.LBB107_262:
	s_mov_b64 s[40:41], -1
                                        ; implicit-def: $sgpr36_sgpr37
	s_branch .LBB107_166
.LBB107_263:
	s_mov_b64 s[42:43], -1
                                        ; implicit-def: $sgpr38_sgpr39
	s_branch .LBB107_179
.LBB107_264:
	s_mov_b64 s[44:45], -1
                                        ; implicit-def: $sgpr40_sgpr41
	s_branch .LBB107_192
.LBB107_265:
	s_mov_b64 s[46:47], -1
                                        ; implicit-def: $sgpr42_sgpr43
	s_branch .LBB107_205
.LBB107_266:
	s_mov_b64 s[14:15], 0
                                        ; implicit-def: $sgpr10_sgpr11
	s_cbranch_execnz .LBB107_269
	s_branch .LBB107_270
.LBB107_267:
	s_mov_b64 s[14:15], -1
                                        ; implicit-def: $sgpr10_sgpr11
.LBB107_268:
	s_branch .LBB107_270
.LBB107_269:
	s_waitcnt vmcnt(0)
	v_cmp_gt_f32_e32 vcc, v7, v10
	s_andn2_b64 s[10:11], s[10:11], exec
	s_and_b64 s[16:17], vcc, exec
	s_or_b64 s[10:11], s[10:11], s[16:17]
.LBB107_270:
	s_branch .LBB107_272
.LBB107_271:
	s_cmp_lg_u32 s13, 0
	s_mov_b64 s[6:7], -1
	s_cselect_b64 s[14:15], -1, 0
.LBB107_272:
	s_andn2_b64 vcc, exec, s[14:15]
	s_cbranch_vccz .LBB107_281
; %bb.273:
	s_andn2_b64 vcc, exec, s[6:7]
	s_cbranch_vccnz .LBB107_275
.LBB107_274:
	s_waitcnt vmcnt(0)
	v_cmp_ge_f32_e32 vcc, v7, v10
	s_andn2_b64 s[6:7], s[10:11], exec
	s_and_b64 s[10:11], vcc, exec
	s_or_b64 s[10:11], s[6:7], s[10:11]
.LBB107_275:
	v_cndmask_b32_e64 v6, 0, 1, s[10:11]
.LBB107_276:
	s_or_b64 exec, exec, s[4:5]
	s_waitcnt vmcnt(1)
	v_or_b32_e32 v7, 0x100, v0
	v_cmp_gt_i32_e32 vcc, s12, v7
                                        ; implicit-def: $vgpr10
	s_and_saveexec_b64 s[4:5], vcc
	s_cbranch_execz .LBB107_291
; %bb.277:
	s_cmp_lt_i32 s13, 1
	s_mov_b64 s[6:7], 0
	s_cbranch_scc1 .LBB107_282
; %bb.278:
	s_cmp_gt_i32 s13, 1
	s_cbranch_scc0 .LBB107_283
; %bb.279:
	s_cmp_eq_u32 s13, 2
	s_cbranch_scc0 .LBB107_535
; %bb.280:
	s_waitcnt vmcnt(0)
	v_cmp_le_f32_e64 s[10:11], v14, v34
	s_mov_b64 s[14:15], 0
	s_branch .LBB107_285
.LBB107_281:
	s_waitcnt vmcnt(0)
	v_cmp_lt_f32_e32 vcc, v7, v10
	s_andn2_b64 s[10:11], s[10:11], exec
	s_and_b64 s[14:15], vcc, exec
	s_or_b64 s[10:11], s[10:11], s[14:15]
	s_cbranch_execz .LBB107_274
	s_branch .LBB107_275
.LBB107_282:
                                        ; implicit-def: $sgpr10_sgpr11
	s_mov_b64 s[14:15], 0
	s_cbranch_execnz .LBB107_286
	s_branch .LBB107_287
.LBB107_283:
	s_mov_b64 s[14:15], 0
                                        ; implicit-def: $sgpr10_sgpr11
	s_cbranch_execz .LBB107_285
; %bb.284:
	s_waitcnt vmcnt(0)
	v_cmp_gt_f32_e32 vcc, v14, v34
	s_andn2_b64 s[10:11], s[10:11], exec
	s_and_b64 s[16:17], vcc, exec
	s_or_b64 s[10:11], s[10:11], s[16:17]
.LBB107_285:
	s_branch .LBB107_287
.LBB107_286:
	s_cmp_lg_u32 s13, 0
	s_mov_b64 s[6:7], -1
	s_cselect_b64 s[14:15], -1, 0
.LBB107_287:
	s_andn2_b64 vcc, exec, s[14:15]
	s_cbranch_vccz .LBB107_296
; %bb.288:
	s_andn2_b64 vcc, exec, s[6:7]
	s_cbranch_vccnz .LBB107_290
.LBB107_289:
	s_waitcnt vmcnt(0)
	v_cmp_ge_f32_e32 vcc, v14, v34
	s_andn2_b64 s[6:7], s[10:11], exec
	s_and_b64 s[10:11], vcc, exec
	s_or_b64 s[10:11], s[6:7], s[10:11]
.LBB107_290:
	s_waitcnt vmcnt(0)
	v_cndmask_b32_e64 v10, 0, 1, s[10:11]
.LBB107_291:
	s_or_b64 exec, exec, s[4:5]
	v_or_b32_e32 v14, 0x200, v0
	v_cmp_gt_i32_e32 vcc, s12, v14
                                        ; implicit-def: $vgpr14
	s_and_saveexec_b64 s[4:5], vcc
	s_cbranch_execz .LBB107_306
; %bb.292:
	s_cmp_lt_i32 s13, 1
	s_mov_b64 s[6:7], 0
	s_cbranch_scc1 .LBB107_297
; %bb.293:
	s_cmp_gt_i32 s13, 1
	s_cbranch_scc0 .LBB107_298
; %bb.294:
	s_cmp_eq_u32 s13, 2
	s_cbranch_scc0 .LBB107_536
; %bb.295:
	s_waitcnt vmcnt(0)
	v_cmp_le_f32_e64 s[10:11], v16, v33
	s_mov_b64 s[14:15], 0
	s_branch .LBB107_300
.LBB107_296:
	s_waitcnt vmcnt(0)
	v_cmp_lt_f32_e32 vcc, v14, v34
	s_andn2_b64 s[10:11], s[10:11], exec
	s_and_b64 s[14:15], vcc, exec
	s_or_b64 s[10:11], s[10:11], s[14:15]
	s_cbranch_execz .LBB107_289
	s_branch .LBB107_290
.LBB107_297:
                                        ; implicit-def: $sgpr10_sgpr11
	s_mov_b64 s[14:15], 0
	s_cbranch_execnz .LBB107_301
	s_branch .LBB107_302
.LBB107_298:
	s_mov_b64 s[14:15], 0
                                        ; implicit-def: $sgpr10_sgpr11
	s_cbranch_execz .LBB107_300
; %bb.299:
	s_waitcnt vmcnt(0)
	v_cmp_gt_f32_e32 vcc, v16, v33
	s_andn2_b64 s[10:11], s[10:11], exec
	s_and_b64 s[16:17], vcc, exec
	s_or_b64 s[10:11], s[10:11], s[16:17]
.LBB107_300:
	s_branch .LBB107_302
.LBB107_301:
	s_cmp_lg_u32 s13, 0
	s_mov_b64 s[6:7], -1
	s_cselect_b64 s[14:15], -1, 0
.LBB107_302:
	s_andn2_b64 vcc, exec, s[14:15]
	s_cbranch_vccz .LBB107_311
; %bb.303:
	s_andn2_b64 vcc, exec, s[6:7]
	s_cbranch_vccnz .LBB107_305
.LBB107_304:
	s_waitcnt vmcnt(0)
	v_cmp_ge_f32_e32 vcc, v16, v33
	s_andn2_b64 s[6:7], s[10:11], exec
	s_and_b64 s[10:11], vcc, exec
	s_or_b64 s[10:11], s[6:7], s[10:11]
.LBB107_305:
	v_cndmask_b32_e64 v14, 0, 1, s[10:11]
.LBB107_306:
	s_or_b64 exec, exec, s[4:5]
	v_or_b32_e32 v16, 0x300, v0
	v_cmp_gt_i32_e32 vcc, s12, v16
                                        ; implicit-def: $vgpr16
	s_and_saveexec_b64 s[4:5], vcc
	s_cbranch_execz .LBB107_321
; %bb.307:
	s_cmp_lt_i32 s13, 1
	s_mov_b64 s[6:7], 0
	s_cbranch_scc1 .LBB107_312
; %bb.308:
	s_cmp_gt_i32 s13, 1
	s_cbranch_scc0 .LBB107_313
; %bb.309:
	s_cmp_eq_u32 s13, 2
	s_cbranch_scc0 .LBB107_537
; %bb.310:
	s_waitcnt vmcnt(0)
	v_cmp_le_f32_e64 s[10:11], v21, v32
	s_mov_b64 s[14:15], 0
	s_branch .LBB107_315
.LBB107_311:
	s_waitcnt vmcnt(0)
	v_cmp_lt_f32_e32 vcc, v16, v33
	s_andn2_b64 s[10:11], s[10:11], exec
	s_and_b64 s[14:15], vcc, exec
	s_or_b64 s[10:11], s[10:11], s[14:15]
	s_cbranch_execz .LBB107_304
	s_branch .LBB107_305
.LBB107_312:
                                        ; implicit-def: $sgpr10_sgpr11
	s_mov_b64 s[14:15], 0
	s_cbranch_execnz .LBB107_316
	s_branch .LBB107_317
.LBB107_313:
	s_mov_b64 s[14:15], 0
                                        ; implicit-def: $sgpr10_sgpr11
	s_cbranch_execz .LBB107_315
; %bb.314:
	s_waitcnt vmcnt(0)
	v_cmp_gt_f32_e32 vcc, v21, v32
	s_andn2_b64 s[10:11], s[10:11], exec
	s_and_b64 s[16:17], vcc, exec
	s_or_b64 s[10:11], s[10:11], s[16:17]
.LBB107_315:
	s_branch .LBB107_317
.LBB107_316:
	s_cmp_lg_u32 s13, 0
	s_mov_b64 s[6:7], -1
	s_cselect_b64 s[14:15], -1, 0
.LBB107_317:
	s_andn2_b64 vcc, exec, s[14:15]
	s_cbranch_vccz .LBB107_326
; %bb.318:
	s_andn2_b64 vcc, exec, s[6:7]
	s_cbranch_vccnz .LBB107_320
.LBB107_319:
	s_waitcnt vmcnt(0)
	v_cmp_ge_f32_e32 vcc, v21, v32
	s_andn2_b64 s[6:7], s[10:11], exec
	s_and_b64 s[10:11], vcc, exec
	s_or_b64 s[10:11], s[6:7], s[10:11]
.LBB107_320:
	v_cndmask_b32_e64 v16, 0, 1, s[10:11]
.LBB107_321:
	s_or_b64 exec, exec, s[4:5]
	v_or_b32_e32 v21, 0x400, v0
	v_cmp_gt_i32_e32 vcc, s12, v21
                                        ; implicit-def: $vgpr21
	s_and_saveexec_b64 s[4:5], vcc
	s_cbranch_execz .LBB107_336
; %bb.322:
	s_cmp_lt_i32 s13, 1
	s_mov_b64 s[6:7], 0
	s_cbranch_scc1 .LBB107_327
; %bb.323:
	s_cmp_gt_i32 s13, 1
	s_cbranch_scc0 .LBB107_328
; %bb.324:
	s_cmp_eq_u32 s13, 2
	s_cbranch_scc0 .LBB107_538
; %bb.325:
	s_waitcnt vmcnt(0)
	v_cmp_le_f32_e64 s[10:11], v24, v31
	s_mov_b64 s[14:15], 0
	s_branch .LBB107_330
.LBB107_326:
	s_waitcnt vmcnt(0)
	v_cmp_lt_f32_e32 vcc, v21, v32
	s_andn2_b64 s[10:11], s[10:11], exec
	s_and_b64 s[14:15], vcc, exec
	s_or_b64 s[10:11], s[10:11], s[14:15]
	s_cbranch_execz .LBB107_319
	s_branch .LBB107_320
.LBB107_327:
                                        ; implicit-def: $sgpr10_sgpr11
	s_mov_b64 s[14:15], 0
	s_cbranch_execnz .LBB107_331
	s_branch .LBB107_332
.LBB107_328:
	s_mov_b64 s[14:15], 0
                                        ; implicit-def: $sgpr10_sgpr11
	s_cbranch_execz .LBB107_330
; %bb.329:
	s_waitcnt vmcnt(0)
	v_cmp_gt_f32_e32 vcc, v24, v31
	s_andn2_b64 s[10:11], s[10:11], exec
	s_and_b64 s[16:17], vcc, exec
	s_or_b64 s[10:11], s[10:11], s[16:17]
.LBB107_330:
	s_branch .LBB107_332
.LBB107_331:
	s_cmp_lg_u32 s13, 0
	s_mov_b64 s[6:7], -1
	s_cselect_b64 s[14:15], -1, 0
.LBB107_332:
	s_andn2_b64 vcc, exec, s[14:15]
	s_cbranch_vccz .LBB107_341
; %bb.333:
	s_andn2_b64 vcc, exec, s[6:7]
	s_cbranch_vccnz .LBB107_335
.LBB107_334:
	s_waitcnt vmcnt(0)
	v_cmp_ge_f32_e32 vcc, v24, v31
	s_andn2_b64 s[6:7], s[10:11], exec
	s_and_b64 s[10:11], vcc, exec
	s_or_b64 s[10:11], s[6:7], s[10:11]
.LBB107_335:
	v_cndmask_b32_e64 v21, 0, 1, s[10:11]
.LBB107_336:
	s_or_b64 exec, exec, s[4:5]
	v_or_b32_e32 v24, 0x500, v0
	v_cmp_gt_i32_e32 vcc, s12, v24
                                        ; implicit-def: $vgpr24
	s_and_saveexec_b64 s[4:5], vcc
	s_cbranch_execz .LBB107_351
; %bb.337:
	s_cmp_lt_i32 s13, 1
	s_mov_b64 s[6:7], 0
	s_cbranch_scc1 .LBB107_342
; %bb.338:
	s_cmp_gt_i32 s13, 1
	s_cbranch_scc0 .LBB107_343
; %bb.339:
	s_cmp_eq_u32 s13, 2
	s_cbranch_scc0 .LBB107_539
; %bb.340:
	s_waitcnt vmcnt(0)
	v_cmp_le_f32_e64 s[10:11], v27, v30
	s_mov_b64 s[14:15], 0
	s_branch .LBB107_345
.LBB107_341:
	s_waitcnt vmcnt(0)
	v_cmp_lt_f32_e32 vcc, v24, v31
	s_andn2_b64 s[10:11], s[10:11], exec
	s_and_b64 s[14:15], vcc, exec
	s_or_b64 s[10:11], s[10:11], s[14:15]
	s_cbranch_execz .LBB107_334
	s_branch .LBB107_335
.LBB107_342:
                                        ; implicit-def: $sgpr10_sgpr11
	s_mov_b64 s[14:15], 0
	s_cbranch_execnz .LBB107_346
	s_branch .LBB107_347
.LBB107_343:
	s_mov_b64 s[14:15], 0
                                        ; implicit-def: $sgpr10_sgpr11
	s_cbranch_execz .LBB107_345
; %bb.344:
	s_waitcnt vmcnt(0)
	v_cmp_gt_f32_e32 vcc, v27, v30
	s_andn2_b64 s[10:11], s[10:11], exec
	s_and_b64 s[16:17], vcc, exec
	s_or_b64 s[10:11], s[10:11], s[16:17]
.LBB107_345:
	s_branch .LBB107_347
.LBB107_346:
	s_cmp_lg_u32 s13, 0
	s_mov_b64 s[6:7], -1
	s_cselect_b64 s[14:15], -1, 0
.LBB107_347:
	s_andn2_b64 vcc, exec, s[14:15]
	s_cbranch_vccz .LBB107_356
; %bb.348:
	s_andn2_b64 vcc, exec, s[6:7]
	s_cbranch_vccnz .LBB107_350
.LBB107_349:
	s_waitcnt vmcnt(0)
	v_cmp_ge_f32_e32 vcc, v27, v30
	s_andn2_b64 s[6:7], s[10:11], exec
	s_and_b64 s[10:11], vcc, exec
	s_or_b64 s[10:11], s[6:7], s[10:11]
.LBB107_350:
	v_cndmask_b32_e64 v24, 0, 1, s[10:11]
.LBB107_351:
	s_or_b64 exec, exec, s[4:5]
	v_or_b32_e32 v27, 0x600, v0
	v_cmp_gt_i32_e32 vcc, s12, v27
                                        ; implicit-def: $vgpr27
	s_and_saveexec_b64 s[4:5], vcc
	s_cbranch_execz .LBB107_366
; %bb.352:
	s_cmp_lt_i32 s13, 1
	s_mov_b64 s[6:7], 0
	s_cbranch_scc1 .LBB107_357
; %bb.353:
	s_cmp_gt_i32 s13, 1
	s_cbranch_scc0 .LBB107_358
; %bb.354:
	s_cmp_eq_u32 s13, 2
	s_cbranch_scc0 .LBB107_540
; %bb.355:
	s_waitcnt vmcnt(0)
	v_cmp_le_f32_e64 s[10:11], v28, v29
	s_mov_b64 s[14:15], 0
	s_branch .LBB107_360
.LBB107_356:
	s_waitcnt vmcnt(0)
	v_cmp_lt_f32_e32 vcc, v27, v30
	s_andn2_b64 s[10:11], s[10:11], exec
	s_and_b64 s[14:15], vcc, exec
	s_or_b64 s[10:11], s[10:11], s[14:15]
	s_cbranch_execz .LBB107_349
	s_branch .LBB107_350
.LBB107_357:
                                        ; implicit-def: $sgpr10_sgpr11
	s_mov_b64 s[14:15], 0
	s_cbranch_execnz .LBB107_361
	s_branch .LBB107_362
.LBB107_358:
	s_mov_b64 s[14:15], 0
                                        ; implicit-def: $sgpr10_sgpr11
	s_cbranch_execz .LBB107_360
; %bb.359:
	s_waitcnt vmcnt(0)
	v_cmp_gt_f32_e32 vcc, v28, v29
	s_andn2_b64 s[10:11], s[10:11], exec
	s_and_b64 s[16:17], vcc, exec
	s_or_b64 s[10:11], s[10:11], s[16:17]
.LBB107_360:
	s_branch .LBB107_362
.LBB107_361:
	s_cmp_lg_u32 s13, 0
	s_mov_b64 s[6:7], -1
	s_cselect_b64 s[14:15], -1, 0
.LBB107_362:
	s_andn2_b64 vcc, exec, s[14:15]
	s_cbranch_vccz .LBB107_371
; %bb.363:
	s_andn2_b64 vcc, exec, s[6:7]
	s_cbranch_vccnz .LBB107_365
.LBB107_364:
	s_waitcnt vmcnt(0)
	v_cmp_ge_f32_e32 vcc, v28, v29
	s_andn2_b64 s[6:7], s[10:11], exec
	s_and_b64 s[10:11], vcc, exec
	s_or_b64 s[10:11], s[6:7], s[10:11]
.LBB107_365:
	v_cndmask_b32_e64 v27, 0, 1, s[10:11]
.LBB107_366:
	s_or_b64 exec, exec, s[4:5]
	v_or_b32_e32 v28, 0x700, v0
	v_cmp_gt_i32_e32 vcc, s12, v28
                                        ; implicit-def: $vgpr28
	s_and_saveexec_b64 s[4:5], vcc
	s_cbranch_execz .LBB107_381
; %bb.367:
	s_cmp_lt_i32 s13, 1
	s_mov_b64 s[6:7], 0
	s_cbranch_scc1 .LBB107_372
; %bb.368:
	s_cmp_gt_i32 s13, 1
	s_cbranch_scc0 .LBB107_373
; %bb.369:
	s_cmp_eq_u32 s13, 2
	s_cbranch_scc0 .LBB107_541
; %bb.370:
	s_waitcnt vmcnt(0)
	v_cmp_le_f32_e64 s[10:11], v25, v26
	s_mov_b64 s[14:15], 0
	s_branch .LBB107_375
.LBB107_371:
	s_waitcnt vmcnt(0)
	v_cmp_lt_f32_e32 vcc, v28, v29
	s_andn2_b64 s[10:11], s[10:11], exec
	s_and_b64 s[14:15], vcc, exec
	s_or_b64 s[10:11], s[10:11], s[14:15]
	s_cbranch_execz .LBB107_364
	s_branch .LBB107_365
.LBB107_372:
                                        ; implicit-def: $sgpr10_sgpr11
	s_mov_b64 s[14:15], 0
	s_cbranch_execnz .LBB107_376
	s_branch .LBB107_377
.LBB107_373:
	s_mov_b64 s[14:15], 0
                                        ; implicit-def: $sgpr10_sgpr11
	s_cbranch_execz .LBB107_375
; %bb.374:
	s_waitcnt vmcnt(0)
	v_cmp_gt_f32_e32 vcc, v25, v26
	s_andn2_b64 s[10:11], s[10:11], exec
	s_and_b64 s[16:17], vcc, exec
	s_or_b64 s[10:11], s[10:11], s[16:17]
.LBB107_375:
	s_branch .LBB107_377
.LBB107_376:
	s_cmp_lg_u32 s13, 0
	s_mov_b64 s[6:7], -1
	s_cselect_b64 s[14:15], -1, 0
.LBB107_377:
	s_andn2_b64 vcc, exec, s[14:15]
	s_cbranch_vccz .LBB107_386
; %bb.378:
	s_andn2_b64 vcc, exec, s[6:7]
	s_cbranch_vccnz .LBB107_380
.LBB107_379:
	s_waitcnt vmcnt(0)
	v_cmp_ge_f32_e32 vcc, v25, v26
	s_andn2_b64 s[6:7], s[10:11], exec
	s_and_b64 s[10:11], vcc, exec
	s_or_b64 s[10:11], s[6:7], s[10:11]
.LBB107_380:
	v_cndmask_b32_e64 v28, 0, 1, s[10:11]
.LBB107_381:
	s_or_b64 exec, exec, s[4:5]
	v_or_b32_e32 v25, 0x800, v0
	v_cmp_gt_i32_e32 vcc, s12, v25
                                        ; implicit-def: $vgpr25
	s_and_saveexec_b64 s[4:5], vcc
	s_cbranch_execz .LBB107_396
; %bb.382:
	s_cmp_lt_i32 s13, 1
	s_mov_b64 s[6:7], 0
	s_cbranch_scc1 .LBB107_387
; %bb.383:
	s_cmp_gt_i32 s13, 1
	s_cbranch_scc0 .LBB107_388
; %bb.384:
	s_cmp_eq_u32 s13, 2
	s_cbranch_scc0 .LBB107_542
; %bb.385:
	s_waitcnt vmcnt(0)
	v_cmp_le_f32_e64 s[10:11], v22, v23
	s_mov_b64 s[14:15], 0
	s_branch .LBB107_390
.LBB107_386:
	s_waitcnt vmcnt(0)
	v_cmp_lt_f32_e32 vcc, v25, v26
	s_andn2_b64 s[10:11], s[10:11], exec
	s_and_b64 s[14:15], vcc, exec
	s_or_b64 s[10:11], s[10:11], s[14:15]
	s_cbranch_execz .LBB107_379
	s_branch .LBB107_380
.LBB107_387:
                                        ; implicit-def: $sgpr10_sgpr11
	s_mov_b64 s[14:15], 0
	s_cbranch_execnz .LBB107_391
	s_branch .LBB107_392
.LBB107_388:
	s_mov_b64 s[14:15], 0
                                        ; implicit-def: $sgpr10_sgpr11
	s_cbranch_execz .LBB107_390
; %bb.389:
	s_waitcnt vmcnt(0)
	v_cmp_gt_f32_e32 vcc, v22, v23
	s_andn2_b64 s[10:11], s[10:11], exec
	s_and_b64 s[16:17], vcc, exec
	s_or_b64 s[10:11], s[10:11], s[16:17]
.LBB107_390:
	s_branch .LBB107_392
.LBB107_391:
	s_cmp_lg_u32 s13, 0
	s_mov_b64 s[6:7], -1
	s_cselect_b64 s[14:15], -1, 0
.LBB107_392:
	s_andn2_b64 vcc, exec, s[14:15]
	s_cbranch_vccz .LBB107_401
; %bb.393:
	s_andn2_b64 vcc, exec, s[6:7]
	s_cbranch_vccnz .LBB107_395
.LBB107_394:
	s_waitcnt vmcnt(0)
	v_cmp_ge_f32_e32 vcc, v22, v23
	s_andn2_b64 s[6:7], s[10:11], exec
	s_and_b64 s[10:11], vcc, exec
	s_or_b64 s[10:11], s[6:7], s[10:11]
.LBB107_395:
	v_cndmask_b32_e64 v25, 0, 1, s[10:11]
.LBB107_396:
	s_or_b64 exec, exec, s[4:5]
	v_or_b32_e32 v22, 0x900, v0
	v_cmp_gt_i32_e32 vcc, s12, v22
                                        ; implicit-def: $vgpr22
	s_and_saveexec_b64 s[4:5], vcc
	s_cbranch_execz .LBB107_411
; %bb.397:
	s_cmp_lt_i32 s13, 1
	s_mov_b64 s[6:7], 0
	s_cbranch_scc1 .LBB107_402
; %bb.398:
	s_cmp_gt_i32 s13, 1
	s_cbranch_scc0 .LBB107_403
; %bb.399:
	s_cmp_eq_u32 s13, 2
	s_cbranch_scc0 .LBB107_543
; %bb.400:
	s_waitcnt vmcnt(0)
	v_cmp_le_f32_e64 s[10:11], v19, v20
	s_mov_b64 s[14:15], 0
	s_branch .LBB107_405
.LBB107_401:
	s_waitcnt vmcnt(0)
	v_cmp_lt_f32_e32 vcc, v22, v23
	s_andn2_b64 s[10:11], s[10:11], exec
	s_and_b64 s[14:15], vcc, exec
	s_or_b64 s[10:11], s[10:11], s[14:15]
	s_cbranch_execz .LBB107_394
	s_branch .LBB107_395
.LBB107_402:
                                        ; implicit-def: $sgpr10_sgpr11
	s_mov_b64 s[14:15], 0
	s_cbranch_execnz .LBB107_406
	s_branch .LBB107_407
.LBB107_403:
	s_mov_b64 s[14:15], 0
                                        ; implicit-def: $sgpr10_sgpr11
	s_cbranch_execz .LBB107_405
; %bb.404:
	s_waitcnt vmcnt(0)
	v_cmp_gt_f32_e32 vcc, v19, v20
	s_andn2_b64 s[10:11], s[10:11], exec
	s_and_b64 s[16:17], vcc, exec
	s_or_b64 s[10:11], s[10:11], s[16:17]
.LBB107_405:
	s_branch .LBB107_407
.LBB107_406:
	s_cmp_lg_u32 s13, 0
	s_mov_b64 s[6:7], -1
	s_cselect_b64 s[14:15], -1, 0
.LBB107_407:
	s_andn2_b64 vcc, exec, s[14:15]
	s_cbranch_vccz .LBB107_416
; %bb.408:
	s_andn2_b64 vcc, exec, s[6:7]
	s_cbranch_vccnz .LBB107_410
.LBB107_409:
	s_waitcnt vmcnt(0)
	v_cmp_ge_f32_e32 vcc, v19, v20
	s_andn2_b64 s[6:7], s[10:11], exec
	s_and_b64 s[10:11], vcc, exec
	s_or_b64 s[10:11], s[6:7], s[10:11]
.LBB107_410:
	v_cndmask_b32_e64 v22, 0, 1, s[10:11]
.LBB107_411:
	s_or_b64 exec, exec, s[4:5]
	v_or_b32_e32 v19, 0xa00, v0
	v_cmp_gt_i32_e32 vcc, s12, v19
                                        ; implicit-def: $vgpr19
	s_and_saveexec_b64 s[4:5], vcc
	s_cbranch_execz .LBB107_426
; %bb.412:
	s_cmp_lt_i32 s13, 1
	s_mov_b64 s[6:7], 0
	s_cbranch_scc1 .LBB107_417
; %bb.413:
	s_cmp_gt_i32 s13, 1
	s_cbranch_scc0 .LBB107_418
; %bb.414:
	s_cmp_eq_u32 s13, 2
	s_cbranch_scc0 .LBB107_544
; %bb.415:
	s_waitcnt vmcnt(0)
	v_cmp_le_f32_e64 s[10:11], v17, v18
	s_mov_b64 s[14:15], 0
	s_branch .LBB107_420
.LBB107_416:
	s_waitcnt vmcnt(0)
	v_cmp_lt_f32_e32 vcc, v19, v20
	s_andn2_b64 s[10:11], s[10:11], exec
	s_and_b64 s[14:15], vcc, exec
	s_or_b64 s[10:11], s[10:11], s[14:15]
	s_cbranch_execz .LBB107_409
	s_branch .LBB107_410
.LBB107_417:
                                        ; implicit-def: $sgpr10_sgpr11
	s_mov_b64 s[14:15], 0
	s_cbranch_execnz .LBB107_421
	s_branch .LBB107_422
.LBB107_418:
	s_mov_b64 s[14:15], 0
                                        ; implicit-def: $sgpr10_sgpr11
	s_cbranch_execz .LBB107_420
; %bb.419:
	s_waitcnt vmcnt(0)
	v_cmp_gt_f32_e32 vcc, v17, v18
	s_andn2_b64 s[10:11], s[10:11], exec
	s_and_b64 s[16:17], vcc, exec
	s_or_b64 s[10:11], s[10:11], s[16:17]
.LBB107_420:
	s_branch .LBB107_422
.LBB107_421:
	s_cmp_lg_u32 s13, 0
	s_mov_b64 s[6:7], -1
	s_cselect_b64 s[14:15], -1, 0
.LBB107_422:
	s_andn2_b64 vcc, exec, s[14:15]
	s_cbranch_vccz .LBB107_431
; %bb.423:
	s_andn2_b64 vcc, exec, s[6:7]
	s_cbranch_vccnz .LBB107_425
.LBB107_424:
	s_waitcnt vmcnt(0)
	v_cmp_ge_f32_e32 vcc, v17, v18
	s_andn2_b64 s[6:7], s[10:11], exec
	s_and_b64 s[10:11], vcc, exec
	s_or_b64 s[10:11], s[6:7], s[10:11]
.LBB107_425:
	v_cndmask_b32_e64 v19, 0, 1, s[10:11]
.LBB107_426:
	s_or_b64 exec, exec, s[4:5]
	v_or_b32_e32 v17, 0xb00, v0
	v_cmp_gt_i32_e32 vcc, s12, v17
                                        ; implicit-def: $vgpr17
	s_and_saveexec_b64 s[4:5], vcc
	s_cbranch_execz .LBB107_441
; %bb.427:
	s_cmp_lt_i32 s13, 1
	s_mov_b64 s[6:7], 0
	s_cbranch_scc1 .LBB107_432
; %bb.428:
	s_cmp_gt_i32 s13, 1
	s_cbranch_scc0 .LBB107_433
; %bb.429:
	s_cmp_eq_u32 s13, 2
	s_cbranch_scc0 .LBB107_545
; %bb.430:
	s_waitcnt vmcnt(0)
	v_cmp_le_f32_e64 s[10:11], v13, v15
	s_mov_b64 s[14:15], 0
	s_branch .LBB107_435
.LBB107_431:
	s_waitcnt vmcnt(0)
	v_cmp_lt_f32_e32 vcc, v17, v18
	s_andn2_b64 s[10:11], s[10:11], exec
	s_and_b64 s[14:15], vcc, exec
	s_or_b64 s[10:11], s[10:11], s[14:15]
	s_cbranch_execz .LBB107_424
	s_branch .LBB107_425
.LBB107_432:
                                        ; implicit-def: $sgpr10_sgpr11
	s_mov_b64 s[14:15], 0
	s_cbranch_execnz .LBB107_436
	s_branch .LBB107_437
.LBB107_433:
	s_mov_b64 s[14:15], 0
                                        ; implicit-def: $sgpr10_sgpr11
	s_cbranch_execz .LBB107_435
; %bb.434:
	s_waitcnt vmcnt(0)
	v_cmp_gt_f32_e32 vcc, v13, v15
	s_andn2_b64 s[10:11], s[10:11], exec
	s_and_b64 s[16:17], vcc, exec
	s_or_b64 s[10:11], s[10:11], s[16:17]
.LBB107_435:
	s_branch .LBB107_437
.LBB107_436:
	s_cmp_lg_u32 s13, 0
	s_mov_b64 s[6:7], -1
	s_cselect_b64 s[14:15], -1, 0
.LBB107_437:
	s_andn2_b64 vcc, exec, s[14:15]
	s_cbranch_vccz .LBB107_446
; %bb.438:
	s_andn2_b64 vcc, exec, s[6:7]
	s_cbranch_vccnz .LBB107_440
.LBB107_439:
	s_waitcnt vmcnt(0)
	v_cmp_ge_f32_e32 vcc, v13, v15
	s_andn2_b64 s[6:7], s[10:11], exec
	s_and_b64 s[10:11], vcc, exec
	s_or_b64 s[10:11], s[6:7], s[10:11]
.LBB107_440:
	v_cndmask_b32_e64 v17, 0, 1, s[10:11]
.LBB107_441:
	s_or_b64 exec, exec, s[4:5]
	v_or_b32_e32 v13, 0xc00, v0
	v_cmp_gt_i32_e32 vcc, s12, v13
                                        ; implicit-def: $vgpr13
	s_and_saveexec_b64 s[4:5], vcc
	s_cbranch_execz .LBB107_456
; %bb.442:
	s_cmp_lt_i32 s13, 1
	s_mov_b64 s[6:7], 0
	s_cbranch_scc1 .LBB107_447
; %bb.443:
	s_cmp_gt_i32 s13, 1
	s_cbranch_scc0 .LBB107_448
; %bb.444:
	s_cmp_eq_u32 s13, 2
	s_cbranch_scc0 .LBB107_546
; %bb.445:
	s_waitcnt vmcnt(0)
	v_cmp_le_f32_e64 s[10:11], v11, v12
	s_mov_b64 s[14:15], 0
	s_branch .LBB107_450
.LBB107_446:
	s_waitcnt vmcnt(0)
	v_cmp_lt_f32_e32 vcc, v13, v15
	s_andn2_b64 s[10:11], s[10:11], exec
	s_and_b64 s[14:15], vcc, exec
	s_or_b64 s[10:11], s[10:11], s[14:15]
	s_cbranch_execz .LBB107_439
	s_branch .LBB107_440
.LBB107_447:
                                        ; implicit-def: $sgpr10_sgpr11
	s_mov_b64 s[14:15], 0
	s_cbranch_execnz .LBB107_451
	s_branch .LBB107_452
.LBB107_448:
	s_mov_b64 s[14:15], 0
                                        ; implicit-def: $sgpr10_sgpr11
	s_cbranch_execz .LBB107_450
; %bb.449:
	s_waitcnt vmcnt(0)
	v_cmp_gt_f32_e32 vcc, v11, v12
	s_andn2_b64 s[10:11], s[10:11], exec
	s_and_b64 s[16:17], vcc, exec
	s_or_b64 s[10:11], s[10:11], s[16:17]
.LBB107_450:
	s_branch .LBB107_452
.LBB107_451:
	s_cmp_lg_u32 s13, 0
	s_mov_b64 s[6:7], -1
	s_cselect_b64 s[14:15], -1, 0
.LBB107_452:
	s_andn2_b64 vcc, exec, s[14:15]
	s_cbranch_vccz .LBB107_461
; %bb.453:
	s_andn2_b64 vcc, exec, s[6:7]
	s_cbranch_vccnz .LBB107_455
.LBB107_454:
	s_waitcnt vmcnt(0)
	v_cmp_ge_f32_e32 vcc, v11, v12
	s_andn2_b64 s[6:7], s[10:11], exec
	s_and_b64 s[10:11], vcc, exec
	s_or_b64 s[10:11], s[6:7], s[10:11]
.LBB107_455:
	v_cndmask_b32_e64 v13, 0, 1, s[10:11]
.LBB107_456:
	s_or_b64 exec, exec, s[4:5]
	v_or_b32_e32 v11, 0xd00, v0
	v_cmp_gt_i32_e32 vcc, s12, v11
                                        ; implicit-def: $vgpr11
	s_and_saveexec_b64 s[4:5], vcc
	s_cbranch_execz .LBB107_471
; %bb.457:
	s_cmp_lt_i32 s13, 1
	s_mov_b64 s[6:7], 0
	s_cbranch_scc1 .LBB107_462
; %bb.458:
	s_cmp_gt_i32 s13, 1
	s_cbranch_scc0 .LBB107_463
; %bb.459:
	s_cmp_eq_u32 s13, 2
	s_cbranch_scc0 .LBB107_547
; %bb.460:
	s_waitcnt vmcnt(0)
	v_cmp_le_f32_e64 s[10:11], v8, v9
	s_mov_b64 s[14:15], 0
	s_branch .LBB107_465
.LBB107_461:
	s_waitcnt vmcnt(0)
	v_cmp_lt_f32_e32 vcc, v11, v12
	s_andn2_b64 s[10:11], s[10:11], exec
	s_and_b64 s[14:15], vcc, exec
	s_or_b64 s[10:11], s[10:11], s[14:15]
	s_cbranch_execz .LBB107_454
	s_branch .LBB107_455
.LBB107_462:
                                        ; implicit-def: $sgpr10_sgpr11
	s_mov_b64 s[14:15], 0
	s_cbranch_execnz .LBB107_466
	s_branch .LBB107_467
.LBB107_463:
	s_mov_b64 s[14:15], 0
                                        ; implicit-def: $sgpr10_sgpr11
	s_cbranch_execz .LBB107_465
; %bb.464:
	s_waitcnt vmcnt(0)
	v_cmp_gt_f32_e32 vcc, v8, v9
	s_andn2_b64 s[10:11], s[10:11], exec
	s_and_b64 s[16:17], vcc, exec
	s_or_b64 s[10:11], s[10:11], s[16:17]
.LBB107_465:
	s_branch .LBB107_467
.LBB107_466:
	s_cmp_lg_u32 s13, 0
	s_mov_b64 s[6:7], -1
	s_cselect_b64 s[14:15], -1, 0
.LBB107_467:
	s_andn2_b64 vcc, exec, s[14:15]
	s_cbranch_vccz .LBB107_476
; %bb.468:
	s_andn2_b64 vcc, exec, s[6:7]
	s_cbranch_vccnz .LBB107_470
.LBB107_469:
	s_waitcnt vmcnt(0)
	v_cmp_ge_f32_e32 vcc, v8, v9
	s_andn2_b64 s[6:7], s[10:11], exec
	s_and_b64 s[10:11], vcc, exec
	s_or_b64 s[10:11], s[6:7], s[10:11]
.LBB107_470:
	v_cndmask_b32_e64 v11, 0, 1, s[10:11]
.LBB107_471:
	s_or_b64 exec, exec, s[4:5]
	v_or_b32_e32 v8, 0xe00, v0
	v_cmp_gt_i32_e32 vcc, s12, v8
                                        ; implicit-def: $vgpr8
	s_and_saveexec_b64 s[4:5], vcc
	s_cbranch_execz .LBB107_486
; %bb.472:
	s_cmp_lt_i32 s13, 1
	s_mov_b64 s[6:7], 0
	s_cbranch_scc1 .LBB107_477
; %bb.473:
	s_cmp_gt_i32 s13, 1
	s_cbranch_scc0 .LBB107_478
; %bb.474:
	s_cmp_eq_u32 s13, 2
	s_cbranch_scc0 .LBB107_548
; %bb.475:
	s_waitcnt vmcnt(0)
	v_cmp_le_f32_e64 s[10:11], v4, v5
	s_mov_b64 s[14:15], 0
	s_branch .LBB107_480
.LBB107_476:
	s_waitcnt vmcnt(0)
	v_cmp_lt_f32_e32 vcc, v8, v9
	s_andn2_b64 s[10:11], s[10:11], exec
	s_and_b64 s[14:15], vcc, exec
	s_or_b64 s[10:11], s[10:11], s[14:15]
	s_cbranch_execz .LBB107_469
	s_branch .LBB107_470
.LBB107_477:
                                        ; implicit-def: $sgpr10_sgpr11
	s_mov_b64 s[14:15], 0
	s_cbranch_execnz .LBB107_481
	s_branch .LBB107_482
.LBB107_478:
	s_mov_b64 s[14:15], 0
                                        ; implicit-def: $sgpr10_sgpr11
	s_cbranch_execz .LBB107_480
; %bb.479:
	s_waitcnt vmcnt(0)
	v_cmp_gt_f32_e32 vcc, v4, v5
	s_andn2_b64 s[10:11], s[10:11], exec
	s_and_b64 s[16:17], vcc, exec
	s_or_b64 s[10:11], s[10:11], s[16:17]
.LBB107_480:
	s_branch .LBB107_482
.LBB107_481:
	s_cmp_lg_u32 s13, 0
	s_mov_b64 s[6:7], -1
	s_cselect_b64 s[14:15], -1, 0
.LBB107_482:
	s_andn2_b64 vcc, exec, s[14:15]
	s_cbranch_vccz .LBB107_491
; %bb.483:
	s_andn2_b64 vcc, exec, s[6:7]
	s_cbranch_vccnz .LBB107_485
.LBB107_484:
	s_waitcnt vmcnt(0)
	v_cmp_ge_f32_e32 vcc, v4, v5
	s_andn2_b64 s[6:7], s[10:11], exec
	s_and_b64 s[10:11], vcc, exec
	s_or_b64 s[10:11], s[6:7], s[10:11]
.LBB107_485:
	v_cndmask_b32_e64 v8, 0, 1, s[10:11]
.LBB107_486:
	s_or_b64 exec, exec, s[4:5]
	v_or_b32_e32 v4, 0xf00, v0
	v_cmp_gt_i32_e32 vcc, s12, v4
                                        ; implicit-def: $vgpr4
	s_and_saveexec_b64 s[4:5], vcc
	s_cbranch_execz .LBB107_501
; %bb.487:
	s_cmp_lt_i32 s13, 1
	s_mov_b64 s[6:7], 0
	s_cbranch_scc1 .LBB107_492
; %bb.488:
	s_cmp_gt_i32 s13, 1
	s_cbranch_scc0 .LBB107_493
; %bb.489:
	s_cmp_eq_u32 s13, 2
	s_cbranch_scc0 .LBB107_549
; %bb.490:
	s_waitcnt vmcnt(0)
	v_cmp_le_f32_e64 s[10:11], v2, v3
	s_mov_b64 s[14:15], 0
	s_branch .LBB107_495
.LBB107_491:
	s_waitcnt vmcnt(0)
	v_cmp_lt_f32_e32 vcc, v4, v5
	s_andn2_b64 s[10:11], s[10:11], exec
	s_and_b64 s[14:15], vcc, exec
	s_or_b64 s[10:11], s[10:11], s[14:15]
	s_cbranch_execz .LBB107_484
	s_branch .LBB107_485
.LBB107_492:
                                        ; implicit-def: $sgpr10_sgpr11
	s_mov_b64 s[14:15], 0
	s_cbranch_execnz .LBB107_496
	s_branch .LBB107_497
.LBB107_493:
	s_mov_b64 s[14:15], 0
                                        ; implicit-def: $sgpr10_sgpr11
	s_cbranch_execz .LBB107_495
; %bb.494:
	s_waitcnt vmcnt(0)
	v_cmp_gt_f32_e32 vcc, v2, v3
	s_andn2_b64 s[10:11], s[10:11], exec
	s_and_b64 s[16:17], vcc, exec
	s_or_b64 s[10:11], s[10:11], s[16:17]
.LBB107_495:
	s_branch .LBB107_497
.LBB107_496:
	s_cmp_lg_u32 s13, 0
	s_mov_b64 s[6:7], -1
	s_cselect_b64 s[14:15], -1, 0
.LBB107_497:
	s_andn2_b64 vcc, exec, s[14:15]
	s_cbranch_vccz .LBB107_534
; %bb.498:
	s_andn2_b64 vcc, exec, s[6:7]
	s_cbranch_vccnz .LBB107_500
.LBB107_499:
	s_waitcnt vmcnt(0)
	v_cmp_ge_f32_e32 vcc, v2, v3
	s_andn2_b64 s[6:7], s[10:11], exec
	s_and_b64 s[10:11], vcc, exec
	s_or_b64 s[10:11], s[6:7], s[10:11]
.LBB107_500:
	v_cndmask_b32_e64 v4, 0, 1, s[10:11]
.LBB107_501:
	s_or_b64 exec, exec, s[4:5]
	s_and_saveexec_b64 s[4:5], s[0:1]
	s_xor_b64 s[0:1], exec, s[4:5]
	s_cbranch_execz .LBB107_503
; %bb.502:
	v_mov_b32_e32 v0, v7
	global_store_byte v1, v6, s[8:9]
.LBB107_503:
	s_or_b64 exec, exec, s[0:1]
	v_cmp_gt_i32_e32 vcc, s12, v0
	s_and_saveexec_b64 s[0:1], vcc
	s_cbranch_execnz .LBB107_520
; %bb.504:
	s_or_b64 exec, exec, s[0:1]
	v_cmp_gt_i32_e32 vcc, s12, v0
	s_and_saveexec_b64 s[0:1], vcc
	s_cbranch_execnz .LBB107_521
.LBB107_505:
	s_or_b64 exec, exec, s[0:1]
	v_cmp_gt_i32_e32 vcc, s12, v0
	s_and_saveexec_b64 s[0:1], vcc
	s_cbranch_execnz .LBB107_522
.LBB107_506:
	s_or_b64 exec, exec, s[0:1]
	v_cmp_gt_i32_e32 vcc, s12, v0
	s_and_saveexec_b64 s[0:1], vcc
	s_cbranch_execnz .LBB107_523
.LBB107_507:
	s_or_b64 exec, exec, s[0:1]
	v_cmp_gt_i32_e32 vcc, s12, v0
	s_and_saveexec_b64 s[0:1], vcc
	s_cbranch_execnz .LBB107_524
.LBB107_508:
	s_or_b64 exec, exec, s[0:1]
	v_cmp_gt_i32_e32 vcc, s12, v0
	s_and_saveexec_b64 s[0:1], vcc
	s_cbranch_execnz .LBB107_525
.LBB107_509:
	s_or_b64 exec, exec, s[0:1]
	v_cmp_gt_i32_e32 vcc, s12, v0
	s_and_saveexec_b64 s[0:1], vcc
	s_cbranch_execnz .LBB107_526
.LBB107_510:
	s_or_b64 exec, exec, s[0:1]
	v_cmp_gt_i32_e32 vcc, s12, v0
	s_and_saveexec_b64 s[0:1], vcc
	s_cbranch_execnz .LBB107_527
.LBB107_511:
	s_or_b64 exec, exec, s[0:1]
	v_cmp_gt_i32_e32 vcc, s12, v0
	s_and_saveexec_b64 s[0:1], vcc
	s_cbranch_execnz .LBB107_528
.LBB107_512:
	s_or_b64 exec, exec, s[0:1]
	v_cmp_gt_i32_e32 vcc, s12, v0
	s_and_saveexec_b64 s[0:1], vcc
	s_cbranch_execnz .LBB107_529
.LBB107_513:
	s_or_b64 exec, exec, s[0:1]
	v_cmp_gt_i32_e32 vcc, s12, v0
	s_and_saveexec_b64 s[0:1], vcc
	s_cbranch_execnz .LBB107_530
.LBB107_514:
	s_or_b64 exec, exec, s[0:1]
	v_cmp_gt_i32_e32 vcc, s12, v0
	s_and_saveexec_b64 s[0:1], vcc
	s_cbranch_execnz .LBB107_531
.LBB107_515:
	s_or_b64 exec, exec, s[0:1]
	v_cmp_gt_i32_e32 vcc, s12, v0
	s_and_saveexec_b64 s[0:1], vcc
	s_cbranch_execnz .LBB107_532
.LBB107_516:
	s_or_b64 exec, exec, s[0:1]
	v_cmp_gt_i32_e32 vcc, s12, v0
	s_and_saveexec_b64 s[0:1], vcc
	s_cbranch_execnz .LBB107_533
.LBB107_517:
	s_or_b64 exec, exec, s[0:1]
	v_cmp_gt_i32_e32 vcc, s12, v0
	s_and_saveexec_b64 s[0:1], vcc
	s_cbranch_execz .LBB107_519
.LBB107_518:
	v_add_u32_e32 v0, s2, v0
	global_store_byte v0, v4, s[8:9]
.LBB107_519:
	s_endpgm
.LBB107_520:
	v_add_u32_e32 v1, s2, v0
	v_add_u32_e32 v0, 0x100, v0
	s_waitcnt vmcnt(0)
	global_store_byte v1, v10, s[8:9]
	s_or_b64 exec, exec, s[0:1]
	v_cmp_gt_i32_e32 vcc, s12, v0
	s_and_saveexec_b64 s[0:1], vcc
	s_cbranch_execz .LBB107_505
.LBB107_521:
	v_add_u32_e32 v1, s2, v0
	v_add_u32_e32 v0, 0x100, v0
	global_store_byte v1, v14, s[8:9]
	s_or_b64 exec, exec, s[0:1]
	v_cmp_gt_i32_e32 vcc, s12, v0
	s_and_saveexec_b64 s[0:1], vcc
	s_cbranch_execz .LBB107_506
.LBB107_522:
	v_add_u32_e32 v1, s2, v0
	v_add_u32_e32 v0, 0x100, v0
	global_store_byte v1, v16, s[8:9]
	s_or_b64 exec, exec, s[0:1]
	v_cmp_gt_i32_e32 vcc, s12, v0
	s_and_saveexec_b64 s[0:1], vcc
	s_cbranch_execz .LBB107_507
.LBB107_523:
	v_add_u32_e32 v1, s2, v0
	v_add_u32_e32 v0, 0x100, v0
	global_store_byte v1, v21, s[8:9]
	s_or_b64 exec, exec, s[0:1]
	v_cmp_gt_i32_e32 vcc, s12, v0
	s_and_saveexec_b64 s[0:1], vcc
	s_cbranch_execz .LBB107_508
.LBB107_524:
	v_add_u32_e32 v1, s2, v0
	v_add_u32_e32 v0, 0x100, v0
	global_store_byte v1, v24, s[8:9]
	s_or_b64 exec, exec, s[0:1]
	v_cmp_gt_i32_e32 vcc, s12, v0
	s_and_saveexec_b64 s[0:1], vcc
	s_cbranch_execz .LBB107_509
.LBB107_525:
	v_add_u32_e32 v1, s2, v0
	v_add_u32_e32 v0, 0x100, v0
	global_store_byte v1, v27, s[8:9]
	s_or_b64 exec, exec, s[0:1]
	v_cmp_gt_i32_e32 vcc, s12, v0
	s_and_saveexec_b64 s[0:1], vcc
	s_cbranch_execz .LBB107_510
.LBB107_526:
	v_add_u32_e32 v1, s2, v0
	v_add_u32_e32 v0, 0x100, v0
	global_store_byte v1, v28, s[8:9]
	s_or_b64 exec, exec, s[0:1]
	v_cmp_gt_i32_e32 vcc, s12, v0
	s_and_saveexec_b64 s[0:1], vcc
	s_cbranch_execz .LBB107_511
.LBB107_527:
	v_add_u32_e32 v1, s2, v0
	v_add_u32_e32 v0, 0x100, v0
	global_store_byte v1, v25, s[8:9]
	s_or_b64 exec, exec, s[0:1]
	v_cmp_gt_i32_e32 vcc, s12, v0
	s_and_saveexec_b64 s[0:1], vcc
	s_cbranch_execz .LBB107_512
.LBB107_528:
	v_add_u32_e32 v1, s2, v0
	v_add_u32_e32 v0, 0x100, v0
	global_store_byte v1, v22, s[8:9]
	s_or_b64 exec, exec, s[0:1]
	v_cmp_gt_i32_e32 vcc, s12, v0
	s_and_saveexec_b64 s[0:1], vcc
	s_cbranch_execz .LBB107_513
.LBB107_529:
	v_add_u32_e32 v1, s2, v0
	v_add_u32_e32 v0, 0x100, v0
	global_store_byte v1, v19, s[8:9]
	s_or_b64 exec, exec, s[0:1]
	v_cmp_gt_i32_e32 vcc, s12, v0
	s_and_saveexec_b64 s[0:1], vcc
	s_cbranch_execz .LBB107_514
.LBB107_530:
	v_add_u32_e32 v1, s2, v0
	v_add_u32_e32 v0, 0x100, v0
	global_store_byte v1, v17, s[8:9]
	s_or_b64 exec, exec, s[0:1]
	v_cmp_gt_i32_e32 vcc, s12, v0
	s_and_saveexec_b64 s[0:1], vcc
	s_cbranch_execz .LBB107_515
.LBB107_531:
	v_add_u32_e32 v1, s2, v0
	v_add_u32_e32 v0, 0x100, v0
	global_store_byte v1, v13, s[8:9]
	s_or_b64 exec, exec, s[0:1]
	v_cmp_gt_i32_e32 vcc, s12, v0
	s_and_saveexec_b64 s[0:1], vcc
	s_cbranch_execz .LBB107_516
.LBB107_532:
	v_add_u32_e32 v1, s2, v0
	v_add_u32_e32 v0, 0x100, v0
	global_store_byte v1, v11, s[8:9]
	s_or_b64 exec, exec, s[0:1]
	v_cmp_gt_i32_e32 vcc, s12, v0
	s_and_saveexec_b64 s[0:1], vcc
	s_cbranch_execz .LBB107_517
.LBB107_533:
	v_add_u32_e32 v1, s2, v0
	v_add_u32_e32 v0, 0x100, v0
	global_store_byte v1, v8, s[8:9]
	s_or_b64 exec, exec, s[0:1]
	v_cmp_gt_i32_e32 vcc, s12, v0
	s_and_saveexec_b64 s[0:1], vcc
	s_cbranch_execnz .LBB107_518
	s_branch .LBB107_519
.LBB107_534:
	s_waitcnt vmcnt(0)
	v_cmp_lt_f32_e32 vcc, v2, v3
	s_andn2_b64 s[10:11], s[10:11], exec
	s_and_b64 s[14:15], vcc, exec
	s_or_b64 s[10:11], s[10:11], s[14:15]
	s_cbranch_execz .LBB107_499
	s_branch .LBB107_500
.LBB107_535:
	s_mov_b64 s[14:15], -1
                                        ; implicit-def: $sgpr10_sgpr11
	s_branch .LBB107_285
.LBB107_536:
	s_mov_b64 s[14:15], -1
                                        ; implicit-def: $sgpr10_sgpr11
	s_branch .LBB107_300
.LBB107_537:
	s_mov_b64 s[14:15], -1
                                        ; implicit-def: $sgpr10_sgpr11
	s_branch .LBB107_315
.LBB107_538:
	s_mov_b64 s[14:15], -1
                                        ; implicit-def: $sgpr10_sgpr11
	s_branch .LBB107_330
.LBB107_539:
	s_mov_b64 s[14:15], -1
                                        ; implicit-def: $sgpr10_sgpr11
	s_branch .LBB107_345
.LBB107_540:
	s_mov_b64 s[14:15], -1
                                        ; implicit-def: $sgpr10_sgpr11
	s_branch .LBB107_360
.LBB107_541:
	s_mov_b64 s[14:15], -1
                                        ; implicit-def: $sgpr10_sgpr11
	s_branch .LBB107_375
.LBB107_542:
	s_mov_b64 s[14:15], -1
                                        ; implicit-def: $sgpr10_sgpr11
	s_branch .LBB107_390
.LBB107_543:
	s_mov_b64 s[14:15], -1
                                        ; implicit-def: $sgpr10_sgpr11
	s_branch .LBB107_405
.LBB107_544:
	s_mov_b64 s[14:15], -1
                                        ; implicit-def: $sgpr10_sgpr11
	s_branch .LBB107_420
.LBB107_545:
	s_mov_b64 s[14:15], -1
                                        ; implicit-def: $sgpr10_sgpr11
	s_branch .LBB107_435
.LBB107_546:
	s_mov_b64 s[14:15], -1
                                        ; implicit-def: $sgpr10_sgpr11
	s_branch .LBB107_450
.LBB107_547:
	s_mov_b64 s[14:15], -1
                                        ; implicit-def: $sgpr10_sgpr11
	s_branch .LBB107_465
.LBB107_548:
	s_mov_b64 s[14:15], -1
                                        ; implicit-def: $sgpr10_sgpr11
	s_branch .LBB107_480
.LBB107_549:
	s_mov_b64 s[14:15], -1
                                        ; implicit-def: $sgpr10_sgpr11
	s_branch .LBB107_495
	.section	.rodata,"a",@progbits
	.p2align	6, 0x0
	.amdhsa_kernel _ZN2at6native29vectorized_elementwise_kernelILi2ENS0_12_GLOBAL__N_114CompareFunctorIfEESt5arrayIPcLm3EEEEviT0_T1_
		.amdhsa_group_segment_fixed_size 0
		.amdhsa_private_segment_fixed_size 0
		.amdhsa_kernarg_size 32
		.amdhsa_user_sgpr_count 6
		.amdhsa_user_sgpr_private_segment_buffer 1
		.amdhsa_user_sgpr_dispatch_ptr 0
		.amdhsa_user_sgpr_queue_ptr 0
		.amdhsa_user_sgpr_kernarg_segment_ptr 1
		.amdhsa_user_sgpr_dispatch_id 0
		.amdhsa_user_sgpr_flat_scratch_init 0
		.amdhsa_user_sgpr_private_segment_size 0
		.amdhsa_uses_dynamic_stack 0
		.amdhsa_system_sgpr_private_segment_wavefront_offset 0
		.amdhsa_system_sgpr_workgroup_id_x 1
		.amdhsa_system_sgpr_workgroup_id_y 0
		.amdhsa_system_sgpr_workgroup_id_z 0
		.amdhsa_system_sgpr_workgroup_info 0
		.amdhsa_system_vgpr_workitem_id 0
		.amdhsa_next_free_vgpr 39
		.amdhsa_next_free_sgpr 50
		.amdhsa_reserve_vcc 1
		.amdhsa_reserve_flat_scratch 0
		.amdhsa_float_round_mode_32 0
		.amdhsa_float_round_mode_16_64 0
		.amdhsa_float_denorm_mode_32 3
		.amdhsa_float_denorm_mode_16_64 3
		.amdhsa_dx10_clamp 1
		.amdhsa_ieee_mode 1
		.amdhsa_fp16_overflow 0
		.amdhsa_exception_fp_ieee_invalid_op 0
		.amdhsa_exception_fp_denorm_src 0
		.amdhsa_exception_fp_ieee_div_zero 0
		.amdhsa_exception_fp_ieee_overflow 0
		.amdhsa_exception_fp_ieee_underflow 0
		.amdhsa_exception_fp_ieee_inexact 0
		.amdhsa_exception_int_div_zero 0
	.end_amdhsa_kernel
	.section	.text._ZN2at6native29vectorized_elementwise_kernelILi2ENS0_12_GLOBAL__N_114CompareFunctorIfEESt5arrayIPcLm3EEEEviT0_T1_,"axG",@progbits,_ZN2at6native29vectorized_elementwise_kernelILi2ENS0_12_GLOBAL__N_114CompareFunctorIfEESt5arrayIPcLm3EEEEviT0_T1_,comdat
.Lfunc_end107:
	.size	_ZN2at6native29vectorized_elementwise_kernelILi2ENS0_12_GLOBAL__N_114CompareFunctorIfEESt5arrayIPcLm3EEEEviT0_T1_, .Lfunc_end107-_ZN2at6native29vectorized_elementwise_kernelILi2ENS0_12_GLOBAL__N_114CompareFunctorIfEESt5arrayIPcLm3EEEEviT0_T1_
                                        ; -- End function
	.set _ZN2at6native29vectorized_elementwise_kernelILi2ENS0_12_GLOBAL__N_114CompareFunctorIfEESt5arrayIPcLm3EEEEviT0_T1_.num_vgpr, 39
	.set _ZN2at6native29vectorized_elementwise_kernelILi2ENS0_12_GLOBAL__N_114CompareFunctorIfEESt5arrayIPcLm3EEEEviT0_T1_.num_agpr, 0
	.set _ZN2at6native29vectorized_elementwise_kernelILi2ENS0_12_GLOBAL__N_114CompareFunctorIfEESt5arrayIPcLm3EEEEviT0_T1_.numbered_sgpr, 50
	.set _ZN2at6native29vectorized_elementwise_kernelILi2ENS0_12_GLOBAL__N_114CompareFunctorIfEESt5arrayIPcLm3EEEEviT0_T1_.num_named_barrier, 0
	.set _ZN2at6native29vectorized_elementwise_kernelILi2ENS0_12_GLOBAL__N_114CompareFunctorIfEESt5arrayIPcLm3EEEEviT0_T1_.private_seg_size, 0
	.set _ZN2at6native29vectorized_elementwise_kernelILi2ENS0_12_GLOBAL__N_114CompareFunctorIfEESt5arrayIPcLm3EEEEviT0_T1_.uses_vcc, 1
	.set _ZN2at6native29vectorized_elementwise_kernelILi2ENS0_12_GLOBAL__N_114CompareFunctorIfEESt5arrayIPcLm3EEEEviT0_T1_.uses_flat_scratch, 0
	.set _ZN2at6native29vectorized_elementwise_kernelILi2ENS0_12_GLOBAL__N_114CompareFunctorIfEESt5arrayIPcLm3EEEEviT0_T1_.has_dyn_sized_stack, 0
	.set _ZN2at6native29vectorized_elementwise_kernelILi2ENS0_12_GLOBAL__N_114CompareFunctorIfEESt5arrayIPcLm3EEEEviT0_T1_.has_recursion, 0
	.set _ZN2at6native29vectorized_elementwise_kernelILi2ENS0_12_GLOBAL__N_114CompareFunctorIfEESt5arrayIPcLm3EEEEviT0_T1_.has_indirect_call, 0
	.section	.AMDGPU.csdata,"",@progbits
; Kernel info:
; codeLenInByte = 9028
; TotalNumSgprs: 54
; NumVgprs: 39
; ScratchSize: 0
; MemoryBound: 0
; FloatMode: 240
; IeeeMode: 1
; LDSByteSize: 0 bytes/workgroup (compile time only)
; SGPRBlocks: 6
; VGPRBlocks: 9
; NumSGPRsForWavesPerEU: 54
; NumVGPRsForWavesPerEU: 39
; Occupancy: 6
; WaveLimiterHint : 1
; COMPUTE_PGM_RSRC2:SCRATCH_EN: 0
; COMPUTE_PGM_RSRC2:USER_SGPR: 6
; COMPUTE_PGM_RSRC2:TRAP_HANDLER: 0
; COMPUTE_PGM_RSRC2:TGID_X_EN: 1
; COMPUTE_PGM_RSRC2:TGID_Y_EN: 0
; COMPUTE_PGM_RSRC2:TGID_Z_EN: 0
; COMPUTE_PGM_RSRC2:TIDIG_COMP_CNT: 0
	.section	.text._ZN2at6native27unrolled_elementwise_kernelINS0_12_GLOBAL__N_114CompareFunctorIfEESt5arrayIPcLm3EELi4E23TrivialOffsetCalculatorILi2EjES8_ILi1EjENS0_6memory15LoadWithoutCastENSB_16StoreWithoutCastEEEviT_T0_T2_T3_T4_T5_,"axG",@progbits,_ZN2at6native27unrolled_elementwise_kernelINS0_12_GLOBAL__N_114CompareFunctorIfEESt5arrayIPcLm3EELi4E23TrivialOffsetCalculatorILi2EjES8_ILi1EjENS0_6memory15LoadWithoutCastENSB_16StoreWithoutCastEEEviT_T0_T2_T3_T4_T5_,comdat
	.globl	_ZN2at6native27unrolled_elementwise_kernelINS0_12_GLOBAL__N_114CompareFunctorIfEESt5arrayIPcLm3EELi4E23TrivialOffsetCalculatorILi2EjES8_ILi1EjENS0_6memory15LoadWithoutCastENSB_16StoreWithoutCastEEEviT_T0_T2_T3_T4_T5_ ; -- Begin function _ZN2at6native27unrolled_elementwise_kernelINS0_12_GLOBAL__N_114CompareFunctorIfEESt5arrayIPcLm3EELi4E23TrivialOffsetCalculatorILi2EjES8_ILi1EjENS0_6memory15LoadWithoutCastENSB_16StoreWithoutCastEEEviT_T0_T2_T3_T4_T5_
	.p2align	8
	.type	_ZN2at6native27unrolled_elementwise_kernelINS0_12_GLOBAL__N_114CompareFunctorIfEESt5arrayIPcLm3EELi4E23TrivialOffsetCalculatorILi2EjES8_ILi1EjENS0_6memory15LoadWithoutCastENSB_16StoreWithoutCastEEEviT_T0_T2_T3_T4_T5_,@function
_ZN2at6native27unrolled_elementwise_kernelINS0_12_GLOBAL__N_114CompareFunctorIfEESt5arrayIPcLm3EELi4E23TrivialOffsetCalculatorILi2EjES8_ILi1EjENS0_6memory15LoadWithoutCastENSB_16StoreWithoutCastEEEviT_T0_T2_T3_T4_T5_: ; @_ZN2at6native27unrolled_elementwise_kernelINS0_12_GLOBAL__N_114CompareFunctorIfEESt5arrayIPcLm3EELi4E23TrivialOffsetCalculatorILi2EjES8_ILi1EjENS0_6memory15LoadWithoutCastENSB_16StoreWithoutCastEEEviT_T0_T2_T3_T4_T5_
; %bb.0:
	s_load_dwordx2 s[2:3], s[4:5], 0x0
	s_load_dwordx4 s[8:11], s[4:5], 0x8
	s_load_dwordx2 s[12:13], s[4:5], 0x18
	s_lshl_b32 s16, s6, 10
	v_mov_b32_e32 v8, 0
	s_waitcnt lgkmcnt(0)
	s_sub_i32 s2, s2, s16
	v_cmp_gt_i32_e64 s[0:1], s2, v0
	v_or_b32_e32 v1, s16, v0
	v_mov_b32_e32 v7, 0
	v_mov_b32_e32 v10, 0
	;; [unrolled: 1-line block ×3, first 2 shown]
	s_and_saveexec_b64 s[4:5], s[0:1]
	s_cbranch_execz .LBB108_2
; %bb.1:
	v_mov_b32_e32 v2, 0
	v_lshlrev_b64 v[2:3], 2, v[1:2]
	v_mov_b32_e32 v5, s11
	v_add_co_u32_e32 v4, vcc, s10, v2
	v_addc_co_u32_e32 v5, vcc, v5, v3, vcc
	v_mov_b32_e32 v6, s13
	v_add_co_u32_e32 v2, vcc, s12, v2
	v_addc_co_u32_e32 v3, vcc, v6, v3, vcc
	global_load_dword v7, v[4:5], off
	global_load_dword v10, v[2:3], off
	v_or_b32_e32 v4, 0x100, v0
.LBB108_2:
	s_or_b64 exec, exec, s[4:5]
	v_cmp_gt_i32_e32 vcc, s2, v4
	v_mov_b32_e32 v9, 0
	s_and_saveexec_b64 s[4:5], vcc
	s_cbranch_execz .LBB108_4
; %bb.3:
	v_add_u32_e32 v2, s16, v4
	v_mov_b32_e32 v3, 0
	v_lshlrev_b64 v[2:3], 2, v[2:3]
	v_mov_b32_e32 v6, s11
	v_add_co_u32_e32 v5, vcc, s10, v2
	v_addc_co_u32_e32 v6, vcc, v6, v3, vcc
	v_mov_b32_e32 v8, s13
	v_add_co_u32_e32 v2, vcc, s12, v2
	v_addc_co_u32_e32 v3, vcc, v8, v3, vcc
	global_load_dword v8, v[5:6], off
	global_load_dword v9, v[2:3], off
	v_add_u32_e32 v4, 0x100, v4
.LBB108_4:
	s_or_b64 exec, exec, s[4:5]
	v_cmp_gt_i32_e32 vcc, s2, v4
	v_mov_b32_e32 v2, 0
	v_mov_b32_e32 v5, 0
	;; [unrolled: 1-line block ×3, first 2 shown]
	s_and_saveexec_b64 s[4:5], vcc
	s_cbranch_execz .LBB108_6
; %bb.5:
	v_add_u32_e32 v5, s16, v4
	v_mov_b32_e32 v6, 0
	v_lshlrev_b64 v[5:6], 2, v[5:6]
	v_mov_b32_e32 v3, s11
	v_add_co_u32_e32 v11, vcc, s10, v5
	v_addc_co_u32_e32 v12, vcc, v3, v6, vcc
	v_mov_b32_e32 v3, s13
	v_add_co_u32_e32 v13, vcc, s12, v5
	v_addc_co_u32_e32 v14, vcc, v3, v6, vcc
	global_load_dword v5, v[11:12], off
	global_load_dword v6, v[13:14], off
	v_add_u32_e32 v4, 0x100, v4
.LBB108_6:
	s_or_b64 exec, exec, s[4:5]
	v_cmp_gt_i32_e32 vcc, s2, v4
	v_mov_b32_e32 v3, 0
	s_and_saveexec_b64 s[4:5], vcc
	s_cbranch_execz .LBB108_8
; %bb.7:
	v_add_u32_e32 v2, s16, v4
	v_mov_b32_e32 v3, 0
	v_lshlrev_b64 v[2:3], 2, v[2:3]
	v_mov_b32_e32 v4, s11
	v_add_co_u32_e32 v11, vcc, s10, v2
	v_addc_co_u32_e32 v12, vcc, v4, v3, vcc
	v_mov_b32_e32 v4, s13
	v_add_co_u32_e32 v13, vcc, s12, v2
	v_addc_co_u32_e32 v14, vcc, v4, v3, vcc
	global_load_dword v2, v[11:12], off
	global_load_dword v3, v[13:14], off
.LBB108_8:
	s_or_b64 exec, exec, s[4:5]
	v_mov_b32_e32 v4, 0
	s_and_saveexec_b64 s[4:5], s[0:1]
	s_cbranch_execz .LBB108_24
; %bb.9:
	s_cmp_lt_i32 s3, 1
	s_mov_b64 s[6:7], 0
	s_cbranch_scc1 .LBB108_13
; %bb.10:
	s_cmp_gt_i32 s3, 1
	s_cbranch_scc0 .LBB108_14
; %bb.11:
	s_cmp_eq_u32 s3, 2
	s_cbranch_scc0 .LBB108_15
; %bb.12:
	s_waitcnt vmcnt(0)
	v_cmp_le_f32_e64 s[10:11], v7, v10
	s_mov_b64 s[12:13], 0
	s_branch .LBB108_16
.LBB108_13:
                                        ; implicit-def: $sgpr10_sgpr11
	s_mov_b64 s[12:13], 0
	s_cbranch_execnz .LBB108_19
	s_branch .LBB108_20
.LBB108_14:
	s_mov_b64 s[12:13], 0
                                        ; implicit-def: $sgpr10_sgpr11
	s_cbranch_execnz .LBB108_17
	s_branch .LBB108_18
.LBB108_15:
	s_mov_b64 s[12:13], -1
                                        ; implicit-def: $sgpr10_sgpr11
.LBB108_16:
	s_branch .LBB108_18
.LBB108_17:
	s_waitcnt vmcnt(0)
	v_cmp_gt_f32_e32 vcc, v7, v10
	s_andn2_b64 s[10:11], s[10:11], exec
	s_and_b64 s[14:15], vcc, exec
	s_or_b64 s[10:11], s[10:11], s[14:15]
.LBB108_18:
	s_branch .LBB108_20
.LBB108_19:
	s_cmp_lg_u32 s3, 0
	s_mov_b64 s[6:7], -1
	s_cselect_b64 s[12:13], -1, 0
.LBB108_20:
	s_andn2_b64 vcc, exec, s[12:13]
	s_cbranch_vccz .LBB108_29
; %bb.21:
	s_andn2_b64 vcc, exec, s[6:7]
	s_cbranch_vccnz .LBB108_23
.LBB108_22:
	s_waitcnt vmcnt(0)
	v_cmp_ge_f32_e32 vcc, v7, v10
	s_andn2_b64 s[6:7], s[10:11], exec
	s_and_b64 s[10:11], vcc, exec
	s_or_b64 s[10:11], s[6:7], s[10:11]
.LBB108_23:
	v_cndmask_b32_e64 v4, 0, 1, s[10:11]
.LBB108_24:
	s_or_b64 exec, exec, s[4:5]
	s_waitcnt vmcnt(1)
	v_or_b32_e32 v7, 0x100, v0
	v_cmp_gt_i32_e32 vcc, s2, v7
	s_and_saveexec_b64 s[4:5], vcc
	s_cbranch_execz .LBB108_39
; %bb.25:
	s_cmp_lt_i32 s3, 1
	s_mov_b64 s[6:7], 0
	s_cbranch_scc1 .LBB108_30
; %bb.26:
	s_cmp_gt_i32 s3, 1
	s_cbranch_scc0 .LBB108_31
; %bb.27:
	s_cmp_eq_u32 s3, 2
	s_cbranch_scc0 .LBB108_79
; %bb.28:
	s_waitcnt vmcnt(0)
	v_cmp_le_f32_e64 s[10:11], v8, v9
	s_mov_b64 s[12:13], 0
	s_branch .LBB108_33
.LBB108_29:
	s_waitcnt vmcnt(0)
	v_cmp_lt_f32_e32 vcc, v7, v10
	s_andn2_b64 s[10:11], s[10:11], exec
	s_and_b64 s[12:13], vcc, exec
	s_or_b64 s[10:11], s[10:11], s[12:13]
	s_cbranch_execz .LBB108_22
	s_branch .LBB108_23
.LBB108_30:
                                        ; implicit-def: $sgpr10_sgpr11
	s_mov_b64 s[12:13], 0
	s_cbranch_execnz .LBB108_34
	s_branch .LBB108_35
.LBB108_31:
	s_mov_b64 s[12:13], 0
                                        ; implicit-def: $sgpr10_sgpr11
	s_cbranch_execz .LBB108_33
; %bb.32:
	s_waitcnt vmcnt(0)
	v_cmp_gt_f32_e32 vcc, v8, v9
	s_andn2_b64 s[10:11], s[10:11], exec
	s_and_b64 s[14:15], vcc, exec
	s_or_b64 s[10:11], s[10:11], s[14:15]
.LBB108_33:
	s_branch .LBB108_35
.LBB108_34:
	s_cmp_lg_u32 s3, 0
	s_mov_b64 s[6:7], -1
	s_cselect_b64 s[12:13], -1, 0
.LBB108_35:
	s_andn2_b64 vcc, exec, s[12:13]
	s_cbranch_vccz .LBB108_44
; %bb.36:
	s_andn2_b64 vcc, exec, s[6:7]
	s_cbranch_vccnz .LBB108_38
.LBB108_37:
	s_waitcnt vmcnt(0)
	v_cmp_ge_f32_e32 vcc, v8, v9
	s_andn2_b64 s[6:7], s[10:11], exec
	s_and_b64 s[10:11], vcc, exec
	s_or_b64 s[10:11], s[6:7], s[10:11]
.LBB108_38:
	v_cndmask_b32_e64 v8, 0, 1, s[10:11]
	v_lshlrev_b16_e32 v8, 8, v8
	v_or_b32_e32 v4, v4, v8
	v_and_b32_e32 v4, 0xffff, v4
.LBB108_39:
	s_or_b64 exec, exec, s[4:5]
	v_or_b32_e32 v8, 0x200, v0
	v_cmp_gt_i32_e32 vcc, s2, v8
	s_and_saveexec_b64 s[4:5], vcc
	s_cbranch_execz .LBB108_54
; %bb.40:
	s_cmp_lt_i32 s3, 1
	s_mov_b64 s[6:7], 0
	s_cbranch_scc1 .LBB108_45
; %bb.41:
	s_cmp_gt_i32 s3, 1
	s_cbranch_scc0 .LBB108_46
; %bb.42:
	s_cmp_eq_u32 s3, 2
	s_cbranch_scc0 .LBB108_80
; %bb.43:
	s_waitcnt vmcnt(0)
	v_cmp_le_f32_e64 s[10:11], v5, v6
	s_mov_b64 s[12:13], 0
	s_branch .LBB108_48
.LBB108_44:
	s_waitcnt vmcnt(0)
	v_cmp_lt_f32_e32 vcc, v8, v9
	s_andn2_b64 s[10:11], s[10:11], exec
	s_and_b64 s[12:13], vcc, exec
	s_or_b64 s[10:11], s[10:11], s[12:13]
	s_cbranch_execz .LBB108_37
	s_branch .LBB108_38
.LBB108_45:
                                        ; implicit-def: $sgpr10_sgpr11
	s_mov_b64 s[12:13], 0
	s_cbranch_execnz .LBB108_49
	s_branch .LBB108_50
.LBB108_46:
	s_mov_b64 s[12:13], 0
                                        ; implicit-def: $sgpr10_sgpr11
	s_cbranch_execz .LBB108_48
; %bb.47:
	s_waitcnt vmcnt(0)
	v_cmp_gt_f32_e32 vcc, v5, v6
	s_andn2_b64 s[10:11], s[10:11], exec
	s_and_b64 s[14:15], vcc, exec
	s_or_b64 s[10:11], s[10:11], s[14:15]
.LBB108_48:
	s_branch .LBB108_50
.LBB108_49:
	s_cmp_lg_u32 s3, 0
	s_mov_b64 s[6:7], -1
	s_cselect_b64 s[12:13], -1, 0
.LBB108_50:
	s_andn2_b64 vcc, exec, s[12:13]
	s_cbranch_vccz .LBB108_59
; %bb.51:
	s_andn2_b64 vcc, exec, s[6:7]
	s_cbranch_vccnz .LBB108_53
.LBB108_52:
	s_waitcnt vmcnt(0)
	v_cmp_ge_f32_e32 vcc, v5, v6
	s_andn2_b64 s[6:7], s[10:11], exec
	s_and_b64 s[10:11], vcc, exec
	s_or_b64 s[10:11], s[6:7], s[10:11]
.LBB108_53:
	v_cndmask_b32_e64 v5, 0, 1, s[10:11]
	v_lshl_or_b32 v4, v5, 16, v4
.LBB108_54:
	s_or_b64 exec, exec, s[4:5]
	v_or_b32_e32 v5, 0x300, v0
	v_cmp_gt_i32_e32 vcc, s2, v5
	s_and_saveexec_b64 s[4:5], vcc
	s_cbranch_execz .LBB108_69
; %bb.55:
	s_cmp_lt_i32 s3, 1
	s_mov_b64 s[6:7], 0
	s_cbranch_scc1 .LBB108_60
; %bb.56:
	s_cmp_gt_i32 s3, 1
	s_cbranch_scc0 .LBB108_61
; %bb.57:
	s_cmp_eq_u32 s3, 2
	s_cbranch_scc0 .LBB108_81
; %bb.58:
	s_waitcnt vmcnt(0)
	v_cmp_le_f32_e64 s[10:11], v2, v3
	s_mov_b64 s[12:13], 0
	s_branch .LBB108_63
.LBB108_59:
	s_waitcnt vmcnt(0)
	v_cmp_lt_f32_e32 vcc, v5, v6
	s_andn2_b64 s[10:11], s[10:11], exec
	s_and_b64 s[12:13], vcc, exec
	s_or_b64 s[10:11], s[10:11], s[12:13]
	s_cbranch_execz .LBB108_52
	s_branch .LBB108_53
.LBB108_60:
                                        ; implicit-def: $sgpr10_sgpr11
	s_mov_b64 s[12:13], 0
	s_cbranch_execnz .LBB108_64
	s_branch .LBB108_65
.LBB108_61:
	s_mov_b64 s[12:13], 0
                                        ; implicit-def: $sgpr10_sgpr11
	s_cbranch_execz .LBB108_63
; %bb.62:
	s_waitcnt vmcnt(0)
	v_cmp_gt_f32_e32 vcc, v2, v3
	s_andn2_b64 s[10:11], s[10:11], exec
	s_and_b64 s[14:15], vcc, exec
	s_or_b64 s[10:11], s[10:11], s[14:15]
.LBB108_63:
	s_branch .LBB108_65
.LBB108_64:
	s_cmp_lg_u32 s3, 0
	s_mov_b64 s[6:7], -1
	s_cselect_b64 s[12:13], -1, 0
.LBB108_65:
	s_andn2_b64 vcc, exec, s[12:13]
	s_cbranch_vccz .LBB108_78
; %bb.66:
	s_andn2_b64 vcc, exec, s[6:7]
	s_cbranch_vccnz .LBB108_68
.LBB108_67:
	s_waitcnt vmcnt(0)
	v_cmp_ge_f32_e32 vcc, v2, v3
	s_andn2_b64 s[6:7], s[10:11], exec
	s_and_b64 s[10:11], vcc, exec
	s_or_b64 s[10:11], s[6:7], s[10:11]
.LBB108_68:
	v_cndmask_b32_e64 v2, 0, 1, s[10:11]
	v_lshlrev_b16_e32 v2, 8, v2
	v_or_b32_sdwa v2, v4, v2 dst_sel:WORD_1 dst_unused:UNUSED_PAD src0_sel:WORD_1 src1_sel:DWORD
	s_mov_b32 s3, 0xffff
	v_and_or_b32 v4, v4, s3, v2
.LBB108_69:
	s_or_b64 exec, exec, s[4:5]
	s_and_saveexec_b64 s[4:5], s[0:1]
	s_xor_b64 s[0:1], exec, s[4:5]
	s_cbranch_execz .LBB108_71
; %bb.70:
	v_mov_b32_e32 v0, v7
	global_store_byte v1, v4, s[8:9]
.LBB108_71:
	s_or_b64 exec, exec, s[0:1]
	v_cmp_gt_i32_e32 vcc, s2, v0
	s_and_saveexec_b64 s[0:1], vcc
	s_cbranch_execnz .LBB108_75
; %bb.72:
	s_or_b64 exec, exec, s[0:1]
	v_cmp_gt_i32_e32 vcc, s2, v0
	s_and_saveexec_b64 s[0:1], vcc
	s_cbranch_execnz .LBB108_76
.LBB108_73:
	s_or_b64 exec, exec, s[0:1]
	v_cmp_gt_i32_e32 vcc, s2, v0
	s_and_saveexec_b64 s[0:1], vcc
	s_cbranch_execnz .LBB108_77
.LBB108_74:
	s_endpgm
.LBB108_75:
	v_add_u32_e32 v1, 0x100, v0
	v_add_u32_e32 v0, s16, v0
	v_lshrrev_b32_e32 v2, 8, v4
	global_store_byte v0, v2, s[8:9]
	v_mov_b32_e32 v0, v1
	s_or_b64 exec, exec, s[0:1]
	v_cmp_gt_i32_e32 vcc, s2, v0
	s_and_saveexec_b64 s[0:1], vcc
	s_cbranch_execz .LBB108_73
.LBB108_76:
	v_add_u32_e32 v1, 0x100, v0
	v_add_u32_e32 v0, s16, v0
	global_store_byte_d16_hi v0, v4, s[8:9]
	v_mov_b32_e32 v0, v1
	s_or_b64 exec, exec, s[0:1]
	v_cmp_gt_i32_e32 vcc, s2, v0
	s_and_saveexec_b64 s[0:1], vcc
	s_cbranch_execz .LBB108_74
.LBB108_77:
	v_add_u32_e32 v0, s16, v0
	v_lshrrev_b32_e32 v1, 24, v4
	global_store_byte v0, v1, s[8:9]
	s_endpgm
.LBB108_78:
	s_waitcnt vmcnt(0)
	v_cmp_lt_f32_e32 vcc, v2, v3
	s_andn2_b64 s[10:11], s[10:11], exec
	s_and_b64 s[12:13], vcc, exec
	s_or_b64 s[10:11], s[10:11], s[12:13]
	s_cbranch_execz .LBB108_67
	s_branch .LBB108_68
.LBB108_79:
	s_mov_b64 s[12:13], -1
                                        ; implicit-def: $sgpr10_sgpr11
	s_branch .LBB108_33
.LBB108_80:
	s_mov_b64 s[12:13], -1
                                        ; implicit-def: $sgpr10_sgpr11
	s_branch .LBB108_48
.LBB108_81:
	s_mov_b64 s[12:13], -1
                                        ; implicit-def: $sgpr10_sgpr11
	s_branch .LBB108_63
	.section	.rodata,"a",@progbits
	.p2align	6, 0x0
	.amdhsa_kernel _ZN2at6native27unrolled_elementwise_kernelINS0_12_GLOBAL__N_114CompareFunctorIfEESt5arrayIPcLm3EELi4E23TrivialOffsetCalculatorILi2EjES8_ILi1EjENS0_6memory15LoadWithoutCastENSB_16StoreWithoutCastEEEviT_T0_T2_T3_T4_T5_
		.amdhsa_group_segment_fixed_size 0
		.amdhsa_private_segment_fixed_size 0
		.amdhsa_kernarg_size 36
		.amdhsa_user_sgpr_count 6
		.amdhsa_user_sgpr_private_segment_buffer 1
		.amdhsa_user_sgpr_dispatch_ptr 0
		.amdhsa_user_sgpr_queue_ptr 0
		.amdhsa_user_sgpr_kernarg_segment_ptr 1
		.amdhsa_user_sgpr_dispatch_id 0
		.amdhsa_user_sgpr_flat_scratch_init 0
		.amdhsa_user_sgpr_private_segment_size 0
		.amdhsa_uses_dynamic_stack 0
		.amdhsa_system_sgpr_private_segment_wavefront_offset 0
		.amdhsa_system_sgpr_workgroup_id_x 1
		.amdhsa_system_sgpr_workgroup_id_y 0
		.amdhsa_system_sgpr_workgroup_id_z 0
		.amdhsa_system_sgpr_workgroup_info 0
		.amdhsa_system_vgpr_workitem_id 0
		.amdhsa_next_free_vgpr 15
		.amdhsa_next_free_sgpr 17
		.amdhsa_reserve_vcc 1
		.amdhsa_reserve_flat_scratch 0
		.amdhsa_float_round_mode_32 0
		.amdhsa_float_round_mode_16_64 0
		.amdhsa_float_denorm_mode_32 3
		.amdhsa_float_denorm_mode_16_64 3
		.amdhsa_dx10_clamp 1
		.amdhsa_ieee_mode 1
		.amdhsa_fp16_overflow 0
		.amdhsa_exception_fp_ieee_invalid_op 0
		.amdhsa_exception_fp_denorm_src 0
		.amdhsa_exception_fp_ieee_div_zero 0
		.amdhsa_exception_fp_ieee_overflow 0
		.amdhsa_exception_fp_ieee_underflow 0
		.amdhsa_exception_fp_ieee_inexact 0
		.amdhsa_exception_int_div_zero 0
	.end_amdhsa_kernel
	.section	.text._ZN2at6native27unrolled_elementwise_kernelINS0_12_GLOBAL__N_114CompareFunctorIfEESt5arrayIPcLm3EELi4E23TrivialOffsetCalculatorILi2EjES8_ILi1EjENS0_6memory15LoadWithoutCastENSB_16StoreWithoutCastEEEviT_T0_T2_T3_T4_T5_,"axG",@progbits,_ZN2at6native27unrolled_elementwise_kernelINS0_12_GLOBAL__N_114CompareFunctorIfEESt5arrayIPcLm3EELi4E23TrivialOffsetCalculatorILi2EjES8_ILi1EjENS0_6memory15LoadWithoutCastENSB_16StoreWithoutCastEEEviT_T0_T2_T3_T4_T5_,comdat
.Lfunc_end108:
	.size	_ZN2at6native27unrolled_elementwise_kernelINS0_12_GLOBAL__N_114CompareFunctorIfEESt5arrayIPcLm3EELi4E23TrivialOffsetCalculatorILi2EjES8_ILi1EjENS0_6memory15LoadWithoutCastENSB_16StoreWithoutCastEEEviT_T0_T2_T3_T4_T5_, .Lfunc_end108-_ZN2at6native27unrolled_elementwise_kernelINS0_12_GLOBAL__N_114CompareFunctorIfEESt5arrayIPcLm3EELi4E23TrivialOffsetCalculatorILi2EjES8_ILi1EjENS0_6memory15LoadWithoutCastENSB_16StoreWithoutCastEEEviT_T0_T2_T3_T4_T5_
                                        ; -- End function
	.set _ZN2at6native27unrolled_elementwise_kernelINS0_12_GLOBAL__N_114CompareFunctorIfEESt5arrayIPcLm3EELi4E23TrivialOffsetCalculatorILi2EjES8_ILi1EjENS0_6memory15LoadWithoutCastENSB_16StoreWithoutCastEEEviT_T0_T2_T3_T4_T5_.num_vgpr, 15
	.set _ZN2at6native27unrolled_elementwise_kernelINS0_12_GLOBAL__N_114CompareFunctorIfEESt5arrayIPcLm3EELi4E23TrivialOffsetCalculatorILi2EjES8_ILi1EjENS0_6memory15LoadWithoutCastENSB_16StoreWithoutCastEEEviT_T0_T2_T3_T4_T5_.num_agpr, 0
	.set _ZN2at6native27unrolled_elementwise_kernelINS0_12_GLOBAL__N_114CompareFunctorIfEESt5arrayIPcLm3EELi4E23TrivialOffsetCalculatorILi2EjES8_ILi1EjENS0_6memory15LoadWithoutCastENSB_16StoreWithoutCastEEEviT_T0_T2_T3_T4_T5_.numbered_sgpr, 17
	.set _ZN2at6native27unrolled_elementwise_kernelINS0_12_GLOBAL__N_114CompareFunctorIfEESt5arrayIPcLm3EELi4E23TrivialOffsetCalculatorILi2EjES8_ILi1EjENS0_6memory15LoadWithoutCastENSB_16StoreWithoutCastEEEviT_T0_T2_T3_T4_T5_.num_named_barrier, 0
	.set _ZN2at6native27unrolled_elementwise_kernelINS0_12_GLOBAL__N_114CompareFunctorIfEESt5arrayIPcLm3EELi4E23TrivialOffsetCalculatorILi2EjES8_ILi1EjENS0_6memory15LoadWithoutCastENSB_16StoreWithoutCastEEEviT_T0_T2_T3_T4_T5_.private_seg_size, 0
	.set _ZN2at6native27unrolled_elementwise_kernelINS0_12_GLOBAL__N_114CompareFunctorIfEESt5arrayIPcLm3EELi4E23TrivialOffsetCalculatorILi2EjES8_ILi1EjENS0_6memory15LoadWithoutCastENSB_16StoreWithoutCastEEEviT_T0_T2_T3_T4_T5_.uses_vcc, 1
	.set _ZN2at6native27unrolled_elementwise_kernelINS0_12_GLOBAL__N_114CompareFunctorIfEESt5arrayIPcLm3EELi4E23TrivialOffsetCalculatorILi2EjES8_ILi1EjENS0_6memory15LoadWithoutCastENSB_16StoreWithoutCastEEEviT_T0_T2_T3_T4_T5_.uses_flat_scratch, 0
	.set _ZN2at6native27unrolled_elementwise_kernelINS0_12_GLOBAL__N_114CompareFunctorIfEESt5arrayIPcLm3EELi4E23TrivialOffsetCalculatorILi2EjES8_ILi1EjENS0_6memory15LoadWithoutCastENSB_16StoreWithoutCastEEEviT_T0_T2_T3_T4_T5_.has_dyn_sized_stack, 0
	.set _ZN2at6native27unrolled_elementwise_kernelINS0_12_GLOBAL__N_114CompareFunctorIfEESt5arrayIPcLm3EELi4E23TrivialOffsetCalculatorILi2EjES8_ILi1EjENS0_6memory15LoadWithoutCastENSB_16StoreWithoutCastEEEviT_T0_T2_T3_T4_T5_.has_recursion, 0
	.set _ZN2at6native27unrolled_elementwise_kernelINS0_12_GLOBAL__N_114CompareFunctorIfEESt5arrayIPcLm3EELi4E23TrivialOffsetCalculatorILi2EjES8_ILi1EjENS0_6memory15LoadWithoutCastENSB_16StoreWithoutCastEEEviT_T0_T2_T3_T4_T5_.has_indirect_call, 0
	.section	.AMDGPU.csdata,"",@progbits
; Kernel info:
; codeLenInByte = 1452
; TotalNumSgprs: 21
; NumVgprs: 15
; ScratchSize: 0
; MemoryBound: 0
; FloatMode: 240
; IeeeMode: 1
; LDSByteSize: 0 bytes/workgroup (compile time only)
; SGPRBlocks: 2
; VGPRBlocks: 3
; NumSGPRsForWavesPerEU: 21
; NumVGPRsForWavesPerEU: 15
; Occupancy: 10
; WaveLimiterHint : 0
; COMPUTE_PGM_RSRC2:SCRATCH_EN: 0
; COMPUTE_PGM_RSRC2:USER_SGPR: 6
; COMPUTE_PGM_RSRC2:TRAP_HANDLER: 0
; COMPUTE_PGM_RSRC2:TGID_X_EN: 1
; COMPUTE_PGM_RSRC2:TGID_Y_EN: 0
; COMPUTE_PGM_RSRC2:TGID_Z_EN: 0
; COMPUTE_PGM_RSRC2:TIDIG_COMP_CNT: 0
	.section	.text._ZN2at6native32elementwise_kernel_manual_unrollILi128ELi8EZNS0_22gpu_kernel_impl_nocastINS0_12_GLOBAL__N_114CompareFunctorIfEEEEvRNS_18TensorIteratorBaseERKT_EUlibE_EEviT1_,"axG",@progbits,_ZN2at6native32elementwise_kernel_manual_unrollILi128ELi8EZNS0_22gpu_kernel_impl_nocastINS0_12_GLOBAL__N_114CompareFunctorIfEEEEvRNS_18TensorIteratorBaseERKT_EUlibE_EEviT1_,comdat
	.globl	_ZN2at6native32elementwise_kernel_manual_unrollILi128ELi8EZNS0_22gpu_kernel_impl_nocastINS0_12_GLOBAL__N_114CompareFunctorIfEEEEvRNS_18TensorIteratorBaseERKT_EUlibE_EEviT1_ ; -- Begin function _ZN2at6native32elementwise_kernel_manual_unrollILi128ELi8EZNS0_22gpu_kernel_impl_nocastINS0_12_GLOBAL__N_114CompareFunctorIfEEEEvRNS_18TensorIteratorBaseERKT_EUlibE_EEviT1_
	.p2align	8
	.type	_ZN2at6native32elementwise_kernel_manual_unrollILi128ELi8EZNS0_22gpu_kernel_impl_nocastINS0_12_GLOBAL__N_114CompareFunctorIfEEEEvRNS_18TensorIteratorBaseERKT_EUlibE_EEviT1_,@function
_ZN2at6native32elementwise_kernel_manual_unrollILi128ELi8EZNS0_22gpu_kernel_impl_nocastINS0_12_GLOBAL__N_114CompareFunctorIfEEEEvRNS_18TensorIteratorBaseERKT_EUlibE_EEviT1_: ; @_ZN2at6native32elementwise_kernel_manual_unrollILi128ELi8EZNS0_22gpu_kernel_impl_nocastINS0_12_GLOBAL__N_114CompareFunctorIfEEEEvRNS_18TensorIteratorBaseERKT_EUlibE_EEviT1_
; %bb.0:
	s_load_dword s43, s[4:5], 0x0
	s_load_dword s33, s[4:5], 0x8
	s_add_u32 s12, s4, 8
	s_addc_u32 s13, s5, 0
	v_lshl_or_b32 v21, s6, 10, v0
	v_or_b32_e32 v37, 0x380, v21
	s_waitcnt lgkmcnt(0)
	s_add_i32 s40, s33, -1
	s_cmp_gt_u32 s40, 1
	v_cmp_le_i32_e32 vcc, s43, v37
	s_cselect_b64 s[14:15], -1, 0
	s_and_saveexec_b64 s[0:1], vcc
	s_xor_b64 s[16:17], exec, s[0:1]
	s_cbranch_execz .LBB109_211
; %bb.1:
	s_load_dwordx4 s[8:11], s[12:13], 0x4
	s_load_dwordx2 s[22:23], s[12:13], 0x14
	s_load_dwordx4 s[4:7], s[12:13], 0xc4
	s_load_dwordx2 s[20:21], s[12:13], 0xd4
	s_load_dwordx2 s[18:19], s[12:13], 0x198
	s_load_dwordx4 s[0:3], s[12:13], 0x188
	s_load_dword s41, s[12:13], 0x1a0
	s_cmp_lg_u32 s33, 0
	s_cselect_b64 s[26:27], -1, 0
	s_min_u32 s42, s40, 15
	s_cmp_gt_u32 s33, 1
	s_cselect_b64 s[24:25], -1, 0
	v_cmp_gt_i32_e32 vcc, s43, v21
	s_and_saveexec_b64 s[28:29], vcc
	s_cbranch_execnz .LBB109_9
; %bb.2:
	s_or_b64 exec, exec, s[28:29]
	v_cmp_gt_i32_e32 vcc, s43, v21
	s_and_saveexec_b64 s[28:29], vcc
	s_cbranch_execnz .LBB109_35
.LBB109_3:
	s_or_b64 exec, exec, s[28:29]
	v_cmp_gt_i32_e32 vcc, s43, v21
	s_and_saveexec_b64 s[28:29], vcc
	s_cbranch_execnz .LBB109_60
.LBB109_4:
	s_or_b64 exec, exec, s[28:29]
	v_cmp_gt_i32_e32 vcc, s43, v21
	s_and_saveexec_b64 s[28:29], vcc
	s_cbranch_execnz .LBB109_85
.LBB109_5:
	s_or_b64 exec, exec, s[28:29]
	v_cmp_gt_i32_e32 vcc, s43, v21
	s_and_saveexec_b64 s[28:29], vcc
	s_cbranch_execnz .LBB109_110
.LBB109_6:
	s_or_b64 exec, exec, s[28:29]
	v_cmp_gt_i32_e32 vcc, s43, v21
	s_and_saveexec_b64 s[28:29], vcc
	s_cbranch_execnz .LBB109_135
.LBB109_7:
	s_or_b64 exec, exec, s[28:29]
	v_cmp_gt_i32_e32 vcc, s43, v21
	s_and_saveexec_b64 s[28:29], vcc
	s_cbranch_execnz .LBB109_160
.LBB109_8:
	s_or_b64 exec, exec, s[28:29]
	v_cmp_gt_i32_e32 vcc, s43, v21
	s_and_saveexec_b64 s[28:29], vcc
	s_cbranch_execnz .LBB109_185
	s_branch .LBB109_210
.LBB109_9:
	s_andn2_b64 vcc, exec, s[14:15]
	s_cbranch_vccnz .LBB109_15
; %bb.10:
	s_andn2_b64 vcc, exec, s[26:27]
	s_cbranch_vccnz .LBB109_16
; %bb.11:
	s_add_i32 s30, s42, 1
	s_and_b32 s34, s30, 30
	s_add_u32 s30, s12, 0xffffffe8
	s_addc_u32 s31, s13, -1
	v_mov_b32_e32 v2, 0
	v_mov_b32_e32 v4, 0
	;; [unrolled: 1-line block ×4, first 2 shown]
.LBB109_12:                             ; =>This Inner Loop Header: Depth=1
	s_load_dwordx4 s[36:39], s[30:31], 0x1c
	s_load_dwordx2 s[48:49], s[30:31], 0x2c
	s_load_dwordx2 s[50:51], s[30:31], 0xec
	s_load_dwordx4 s[44:47], s[30:31], 0xdc
	s_add_u32 s30, s30, 24
	s_waitcnt lgkmcnt(0)
	v_mul_hi_u32 v3, s37, v1
	s_addc_u32 s31, s31, 0
	s_add_i32 s34, s34, -2
	s_cmp_lg_u32 s34, 0
	v_add_u32_e32 v3, v1, v3
	v_lshrrev_b32_e32 v3, s38, v3
	v_mul_lo_u32 v5, v3, s36
	v_mul_hi_u32 v6, s48, v3
	v_sub_u32_e32 v5, v1, v5
	v_add_u32_e32 v1, v3, v6
	v_lshrrev_b32_e32 v1, s49, v1
	v_mul_lo_u32 v8, v1, s39
	v_mul_lo_u32 v6, v5, s44
	;; [unrolled: 1-line block ×4, first 2 shown]
	v_sub_u32_e32 v3, v3, v8
	v_mul_lo_u32 v8, v3, s47
	v_mul_lo_u32 v9, v3, s50
	;; [unrolled: 1-line block ×3, first 2 shown]
	v_add3_u32 v0, v6, v0, v8
	v_add3_u32 v4, v7, v4, v9
	;; [unrolled: 1-line block ×3, first 2 shown]
	s_cbranch_scc1 .LBB109_12
; %bb.13:
	s_bitcmp1_b32 s42, 0
	s_cselect_b64 s[34:35], -1, 0
	s_and_b64 vcc, exec, s[34:35]
	s_cbranch_vccnz .LBB109_17
; %bb.14:
	s_load_dwordx2 s[34:35], s[30:31], 0x1c
	s_load_dword s38, s[30:31], 0x24
	s_load_dwordx2 s[36:37], s[30:31], 0xdc
	s_waitcnt lgkmcnt(0)
	v_mul_hi_u32 v3, s35, v1
	v_add_u32_e32 v3, v1, v3
	v_lshrrev_b32_e32 v3, s38, v3
	v_mul_lo_u32 v3, v3, s34
	s_load_dword s34, s[30:31], 0xe4
	v_sub_u32_e32 v3, v1, v3
	v_mad_u64_u32 v[0:1], s[30:31], v3, s36, v[0:1]
	v_mad_u64_u32 v[4:5], s[30:31], v3, s37, v[4:5]
	s_waitcnt lgkmcnt(0)
	v_mad_u64_u32 v[2:3], s[30:31], v3, s34, v[2:3]
	s_cbranch_execz .LBB109_18
	s_branch .LBB109_20
.LBB109_15:
                                        ; implicit-def: $vgpr0
                                        ; implicit-def: $vgpr4
                                        ; implicit-def: $vgpr2
	s_branch .LBB109_18
.LBB109_16:
	v_mov_b32_e32 v0, 0
	v_mov_b32_e32 v4, 0
	;; [unrolled: 1-line block ×3, first 2 shown]
.LBB109_17:
	s_cbranch_execnz .LBB109_20
.LBB109_18:
	s_waitcnt lgkmcnt(0)
	v_mul_hi_u32 v0, s9, v21
	s_andn2_b64 vcc, exec, s[24:25]
	v_add_u32_e32 v0, v21, v0
	v_lshrrev_b32_e32 v1, s10, v0
	v_mul_lo_u32 v0, v1, s8
	v_sub_u32_e32 v2, v21, v0
	v_mul_lo_u32 v0, v2, s4
	v_mul_lo_u32 v4, v2, s5
	v_mul_lo_u32 v2, v2, s6
	s_cbranch_vccnz .LBB109_20
; %bb.19:
	v_mul_hi_u32 v3, s22, v1
	v_add_u32_e32 v3, v1, v3
	v_lshrrev_b32_e32 v3, s23, v3
	v_mul_lo_u32 v3, v3, s11
	v_sub_u32_e32 v3, v1, v3
	v_mad_u64_u32 v[0:1], s[30:31], v3, s7, v[0:1]
	v_mad_u64_u32 v[4:5], s[30:31], v3, s20, v[4:5]
	;; [unrolled: 1-line block ×3, first 2 shown]
.LBB109_20:
	s_waitcnt lgkmcnt(0)
	global_load_dword v1, v4, s[2:3]
	global_load_dword v3, v2, s[18:19]
	s_cmp_lt_i32 s41, 1
	s_mov_b64 s[30:31], 0
	s_cbranch_scc1 .LBB109_24
; %bb.21:
	s_cmp_gt_i32 s41, 1
	s_cbranch_scc0 .LBB109_25
; %bb.22:
	s_cmp_eq_u32 s41, 2
	s_cbranch_scc0 .LBB109_26
; %bb.23:
	s_waitcnt vmcnt(0)
	v_cmp_le_f32_e64 s[34:35], v1, v3
	s_mov_b64 s[36:37], 0
	s_branch .LBB109_27
.LBB109_24:
                                        ; implicit-def: $sgpr34_sgpr35
	s_mov_b64 s[36:37], 0
	s_cbranch_execnz .LBB109_30
	s_branch .LBB109_31
.LBB109_25:
	s_mov_b64 s[36:37], 0
                                        ; implicit-def: $sgpr34_sgpr35
	s_cbranch_execnz .LBB109_28
	s_branch .LBB109_29
.LBB109_26:
	s_mov_b64 s[36:37], -1
                                        ; implicit-def: $sgpr34_sgpr35
.LBB109_27:
	s_branch .LBB109_29
.LBB109_28:
	s_waitcnt vmcnt(0)
	v_cmp_gt_f32_e32 vcc, v1, v3
	s_andn2_b64 s[34:35], s[34:35], exec
	s_and_b64 s[38:39], vcc, exec
	s_or_b64 s[34:35], s[34:35], s[38:39]
.LBB109_29:
	s_branch .LBB109_31
.LBB109_30:
	s_cmp_lg_u32 s41, 0
	s_mov_b64 s[30:31], -1
	s_cselect_b64 s[36:37], -1, 0
.LBB109_31:
	s_andn2_b64 vcc, exec, s[36:37]
	s_cbranch_vccz .LBB109_41
; %bb.32:
	s_andn2_b64 vcc, exec, s[30:31]
	s_cbranch_vccnz .LBB109_34
.LBB109_33:
	s_waitcnt vmcnt(0)
	v_cmp_ge_f32_e32 vcc, v1, v3
	s_andn2_b64 s[30:31], s[34:35], exec
	s_and_b64 s[34:35], vcc, exec
	s_or_b64 s[34:35], s[30:31], s[34:35]
.LBB109_34:
	s_waitcnt vmcnt(1)
	v_cndmask_b32_e64 v1, 0, 1, s[34:35]
	v_add_u32_e32 v21, 0x80, v21
	global_store_byte v0, v1, s[0:1]
	s_or_b64 exec, exec, s[28:29]
	v_cmp_gt_i32_e32 vcc, s43, v21
	s_and_saveexec_b64 s[28:29], vcc
	s_cbranch_execz .LBB109_3
.LBB109_35:
	s_andn2_b64 vcc, exec, s[14:15]
	s_cbranch_vccnz .LBB109_42
; %bb.36:
	s_andn2_b64 vcc, exec, s[26:27]
	s_cbranch_vccnz .LBB109_43
; %bb.37:
	s_add_i32 s30, s42, 1
	s_and_b32 s34, s30, 30
	s_add_u32 s30, s12, 0xffffffe8
	s_addc_u32 s31, s13, -1
	v_mov_b32_e32 v2, 0
	v_mov_b32_e32 v4, 0
	;; [unrolled: 1-line block ×4, first 2 shown]
.LBB109_38:                             ; =>This Inner Loop Header: Depth=1
	s_load_dwordx4 s[36:39], s[30:31], 0x1c
	s_load_dwordx2 s[48:49], s[30:31], 0x2c
	s_load_dwordx2 s[50:51], s[30:31], 0xec
	s_load_dwordx4 s[44:47], s[30:31], 0xdc
	s_add_u32 s30, s30, 24
	s_waitcnt vmcnt(1) lgkmcnt(0)
	v_mul_hi_u32 v3, s37, v1
	s_addc_u32 s31, s31, 0
	s_add_i32 s34, s34, -2
	s_cmp_eq_u32 s34, 0
	v_add_u32_e32 v3, v1, v3
	v_lshrrev_b32_e32 v3, s38, v3
	v_mul_lo_u32 v5, v3, s36
	v_mul_hi_u32 v6, s48, v3
	v_sub_u32_e32 v5, v1, v5
	v_add_u32_e32 v1, v3, v6
	v_lshrrev_b32_e32 v1, s49, v1
	v_mul_lo_u32 v8, v1, s39
	v_mul_lo_u32 v6, v5, s44
	;; [unrolled: 1-line block ×4, first 2 shown]
	v_sub_u32_e32 v3, v3, v8
	v_mul_lo_u32 v8, v3, s47
	v_mul_lo_u32 v9, v3, s50
	;; [unrolled: 1-line block ×3, first 2 shown]
	v_add3_u32 v0, v6, v0, v8
	v_add3_u32 v4, v7, v4, v9
	;; [unrolled: 1-line block ×3, first 2 shown]
	s_cbranch_scc0 .LBB109_38
; %bb.39:
	s_bitcmp1_b32 s42, 0
	s_cselect_b64 s[34:35], -1, 0
	s_and_b64 vcc, exec, s[34:35]
	s_cbranch_vccnz .LBB109_44
; %bb.40:
	s_load_dwordx2 s[34:35], s[30:31], 0x1c
	s_load_dword s38, s[30:31], 0x24
	s_load_dwordx2 s[36:37], s[30:31], 0xdc
	s_waitcnt lgkmcnt(0)
	v_mul_hi_u32 v3, s35, v1
	v_add_u32_e32 v3, v1, v3
	v_lshrrev_b32_e32 v3, s38, v3
	v_mul_lo_u32 v3, v3, s34
	s_load_dword s34, s[30:31], 0xe4
	v_sub_u32_e32 v3, v1, v3
	v_mad_u64_u32 v[0:1], s[30:31], v3, s36, v[0:1]
	v_mad_u64_u32 v[4:5], s[30:31], v3, s37, v[4:5]
	s_waitcnt lgkmcnt(0)
	v_mad_u64_u32 v[2:3], s[30:31], v3, s34, v[2:3]
	s_branch .LBB109_44
.LBB109_41:
	s_waitcnt vmcnt(0)
	v_cmp_lt_f32_e32 vcc, v1, v3
	s_andn2_b64 s[34:35], s[34:35], exec
	s_and_b64 s[36:37], vcc, exec
	s_or_b64 s[34:35], s[34:35], s[36:37]
	s_cbranch_execz .LBB109_33
	s_branch .LBB109_34
.LBB109_42:
                                        ; implicit-def: $vgpr0
                                        ; implicit-def: $vgpr4
                                        ; implicit-def: $vgpr2
	s_branch .LBB109_45
.LBB109_43:
	v_mov_b32_e32 v0, 0
	v_mov_b32_e32 v4, 0
	;; [unrolled: 1-line block ×3, first 2 shown]
.LBB109_44:
	s_cbranch_execnz .LBB109_47
.LBB109_45:
	s_waitcnt lgkmcnt(0)
	v_mul_hi_u32 v0, s9, v21
	s_andn2_b64 vcc, exec, s[24:25]
	v_add_u32_e32 v0, v21, v0
	v_lshrrev_b32_e32 v1, s10, v0
	v_mul_lo_u32 v0, v1, s8
	v_sub_u32_e32 v2, v21, v0
	v_mul_lo_u32 v0, v2, s4
	v_mul_lo_u32 v4, v2, s5
	;; [unrolled: 1-line block ×3, first 2 shown]
	s_cbranch_vccnz .LBB109_47
; %bb.46:
	s_waitcnt vmcnt(1)
	v_mul_hi_u32 v3, s22, v1
	v_add_u32_e32 v3, v1, v3
	v_lshrrev_b32_e32 v3, s23, v3
	v_mul_lo_u32 v3, v3, s11
	v_sub_u32_e32 v3, v1, v3
	v_mad_u64_u32 v[0:1], s[30:31], v3, s7, v[0:1]
	v_mad_u64_u32 v[4:5], s[30:31], v3, s20, v[4:5]
	;; [unrolled: 1-line block ×3, first 2 shown]
.LBB109_47:
	s_waitcnt lgkmcnt(0)
	global_load_dword v1, v4, s[2:3]
	global_load_dword v3, v2, s[18:19]
	s_cmp_lt_i32 s41, 1
	s_mov_b64 s[30:31], 0
	s_cbranch_scc1 .LBB109_51
; %bb.48:
	s_cmp_gt_i32 s41, 1
	s_cbranch_scc0 .LBB109_52
; %bb.49:
	s_cmp_eq_u32 s41, 2
	s_cbranch_scc0 .LBB109_423
; %bb.50:
	s_waitcnt vmcnt(0)
	v_cmp_le_f32_e64 s[34:35], v1, v3
	s_mov_b64 s[36:37], 0
	s_branch .LBB109_54
.LBB109_51:
                                        ; implicit-def: $sgpr34_sgpr35
	s_mov_b64 s[36:37], 0
	s_cbranch_execnz .LBB109_55
	s_branch .LBB109_56
.LBB109_52:
	s_mov_b64 s[36:37], 0
                                        ; implicit-def: $sgpr34_sgpr35
	s_cbranch_execz .LBB109_54
; %bb.53:
	s_waitcnt vmcnt(0)
	v_cmp_gt_f32_e32 vcc, v1, v3
	s_andn2_b64 s[34:35], s[34:35], exec
	s_and_b64 s[38:39], vcc, exec
	s_or_b64 s[34:35], s[34:35], s[38:39]
.LBB109_54:
	s_branch .LBB109_56
.LBB109_55:
	s_cmp_lg_u32 s41, 0
	s_mov_b64 s[30:31], -1
	s_cselect_b64 s[36:37], -1, 0
.LBB109_56:
	s_andn2_b64 vcc, exec, s[36:37]
	s_cbranch_vccz .LBB109_66
; %bb.57:
	s_andn2_b64 vcc, exec, s[30:31]
	s_cbranch_vccnz .LBB109_59
.LBB109_58:
	s_waitcnt vmcnt(0)
	v_cmp_ge_f32_e32 vcc, v1, v3
	s_andn2_b64 s[30:31], s[34:35], exec
	s_and_b64 s[34:35], vcc, exec
	s_or_b64 s[34:35], s[30:31], s[34:35]
.LBB109_59:
	s_waitcnt vmcnt(1)
	v_cndmask_b32_e64 v1, 0, 1, s[34:35]
	v_add_u32_e32 v21, 0x80, v21
	global_store_byte v0, v1, s[0:1]
	s_or_b64 exec, exec, s[28:29]
	v_cmp_gt_i32_e32 vcc, s43, v21
	s_and_saveexec_b64 s[28:29], vcc
	s_cbranch_execz .LBB109_4
.LBB109_60:
	s_andn2_b64 vcc, exec, s[14:15]
	s_cbranch_vccnz .LBB109_67
; %bb.61:
	s_andn2_b64 vcc, exec, s[26:27]
	s_cbranch_vccnz .LBB109_68
; %bb.62:
	s_add_i32 s30, s42, 1
	s_and_b32 s34, s30, 30
	s_add_u32 s30, s12, 0xffffffe8
	s_addc_u32 s31, s13, -1
	v_mov_b32_e32 v2, 0
	v_mov_b32_e32 v4, 0
	;; [unrolled: 1-line block ×4, first 2 shown]
.LBB109_63:                             ; =>This Inner Loop Header: Depth=1
	s_load_dwordx4 s[36:39], s[30:31], 0x1c
	s_load_dwordx2 s[48:49], s[30:31], 0x2c
	s_load_dwordx2 s[50:51], s[30:31], 0xec
	s_load_dwordx4 s[44:47], s[30:31], 0xdc
	s_add_u32 s30, s30, 24
	s_waitcnt vmcnt(1) lgkmcnt(0)
	v_mul_hi_u32 v3, s37, v1
	s_addc_u32 s31, s31, 0
	s_add_i32 s34, s34, -2
	s_cmp_eq_u32 s34, 0
	v_add_u32_e32 v3, v1, v3
	v_lshrrev_b32_e32 v3, s38, v3
	v_mul_lo_u32 v5, v3, s36
	v_mul_hi_u32 v6, s48, v3
	v_sub_u32_e32 v5, v1, v5
	v_add_u32_e32 v1, v3, v6
	v_lshrrev_b32_e32 v1, s49, v1
	v_mul_lo_u32 v8, v1, s39
	v_mul_lo_u32 v6, v5, s44
	;; [unrolled: 1-line block ×4, first 2 shown]
	v_sub_u32_e32 v3, v3, v8
	v_mul_lo_u32 v8, v3, s47
	v_mul_lo_u32 v9, v3, s50
	v_mul_lo_u32 v3, v3, s51
	v_add3_u32 v0, v6, v0, v8
	v_add3_u32 v4, v7, v4, v9
	;; [unrolled: 1-line block ×3, first 2 shown]
	s_cbranch_scc0 .LBB109_63
; %bb.64:
	s_bitcmp1_b32 s42, 0
	s_cselect_b64 s[34:35], -1, 0
	s_and_b64 vcc, exec, s[34:35]
	s_cbranch_vccnz .LBB109_69
; %bb.65:
	s_load_dwordx2 s[34:35], s[30:31], 0x1c
	s_load_dword s38, s[30:31], 0x24
	s_load_dwordx2 s[36:37], s[30:31], 0xdc
	s_waitcnt lgkmcnt(0)
	v_mul_hi_u32 v3, s35, v1
	v_add_u32_e32 v3, v1, v3
	v_lshrrev_b32_e32 v3, s38, v3
	v_mul_lo_u32 v3, v3, s34
	s_load_dword s34, s[30:31], 0xe4
	v_sub_u32_e32 v3, v1, v3
	v_mad_u64_u32 v[0:1], s[30:31], v3, s36, v[0:1]
	v_mad_u64_u32 v[4:5], s[30:31], v3, s37, v[4:5]
	s_waitcnt lgkmcnt(0)
	v_mad_u64_u32 v[2:3], s[30:31], v3, s34, v[2:3]
	s_branch .LBB109_69
.LBB109_66:
	s_waitcnt vmcnt(0)
	v_cmp_lt_f32_e32 vcc, v1, v3
	s_andn2_b64 s[34:35], s[34:35], exec
	s_and_b64 s[36:37], vcc, exec
	s_or_b64 s[34:35], s[34:35], s[36:37]
	s_cbranch_execz .LBB109_58
	s_branch .LBB109_59
.LBB109_67:
                                        ; implicit-def: $vgpr0
                                        ; implicit-def: $vgpr4
                                        ; implicit-def: $vgpr2
	s_branch .LBB109_70
.LBB109_68:
	v_mov_b32_e32 v0, 0
	v_mov_b32_e32 v4, 0
	;; [unrolled: 1-line block ×3, first 2 shown]
.LBB109_69:
	s_cbranch_execnz .LBB109_72
.LBB109_70:
	s_waitcnt lgkmcnt(0)
	v_mul_hi_u32 v0, s9, v21
	s_andn2_b64 vcc, exec, s[24:25]
	v_add_u32_e32 v0, v21, v0
	v_lshrrev_b32_e32 v1, s10, v0
	v_mul_lo_u32 v0, v1, s8
	v_sub_u32_e32 v2, v21, v0
	v_mul_lo_u32 v0, v2, s4
	v_mul_lo_u32 v4, v2, s5
	;; [unrolled: 1-line block ×3, first 2 shown]
	s_cbranch_vccnz .LBB109_72
; %bb.71:
	s_waitcnt vmcnt(1)
	v_mul_hi_u32 v3, s22, v1
	v_add_u32_e32 v3, v1, v3
	v_lshrrev_b32_e32 v3, s23, v3
	v_mul_lo_u32 v3, v3, s11
	v_sub_u32_e32 v3, v1, v3
	v_mad_u64_u32 v[0:1], s[30:31], v3, s7, v[0:1]
	v_mad_u64_u32 v[4:5], s[30:31], v3, s20, v[4:5]
	;; [unrolled: 1-line block ×3, first 2 shown]
.LBB109_72:
	s_waitcnt lgkmcnt(0)
	global_load_dword v1, v4, s[2:3]
	global_load_dword v3, v2, s[18:19]
	s_cmp_lt_i32 s41, 1
	s_mov_b64 s[30:31], 0
	s_cbranch_scc1 .LBB109_76
; %bb.73:
	s_cmp_gt_i32 s41, 1
	s_cbranch_scc0 .LBB109_77
; %bb.74:
	s_cmp_eq_u32 s41, 2
	s_cbranch_scc0 .LBB109_424
; %bb.75:
	s_waitcnt vmcnt(0)
	v_cmp_le_f32_e64 s[34:35], v1, v3
	s_mov_b64 s[36:37], 0
	s_branch .LBB109_79
.LBB109_76:
                                        ; implicit-def: $sgpr34_sgpr35
	s_mov_b64 s[36:37], 0
	s_cbranch_execnz .LBB109_80
	s_branch .LBB109_81
.LBB109_77:
	s_mov_b64 s[36:37], 0
                                        ; implicit-def: $sgpr34_sgpr35
	s_cbranch_execz .LBB109_79
; %bb.78:
	s_waitcnt vmcnt(0)
	v_cmp_gt_f32_e32 vcc, v1, v3
	s_andn2_b64 s[34:35], s[34:35], exec
	s_and_b64 s[38:39], vcc, exec
	s_or_b64 s[34:35], s[34:35], s[38:39]
.LBB109_79:
	s_branch .LBB109_81
.LBB109_80:
	s_cmp_lg_u32 s41, 0
	s_mov_b64 s[30:31], -1
	s_cselect_b64 s[36:37], -1, 0
.LBB109_81:
	s_andn2_b64 vcc, exec, s[36:37]
	s_cbranch_vccz .LBB109_91
; %bb.82:
	s_andn2_b64 vcc, exec, s[30:31]
	s_cbranch_vccnz .LBB109_84
.LBB109_83:
	s_waitcnt vmcnt(0)
	v_cmp_ge_f32_e32 vcc, v1, v3
	s_andn2_b64 s[30:31], s[34:35], exec
	s_and_b64 s[34:35], vcc, exec
	s_or_b64 s[34:35], s[30:31], s[34:35]
.LBB109_84:
	s_waitcnt vmcnt(1)
	v_cndmask_b32_e64 v1, 0, 1, s[34:35]
	v_add_u32_e32 v21, 0x80, v21
	global_store_byte v0, v1, s[0:1]
	s_or_b64 exec, exec, s[28:29]
	v_cmp_gt_i32_e32 vcc, s43, v21
	s_and_saveexec_b64 s[28:29], vcc
	s_cbranch_execz .LBB109_5
.LBB109_85:
	s_andn2_b64 vcc, exec, s[14:15]
	s_cbranch_vccnz .LBB109_92
; %bb.86:
	s_andn2_b64 vcc, exec, s[26:27]
	s_cbranch_vccnz .LBB109_93
; %bb.87:
	s_add_i32 s30, s42, 1
	s_and_b32 s34, s30, 30
	s_add_u32 s30, s12, 0xffffffe8
	s_addc_u32 s31, s13, -1
	v_mov_b32_e32 v2, 0
	v_mov_b32_e32 v4, 0
	;; [unrolled: 1-line block ×4, first 2 shown]
.LBB109_88:                             ; =>This Inner Loop Header: Depth=1
	s_load_dwordx4 s[36:39], s[30:31], 0x1c
	s_load_dwordx2 s[48:49], s[30:31], 0x2c
	s_load_dwordx2 s[50:51], s[30:31], 0xec
	s_load_dwordx4 s[44:47], s[30:31], 0xdc
	s_add_u32 s30, s30, 24
	s_waitcnt vmcnt(1) lgkmcnt(0)
	v_mul_hi_u32 v3, s37, v1
	s_addc_u32 s31, s31, 0
	s_add_i32 s34, s34, -2
	s_cmp_eq_u32 s34, 0
	v_add_u32_e32 v3, v1, v3
	v_lshrrev_b32_e32 v3, s38, v3
	v_mul_lo_u32 v5, v3, s36
	v_mul_hi_u32 v6, s48, v3
	v_sub_u32_e32 v5, v1, v5
	v_add_u32_e32 v1, v3, v6
	v_lshrrev_b32_e32 v1, s49, v1
	v_mul_lo_u32 v8, v1, s39
	v_mul_lo_u32 v6, v5, s44
	;; [unrolled: 1-line block ×4, first 2 shown]
	v_sub_u32_e32 v3, v3, v8
	v_mul_lo_u32 v8, v3, s47
	v_mul_lo_u32 v9, v3, s50
	;; [unrolled: 1-line block ×3, first 2 shown]
	v_add3_u32 v0, v6, v0, v8
	v_add3_u32 v4, v7, v4, v9
	;; [unrolled: 1-line block ×3, first 2 shown]
	s_cbranch_scc0 .LBB109_88
; %bb.89:
	s_bitcmp1_b32 s42, 0
	s_cselect_b64 s[34:35], -1, 0
	s_and_b64 vcc, exec, s[34:35]
	s_cbranch_vccnz .LBB109_94
; %bb.90:
	s_load_dwordx2 s[34:35], s[30:31], 0x1c
	s_load_dword s38, s[30:31], 0x24
	s_load_dwordx2 s[36:37], s[30:31], 0xdc
	s_waitcnt lgkmcnt(0)
	v_mul_hi_u32 v3, s35, v1
	v_add_u32_e32 v3, v1, v3
	v_lshrrev_b32_e32 v3, s38, v3
	v_mul_lo_u32 v3, v3, s34
	s_load_dword s34, s[30:31], 0xe4
	v_sub_u32_e32 v3, v1, v3
	v_mad_u64_u32 v[0:1], s[30:31], v3, s36, v[0:1]
	v_mad_u64_u32 v[4:5], s[30:31], v3, s37, v[4:5]
	s_waitcnt lgkmcnt(0)
	v_mad_u64_u32 v[2:3], s[30:31], v3, s34, v[2:3]
	s_branch .LBB109_94
.LBB109_91:
	s_waitcnt vmcnt(0)
	v_cmp_lt_f32_e32 vcc, v1, v3
	s_andn2_b64 s[34:35], s[34:35], exec
	s_and_b64 s[36:37], vcc, exec
	s_or_b64 s[34:35], s[34:35], s[36:37]
	s_cbranch_execz .LBB109_83
	s_branch .LBB109_84
.LBB109_92:
                                        ; implicit-def: $vgpr0
                                        ; implicit-def: $vgpr4
                                        ; implicit-def: $vgpr2
	s_branch .LBB109_95
.LBB109_93:
	v_mov_b32_e32 v0, 0
	v_mov_b32_e32 v4, 0
	;; [unrolled: 1-line block ×3, first 2 shown]
.LBB109_94:
	s_cbranch_execnz .LBB109_97
.LBB109_95:
	s_waitcnt lgkmcnt(0)
	v_mul_hi_u32 v0, s9, v21
	s_andn2_b64 vcc, exec, s[24:25]
	v_add_u32_e32 v0, v21, v0
	v_lshrrev_b32_e32 v1, s10, v0
	v_mul_lo_u32 v0, v1, s8
	v_sub_u32_e32 v2, v21, v0
	v_mul_lo_u32 v0, v2, s4
	v_mul_lo_u32 v4, v2, s5
	;; [unrolled: 1-line block ×3, first 2 shown]
	s_cbranch_vccnz .LBB109_97
; %bb.96:
	s_waitcnt vmcnt(1)
	v_mul_hi_u32 v3, s22, v1
	v_add_u32_e32 v3, v1, v3
	v_lshrrev_b32_e32 v3, s23, v3
	v_mul_lo_u32 v3, v3, s11
	v_sub_u32_e32 v3, v1, v3
	v_mad_u64_u32 v[0:1], s[30:31], v3, s7, v[0:1]
	v_mad_u64_u32 v[4:5], s[30:31], v3, s20, v[4:5]
	;; [unrolled: 1-line block ×3, first 2 shown]
.LBB109_97:
	s_waitcnt lgkmcnt(0)
	global_load_dword v1, v4, s[2:3]
	global_load_dword v3, v2, s[18:19]
	s_cmp_lt_i32 s41, 1
	s_mov_b64 s[30:31], 0
	s_cbranch_scc1 .LBB109_101
; %bb.98:
	s_cmp_gt_i32 s41, 1
	s_cbranch_scc0 .LBB109_102
; %bb.99:
	s_cmp_eq_u32 s41, 2
	s_cbranch_scc0 .LBB109_425
; %bb.100:
	s_waitcnt vmcnt(0)
	v_cmp_le_f32_e64 s[34:35], v1, v3
	s_mov_b64 s[36:37], 0
	s_branch .LBB109_104
.LBB109_101:
                                        ; implicit-def: $sgpr34_sgpr35
	s_mov_b64 s[36:37], 0
	s_cbranch_execnz .LBB109_105
	s_branch .LBB109_106
.LBB109_102:
	s_mov_b64 s[36:37], 0
                                        ; implicit-def: $sgpr34_sgpr35
	s_cbranch_execz .LBB109_104
; %bb.103:
	s_waitcnt vmcnt(0)
	v_cmp_gt_f32_e32 vcc, v1, v3
	s_andn2_b64 s[34:35], s[34:35], exec
	s_and_b64 s[38:39], vcc, exec
	s_or_b64 s[34:35], s[34:35], s[38:39]
.LBB109_104:
	s_branch .LBB109_106
.LBB109_105:
	s_cmp_lg_u32 s41, 0
	s_mov_b64 s[30:31], -1
	s_cselect_b64 s[36:37], -1, 0
.LBB109_106:
	s_andn2_b64 vcc, exec, s[36:37]
	s_cbranch_vccz .LBB109_116
; %bb.107:
	s_andn2_b64 vcc, exec, s[30:31]
	s_cbranch_vccnz .LBB109_109
.LBB109_108:
	s_waitcnt vmcnt(0)
	v_cmp_ge_f32_e32 vcc, v1, v3
	s_andn2_b64 s[30:31], s[34:35], exec
	s_and_b64 s[34:35], vcc, exec
	s_or_b64 s[34:35], s[30:31], s[34:35]
.LBB109_109:
	s_waitcnt vmcnt(1)
	v_cndmask_b32_e64 v1, 0, 1, s[34:35]
	v_add_u32_e32 v21, 0x80, v21
	global_store_byte v0, v1, s[0:1]
	s_or_b64 exec, exec, s[28:29]
	v_cmp_gt_i32_e32 vcc, s43, v21
	s_and_saveexec_b64 s[28:29], vcc
	s_cbranch_execz .LBB109_6
.LBB109_110:
	s_andn2_b64 vcc, exec, s[14:15]
	s_cbranch_vccnz .LBB109_117
; %bb.111:
	s_andn2_b64 vcc, exec, s[26:27]
	s_cbranch_vccnz .LBB109_118
; %bb.112:
	s_add_i32 s30, s42, 1
	s_and_b32 s34, s30, 30
	s_add_u32 s30, s12, 0xffffffe8
	s_addc_u32 s31, s13, -1
	v_mov_b32_e32 v2, 0
	v_mov_b32_e32 v4, 0
	;; [unrolled: 1-line block ×4, first 2 shown]
.LBB109_113:                            ; =>This Inner Loop Header: Depth=1
	s_load_dwordx4 s[36:39], s[30:31], 0x1c
	s_load_dwordx2 s[48:49], s[30:31], 0x2c
	s_load_dwordx2 s[50:51], s[30:31], 0xec
	s_load_dwordx4 s[44:47], s[30:31], 0xdc
	s_add_u32 s30, s30, 24
	s_waitcnt vmcnt(1) lgkmcnt(0)
	v_mul_hi_u32 v3, s37, v1
	s_addc_u32 s31, s31, 0
	s_add_i32 s34, s34, -2
	s_cmp_eq_u32 s34, 0
	v_add_u32_e32 v3, v1, v3
	v_lshrrev_b32_e32 v3, s38, v3
	v_mul_lo_u32 v5, v3, s36
	v_mul_hi_u32 v6, s48, v3
	v_sub_u32_e32 v5, v1, v5
	v_add_u32_e32 v1, v3, v6
	v_lshrrev_b32_e32 v1, s49, v1
	v_mul_lo_u32 v8, v1, s39
	v_mul_lo_u32 v6, v5, s44
	;; [unrolled: 1-line block ×4, first 2 shown]
	v_sub_u32_e32 v3, v3, v8
	v_mul_lo_u32 v8, v3, s47
	v_mul_lo_u32 v9, v3, s50
	v_mul_lo_u32 v3, v3, s51
	v_add3_u32 v0, v6, v0, v8
	v_add3_u32 v4, v7, v4, v9
	;; [unrolled: 1-line block ×3, first 2 shown]
	s_cbranch_scc0 .LBB109_113
; %bb.114:
	s_bitcmp1_b32 s42, 0
	s_cselect_b64 s[34:35], -1, 0
	s_and_b64 vcc, exec, s[34:35]
	s_cbranch_vccnz .LBB109_119
; %bb.115:
	s_load_dwordx2 s[34:35], s[30:31], 0x1c
	s_load_dword s38, s[30:31], 0x24
	s_load_dwordx2 s[36:37], s[30:31], 0xdc
	s_waitcnt lgkmcnt(0)
	v_mul_hi_u32 v3, s35, v1
	v_add_u32_e32 v3, v1, v3
	v_lshrrev_b32_e32 v3, s38, v3
	v_mul_lo_u32 v3, v3, s34
	s_load_dword s34, s[30:31], 0xe4
	v_sub_u32_e32 v3, v1, v3
	v_mad_u64_u32 v[0:1], s[30:31], v3, s36, v[0:1]
	v_mad_u64_u32 v[4:5], s[30:31], v3, s37, v[4:5]
	s_waitcnt lgkmcnt(0)
	v_mad_u64_u32 v[2:3], s[30:31], v3, s34, v[2:3]
	s_branch .LBB109_119
.LBB109_116:
	s_waitcnt vmcnt(0)
	v_cmp_lt_f32_e32 vcc, v1, v3
	s_andn2_b64 s[34:35], s[34:35], exec
	s_and_b64 s[36:37], vcc, exec
	s_or_b64 s[34:35], s[34:35], s[36:37]
	s_cbranch_execz .LBB109_108
	s_branch .LBB109_109
.LBB109_117:
                                        ; implicit-def: $vgpr0
                                        ; implicit-def: $vgpr4
                                        ; implicit-def: $vgpr2
	s_branch .LBB109_120
.LBB109_118:
	v_mov_b32_e32 v0, 0
	v_mov_b32_e32 v4, 0
	;; [unrolled: 1-line block ×3, first 2 shown]
.LBB109_119:
	s_cbranch_execnz .LBB109_122
.LBB109_120:
	s_waitcnt lgkmcnt(0)
	v_mul_hi_u32 v0, s9, v21
	s_andn2_b64 vcc, exec, s[24:25]
	v_add_u32_e32 v0, v21, v0
	v_lshrrev_b32_e32 v1, s10, v0
	v_mul_lo_u32 v0, v1, s8
	v_sub_u32_e32 v2, v21, v0
	v_mul_lo_u32 v0, v2, s4
	v_mul_lo_u32 v4, v2, s5
	;; [unrolled: 1-line block ×3, first 2 shown]
	s_cbranch_vccnz .LBB109_122
; %bb.121:
	s_waitcnt vmcnt(1)
	v_mul_hi_u32 v3, s22, v1
	v_add_u32_e32 v3, v1, v3
	v_lshrrev_b32_e32 v3, s23, v3
	v_mul_lo_u32 v3, v3, s11
	v_sub_u32_e32 v3, v1, v3
	v_mad_u64_u32 v[0:1], s[30:31], v3, s7, v[0:1]
	v_mad_u64_u32 v[4:5], s[30:31], v3, s20, v[4:5]
	v_mad_u64_u32 v[2:3], s[30:31], v3, s21, v[2:3]
.LBB109_122:
	s_waitcnt lgkmcnt(0)
	global_load_dword v1, v4, s[2:3]
	global_load_dword v3, v2, s[18:19]
	s_cmp_lt_i32 s41, 1
	s_mov_b64 s[30:31], 0
	s_cbranch_scc1 .LBB109_126
; %bb.123:
	s_cmp_gt_i32 s41, 1
	s_cbranch_scc0 .LBB109_127
; %bb.124:
	s_cmp_eq_u32 s41, 2
	s_cbranch_scc0 .LBB109_426
; %bb.125:
	s_waitcnt vmcnt(0)
	v_cmp_le_f32_e64 s[34:35], v1, v3
	s_mov_b64 s[36:37], 0
	s_branch .LBB109_129
.LBB109_126:
                                        ; implicit-def: $sgpr34_sgpr35
	s_mov_b64 s[36:37], 0
	s_cbranch_execnz .LBB109_130
	s_branch .LBB109_131
.LBB109_127:
	s_mov_b64 s[36:37], 0
                                        ; implicit-def: $sgpr34_sgpr35
	s_cbranch_execz .LBB109_129
; %bb.128:
	s_waitcnt vmcnt(0)
	v_cmp_gt_f32_e32 vcc, v1, v3
	s_andn2_b64 s[34:35], s[34:35], exec
	s_and_b64 s[38:39], vcc, exec
	s_or_b64 s[34:35], s[34:35], s[38:39]
.LBB109_129:
	s_branch .LBB109_131
.LBB109_130:
	s_cmp_lg_u32 s41, 0
	s_mov_b64 s[30:31], -1
	s_cselect_b64 s[36:37], -1, 0
.LBB109_131:
	s_andn2_b64 vcc, exec, s[36:37]
	s_cbranch_vccz .LBB109_141
; %bb.132:
	s_andn2_b64 vcc, exec, s[30:31]
	s_cbranch_vccnz .LBB109_134
.LBB109_133:
	s_waitcnt vmcnt(0)
	v_cmp_ge_f32_e32 vcc, v1, v3
	s_andn2_b64 s[30:31], s[34:35], exec
	s_and_b64 s[34:35], vcc, exec
	s_or_b64 s[34:35], s[30:31], s[34:35]
.LBB109_134:
	s_waitcnt vmcnt(1)
	v_cndmask_b32_e64 v1, 0, 1, s[34:35]
	v_add_u32_e32 v21, 0x80, v21
	global_store_byte v0, v1, s[0:1]
	s_or_b64 exec, exec, s[28:29]
	v_cmp_gt_i32_e32 vcc, s43, v21
	s_and_saveexec_b64 s[28:29], vcc
	s_cbranch_execz .LBB109_7
.LBB109_135:
	s_andn2_b64 vcc, exec, s[14:15]
	s_cbranch_vccnz .LBB109_142
; %bb.136:
	s_andn2_b64 vcc, exec, s[26:27]
	s_cbranch_vccnz .LBB109_143
; %bb.137:
	s_add_i32 s30, s42, 1
	s_and_b32 s34, s30, 30
	s_add_u32 s30, s12, 0xffffffe8
	s_addc_u32 s31, s13, -1
	v_mov_b32_e32 v2, 0
	v_mov_b32_e32 v4, 0
	;; [unrolled: 1-line block ×4, first 2 shown]
.LBB109_138:                            ; =>This Inner Loop Header: Depth=1
	s_load_dwordx4 s[36:39], s[30:31], 0x1c
	s_load_dwordx2 s[48:49], s[30:31], 0x2c
	s_load_dwordx2 s[50:51], s[30:31], 0xec
	s_load_dwordx4 s[44:47], s[30:31], 0xdc
	s_add_u32 s30, s30, 24
	s_waitcnt vmcnt(1) lgkmcnt(0)
	v_mul_hi_u32 v3, s37, v1
	s_addc_u32 s31, s31, 0
	s_add_i32 s34, s34, -2
	s_cmp_eq_u32 s34, 0
	v_add_u32_e32 v3, v1, v3
	v_lshrrev_b32_e32 v3, s38, v3
	v_mul_lo_u32 v5, v3, s36
	v_mul_hi_u32 v6, s48, v3
	v_sub_u32_e32 v5, v1, v5
	v_add_u32_e32 v1, v3, v6
	v_lshrrev_b32_e32 v1, s49, v1
	v_mul_lo_u32 v8, v1, s39
	v_mul_lo_u32 v6, v5, s44
	;; [unrolled: 1-line block ×4, first 2 shown]
	v_sub_u32_e32 v3, v3, v8
	v_mul_lo_u32 v8, v3, s47
	v_mul_lo_u32 v9, v3, s50
	;; [unrolled: 1-line block ×3, first 2 shown]
	v_add3_u32 v0, v6, v0, v8
	v_add3_u32 v4, v7, v4, v9
	;; [unrolled: 1-line block ×3, first 2 shown]
	s_cbranch_scc0 .LBB109_138
; %bb.139:
	s_bitcmp1_b32 s42, 0
	s_cselect_b64 s[34:35], -1, 0
	s_and_b64 vcc, exec, s[34:35]
	s_cbranch_vccnz .LBB109_144
; %bb.140:
	s_load_dwordx2 s[34:35], s[30:31], 0x1c
	s_load_dword s38, s[30:31], 0x24
	s_load_dwordx2 s[36:37], s[30:31], 0xdc
	s_waitcnt lgkmcnt(0)
	v_mul_hi_u32 v3, s35, v1
	v_add_u32_e32 v3, v1, v3
	v_lshrrev_b32_e32 v3, s38, v3
	v_mul_lo_u32 v3, v3, s34
	s_load_dword s34, s[30:31], 0xe4
	v_sub_u32_e32 v3, v1, v3
	v_mad_u64_u32 v[0:1], s[30:31], v3, s36, v[0:1]
	v_mad_u64_u32 v[4:5], s[30:31], v3, s37, v[4:5]
	s_waitcnt lgkmcnt(0)
	v_mad_u64_u32 v[2:3], s[30:31], v3, s34, v[2:3]
	s_branch .LBB109_144
.LBB109_141:
	s_waitcnt vmcnt(0)
	v_cmp_lt_f32_e32 vcc, v1, v3
	s_andn2_b64 s[34:35], s[34:35], exec
	s_and_b64 s[36:37], vcc, exec
	s_or_b64 s[34:35], s[34:35], s[36:37]
	s_cbranch_execz .LBB109_133
	s_branch .LBB109_134
.LBB109_142:
                                        ; implicit-def: $vgpr0
                                        ; implicit-def: $vgpr4
                                        ; implicit-def: $vgpr2
	s_branch .LBB109_145
.LBB109_143:
	v_mov_b32_e32 v0, 0
	v_mov_b32_e32 v4, 0
	;; [unrolled: 1-line block ×3, first 2 shown]
.LBB109_144:
	s_cbranch_execnz .LBB109_147
.LBB109_145:
	s_waitcnt lgkmcnt(0)
	v_mul_hi_u32 v0, s9, v21
	s_andn2_b64 vcc, exec, s[24:25]
	v_add_u32_e32 v0, v21, v0
	v_lshrrev_b32_e32 v1, s10, v0
	v_mul_lo_u32 v0, v1, s8
	v_sub_u32_e32 v2, v21, v0
	v_mul_lo_u32 v0, v2, s4
	v_mul_lo_u32 v4, v2, s5
	;; [unrolled: 1-line block ×3, first 2 shown]
	s_cbranch_vccnz .LBB109_147
; %bb.146:
	s_waitcnt vmcnt(1)
	v_mul_hi_u32 v3, s22, v1
	v_add_u32_e32 v3, v1, v3
	v_lshrrev_b32_e32 v3, s23, v3
	v_mul_lo_u32 v3, v3, s11
	v_sub_u32_e32 v3, v1, v3
	v_mad_u64_u32 v[0:1], s[30:31], v3, s7, v[0:1]
	v_mad_u64_u32 v[4:5], s[30:31], v3, s20, v[4:5]
	;; [unrolled: 1-line block ×3, first 2 shown]
.LBB109_147:
	s_waitcnt lgkmcnt(0)
	global_load_dword v1, v4, s[2:3]
	global_load_dword v3, v2, s[18:19]
	s_cmp_lt_i32 s41, 1
	s_mov_b64 s[30:31], 0
	s_cbranch_scc1 .LBB109_151
; %bb.148:
	s_cmp_gt_i32 s41, 1
	s_cbranch_scc0 .LBB109_152
; %bb.149:
	s_cmp_eq_u32 s41, 2
	s_cbranch_scc0 .LBB109_427
; %bb.150:
	s_waitcnt vmcnt(0)
	v_cmp_le_f32_e64 s[34:35], v1, v3
	s_mov_b64 s[36:37], 0
	s_branch .LBB109_154
.LBB109_151:
                                        ; implicit-def: $sgpr34_sgpr35
	s_mov_b64 s[36:37], 0
	s_cbranch_execnz .LBB109_155
	s_branch .LBB109_156
.LBB109_152:
	s_mov_b64 s[36:37], 0
                                        ; implicit-def: $sgpr34_sgpr35
	s_cbranch_execz .LBB109_154
; %bb.153:
	s_waitcnt vmcnt(0)
	v_cmp_gt_f32_e32 vcc, v1, v3
	s_andn2_b64 s[34:35], s[34:35], exec
	s_and_b64 s[38:39], vcc, exec
	s_or_b64 s[34:35], s[34:35], s[38:39]
.LBB109_154:
	s_branch .LBB109_156
.LBB109_155:
	s_cmp_lg_u32 s41, 0
	s_mov_b64 s[30:31], -1
	s_cselect_b64 s[36:37], -1, 0
.LBB109_156:
	s_andn2_b64 vcc, exec, s[36:37]
	s_cbranch_vccz .LBB109_166
; %bb.157:
	s_andn2_b64 vcc, exec, s[30:31]
	s_cbranch_vccnz .LBB109_159
.LBB109_158:
	s_waitcnt vmcnt(0)
	v_cmp_ge_f32_e32 vcc, v1, v3
	s_andn2_b64 s[30:31], s[34:35], exec
	s_and_b64 s[34:35], vcc, exec
	s_or_b64 s[34:35], s[30:31], s[34:35]
.LBB109_159:
	s_waitcnt vmcnt(1)
	v_cndmask_b32_e64 v1, 0, 1, s[34:35]
	v_add_u32_e32 v21, 0x80, v21
	global_store_byte v0, v1, s[0:1]
	s_or_b64 exec, exec, s[28:29]
	v_cmp_gt_i32_e32 vcc, s43, v21
	s_and_saveexec_b64 s[28:29], vcc
	s_cbranch_execz .LBB109_8
.LBB109_160:
	s_andn2_b64 vcc, exec, s[14:15]
	s_cbranch_vccnz .LBB109_167
; %bb.161:
	s_andn2_b64 vcc, exec, s[26:27]
	s_cbranch_vccnz .LBB109_168
; %bb.162:
	s_add_i32 s30, s42, 1
	s_and_b32 s34, s30, 30
	s_add_u32 s30, s12, 0xffffffe8
	s_addc_u32 s31, s13, -1
	v_mov_b32_e32 v2, 0
	v_mov_b32_e32 v4, 0
	;; [unrolled: 1-line block ×4, first 2 shown]
.LBB109_163:                            ; =>This Inner Loop Header: Depth=1
	s_load_dwordx4 s[36:39], s[30:31], 0x1c
	s_load_dwordx2 s[48:49], s[30:31], 0x2c
	s_load_dwordx2 s[50:51], s[30:31], 0xec
	s_load_dwordx4 s[44:47], s[30:31], 0xdc
	s_add_u32 s30, s30, 24
	s_waitcnt vmcnt(1) lgkmcnt(0)
	v_mul_hi_u32 v3, s37, v1
	s_addc_u32 s31, s31, 0
	s_add_i32 s34, s34, -2
	s_cmp_eq_u32 s34, 0
	v_add_u32_e32 v3, v1, v3
	v_lshrrev_b32_e32 v3, s38, v3
	v_mul_lo_u32 v5, v3, s36
	v_mul_hi_u32 v6, s48, v3
	v_sub_u32_e32 v5, v1, v5
	v_add_u32_e32 v1, v3, v6
	v_lshrrev_b32_e32 v1, s49, v1
	v_mul_lo_u32 v8, v1, s39
	v_mul_lo_u32 v6, v5, s44
	;; [unrolled: 1-line block ×4, first 2 shown]
	v_sub_u32_e32 v3, v3, v8
	v_mul_lo_u32 v8, v3, s47
	v_mul_lo_u32 v9, v3, s50
	;; [unrolled: 1-line block ×3, first 2 shown]
	v_add3_u32 v0, v6, v0, v8
	v_add3_u32 v4, v7, v4, v9
	;; [unrolled: 1-line block ×3, first 2 shown]
	s_cbranch_scc0 .LBB109_163
; %bb.164:
	s_bitcmp1_b32 s42, 0
	s_cselect_b64 s[34:35], -1, 0
	s_and_b64 vcc, exec, s[34:35]
	s_cbranch_vccnz .LBB109_169
; %bb.165:
	s_load_dwordx2 s[34:35], s[30:31], 0x1c
	s_load_dword s38, s[30:31], 0x24
	s_load_dwordx2 s[36:37], s[30:31], 0xdc
	s_waitcnt lgkmcnt(0)
	v_mul_hi_u32 v3, s35, v1
	v_add_u32_e32 v3, v1, v3
	v_lshrrev_b32_e32 v3, s38, v3
	v_mul_lo_u32 v3, v3, s34
	s_load_dword s34, s[30:31], 0xe4
	v_sub_u32_e32 v3, v1, v3
	v_mad_u64_u32 v[0:1], s[30:31], v3, s36, v[0:1]
	v_mad_u64_u32 v[4:5], s[30:31], v3, s37, v[4:5]
	s_waitcnt lgkmcnt(0)
	v_mad_u64_u32 v[2:3], s[30:31], v3, s34, v[2:3]
	s_branch .LBB109_169
.LBB109_166:
	s_waitcnt vmcnt(0)
	v_cmp_lt_f32_e32 vcc, v1, v3
	s_andn2_b64 s[34:35], s[34:35], exec
	s_and_b64 s[36:37], vcc, exec
	s_or_b64 s[34:35], s[34:35], s[36:37]
	s_cbranch_execz .LBB109_158
	s_branch .LBB109_159
.LBB109_167:
                                        ; implicit-def: $vgpr0
                                        ; implicit-def: $vgpr4
                                        ; implicit-def: $vgpr2
	s_branch .LBB109_170
.LBB109_168:
	v_mov_b32_e32 v0, 0
	v_mov_b32_e32 v4, 0
	;; [unrolled: 1-line block ×3, first 2 shown]
.LBB109_169:
	s_cbranch_execnz .LBB109_172
.LBB109_170:
	s_waitcnt lgkmcnt(0)
	v_mul_hi_u32 v0, s9, v21
	s_andn2_b64 vcc, exec, s[24:25]
	v_add_u32_e32 v0, v21, v0
	v_lshrrev_b32_e32 v1, s10, v0
	v_mul_lo_u32 v0, v1, s8
	v_sub_u32_e32 v2, v21, v0
	v_mul_lo_u32 v0, v2, s4
	v_mul_lo_u32 v4, v2, s5
	v_mul_lo_u32 v2, v2, s6
	s_cbranch_vccnz .LBB109_172
; %bb.171:
	s_waitcnt vmcnt(1)
	v_mul_hi_u32 v3, s22, v1
	v_add_u32_e32 v3, v1, v3
	v_lshrrev_b32_e32 v3, s23, v3
	v_mul_lo_u32 v3, v3, s11
	v_sub_u32_e32 v3, v1, v3
	v_mad_u64_u32 v[0:1], s[30:31], v3, s7, v[0:1]
	v_mad_u64_u32 v[4:5], s[30:31], v3, s20, v[4:5]
	;; [unrolled: 1-line block ×3, first 2 shown]
.LBB109_172:
	s_waitcnt lgkmcnt(0)
	global_load_dword v1, v4, s[2:3]
	global_load_dword v3, v2, s[18:19]
	s_cmp_lt_i32 s41, 1
	s_mov_b64 s[30:31], 0
	s_cbranch_scc1 .LBB109_176
; %bb.173:
	s_cmp_gt_i32 s41, 1
	s_cbranch_scc0 .LBB109_177
; %bb.174:
	s_cmp_eq_u32 s41, 2
	s_cbranch_scc0 .LBB109_428
; %bb.175:
	s_waitcnt vmcnt(0)
	v_cmp_le_f32_e64 s[34:35], v1, v3
	s_mov_b64 s[36:37], 0
	s_branch .LBB109_179
.LBB109_176:
                                        ; implicit-def: $sgpr34_sgpr35
	s_mov_b64 s[36:37], 0
	s_cbranch_execnz .LBB109_180
	s_branch .LBB109_181
.LBB109_177:
	s_mov_b64 s[36:37], 0
                                        ; implicit-def: $sgpr34_sgpr35
	s_cbranch_execz .LBB109_179
; %bb.178:
	s_waitcnt vmcnt(0)
	v_cmp_gt_f32_e32 vcc, v1, v3
	s_andn2_b64 s[34:35], s[34:35], exec
	s_and_b64 s[38:39], vcc, exec
	s_or_b64 s[34:35], s[34:35], s[38:39]
.LBB109_179:
	s_branch .LBB109_181
.LBB109_180:
	s_cmp_lg_u32 s41, 0
	s_mov_b64 s[30:31], -1
	s_cselect_b64 s[36:37], -1, 0
.LBB109_181:
	s_andn2_b64 vcc, exec, s[36:37]
	s_cbranch_vccz .LBB109_191
; %bb.182:
	s_andn2_b64 vcc, exec, s[30:31]
	s_cbranch_vccnz .LBB109_184
.LBB109_183:
	s_waitcnt vmcnt(0)
	v_cmp_ge_f32_e32 vcc, v1, v3
	s_andn2_b64 s[30:31], s[34:35], exec
	s_and_b64 s[34:35], vcc, exec
	s_or_b64 s[34:35], s[30:31], s[34:35]
.LBB109_184:
	s_waitcnt vmcnt(1)
	v_cndmask_b32_e64 v1, 0, 1, s[34:35]
	v_add_u32_e32 v21, 0x80, v21
	global_store_byte v0, v1, s[0:1]
	s_or_b64 exec, exec, s[28:29]
	v_cmp_gt_i32_e32 vcc, s43, v21
	s_and_saveexec_b64 s[28:29], vcc
	s_cbranch_execz .LBB109_210
.LBB109_185:
	s_andn2_b64 vcc, exec, s[14:15]
	s_cbranch_vccnz .LBB109_192
; %bb.186:
	s_andn2_b64 vcc, exec, s[26:27]
	s_cbranch_vccnz .LBB109_193
; %bb.187:
	s_add_i32 s26, s42, 1
	s_and_b32 s30, s26, 30
	s_add_u32 s26, s12, 0xffffffe8
	s_addc_u32 s27, s13, -1
	v_mov_b32_e32 v2, 0
	v_mov_b32_e32 v4, 0
	;; [unrolled: 1-line block ×4, first 2 shown]
.LBB109_188:                            ; =>This Inner Loop Header: Depth=1
	s_load_dwordx4 s[36:39], s[26:27], 0x1c
	s_load_dwordx2 s[34:35], s[26:27], 0x2c
	s_load_dwordx2 s[48:49], s[26:27], 0xec
	s_load_dwordx4 s[44:47], s[26:27], 0xdc
	s_add_u32 s26, s26, 24
	s_waitcnt vmcnt(1) lgkmcnt(0)
	v_mul_hi_u32 v3, s37, v1
	s_addc_u32 s27, s27, 0
	s_add_i32 s30, s30, -2
	s_cmp_eq_u32 s30, 0
	v_add_u32_e32 v3, v1, v3
	v_lshrrev_b32_e32 v3, s38, v3
	v_mul_lo_u32 v5, v3, s36
	v_mul_hi_u32 v6, s34, v3
	v_sub_u32_e32 v5, v1, v5
	v_add_u32_e32 v1, v3, v6
	v_lshrrev_b32_e32 v1, s35, v1
	v_mul_lo_u32 v8, v1, s39
	v_mul_lo_u32 v6, v5, s44
	;; [unrolled: 1-line block ×4, first 2 shown]
	v_sub_u32_e32 v3, v3, v8
	v_mul_lo_u32 v8, v3, s47
	v_mul_lo_u32 v9, v3, s48
	;; [unrolled: 1-line block ×3, first 2 shown]
	v_add3_u32 v0, v6, v0, v8
	v_add3_u32 v4, v7, v4, v9
	;; [unrolled: 1-line block ×3, first 2 shown]
	s_cbranch_scc0 .LBB109_188
; %bb.189:
	s_bitcmp1_b32 s42, 0
	s_cselect_b64 s[30:31], -1, 0
	s_and_b64 vcc, exec, s[30:31]
	s_cbranch_vccnz .LBB109_194
; %bb.190:
	s_load_dwordx2 s[30:31], s[26:27], 0x1c
	s_load_dword s36, s[26:27], 0x24
	s_load_dwordx2 s[34:35], s[26:27], 0xdc
	s_waitcnt lgkmcnt(0)
	v_mul_hi_u32 v3, s31, v1
	v_add_u32_e32 v3, v1, v3
	v_lshrrev_b32_e32 v3, s36, v3
	v_mul_lo_u32 v3, v3, s30
	s_load_dword s30, s[26:27], 0xe4
	v_sub_u32_e32 v3, v1, v3
	v_mad_u64_u32 v[0:1], s[26:27], v3, s34, v[0:1]
	v_mad_u64_u32 v[4:5], s[26:27], v3, s35, v[4:5]
	s_waitcnt lgkmcnt(0)
	v_mad_u64_u32 v[2:3], s[26:27], v3, s30, v[2:3]
	s_branch .LBB109_194
.LBB109_191:
	s_waitcnt vmcnt(0)
	v_cmp_lt_f32_e32 vcc, v1, v3
	s_andn2_b64 s[34:35], s[34:35], exec
	s_and_b64 s[36:37], vcc, exec
	s_or_b64 s[34:35], s[34:35], s[36:37]
	s_cbranch_execz .LBB109_183
	s_branch .LBB109_184
.LBB109_192:
                                        ; implicit-def: $vgpr0
                                        ; implicit-def: $vgpr4
                                        ; implicit-def: $vgpr2
	s_branch .LBB109_195
.LBB109_193:
	v_mov_b32_e32 v0, 0
	v_mov_b32_e32 v4, 0
	;; [unrolled: 1-line block ×3, first 2 shown]
.LBB109_194:
	s_cbranch_execnz .LBB109_197
.LBB109_195:
	s_waitcnt lgkmcnt(0)
	v_mul_hi_u32 v0, s9, v21
	s_andn2_b64 vcc, exec, s[24:25]
	v_add_u32_e32 v0, v21, v0
	v_lshrrev_b32_e32 v1, s10, v0
	v_mul_lo_u32 v0, v1, s8
	v_sub_u32_e32 v2, v21, v0
	v_mul_lo_u32 v0, v2, s4
	v_mul_lo_u32 v4, v2, s5
	v_mul_lo_u32 v2, v2, s6
	s_cbranch_vccnz .LBB109_197
; %bb.196:
	s_waitcnt vmcnt(1)
	v_mul_hi_u32 v3, s22, v1
	v_add_u32_e32 v3, v1, v3
	v_lshrrev_b32_e32 v3, s23, v3
	v_mul_lo_u32 v3, v3, s11
	v_sub_u32_e32 v3, v1, v3
	v_mad_u64_u32 v[0:1], s[4:5], v3, s7, v[0:1]
	v_mad_u64_u32 v[4:5], s[4:5], v3, s20, v[4:5]
	v_mad_u64_u32 v[2:3], s[4:5], v3, s21, v[2:3]
.LBB109_197:
	s_waitcnt lgkmcnt(0)
	global_load_dword v1, v4, s[2:3]
	global_load_dword v3, v2, s[18:19]
	s_cmp_lt_i32 s41, 1
	s_mov_b64 s[2:3], 0
	s_cbranch_scc1 .LBB109_201
; %bb.198:
	s_cmp_gt_i32 s41, 1
	s_cbranch_scc0 .LBB109_202
; %bb.199:
	s_cmp_eq_u32 s41, 2
	s_cbranch_scc0 .LBB109_429
; %bb.200:
	s_waitcnt vmcnt(0)
	v_cmp_le_f32_e64 s[4:5], v1, v3
	s_mov_b64 s[6:7], 0
	s_branch .LBB109_204
.LBB109_201:
                                        ; implicit-def: $sgpr4_sgpr5
	s_mov_b64 s[6:7], 0
	s_cbranch_execnz .LBB109_205
	s_branch .LBB109_206
.LBB109_202:
	s_mov_b64 s[6:7], 0
                                        ; implicit-def: $sgpr4_sgpr5
	s_cbranch_execz .LBB109_204
; %bb.203:
	s_waitcnt vmcnt(0)
	v_cmp_gt_f32_e32 vcc, v1, v3
	s_andn2_b64 s[4:5], s[4:5], exec
	s_and_b64 s[8:9], vcc, exec
	s_or_b64 s[4:5], s[4:5], s[8:9]
.LBB109_204:
	s_branch .LBB109_206
.LBB109_205:
	s_cmp_lg_u32 s41, 0
	s_mov_b64 s[2:3], -1
	s_cselect_b64 s[6:7], -1, 0
.LBB109_206:
	s_andn2_b64 vcc, exec, s[6:7]
	s_cbranch_vccz .LBB109_220
; %bb.207:
	s_andn2_b64 vcc, exec, s[2:3]
	s_cbranch_vccnz .LBB109_209
.LBB109_208:
	s_waitcnt vmcnt(0)
	v_cmp_ge_f32_e32 vcc, v1, v3
	s_andn2_b64 s[2:3], s[4:5], exec
	s_and_b64 s[4:5], vcc, exec
	s_or_b64 s[4:5], s[2:3], s[4:5]
.LBB109_209:
	s_waitcnt vmcnt(1)
	v_cndmask_b32_e64 v1, 0, 1, s[4:5]
	global_store_byte v0, v1, s[0:1]
.LBB109_210:
	s_or_b64 exec, exec, s[28:29]
                                        ; implicit-def: $vgpr37
                                        ; implicit-def: $vgpr21
.LBB109_211:
	s_waitcnt lgkmcnt(0)
	s_andn2_saveexec_b64 s[0:1], s[16:17]
	s_cbranch_execz .LBB109_218
; %bb.212:
	v_cndmask_b32_e64 v0, 0, 1, s[14:15]
	v_cmp_ne_u32_e64 s[0:1], 1, v0
	s_andn2_b64 vcc, exec, s[14:15]
	s_cbranch_vccnz .LBB109_219
; %bb.213:
	s_cmp_lg_u32 s33, 0
	s_cbranch_scc0 .LBB109_221
; %bb.214:
	s_min_u32 s4, s40, 15
	s_add_i32 s2, s4, 1
	s_and_b32 s5, s2, 30
	s_add_u32 s2, s12, 0xffffffe8
	s_addc_u32 s3, s13, -1
	v_mov_b32_e32 v6, 0
	v_mov_b32_e32 v8, 0
	;; [unrolled: 1-line block ×4, first 2 shown]
.LBB109_215:                            ; =>This Inner Loop Header: Depth=1
	s_load_dwordx4 s[8:11], s[2:3], 0x1c
	s_load_dwordx2 s[6:7], s[2:3], 0x2c
	s_load_dwordx2 s[14:15], s[2:3], 0xec
	s_load_dwordx4 s[16:19], s[2:3], 0xdc
	s_add_u32 s2, s2, 24
	s_waitcnt lgkmcnt(0)
	v_mul_hi_u32 v2, s9, v1
	s_addc_u32 s3, s3, 0
	s_add_i32 s5, s5, -2
	s_cmp_lg_u32 s5, 0
	v_add_u32_e32 v2, v1, v2
	v_lshrrev_b32_e32 v2, s10, v2
	s_waitcnt vmcnt(1)
	v_mul_lo_u32 v3, v2, s8
	v_mul_hi_u32 v4, s6, v2
	v_sub_u32_e32 v3, v1, v3
	v_add_u32_e32 v1, v2, v4
	v_lshrrev_b32_e32 v1, s7, v1
	v_mul_lo_u32 v7, v1, s11
	v_mul_lo_u32 v4, v3, s16
	;; [unrolled: 1-line block ×4, first 2 shown]
	v_sub_u32_e32 v2, v2, v7
	v_mul_lo_u32 v7, v2, s19
	v_mul_lo_u32 v9, v2, s14
	;; [unrolled: 1-line block ×3, first 2 shown]
	v_add3_u32 v0, v4, v0, v7
	v_add3_u32 v8, v5, v8, v9
	;; [unrolled: 1-line block ×3, first 2 shown]
	s_cbranch_scc1 .LBB109_215
; %bb.216:
	s_bitcmp1_b32 s4, 0
	s_cselect_b64 s[4:5], -1, 0
	s_and_b64 vcc, exec, s[4:5]
	s_cbranch_vccnz .LBB109_222
; %bb.217:
	s_load_dwordx2 s[4:5], s[2:3], 0x1c
	s_load_dword s8, s[2:3], 0x24
	s_load_dwordx2 s[6:7], s[2:3], 0xdc
	s_waitcnt lgkmcnt(0)
	v_mul_hi_u32 v2, s5, v1
	v_add_u32_e32 v2, v1, v2
	v_lshrrev_b32_e32 v2, s8, v2
	v_mul_lo_u32 v2, v2, s4
	s_load_dword s4, s[2:3], 0xe4
	v_sub_u32_e32 v2, v1, v2
	v_mad_u64_u32 v[0:1], s[2:3], v2, s6, v[0:1]
	v_mad_u64_u32 v[8:9], s[2:3], v2, s7, v[8:9]
	s_waitcnt lgkmcnt(0)
	v_mad_u64_u32 v[6:7], s[2:3], v2, s4, v[6:7]
	s_cbranch_execz .LBB109_223
	s_branch .LBB109_225
.LBB109_218:
	s_endpgm
.LBB109_219:
                                        ; implicit-def: $vgpr0
                                        ; implicit-def: $vgpr8
                                        ; implicit-def: $vgpr6
	s_branch .LBB109_223
.LBB109_220:
	s_waitcnt vmcnt(0)
	v_cmp_lt_f32_e32 vcc, v1, v3
	s_andn2_b64 s[4:5], s[4:5], exec
	s_and_b64 s[6:7], vcc, exec
	s_or_b64 s[4:5], s[4:5], s[6:7]
	s_cbranch_execz .LBB109_208
	s_branch .LBB109_209
.LBB109_221:
	v_mov_b32_e32 v0, 0
	v_mov_b32_e32 v8, 0
	;; [unrolled: 1-line block ×3, first 2 shown]
.LBB109_222:
	s_cbranch_execnz .LBB109_225
.LBB109_223:
	s_load_dwordx4 s[4:7], s[12:13], 0x4
	s_load_dwordx4 s[8:11], s[12:13], 0xc4
	s_cmp_lt_u32 s33, 2
	s_waitcnt lgkmcnt(0)
	v_mul_hi_u32 v0, s5, v21
	v_add_u32_e32 v0, v21, v0
	v_lshrrev_b32_e32 v1, s6, v0
	v_mul_lo_u32 v0, v1, s4
	v_sub_u32_e32 v2, v21, v0
	v_mul_lo_u32 v0, v2, s8
	v_mul_lo_u32 v8, v2, s9
	;; [unrolled: 1-line block ×3, first 2 shown]
	s_cbranch_scc1 .LBB109_225
; %bb.224:
	s_load_dwordx4 s[4:7], s[12:13], 0x10
	s_load_dwordx4 s[8:11], s[12:13], 0xd0
	s_waitcnt lgkmcnt(0)
	v_mul_hi_u32 v2, s5, v1
	v_add_u32_e32 v2, v1, v2
	v_lshrrev_b32_e32 v2, s6, v2
	v_mul_lo_u32 v2, v2, s4
	v_sub_u32_e32 v2, v1, v2
	v_mad_u64_u32 v[0:1], s[2:3], v2, s8, v[0:1]
	v_mad_u64_u32 v[8:9], s[2:3], v2, s9, v[8:9]
	;; [unrolled: 1-line block ×3, first 2 shown]
.LBB109_225:
	s_and_b64 vcc, exec, s[0:1]
	s_waitcnt vmcnt(1)
	v_add_u32_e32 v3, 0x80, v21
	s_cbranch_vccnz .LBB109_231
; %bb.226:
	s_cmp_lg_u32 s33, 0
	s_cbranch_scc0 .LBB109_232
; %bb.227:
	s_min_u32 s4, s40, 15
	s_add_i32 s2, s4, 1
	s_and_b32 s5, s2, 30
	s_add_u32 s2, s12, 0xffffffe8
	s_addc_u32 s3, s13, -1
	v_mov_b32_e32 v9, 0
	v_mov_b32_e32 v11, 0
	;; [unrolled: 1-line block ×4, first 2 shown]
.LBB109_228:                            ; =>This Inner Loop Header: Depth=1
	s_load_dwordx4 s[8:11], s[2:3], 0x1c
	s_load_dwordx2 s[6:7], s[2:3], 0x2c
	s_load_dwordx2 s[14:15], s[2:3], 0xec
	s_load_dwordx4 s[16:19], s[2:3], 0xdc
	s_add_u32 s2, s2, 24
	s_waitcnt lgkmcnt(0)
	v_mul_hi_u32 v4, s9, v2
	s_addc_u32 s3, s3, 0
	s_add_i32 s5, s5, -2
	s_cmp_lg_u32 s5, 0
	v_add_u32_e32 v4, v2, v4
	v_lshrrev_b32_e32 v4, s10, v4
	v_mul_lo_u32 v5, v4, s8
	v_mul_hi_u32 v7, s6, v4
	v_sub_u32_e32 v5, v2, v5
	v_add_u32_e32 v2, v4, v7
	v_lshrrev_b32_e32 v2, s7, v2
	v_mul_lo_u32 v12, v2, s11
	v_mul_lo_u32 v7, v5, s16
	;; [unrolled: 1-line block ×4, first 2 shown]
	v_sub_u32_e32 v4, v4, v12
	v_mul_lo_u32 v12, v4, s19
	v_mul_lo_u32 v13, v4, s14
	;; [unrolled: 1-line block ×3, first 2 shown]
	v_add3_u32 v1, v7, v1, v12
	v_add3_u32 v11, v10, v11, v13
	;; [unrolled: 1-line block ×3, first 2 shown]
	s_cbranch_scc1 .LBB109_228
; %bb.229:
	s_bitcmp1_b32 s4, 0
	s_cselect_b64 s[4:5], -1, 0
	s_and_b64 vcc, exec, s[4:5]
	s_cbranch_vccnz .LBB109_233
; %bb.230:
	s_load_dwordx2 s[4:5], s[2:3], 0x1c
	s_load_dword s8, s[2:3], 0x24
	s_load_dwordx2 s[6:7], s[2:3], 0xdc
	s_waitcnt lgkmcnt(0)
	v_mul_hi_u32 v4, s5, v2
	v_add_u32_e32 v4, v2, v4
	v_lshrrev_b32_e32 v4, s8, v4
	v_mul_lo_u32 v4, v4, s4
	s_load_dword s4, s[2:3], 0xe4
	v_sub_u32_e32 v4, v2, v4
	v_mad_u64_u32 v[1:2], s[2:3], v4, s6, v[1:2]
	v_mad_u64_u32 v[11:12], s[2:3], v4, s7, v[11:12]
	s_waitcnt lgkmcnt(0)
	v_mad_u64_u32 v[9:10], s[2:3], v4, s4, v[9:10]
	s_cbranch_execz .LBB109_234
	s_branch .LBB109_236
.LBB109_231:
                                        ; implicit-def: $vgpr1
                                        ; implicit-def: $vgpr11
                                        ; implicit-def: $vgpr9
	s_branch .LBB109_234
.LBB109_232:
	v_mov_b32_e32 v1, 0
	v_mov_b32_e32 v11, 0
	;; [unrolled: 1-line block ×3, first 2 shown]
.LBB109_233:
	s_cbranch_execnz .LBB109_236
.LBB109_234:
	s_load_dwordx4 s[4:7], s[12:13], 0x4
	s_load_dwordx4 s[8:11], s[12:13], 0xc4
	s_cmp_lt_u32 s33, 2
	s_waitcnt lgkmcnt(0)
	v_mul_hi_u32 v1, s5, v3
	v_add_u32_e32 v1, v3, v1
	v_lshrrev_b32_e32 v2, s6, v1
	v_mul_lo_u32 v1, v2, s4
	v_sub_u32_e32 v3, v3, v1
	v_mul_lo_u32 v1, v3, s8
	v_mul_lo_u32 v11, v3, s9
	v_mul_lo_u32 v9, v3, s10
	s_cbranch_scc1 .LBB109_236
; %bb.235:
	s_load_dwordx4 s[4:7], s[12:13], 0x10
	s_load_dwordx4 s[8:11], s[12:13], 0xd0
	s_waitcnt lgkmcnt(0)
	v_mul_hi_u32 v3, s5, v2
	v_add_u32_e32 v3, v2, v3
	v_lshrrev_b32_e32 v3, s6, v3
	v_mul_lo_u32 v3, v3, s4
	v_sub_u32_e32 v3, v2, v3
	v_mad_u64_u32 v[1:2], s[2:3], v3, s8, v[1:2]
	v_mad_u64_u32 v[11:12], s[2:3], v3, s9, v[11:12]
	;; [unrolled: 1-line block ×3, first 2 shown]
.LBB109_236:
	s_and_b64 vcc, exec, s[0:1]
	v_add_u32_e32 v4, 0x100, v21
	s_cbranch_vccnz .LBB109_242
; %bb.237:
	s_cmp_lg_u32 s33, 0
	s_cbranch_scc0 .LBB109_243
; %bb.238:
	s_min_u32 s4, s40, 15
	s_add_i32 s2, s4, 1
	s_and_b32 s5, s2, 30
	s_add_u32 s2, s12, 0xffffffe8
	s_addc_u32 s3, s13, -1
	v_mov_b32_e32 v14, 0
	v_mov_b32_e32 v16, 0
	;; [unrolled: 1-line block ×4, first 2 shown]
.LBB109_239:                            ; =>This Inner Loop Header: Depth=1
	s_load_dwordx4 s[8:11], s[2:3], 0x1c
	s_load_dwordx2 s[6:7], s[2:3], 0x2c
	s_load_dwordx2 s[14:15], s[2:3], 0xec
	s_load_dwordx4 s[16:19], s[2:3], 0xdc
	s_add_u32 s2, s2, 24
	s_waitcnt lgkmcnt(0)
	v_mul_hi_u32 v5, s9, v3
	s_addc_u32 s3, s3, 0
	s_add_i32 s5, s5, -2
	s_cmp_lg_u32 s5, 0
	v_add_u32_e32 v5, v3, v5
	v_lshrrev_b32_e32 v5, s10, v5
	v_mul_lo_u32 v7, v5, s8
	v_mul_hi_u32 v10, s6, v5
	v_sub_u32_e32 v7, v3, v7
	v_add_u32_e32 v3, v5, v10
	v_lshrrev_b32_e32 v3, s7, v3
	v_mul_lo_u32 v13, v3, s11
	v_mul_lo_u32 v10, v7, s16
	;; [unrolled: 1-line block ×4, first 2 shown]
	v_sub_u32_e32 v5, v5, v13
	v_mul_lo_u32 v13, v5, s19
	v_mul_lo_u32 v15, v5, s14
	;; [unrolled: 1-line block ×3, first 2 shown]
	v_add3_u32 v2, v10, v2, v13
	v_add3_u32 v16, v12, v16, v15
	;; [unrolled: 1-line block ×3, first 2 shown]
	s_cbranch_scc1 .LBB109_239
; %bb.240:
	s_bitcmp1_b32 s4, 0
	s_cselect_b64 s[4:5], -1, 0
	s_and_b64 vcc, exec, s[4:5]
	s_cbranch_vccnz .LBB109_244
; %bb.241:
	s_load_dwordx2 s[4:5], s[2:3], 0x1c
	s_load_dword s8, s[2:3], 0x24
	s_load_dwordx2 s[6:7], s[2:3], 0xdc
	s_waitcnt lgkmcnt(0)
	v_mul_hi_u32 v5, s5, v3
	v_add_u32_e32 v5, v3, v5
	v_lshrrev_b32_e32 v5, s8, v5
	v_mul_lo_u32 v5, v5, s4
	s_load_dword s4, s[2:3], 0xe4
	v_sub_u32_e32 v5, v3, v5
	v_mad_u64_u32 v[2:3], s[2:3], v5, s6, v[2:3]
	v_mad_u64_u32 v[16:17], s[2:3], v5, s7, v[16:17]
	s_waitcnt lgkmcnt(0)
	v_mad_u64_u32 v[14:15], s[2:3], v5, s4, v[14:15]
	s_cbranch_execz .LBB109_245
	s_branch .LBB109_247
.LBB109_242:
                                        ; implicit-def: $vgpr2
                                        ; implicit-def: $vgpr16
                                        ; implicit-def: $vgpr14
	s_branch .LBB109_245
.LBB109_243:
	v_mov_b32_e32 v2, 0
	v_mov_b32_e32 v16, 0
	;; [unrolled: 1-line block ×3, first 2 shown]
.LBB109_244:
	s_cbranch_execnz .LBB109_247
.LBB109_245:
	s_load_dwordx4 s[4:7], s[12:13], 0x4
	s_load_dwordx4 s[8:11], s[12:13], 0xc4
	s_cmp_lt_u32 s33, 2
	s_waitcnt lgkmcnt(0)
	v_mul_hi_u32 v2, s5, v4
	v_add_u32_e32 v2, v4, v2
	v_lshrrev_b32_e32 v3, s6, v2
	v_mul_lo_u32 v2, v3, s4
	v_sub_u32_e32 v4, v4, v2
	v_mul_lo_u32 v2, v4, s8
	v_mul_lo_u32 v16, v4, s9
	;; [unrolled: 1-line block ×3, first 2 shown]
	s_cbranch_scc1 .LBB109_247
; %bb.246:
	s_load_dwordx4 s[4:7], s[12:13], 0x10
	s_load_dwordx4 s[8:11], s[12:13], 0xd0
	s_waitcnt lgkmcnt(0)
	v_mul_hi_u32 v4, s5, v3
	v_add_u32_e32 v4, v3, v4
	v_lshrrev_b32_e32 v4, s6, v4
	v_mul_lo_u32 v4, v4, s4
	v_sub_u32_e32 v4, v3, v4
	v_mad_u64_u32 v[2:3], s[2:3], v4, s8, v[2:3]
	v_mad_u64_u32 v[16:17], s[2:3], v4, s9, v[16:17]
	;; [unrolled: 1-line block ×3, first 2 shown]
.LBB109_247:
	s_and_b64 vcc, exec, s[0:1]
	v_add_u32_e32 v5, 0x180, v21
	s_cbranch_vccnz .LBB109_253
; %bb.248:
	s_cmp_lg_u32 s33, 0
	s_cbranch_scc0 .LBB109_254
; %bb.249:
	s_min_u32 s4, s40, 15
	s_add_i32 s2, s4, 1
	s_and_b32 s5, s2, 30
	s_add_u32 s2, s12, 0xffffffe8
	s_addc_u32 s3, s13, -1
	v_mov_b32_e32 v17, 0
	v_mov_b32_e32 v19, 0
	;; [unrolled: 1-line block ×4, first 2 shown]
.LBB109_250:                            ; =>This Inner Loop Header: Depth=1
	s_load_dwordx4 s[8:11], s[2:3], 0x1c
	s_load_dwordx2 s[6:7], s[2:3], 0x2c
	s_load_dwordx2 s[14:15], s[2:3], 0xec
	s_load_dwordx4 s[16:19], s[2:3], 0xdc
	s_add_u32 s2, s2, 24
	s_waitcnt lgkmcnt(0)
	v_mul_hi_u32 v7, s9, v4
	s_addc_u32 s3, s3, 0
	s_add_i32 s5, s5, -2
	s_cmp_lg_u32 s5, 0
	v_add_u32_e32 v7, v4, v7
	v_lshrrev_b32_e32 v7, s10, v7
	v_mul_lo_u32 v10, v7, s8
	v_mul_hi_u32 v12, s6, v7
	v_sub_u32_e32 v10, v4, v10
	v_add_u32_e32 v4, v7, v12
	v_lshrrev_b32_e32 v4, s7, v4
	v_mul_lo_u32 v15, v4, s11
	v_mul_lo_u32 v12, v10, s16
	;; [unrolled: 1-line block ×4, first 2 shown]
	v_sub_u32_e32 v7, v7, v15
	v_mul_lo_u32 v15, v7, s19
	v_mul_lo_u32 v18, v7, s14
	;; [unrolled: 1-line block ×3, first 2 shown]
	v_add3_u32 v3, v12, v3, v15
	v_add3_u32 v19, v13, v19, v18
	;; [unrolled: 1-line block ×3, first 2 shown]
	s_cbranch_scc1 .LBB109_250
; %bb.251:
	s_bitcmp1_b32 s4, 0
	s_cselect_b64 s[4:5], -1, 0
	s_and_b64 vcc, exec, s[4:5]
	s_cbranch_vccnz .LBB109_255
; %bb.252:
	s_load_dwordx2 s[4:5], s[2:3], 0x1c
	s_load_dword s8, s[2:3], 0x24
	s_load_dwordx2 s[6:7], s[2:3], 0xdc
	s_waitcnt lgkmcnt(0)
	v_mul_hi_u32 v7, s5, v4
	v_add_u32_e32 v7, v4, v7
	v_lshrrev_b32_e32 v7, s8, v7
	v_mul_lo_u32 v7, v7, s4
	s_load_dword s4, s[2:3], 0xe4
	v_sub_u32_e32 v7, v4, v7
	v_mad_u64_u32 v[3:4], s[2:3], v7, s6, v[3:4]
	v_mad_u64_u32 v[19:20], s[2:3], v7, s7, v[19:20]
	s_waitcnt lgkmcnt(0)
	v_mad_u64_u32 v[17:18], s[2:3], v7, s4, v[17:18]
	s_cbranch_execz .LBB109_256
	s_branch .LBB109_258
.LBB109_253:
                                        ; implicit-def: $vgpr3
                                        ; implicit-def: $vgpr19
                                        ; implicit-def: $vgpr17
	s_branch .LBB109_256
.LBB109_254:
	v_mov_b32_e32 v3, 0
	v_mov_b32_e32 v19, 0
	;; [unrolled: 1-line block ×3, first 2 shown]
.LBB109_255:
	s_cbranch_execnz .LBB109_258
.LBB109_256:
	s_load_dwordx4 s[4:7], s[12:13], 0x4
	s_load_dwordx4 s[8:11], s[12:13], 0xc4
	s_cmp_lt_u32 s33, 2
	s_waitcnt lgkmcnt(0)
	v_mul_hi_u32 v3, s5, v5
	v_add_u32_e32 v3, v5, v3
	v_lshrrev_b32_e32 v4, s6, v3
	v_mul_lo_u32 v3, v4, s4
	v_sub_u32_e32 v5, v5, v3
	v_mul_lo_u32 v3, v5, s8
	v_mul_lo_u32 v19, v5, s9
	v_mul_lo_u32 v17, v5, s10
	s_cbranch_scc1 .LBB109_258
; %bb.257:
	s_load_dwordx4 s[4:7], s[12:13], 0x10
	s_load_dwordx4 s[8:11], s[12:13], 0xd0
	s_waitcnt lgkmcnt(0)
	v_mul_hi_u32 v5, s5, v4
	v_add_u32_e32 v5, v4, v5
	v_lshrrev_b32_e32 v5, s6, v5
	v_mul_lo_u32 v5, v5, s4
	v_sub_u32_e32 v5, v4, v5
	v_mad_u64_u32 v[3:4], s[2:3], v5, s8, v[3:4]
	v_mad_u64_u32 v[19:20], s[2:3], v5, s9, v[19:20]
	;; [unrolled: 1-line block ×3, first 2 shown]
.LBB109_258:
	s_and_b64 vcc, exec, s[0:1]
	v_add_u32_e32 v7, 0x200, v21
	s_cbranch_vccnz .LBB109_264
; %bb.259:
	s_cmp_lg_u32 s33, 0
	s_cbranch_scc0 .LBB109_265
; %bb.260:
	s_min_u32 s4, s40, 15
	s_add_i32 s2, s4, 1
	s_and_b32 s5, s2, 30
	s_add_u32 s2, s12, 0xffffffe8
	s_addc_u32 s3, s13, -1
	v_mov_b32_e32 v22, 0
	v_mov_b32_e32 v24, 0
	;; [unrolled: 1-line block ×4, first 2 shown]
.LBB109_261:                            ; =>This Inner Loop Header: Depth=1
	s_load_dwordx4 s[8:11], s[2:3], 0x1c
	s_load_dwordx2 s[6:7], s[2:3], 0x2c
	s_load_dwordx2 s[14:15], s[2:3], 0xec
	s_load_dwordx4 s[16:19], s[2:3], 0xdc
	s_add_u32 s2, s2, 24
	s_waitcnt lgkmcnt(0)
	v_mul_hi_u32 v10, s9, v5
	s_addc_u32 s3, s3, 0
	s_add_i32 s5, s5, -2
	s_cmp_lg_u32 s5, 0
	v_add_u32_e32 v10, v5, v10
	v_lshrrev_b32_e32 v10, s10, v10
	v_mul_lo_u32 v12, v10, s8
	v_mul_hi_u32 v13, s6, v10
	v_sub_u32_e32 v12, v5, v12
	v_add_u32_e32 v5, v10, v13
	v_lshrrev_b32_e32 v5, s7, v5
	v_mul_lo_u32 v18, v5, s11
	v_mul_lo_u32 v13, v12, s16
	;; [unrolled: 1-line block ×4, first 2 shown]
	v_sub_u32_e32 v10, v10, v18
	v_mul_lo_u32 v18, v10, s19
	v_mul_lo_u32 v20, v10, s14
	;; [unrolled: 1-line block ×3, first 2 shown]
	v_add3_u32 v4, v13, v4, v18
	v_add3_u32 v24, v15, v24, v20
	;; [unrolled: 1-line block ×3, first 2 shown]
	s_cbranch_scc1 .LBB109_261
; %bb.262:
	s_bitcmp1_b32 s4, 0
	s_cselect_b64 s[4:5], -1, 0
	s_and_b64 vcc, exec, s[4:5]
	s_cbranch_vccnz .LBB109_266
; %bb.263:
	s_load_dwordx2 s[4:5], s[2:3], 0x1c
	s_load_dword s8, s[2:3], 0x24
	s_load_dwordx2 s[6:7], s[2:3], 0xdc
	s_waitcnt lgkmcnt(0)
	v_mul_hi_u32 v10, s5, v5
	v_add_u32_e32 v10, v5, v10
	v_lshrrev_b32_e32 v10, s8, v10
	v_mul_lo_u32 v10, v10, s4
	s_load_dword s4, s[2:3], 0xe4
	v_sub_u32_e32 v10, v5, v10
	v_mad_u64_u32 v[4:5], s[2:3], v10, s6, v[4:5]
	v_mad_u64_u32 v[24:25], s[2:3], v10, s7, v[24:25]
	s_waitcnt lgkmcnt(0)
	v_mad_u64_u32 v[22:23], s[2:3], v10, s4, v[22:23]
	s_cbranch_execz .LBB109_267
	s_branch .LBB109_269
.LBB109_264:
                                        ; implicit-def: $vgpr4
                                        ; implicit-def: $vgpr24
                                        ; implicit-def: $vgpr22
	s_branch .LBB109_267
.LBB109_265:
	v_mov_b32_e32 v4, 0
	v_mov_b32_e32 v24, 0
	;; [unrolled: 1-line block ×3, first 2 shown]
.LBB109_266:
	s_cbranch_execnz .LBB109_269
.LBB109_267:
	s_load_dwordx4 s[4:7], s[12:13], 0x4
	s_load_dwordx4 s[8:11], s[12:13], 0xc4
	s_cmp_lt_u32 s33, 2
	s_waitcnt lgkmcnt(0)
	v_mul_hi_u32 v4, s5, v7
	v_add_u32_e32 v4, v7, v4
	v_lshrrev_b32_e32 v5, s6, v4
	v_mul_lo_u32 v4, v5, s4
	v_sub_u32_e32 v7, v7, v4
	v_mul_lo_u32 v4, v7, s8
	v_mul_lo_u32 v24, v7, s9
	;; [unrolled: 1-line block ×3, first 2 shown]
	s_cbranch_scc1 .LBB109_269
; %bb.268:
	s_load_dwordx4 s[4:7], s[12:13], 0x10
	s_load_dwordx4 s[8:11], s[12:13], 0xd0
	s_waitcnt lgkmcnt(0)
	v_mul_hi_u32 v7, s5, v5
	v_add_u32_e32 v7, v5, v7
	v_lshrrev_b32_e32 v7, s6, v7
	v_mul_lo_u32 v7, v7, s4
	v_sub_u32_e32 v7, v5, v7
	v_mad_u64_u32 v[4:5], s[2:3], v7, s8, v[4:5]
	v_mad_u64_u32 v[24:25], s[2:3], v7, s9, v[24:25]
	v_mad_u64_u32 v[22:23], s[2:3], v7, s10, v[22:23]
.LBB109_269:
	s_and_b64 vcc, exec, s[0:1]
	v_add_u32_e32 v5, 0x280, v21
	s_cbranch_vccnz .LBB109_275
; %bb.270:
	s_cmp_lg_u32 s33, 0
	s_cbranch_scc0 .LBB109_276
; %bb.271:
	s_min_u32 s4, s40, 15
	s_add_i32 s2, s4, 1
	s_and_b32 s5, s2, 30
	s_add_u32 s2, s12, 0xffffffe8
	s_addc_u32 s3, s13, -1
	v_mov_b32_e32 v25, 0
	v_mov_b32_e32 v27, 0
	v_mov_b32_e32 v12, 0
	v_mov_b32_e32 v7, v5
.LBB109_272:                            ; =>This Inner Loop Header: Depth=1
	s_load_dwordx4 s[8:11], s[2:3], 0x1c
	s_load_dwordx2 s[6:7], s[2:3], 0x2c
	s_load_dwordx2 s[14:15], s[2:3], 0xec
	s_load_dwordx4 s[16:19], s[2:3], 0xdc
	s_add_u32 s2, s2, 24
	s_waitcnt lgkmcnt(0)
	v_mul_hi_u32 v10, s9, v7
	s_addc_u32 s3, s3, 0
	s_add_i32 s5, s5, -2
	s_cmp_lg_u32 s5, 0
	v_add_u32_e32 v10, v7, v10
	v_lshrrev_b32_e32 v10, s10, v10
	v_mul_lo_u32 v13, v10, s8
	v_mul_hi_u32 v15, s6, v10
	v_sub_u32_e32 v13, v7, v13
	v_add_u32_e32 v7, v10, v15
	v_lshrrev_b32_e32 v7, s7, v7
	v_mul_lo_u32 v20, v7, s11
	v_mul_lo_u32 v15, v13, s16
	;; [unrolled: 1-line block ×4, first 2 shown]
	v_sub_u32_e32 v10, v10, v20
	v_mul_lo_u32 v20, v10, s19
	v_mul_lo_u32 v23, v10, s14
	;; [unrolled: 1-line block ×3, first 2 shown]
	v_add3_u32 v12, v15, v12, v20
	v_add3_u32 v27, v18, v27, v23
	;; [unrolled: 1-line block ×3, first 2 shown]
	s_cbranch_scc1 .LBB109_272
; %bb.273:
	s_bitcmp1_b32 s4, 0
	s_cselect_b64 s[4:5], -1, 0
	s_and_b64 vcc, exec, s[4:5]
	s_cbranch_vccnz .LBB109_277
; %bb.274:
	s_load_dwordx2 s[4:5], s[2:3], 0x1c
	s_load_dword s8, s[2:3], 0x24
	s_load_dwordx2 s[6:7], s[2:3], 0xdc
	s_waitcnt lgkmcnt(0)
	v_mul_hi_u32 v10, s5, v7
	v_add_u32_e32 v10, v7, v10
	v_lshrrev_b32_e32 v10, s8, v10
	v_mul_lo_u32 v10, v10, s4
	s_load_dword s4, s[2:3], 0xe4
	v_sub_u32_e32 v7, v7, v10
	v_mad_u64_u32 v[12:13], s[2:3], v7, s6, v[12:13]
	v_mad_u64_u32 v[27:28], s[2:3], v7, s7, v[27:28]
	s_waitcnt lgkmcnt(0)
	v_mad_u64_u32 v[25:26], s[2:3], v7, s4, v[25:26]
	s_cbranch_execz .LBB109_278
	s_branch .LBB109_280
.LBB109_275:
                                        ; implicit-def: $vgpr12
                                        ; implicit-def: $vgpr27
                                        ; implicit-def: $vgpr25
	s_branch .LBB109_278
.LBB109_276:
	v_mov_b32_e32 v12, 0
	v_mov_b32_e32 v27, 0
	;; [unrolled: 1-line block ×3, first 2 shown]
.LBB109_277:
	s_cbranch_execnz .LBB109_280
.LBB109_278:
	s_load_dwordx4 s[4:7], s[12:13], 0x4
	s_load_dwordx4 s[8:11], s[12:13], 0xc4
	s_cmp_lt_u32 s33, 2
	s_waitcnt lgkmcnt(0)
	v_mul_hi_u32 v7, s5, v5
	v_add_u32_e32 v7, v5, v7
	v_lshrrev_b32_e32 v7, s6, v7
	v_mul_lo_u32 v10, v7, s4
	v_sub_u32_e32 v5, v5, v10
	v_mul_lo_u32 v12, v5, s8
	v_mul_lo_u32 v27, v5, s9
	;; [unrolled: 1-line block ×3, first 2 shown]
	s_cbranch_scc1 .LBB109_280
; %bb.279:
	s_load_dwordx4 s[4:7], s[12:13], 0x10
	s_load_dwordx4 s[8:11], s[12:13], 0xd0
	s_waitcnt lgkmcnt(0)
	v_mul_hi_u32 v5, s5, v7
	v_add_u32_e32 v5, v7, v5
	v_lshrrev_b32_e32 v5, s6, v5
	v_mul_lo_u32 v5, v5, s4
	v_sub_u32_e32 v5, v7, v5
	v_mad_u64_u32 v[12:13], s[2:3], v5, s8, v[12:13]
	v_mad_u64_u32 v[27:28], s[2:3], v5, s9, v[27:28]
	;; [unrolled: 1-line block ×3, first 2 shown]
.LBB109_280:
	s_and_b64 vcc, exec, s[0:1]
	v_add_u32_e32 v5, 0x300, v21
	s_cbranch_vccnz .LBB109_286
; %bb.281:
	s_cmp_lg_u32 s33, 0
	s_cbranch_scc0 .LBB109_287
; %bb.282:
	s_min_u32 s4, s40, 15
	s_add_i32 s2, s4, 1
	s_and_b32 s5, s2, 30
	s_add_u32 s2, s12, 0xffffffe8
	s_addc_u32 s3, s13, -1
	v_mov_b32_e32 v30, 0
	v_mov_b32_e32 v32, 0
	;; [unrolled: 1-line block ×4, first 2 shown]
.LBB109_283:                            ; =>This Inner Loop Header: Depth=1
	s_load_dwordx4 s[8:11], s[2:3], 0x1c
	s_load_dwordx2 s[6:7], s[2:3], 0x2c
	s_load_dwordx2 s[14:15], s[2:3], 0xec
	s_load_dwordx4 s[16:19], s[2:3], 0xdc
	s_add_u32 s2, s2, 24
	s_waitcnt lgkmcnt(0)
	v_mul_hi_u32 v10, s9, v7
	s_addc_u32 s3, s3, 0
	s_add_i32 s5, s5, -2
	s_cmp_lg_u32 s5, 0
	v_add_u32_e32 v10, v7, v10
	v_lshrrev_b32_e32 v10, s10, v10
	v_mul_lo_u32 v13, v10, s8
	v_mul_hi_u32 v15, s6, v10
	v_sub_u32_e32 v13, v7, v13
	v_add_u32_e32 v7, v10, v15
	v_lshrrev_b32_e32 v7, s7, v7
	v_mul_lo_u32 v21, v7, s11
	v_mul_lo_u32 v15, v13, s16
	;; [unrolled: 1-line block ×4, first 2 shown]
	v_sub_u32_e32 v10, v10, v21
	v_mul_lo_u32 v21, v10, s19
	v_mul_lo_u32 v23, v10, s14
	;; [unrolled: 1-line block ×3, first 2 shown]
	v_add3_u32 v20, v15, v20, v21
	v_add3_u32 v32, v18, v32, v23
	;; [unrolled: 1-line block ×3, first 2 shown]
	s_cbranch_scc1 .LBB109_283
; %bb.284:
	s_bitcmp1_b32 s4, 0
	s_cselect_b64 s[4:5], -1, 0
	s_and_b64 vcc, exec, s[4:5]
	s_cbranch_vccnz .LBB109_288
; %bb.285:
	s_load_dwordx2 s[4:5], s[2:3], 0x1c
	s_load_dword s8, s[2:3], 0x24
	s_load_dwordx2 s[6:7], s[2:3], 0xdc
	s_waitcnt lgkmcnt(0)
	v_mul_hi_u32 v10, s5, v7
	v_add_u32_e32 v10, v7, v10
	v_lshrrev_b32_e32 v10, s8, v10
	v_mul_lo_u32 v10, v10, s4
	s_load_dword s4, s[2:3], 0xe4
	v_sub_u32_e32 v7, v7, v10
	v_mad_u64_u32 v[20:21], s[2:3], v7, s6, v[20:21]
	v_mad_u64_u32 v[32:33], s[2:3], v7, s7, v[32:33]
	s_waitcnt lgkmcnt(0)
	v_mad_u64_u32 v[30:31], s[2:3], v7, s4, v[30:31]
	s_cbranch_execz .LBB109_289
	s_branch .LBB109_291
.LBB109_286:
                                        ; implicit-def: $vgpr20
                                        ; implicit-def: $vgpr32
                                        ; implicit-def: $vgpr30
	s_branch .LBB109_289
.LBB109_287:
	v_mov_b32_e32 v20, 0
	v_mov_b32_e32 v32, 0
	;; [unrolled: 1-line block ×3, first 2 shown]
.LBB109_288:
	s_cbranch_execnz .LBB109_291
.LBB109_289:
	s_load_dwordx4 s[4:7], s[12:13], 0x4
	s_load_dwordx4 s[8:11], s[12:13], 0xc4
	s_cmp_lt_u32 s33, 2
	s_waitcnt lgkmcnt(0)
	v_mul_hi_u32 v7, s5, v5
	v_add_u32_e32 v7, v5, v7
	v_lshrrev_b32_e32 v7, s6, v7
	v_mul_lo_u32 v10, v7, s4
	v_sub_u32_e32 v5, v5, v10
	v_mul_lo_u32 v20, v5, s8
	v_mul_lo_u32 v32, v5, s9
	;; [unrolled: 1-line block ×3, first 2 shown]
	s_cbranch_scc1 .LBB109_291
; %bb.290:
	s_load_dwordx4 s[4:7], s[12:13], 0x10
	s_load_dwordx4 s[8:11], s[12:13], 0xd0
	s_waitcnt lgkmcnt(0)
	v_mul_hi_u32 v5, s5, v7
	v_add_u32_e32 v5, v7, v5
	v_lshrrev_b32_e32 v5, s6, v5
	v_mul_lo_u32 v5, v5, s4
	v_sub_u32_e32 v5, v7, v5
	v_mad_u64_u32 v[20:21], s[2:3], v5, s8, v[20:21]
	v_mad_u64_u32 v[32:33], s[2:3], v5, s9, v[32:33]
	;; [unrolled: 1-line block ×3, first 2 shown]
.LBB109_291:
	s_and_b64 vcc, exec, s[0:1]
	s_cbranch_vccnz .LBB109_297
; %bb.292:
	s_cmp_lg_u32 s33, 0
	s_cbranch_scc0 .LBB109_298
; %bb.293:
	s_min_u32 s2, s40, 15
	s_add_i32 s0, s2, 1
	s_and_b32 s3, s0, 30
	s_add_u32 s0, s12, 0xffffffe8
	s_addc_u32 s1, s13, -1
	v_mov_b32_e32 v35, 0
	v_mov_b32_e32 v33, 0
	;; [unrolled: 1-line block ×4, first 2 shown]
.LBB109_294:                            ; =>This Inner Loop Header: Depth=1
	s_load_dwordx4 s[4:7], s[0:1], 0x1c
	s_load_dwordx2 s[14:15], s[0:1], 0x2c
	s_load_dwordx2 s[16:17], s[0:1], 0xec
	s_load_dwordx4 s[8:11], s[0:1], 0xdc
	s_add_u32 s0, s0, 24
	s_waitcnt lgkmcnt(0)
	v_mul_hi_u32 v7, s5, v5
	s_addc_u32 s1, s1, 0
	s_add_i32 s3, s3, -2
	s_cmp_lg_u32 s3, 0
	v_add_u32_e32 v7, v5, v7
	v_lshrrev_b32_e32 v7, s6, v7
	v_mul_lo_u32 v10, v7, s4
	v_mul_hi_u32 v13, s14, v7
	v_sub_u32_e32 v10, v5, v10
	v_add_u32_e32 v5, v7, v13
	v_lshrrev_b32_e32 v5, s15, v5
	v_mul_lo_u32 v18, v5, s7
	v_mul_lo_u32 v13, v10, s8
	;; [unrolled: 1-line block ×4, first 2 shown]
	v_sub_u32_e32 v7, v7, v18
	v_mul_lo_u32 v18, v7, s11
	v_mul_lo_u32 v21, v7, s16
	;; [unrolled: 1-line block ×3, first 2 shown]
	v_add3_u32 v28, v13, v28, v18
	v_add3_u32 v33, v15, v33, v21
	;; [unrolled: 1-line block ×3, first 2 shown]
	s_cbranch_scc1 .LBB109_294
; %bb.295:
	s_bitcmp1_b32 s2, 0
	s_cselect_b64 s[2:3], -1, 0
	s_and_b64 vcc, exec, s[2:3]
	s_cbranch_vccnz .LBB109_299
; %bb.296:
	s_load_dwordx2 s[2:3], s[0:1], 0x1c
	s_load_dword s6, s[0:1], 0x24
	s_load_dwordx2 s[4:5], s[0:1], 0xdc
	s_waitcnt lgkmcnt(0)
	v_mul_hi_u32 v7, s3, v5
	v_add_u32_e32 v7, v5, v7
	v_lshrrev_b32_e32 v7, s6, v7
	v_mul_lo_u32 v7, v7, s2
	s_load_dword s2, s[0:1], 0xe4
	v_sub_u32_e32 v5, v5, v7
	v_mad_u64_u32 v[28:29], s[0:1], v5, s4, v[28:29]
	v_mad_u64_u32 v[33:34], s[0:1], v5, s5, v[33:34]
	s_waitcnt lgkmcnt(0)
	v_mad_u64_u32 v[35:36], s[0:1], v5, s2, v[35:36]
	s_cbranch_execz .LBB109_300
	s_branch .LBB109_302
.LBB109_297:
                                        ; implicit-def: $vgpr28
                                        ; implicit-def: $vgpr33
                                        ; implicit-def: $vgpr35
	s_branch .LBB109_300
.LBB109_298:
	v_mov_b32_e32 v28, 0
	v_mov_b32_e32 v33, 0
	;; [unrolled: 1-line block ×3, first 2 shown]
.LBB109_299:
	s_cbranch_execnz .LBB109_302
.LBB109_300:
	s_load_dwordx4 s[0:3], s[12:13], 0x4
	s_load_dwordx4 s[4:7], s[12:13], 0xc4
	s_cmp_lt_u32 s33, 2
	s_waitcnt lgkmcnt(0)
	v_mul_hi_u32 v5, s1, v37
	v_add_u32_e32 v5, v37, v5
	v_lshrrev_b32_e32 v5, s2, v5
	v_mul_lo_u32 v7, v5, s0
	v_sub_u32_e32 v7, v37, v7
	v_mul_lo_u32 v28, v7, s4
	v_mul_lo_u32 v33, v7, s5
	;; [unrolled: 1-line block ×3, first 2 shown]
	s_cbranch_scc1 .LBB109_302
; %bb.301:
	s_load_dwordx4 s[0:3], s[12:13], 0x10
	s_load_dwordx4 s[4:7], s[12:13], 0xd0
	s_waitcnt lgkmcnt(0)
	v_mul_hi_u32 v7, s1, v5
	v_add_u32_e32 v7, v5, v7
	v_lshrrev_b32_e32 v7, s2, v7
	v_mul_lo_u32 v7, v7, s0
	v_sub_u32_e32 v5, v5, v7
	v_mad_u64_u32 v[28:29], s[0:1], v5, s4, v[28:29]
	v_mad_u64_u32 v[33:34], s[0:1], v5, s5, v[33:34]
	;; [unrolled: 1-line block ×3, first 2 shown]
.LBB109_302:
	s_load_dwordx4 s[0:3], s[12:13], 0x188
	s_load_dwordx2 s[6:7], s[12:13], 0x198
	s_load_dword s26, s[12:13], 0x1a0
	s_mov_b64 s[8:9], 0
	s_waitcnt lgkmcnt(0)
	global_load_dword v5, v8, s[2:3]
	global_load_dword v7, v6, s[6:7]
	s_cmp_lt_i32 s26, 1
	s_cbranch_scc1 .LBB109_306
; %bb.303:
	s_cmp_gt_i32 s26, 1
	s_cbranch_scc0 .LBB109_307
; %bb.304:
	s_cmp_eq_u32 s26, 2
	s_cbranch_scc0 .LBB109_308
; %bb.305:
	s_waitcnt vmcnt(0)
	v_cmp_le_f32_e64 s[4:5], v5, v7
	s_mov_b64 s[10:11], 0
	s_branch .LBB109_309
.LBB109_306:
                                        ; implicit-def: $sgpr4_sgpr5
	s_mov_b64 s[10:11], 0
	s_cbranch_execnz .LBB109_312
	s_branch .LBB109_313
.LBB109_307:
	s_mov_b64 s[10:11], 0
                                        ; implicit-def: $sgpr4_sgpr5
	s_cbranch_execnz .LBB109_310
	s_branch .LBB109_311
.LBB109_308:
	s_mov_b64 s[10:11], -1
                                        ; implicit-def: $sgpr4_sgpr5
.LBB109_309:
	s_branch .LBB109_311
.LBB109_310:
	s_waitcnt vmcnt(0)
	v_cmp_gt_f32_e32 vcc, v5, v7
	s_andn2_b64 s[4:5], s[4:5], exec
	s_and_b64 s[12:13], vcc, exec
	s_or_b64 s[4:5], s[4:5], s[12:13]
.LBB109_311:
	s_branch .LBB109_313
.LBB109_312:
	s_cmp_lg_u32 s26, 0
	s_mov_b64 s[8:9], -1
	s_cselect_b64 s[10:11], -1, 0
.LBB109_313:
	s_andn2_b64 vcc, exec, s[10:11]
	s_cbranch_vccz .LBB109_320
; %bb.314:
	s_andn2_b64 vcc, exec, s[8:9]
	s_cbranch_vccnz .LBB109_316
.LBB109_315:
	s_waitcnt vmcnt(0)
	v_cmp_ge_f32_e32 vcc, v5, v7
	s_andn2_b64 s[4:5], s[4:5], exec
	s_and_b64 s[8:9], vcc, exec
	s_or_b64 s[4:5], s[4:5], s[8:9]
.LBB109_316:
	global_load_dword v5, v11, s[2:3]
	global_load_dword v6, v9, s[6:7]
	s_cmp_lt_i32 s26, 1
	s_mov_b64 s[10:11], 0
	s_cbranch_scc1 .LBB109_321
; %bb.317:
	s_cmp_gt_i32 s26, 1
	s_cbranch_scc0 .LBB109_322
; %bb.318:
	s_cmp_eq_u32 s26, 2
	s_cbranch_scc0 .LBB109_323
; %bb.319:
	s_waitcnt vmcnt(0)
	v_cmp_le_f32_e64 s[8:9], v5, v6
	s_mov_b64 s[12:13], 0
	s_branch .LBB109_324
.LBB109_320:
	s_waitcnt vmcnt(0)
	v_cmp_lt_f32_e32 vcc, v5, v7
	s_andn2_b64 s[4:5], s[4:5], exec
	s_and_b64 s[10:11], vcc, exec
	s_or_b64 s[4:5], s[4:5], s[10:11]
	s_cbranch_execz .LBB109_315
	s_branch .LBB109_316
.LBB109_321:
                                        ; implicit-def: $sgpr8_sgpr9
	s_mov_b64 s[12:13], 0
	s_cbranch_execnz .LBB109_327
	s_branch .LBB109_328
.LBB109_322:
	s_mov_b64 s[12:13], 0
                                        ; implicit-def: $sgpr8_sgpr9
	s_cbranch_execnz .LBB109_325
	s_branch .LBB109_326
.LBB109_323:
	s_mov_b64 s[12:13], -1
                                        ; implicit-def: $sgpr8_sgpr9
.LBB109_324:
	s_branch .LBB109_326
.LBB109_325:
	s_waitcnt vmcnt(0)
	v_cmp_gt_f32_e32 vcc, v5, v6
	s_andn2_b64 s[8:9], s[8:9], exec
	s_and_b64 s[14:15], vcc, exec
	s_or_b64 s[8:9], s[8:9], s[14:15]
.LBB109_326:
	s_branch .LBB109_328
.LBB109_327:
	s_cmp_lg_u32 s26, 0
	s_mov_b64 s[10:11], -1
	s_cselect_b64 s[12:13], -1, 0
.LBB109_328:
	s_andn2_b64 vcc, exec, s[12:13]
	s_cbranch_vccz .LBB109_335
; %bb.329:
	s_andn2_b64 vcc, exec, s[10:11]
	s_cbranch_vccnz .LBB109_331
.LBB109_330:
	s_waitcnt vmcnt(0)
	v_cmp_ge_f32_e32 vcc, v5, v6
	s_andn2_b64 s[8:9], s[8:9], exec
	s_and_b64 s[10:11], vcc, exec
	s_or_b64 s[8:9], s[8:9], s[10:11]
.LBB109_331:
	global_load_dword v5, v16, s[2:3]
	global_load_dword v6, v14, s[6:7]
	s_cmp_lt_i32 s26, 1
	s_mov_b64 s[12:13], 0
	s_cbranch_scc1 .LBB109_336
; %bb.332:
	s_cmp_gt_i32 s26, 1
	s_cbranch_scc0 .LBB109_337
; %bb.333:
	s_cmp_eq_u32 s26, 2
	s_cbranch_scc0 .LBB109_338
; %bb.334:
	s_waitcnt vmcnt(0)
	v_cmp_le_f32_e64 s[10:11], v5, v6
	s_mov_b64 s[14:15], 0
	s_branch .LBB109_339
.LBB109_335:
	s_waitcnt vmcnt(0)
	v_cmp_lt_f32_e32 vcc, v5, v6
	s_andn2_b64 s[8:9], s[8:9], exec
	s_and_b64 s[12:13], vcc, exec
	s_or_b64 s[8:9], s[8:9], s[12:13]
	s_cbranch_execz .LBB109_330
	s_branch .LBB109_331
.LBB109_336:
                                        ; implicit-def: $sgpr10_sgpr11
	s_mov_b64 s[14:15], 0
	s_cbranch_execnz .LBB109_342
	s_branch .LBB109_343
.LBB109_337:
	s_mov_b64 s[14:15], 0
                                        ; implicit-def: $sgpr10_sgpr11
	s_cbranch_execnz .LBB109_340
	s_branch .LBB109_341
.LBB109_338:
	s_mov_b64 s[14:15], -1
                                        ; implicit-def: $sgpr10_sgpr11
.LBB109_339:
	s_branch .LBB109_341
.LBB109_340:
	s_waitcnt vmcnt(0)
	v_cmp_gt_f32_e32 vcc, v5, v6
	s_andn2_b64 s[10:11], s[10:11], exec
	s_and_b64 s[16:17], vcc, exec
	s_or_b64 s[10:11], s[10:11], s[16:17]
.LBB109_341:
	s_branch .LBB109_343
.LBB109_342:
	s_cmp_lg_u32 s26, 0
	s_mov_b64 s[12:13], -1
	s_cselect_b64 s[14:15], -1, 0
.LBB109_343:
	s_andn2_b64 vcc, exec, s[14:15]
	s_cbranch_vccz .LBB109_350
; %bb.344:
	s_andn2_b64 vcc, exec, s[12:13]
	s_cbranch_vccnz .LBB109_346
.LBB109_345:
	s_waitcnt vmcnt(0)
	v_cmp_ge_f32_e32 vcc, v5, v6
	s_andn2_b64 s[10:11], s[10:11], exec
	s_and_b64 s[12:13], vcc, exec
	s_or_b64 s[10:11], s[10:11], s[12:13]
.LBB109_346:
	global_load_dword v5, v19, s[2:3]
	global_load_dword v6, v17, s[6:7]
	s_cmp_lt_i32 s26, 1
	s_mov_b64 s[14:15], 0
	s_cbranch_scc1 .LBB109_351
; %bb.347:
	s_cmp_gt_i32 s26, 1
	s_cbranch_scc0 .LBB109_352
; %bb.348:
	s_cmp_eq_u32 s26, 2
	s_cbranch_scc0 .LBB109_353
; %bb.349:
	s_waitcnt vmcnt(0)
	v_cmp_le_f32_e64 s[12:13], v5, v6
	s_mov_b64 s[16:17], 0
	s_branch .LBB109_354
.LBB109_350:
	s_waitcnt vmcnt(0)
	v_cmp_lt_f32_e32 vcc, v5, v6
	s_andn2_b64 s[10:11], s[10:11], exec
	s_and_b64 s[14:15], vcc, exec
	s_or_b64 s[10:11], s[10:11], s[14:15]
	s_cbranch_execz .LBB109_345
	s_branch .LBB109_346
.LBB109_351:
                                        ; implicit-def: $sgpr12_sgpr13
	s_mov_b64 s[16:17], 0
	s_cbranch_execnz .LBB109_357
	s_branch .LBB109_358
.LBB109_352:
	s_mov_b64 s[16:17], 0
                                        ; implicit-def: $sgpr12_sgpr13
	s_cbranch_execnz .LBB109_355
	s_branch .LBB109_356
.LBB109_353:
	s_mov_b64 s[16:17], -1
                                        ; implicit-def: $sgpr12_sgpr13
.LBB109_354:
	s_branch .LBB109_356
.LBB109_355:
	s_waitcnt vmcnt(0)
	v_cmp_gt_f32_e32 vcc, v5, v6
	s_andn2_b64 s[12:13], s[12:13], exec
	s_and_b64 s[18:19], vcc, exec
	s_or_b64 s[12:13], s[12:13], s[18:19]
.LBB109_356:
	s_branch .LBB109_358
.LBB109_357:
	s_cmp_lg_u32 s26, 0
	s_mov_b64 s[14:15], -1
	s_cselect_b64 s[16:17], -1, 0
.LBB109_358:
	s_andn2_b64 vcc, exec, s[16:17]
	s_cbranch_vccz .LBB109_365
; %bb.359:
	s_andn2_b64 vcc, exec, s[14:15]
	s_cbranch_vccnz .LBB109_361
.LBB109_360:
	s_waitcnt vmcnt(0)
	v_cmp_ge_f32_e32 vcc, v5, v6
	s_andn2_b64 s[12:13], s[12:13], exec
	s_and_b64 s[14:15], vcc, exec
	s_or_b64 s[12:13], s[12:13], s[14:15]
.LBB109_361:
	global_load_dword v5, v24, s[2:3]
	global_load_dword v6, v22, s[6:7]
	s_cmp_lt_i32 s26, 1
	s_mov_b64 s[16:17], 0
	s_cbranch_scc1 .LBB109_366
; %bb.362:
	s_cmp_gt_i32 s26, 1
	s_cbranch_scc0 .LBB109_367
; %bb.363:
	s_cmp_eq_u32 s26, 2
	s_cbranch_scc0 .LBB109_368
; %bb.364:
	s_waitcnt vmcnt(0)
	v_cmp_le_f32_e64 s[14:15], v5, v6
	s_mov_b64 s[18:19], 0
	s_branch .LBB109_369
.LBB109_365:
	s_waitcnt vmcnt(0)
	v_cmp_lt_f32_e32 vcc, v5, v6
	s_andn2_b64 s[12:13], s[12:13], exec
	s_and_b64 s[16:17], vcc, exec
	s_or_b64 s[12:13], s[12:13], s[16:17]
	s_cbranch_execz .LBB109_360
	s_branch .LBB109_361
.LBB109_366:
                                        ; implicit-def: $sgpr14_sgpr15
	s_mov_b64 s[18:19], 0
	s_cbranch_execnz .LBB109_372
	s_branch .LBB109_373
.LBB109_367:
	s_mov_b64 s[18:19], 0
                                        ; implicit-def: $sgpr14_sgpr15
	s_cbranch_execnz .LBB109_370
	s_branch .LBB109_371
.LBB109_368:
	s_mov_b64 s[18:19], -1
                                        ; implicit-def: $sgpr14_sgpr15
.LBB109_369:
	s_branch .LBB109_371
.LBB109_370:
	s_waitcnt vmcnt(0)
	v_cmp_gt_f32_e32 vcc, v5, v6
	s_andn2_b64 s[14:15], s[14:15], exec
	s_and_b64 s[20:21], vcc, exec
	s_or_b64 s[14:15], s[14:15], s[20:21]
.LBB109_371:
	s_branch .LBB109_373
.LBB109_372:
	s_cmp_lg_u32 s26, 0
	s_mov_b64 s[16:17], -1
	s_cselect_b64 s[18:19], -1, 0
.LBB109_373:
	s_andn2_b64 vcc, exec, s[18:19]
	s_cbranch_vccz .LBB109_380
; %bb.374:
	s_andn2_b64 vcc, exec, s[16:17]
	s_cbranch_vccnz .LBB109_376
.LBB109_375:
	s_waitcnt vmcnt(0)
	v_cmp_ge_f32_e32 vcc, v5, v6
	s_andn2_b64 s[14:15], s[14:15], exec
	s_and_b64 s[16:17], vcc, exec
	s_or_b64 s[14:15], s[14:15], s[16:17]
.LBB109_376:
	global_load_dword v5, v27, s[2:3]
	global_load_dword v6, v25, s[6:7]
	s_cmp_lt_i32 s26, 1
	s_mov_b64 s[18:19], 0
	s_cbranch_scc1 .LBB109_381
; %bb.377:
	s_cmp_gt_i32 s26, 1
	s_cbranch_scc0 .LBB109_382
; %bb.378:
	s_cmp_eq_u32 s26, 2
	s_cbranch_scc0 .LBB109_383
; %bb.379:
	s_waitcnt vmcnt(0)
	v_cmp_le_f32_e64 s[16:17], v5, v6
	s_mov_b64 s[20:21], 0
	s_branch .LBB109_384
.LBB109_380:
	s_waitcnt vmcnt(0)
	v_cmp_lt_f32_e32 vcc, v5, v6
	s_andn2_b64 s[14:15], s[14:15], exec
	s_and_b64 s[18:19], vcc, exec
	s_or_b64 s[14:15], s[14:15], s[18:19]
	s_cbranch_execz .LBB109_375
	s_branch .LBB109_376
.LBB109_381:
                                        ; implicit-def: $sgpr16_sgpr17
	s_mov_b64 s[20:21], 0
	s_cbranch_execnz .LBB109_387
	s_branch .LBB109_388
.LBB109_382:
	s_mov_b64 s[20:21], 0
                                        ; implicit-def: $sgpr16_sgpr17
	s_cbranch_execnz .LBB109_385
	s_branch .LBB109_386
.LBB109_383:
	s_mov_b64 s[20:21], -1
                                        ; implicit-def: $sgpr16_sgpr17
.LBB109_384:
	s_branch .LBB109_386
.LBB109_385:
	s_waitcnt vmcnt(0)
	v_cmp_gt_f32_e32 vcc, v5, v6
	s_andn2_b64 s[16:17], s[16:17], exec
	s_and_b64 s[22:23], vcc, exec
	s_or_b64 s[16:17], s[16:17], s[22:23]
.LBB109_386:
	s_branch .LBB109_388
.LBB109_387:
	s_cmp_lg_u32 s26, 0
	s_mov_b64 s[18:19], -1
	s_cselect_b64 s[20:21], -1, 0
.LBB109_388:
	s_andn2_b64 vcc, exec, s[20:21]
	s_cbranch_vccz .LBB109_395
; %bb.389:
	s_andn2_b64 vcc, exec, s[18:19]
	s_cbranch_vccnz .LBB109_391
.LBB109_390:
	s_waitcnt vmcnt(0)
	v_cmp_ge_f32_e32 vcc, v5, v6
	s_andn2_b64 s[16:17], s[16:17], exec
	s_and_b64 s[18:19], vcc, exec
	s_or_b64 s[16:17], s[16:17], s[18:19]
.LBB109_391:
	global_load_dword v5, v32, s[2:3]
	global_load_dword v6, v30, s[6:7]
	s_cmp_lt_i32 s26, 1
	s_mov_b64 s[20:21], 0
	s_cbranch_scc1 .LBB109_396
; %bb.392:
	s_cmp_gt_i32 s26, 1
	s_cbranch_scc0 .LBB109_397
; %bb.393:
	s_cmp_eq_u32 s26, 2
	s_cbranch_scc0 .LBB109_398
; %bb.394:
	s_waitcnt vmcnt(0)
	v_cmp_le_f32_e64 s[18:19], v5, v6
	s_mov_b64 s[22:23], 0
	s_branch .LBB109_399
.LBB109_395:
	s_waitcnt vmcnt(0)
	v_cmp_lt_f32_e32 vcc, v5, v6
	s_andn2_b64 s[16:17], s[16:17], exec
	s_and_b64 s[20:21], vcc, exec
	s_or_b64 s[16:17], s[16:17], s[20:21]
	s_cbranch_execz .LBB109_390
	s_branch .LBB109_391
.LBB109_396:
                                        ; implicit-def: $sgpr18_sgpr19
	s_mov_b64 s[22:23], 0
	s_cbranch_execnz .LBB109_402
	s_branch .LBB109_403
.LBB109_397:
	s_mov_b64 s[22:23], 0
                                        ; implicit-def: $sgpr18_sgpr19
	s_cbranch_execnz .LBB109_400
	s_branch .LBB109_401
.LBB109_398:
	s_mov_b64 s[22:23], -1
                                        ; implicit-def: $sgpr18_sgpr19
.LBB109_399:
	s_branch .LBB109_401
.LBB109_400:
	s_waitcnt vmcnt(0)
	v_cmp_gt_f32_e32 vcc, v5, v6
	s_andn2_b64 s[18:19], s[18:19], exec
	s_and_b64 s[24:25], vcc, exec
	s_or_b64 s[18:19], s[18:19], s[24:25]
.LBB109_401:
	s_branch .LBB109_403
.LBB109_402:
	s_cmp_lg_u32 s26, 0
	s_mov_b64 s[20:21], -1
	s_cselect_b64 s[22:23], -1, 0
.LBB109_403:
	s_andn2_b64 vcc, exec, s[22:23]
	s_cbranch_vccz .LBB109_410
; %bb.404:
	s_andn2_b64 vcc, exec, s[20:21]
	s_cbranch_vccnz .LBB109_406
.LBB109_405:
	s_waitcnt vmcnt(0)
	v_cmp_ge_f32_e32 vcc, v5, v6
	s_andn2_b64 s[18:19], s[18:19], exec
	s_and_b64 s[20:21], vcc, exec
	s_or_b64 s[18:19], s[18:19], s[20:21]
.LBB109_406:
	global_load_dword v5, v33, s[2:3]
	global_load_dword v6, v35, s[6:7]
	s_cmp_lt_i32 s26, 1
	s_mov_b64 s[6:7], 0
	s_cbranch_scc1 .LBB109_411
; %bb.407:
	s_cmp_gt_i32 s26, 1
	s_cbranch_scc0 .LBB109_412
; %bb.408:
	s_cmp_eq_u32 s26, 2
	s_cbranch_scc0 .LBB109_413
; %bb.409:
	s_waitcnt vmcnt(0)
	v_cmp_le_f32_e64 s[2:3], v5, v6
	s_mov_b64 s[20:21], 0
	s_branch .LBB109_414
.LBB109_410:
	s_waitcnt vmcnt(0)
	v_cmp_lt_f32_e32 vcc, v5, v6
	s_andn2_b64 s[18:19], s[18:19], exec
	s_and_b64 s[22:23], vcc, exec
	s_or_b64 s[18:19], s[18:19], s[22:23]
	s_cbranch_execz .LBB109_405
	s_branch .LBB109_406
.LBB109_411:
                                        ; implicit-def: $sgpr2_sgpr3
	s_mov_b64 s[20:21], 0
	s_cbranch_execnz .LBB109_417
	s_branch .LBB109_418
.LBB109_412:
	s_mov_b64 s[20:21], 0
                                        ; implicit-def: $sgpr2_sgpr3
	s_cbranch_execnz .LBB109_415
	s_branch .LBB109_416
.LBB109_413:
	s_mov_b64 s[20:21], -1
                                        ; implicit-def: $sgpr2_sgpr3
.LBB109_414:
	s_branch .LBB109_416
.LBB109_415:
	s_waitcnt vmcnt(0)
	v_cmp_gt_f32_e32 vcc, v5, v6
	s_andn2_b64 s[2:3], s[2:3], exec
	s_and_b64 s[22:23], vcc, exec
	s_or_b64 s[2:3], s[2:3], s[22:23]
.LBB109_416:
	s_branch .LBB109_418
.LBB109_417:
	s_cmp_lg_u32 s26, 0
	s_mov_b64 s[6:7], -1
	s_cselect_b64 s[20:21], -1, 0
.LBB109_418:
	s_andn2_b64 vcc, exec, s[20:21]
	s_cbranch_vccz .LBB109_422
; %bb.419:
	s_andn2_b64 vcc, exec, s[6:7]
	s_cbranch_vccnz .LBB109_421
.LBB109_420:
	s_waitcnt vmcnt(0)
	v_cmp_ge_f32_e32 vcc, v5, v6
	s_andn2_b64 s[2:3], s[2:3], exec
	s_and_b64 s[6:7], vcc, exec
	s_or_b64 s[2:3], s[2:3], s[6:7]
.LBB109_421:
	v_cndmask_b32_e64 v11, 0, 1, s[4:5]
	s_waitcnt vmcnt(1)
	v_cndmask_b32_e64 v5, 0, 1, s[18:19]
	s_waitcnt vmcnt(0)
	v_cndmask_b32_e64 v6, 0, 1, s[16:17]
	v_cndmask_b32_e64 v7, 0, 1, s[14:15]
	;; [unrolled: 1-line block ×6, first 2 shown]
	global_store_byte v0, v11, s[0:1]
	global_store_byte v1, v10, s[0:1]
	;; [unrolled: 1-line block ×8, first 2 shown]
	s_endpgm
.LBB109_422:
	s_waitcnt vmcnt(0)
	v_cmp_lt_f32_e32 vcc, v5, v6
	s_andn2_b64 s[2:3], s[2:3], exec
	s_and_b64 s[20:21], vcc, exec
	s_or_b64 s[2:3], s[2:3], s[20:21]
	s_cbranch_execz .LBB109_420
	s_branch .LBB109_421
.LBB109_423:
	s_mov_b64 s[36:37], -1
                                        ; implicit-def: $sgpr34_sgpr35
	s_branch .LBB109_54
.LBB109_424:
	s_mov_b64 s[36:37], -1
                                        ; implicit-def: $sgpr34_sgpr35
	s_branch .LBB109_79
.LBB109_425:
	s_mov_b64 s[36:37], -1
                                        ; implicit-def: $sgpr34_sgpr35
	s_branch .LBB109_104
.LBB109_426:
	s_mov_b64 s[36:37], -1
                                        ; implicit-def: $sgpr34_sgpr35
	s_branch .LBB109_129
.LBB109_427:
	s_mov_b64 s[36:37], -1
                                        ; implicit-def: $sgpr34_sgpr35
	s_branch .LBB109_154
.LBB109_428:
	s_mov_b64 s[36:37], -1
                                        ; implicit-def: $sgpr34_sgpr35
	s_branch .LBB109_179
.LBB109_429:
	s_mov_b64 s[6:7], -1
                                        ; implicit-def: $sgpr4_sgpr5
	s_branch .LBB109_204
	.section	.rodata,"a",@progbits
	.p2align	6, 0x0
	.amdhsa_kernel _ZN2at6native32elementwise_kernel_manual_unrollILi128ELi8EZNS0_22gpu_kernel_impl_nocastINS0_12_GLOBAL__N_114CompareFunctorIfEEEEvRNS_18TensorIteratorBaseERKT_EUlibE_EEviT1_
		.amdhsa_group_segment_fixed_size 0
		.amdhsa_private_segment_fixed_size 0
		.amdhsa_kernarg_size 432
		.amdhsa_user_sgpr_count 6
		.amdhsa_user_sgpr_private_segment_buffer 1
		.amdhsa_user_sgpr_dispatch_ptr 0
		.amdhsa_user_sgpr_queue_ptr 0
		.amdhsa_user_sgpr_kernarg_segment_ptr 1
		.amdhsa_user_sgpr_dispatch_id 0
		.amdhsa_user_sgpr_flat_scratch_init 0
		.amdhsa_user_sgpr_private_segment_size 0
		.amdhsa_uses_dynamic_stack 0
		.amdhsa_system_sgpr_private_segment_wavefront_offset 0
		.amdhsa_system_sgpr_workgroup_id_x 1
		.amdhsa_system_sgpr_workgroup_id_y 0
		.amdhsa_system_sgpr_workgroup_id_z 0
		.amdhsa_system_sgpr_workgroup_info 0
		.amdhsa_system_vgpr_workitem_id 0
		.amdhsa_next_free_vgpr 38
		.amdhsa_next_free_sgpr 52
		.amdhsa_reserve_vcc 1
		.amdhsa_reserve_flat_scratch 0
		.amdhsa_float_round_mode_32 0
		.amdhsa_float_round_mode_16_64 0
		.amdhsa_float_denorm_mode_32 3
		.amdhsa_float_denorm_mode_16_64 3
		.amdhsa_dx10_clamp 1
		.amdhsa_ieee_mode 1
		.amdhsa_fp16_overflow 0
		.amdhsa_exception_fp_ieee_invalid_op 0
		.amdhsa_exception_fp_denorm_src 0
		.amdhsa_exception_fp_ieee_div_zero 0
		.amdhsa_exception_fp_ieee_overflow 0
		.amdhsa_exception_fp_ieee_underflow 0
		.amdhsa_exception_fp_ieee_inexact 0
		.amdhsa_exception_int_div_zero 0
	.end_amdhsa_kernel
	.section	.text._ZN2at6native32elementwise_kernel_manual_unrollILi128ELi8EZNS0_22gpu_kernel_impl_nocastINS0_12_GLOBAL__N_114CompareFunctorIfEEEEvRNS_18TensorIteratorBaseERKT_EUlibE_EEviT1_,"axG",@progbits,_ZN2at6native32elementwise_kernel_manual_unrollILi128ELi8EZNS0_22gpu_kernel_impl_nocastINS0_12_GLOBAL__N_114CompareFunctorIfEEEEvRNS_18TensorIteratorBaseERKT_EUlibE_EEviT1_,comdat
.Lfunc_end109:
	.size	_ZN2at6native32elementwise_kernel_manual_unrollILi128ELi8EZNS0_22gpu_kernel_impl_nocastINS0_12_GLOBAL__N_114CompareFunctorIfEEEEvRNS_18TensorIteratorBaseERKT_EUlibE_EEviT1_, .Lfunc_end109-_ZN2at6native32elementwise_kernel_manual_unrollILi128ELi8EZNS0_22gpu_kernel_impl_nocastINS0_12_GLOBAL__N_114CompareFunctorIfEEEEvRNS_18TensorIteratorBaseERKT_EUlibE_EEviT1_
                                        ; -- End function
	.set _ZN2at6native32elementwise_kernel_manual_unrollILi128ELi8EZNS0_22gpu_kernel_impl_nocastINS0_12_GLOBAL__N_114CompareFunctorIfEEEEvRNS_18TensorIteratorBaseERKT_EUlibE_EEviT1_.num_vgpr, 38
	.set _ZN2at6native32elementwise_kernel_manual_unrollILi128ELi8EZNS0_22gpu_kernel_impl_nocastINS0_12_GLOBAL__N_114CompareFunctorIfEEEEvRNS_18TensorIteratorBaseERKT_EUlibE_EEviT1_.num_agpr, 0
	.set _ZN2at6native32elementwise_kernel_manual_unrollILi128ELi8EZNS0_22gpu_kernel_impl_nocastINS0_12_GLOBAL__N_114CompareFunctorIfEEEEvRNS_18TensorIteratorBaseERKT_EUlibE_EEviT1_.numbered_sgpr, 52
	.set _ZN2at6native32elementwise_kernel_manual_unrollILi128ELi8EZNS0_22gpu_kernel_impl_nocastINS0_12_GLOBAL__N_114CompareFunctorIfEEEEvRNS_18TensorIteratorBaseERKT_EUlibE_EEviT1_.num_named_barrier, 0
	.set _ZN2at6native32elementwise_kernel_manual_unrollILi128ELi8EZNS0_22gpu_kernel_impl_nocastINS0_12_GLOBAL__N_114CompareFunctorIfEEEEvRNS_18TensorIteratorBaseERKT_EUlibE_EEviT1_.private_seg_size, 0
	.set _ZN2at6native32elementwise_kernel_manual_unrollILi128ELi8EZNS0_22gpu_kernel_impl_nocastINS0_12_GLOBAL__N_114CompareFunctorIfEEEEvRNS_18TensorIteratorBaseERKT_EUlibE_EEviT1_.uses_vcc, 1
	.set _ZN2at6native32elementwise_kernel_manual_unrollILi128ELi8EZNS0_22gpu_kernel_impl_nocastINS0_12_GLOBAL__N_114CompareFunctorIfEEEEvRNS_18TensorIteratorBaseERKT_EUlibE_EEviT1_.uses_flat_scratch, 0
	.set _ZN2at6native32elementwise_kernel_manual_unrollILi128ELi8EZNS0_22gpu_kernel_impl_nocastINS0_12_GLOBAL__N_114CompareFunctorIfEEEEvRNS_18TensorIteratorBaseERKT_EUlibE_EEviT1_.has_dyn_sized_stack, 0
	.set _ZN2at6native32elementwise_kernel_manual_unrollILi128ELi8EZNS0_22gpu_kernel_impl_nocastINS0_12_GLOBAL__N_114CompareFunctorIfEEEEvRNS_18TensorIteratorBaseERKT_EUlibE_EEviT1_.has_recursion, 0
	.set _ZN2at6native32elementwise_kernel_manual_unrollILi128ELi8EZNS0_22gpu_kernel_impl_nocastINS0_12_GLOBAL__N_114CompareFunctorIfEEEEvRNS_18TensorIteratorBaseERKT_EUlibE_EEviT1_.has_indirect_call, 0
	.section	.AMDGPU.csdata,"",@progbits
; Kernel info:
; codeLenInByte = 12132
; TotalNumSgprs: 56
; NumVgprs: 38
; ScratchSize: 0
; MemoryBound: 0
; FloatMode: 240
; IeeeMode: 1
; LDSByteSize: 0 bytes/workgroup (compile time only)
; SGPRBlocks: 6
; VGPRBlocks: 9
; NumSGPRsForWavesPerEU: 56
; NumVGPRsForWavesPerEU: 38
; Occupancy: 6
; WaveLimiterHint : 1
; COMPUTE_PGM_RSRC2:SCRATCH_EN: 0
; COMPUTE_PGM_RSRC2:USER_SGPR: 6
; COMPUTE_PGM_RSRC2:TRAP_HANDLER: 0
; COMPUTE_PGM_RSRC2:TGID_X_EN: 1
; COMPUTE_PGM_RSRC2:TGID_Y_EN: 0
; COMPUTE_PGM_RSRC2:TGID_Z_EN: 0
; COMPUTE_PGM_RSRC2:TIDIG_COMP_CNT: 0
	.section	.text._ZN2at6native32elementwise_kernel_manual_unrollILi128ELi4EZNS0_15gpu_kernel_implINS0_12_GLOBAL__N_114CompareFunctorIfEEEEvRNS_18TensorIteratorBaseERKT_EUlibE_EEviT1_,"axG",@progbits,_ZN2at6native32elementwise_kernel_manual_unrollILi128ELi4EZNS0_15gpu_kernel_implINS0_12_GLOBAL__N_114CompareFunctorIfEEEEvRNS_18TensorIteratorBaseERKT_EUlibE_EEviT1_,comdat
	.globl	_ZN2at6native32elementwise_kernel_manual_unrollILi128ELi4EZNS0_15gpu_kernel_implINS0_12_GLOBAL__N_114CompareFunctorIfEEEEvRNS_18TensorIteratorBaseERKT_EUlibE_EEviT1_ ; -- Begin function _ZN2at6native32elementwise_kernel_manual_unrollILi128ELi4EZNS0_15gpu_kernel_implINS0_12_GLOBAL__N_114CompareFunctorIfEEEEvRNS_18TensorIteratorBaseERKT_EUlibE_EEviT1_
	.p2align	8
	.type	_ZN2at6native32elementwise_kernel_manual_unrollILi128ELi4EZNS0_15gpu_kernel_implINS0_12_GLOBAL__N_114CompareFunctorIfEEEEvRNS_18TensorIteratorBaseERKT_EUlibE_EEviT1_,@function
_ZN2at6native32elementwise_kernel_manual_unrollILi128ELi4EZNS0_15gpu_kernel_implINS0_12_GLOBAL__N_114CompareFunctorIfEEEEvRNS_18TensorIteratorBaseERKT_EUlibE_EEviT1_: ; @_ZN2at6native32elementwise_kernel_manual_unrollILi128ELi4EZNS0_15gpu_kernel_implINS0_12_GLOBAL__N_114CompareFunctorIfEEEEvRNS_18TensorIteratorBaseERKT_EUlibE_EEviT1_
; %bb.0:
	s_load_dword s33, s[4:5], 0x30
	s_load_dword s48, s[4:5], 0x0
	s_load_dwordx4 s[8:11], s[4:5], 0x8
	s_load_dwordx2 s[2:3], s[4:5], 0x18
	s_load_dwordx4 s[12:15], s[4:5], 0x20
	v_lshl_or_b32 v2, s6, 9, v0
	v_or_b32_e32 v0, 0x180, v2
	s_waitcnt lgkmcnt(0)
	s_lshr_b32 s55, s33, 8
	s_lshr_b32 s54, s33, 16
	v_cmp_le_i32_e32 vcc, s48, v0
	s_mov_b64 s[4:5], 0
	s_mov_b64 s[16:17], 0
	s_and_saveexec_b64 s[0:1], vcc
	s_xor_b64 s[6:7], exec, s[0:1]
	s_cbranch_execz .LBB110_1607
; %bb.1:
	v_cmp_gt_i32_e32 vcc, s48, v2
	s_mov_b64 s[0:1], -1
	s_mov_b64 s[26:27], 0
	s_mov_b64 s[20:21], 0
	;; [unrolled: 1-line block ×3, first 2 shown]
	s_and_saveexec_b64 s[22:23], vcc
	s_cbranch_execz .LBB110_399
; %bb.2:
	v_mul_lo_u32 v0, v2, s13
	v_mov_b32_e32 v1, s11
	s_and_b32 s24, s55, 0xff
	s_cmp_lt_i32 s24, 11
	v_ashrrev_i32_e32 v3, 31, v0
	v_add_co_u32_e32 v0, vcc, s10, v0
	v_addc_co_u32_e32 v1, vcc, v1, v3, vcc
	s_cbranch_scc1 .LBB110_9
; %bb.3:
	s_and_b32 s25, 0xffff, s24
	s_cmp_gt_i32 s25, 25
	s_cbranch_scc0 .LBB110_18
; %bb.4:
	s_cmp_gt_i32 s25, 28
	s_cbranch_scc0 .LBB110_25
; %bb.5:
	;; [unrolled: 3-line block ×4, first 2 shown]
	s_cmp_eq_u32 s25, 46
	s_cbranch_scc0 .LBB110_53
; %bb.8:
	global_load_dword v3, v[0:1], off
	s_waitcnt vmcnt(0)
	v_lshlrev_b32_e32 v3, 16, v3
	s_branch .LBB110_55
.LBB110_9:
                                        ; implicit-def: $vgpr3
	s_mov_b64 s[0:1], 0
	s_cbranch_execnz .LBB110_121
.LBB110_10:
	s_andn2_b64 vcc, exec, s[0:1]
	s_cbranch_vccnz .LBB110_168
.LBB110_11:
	v_mul_lo_u32 v0, v2, s14
	v_mov_b32_e32 v1, s3
	s_and_b32 s28, s54, 0xff
	s_cmp_lt_i32 s28, 11
	v_ashrrev_i32_e32 v4, 31, v0
	v_add_co_u32_e32 v0, vcc, s2, v0
	v_addc_co_u32_e32 v1, vcc, v1, v4, vcc
	s_cbranch_scc1 .LBB110_19
; %bb.12:
	s_and_b32 s29, 0xffff, s28
	s_cmp_gt_i32 s29, 25
	s_cbranch_scc0 .LBB110_26
; %bb.13:
	s_cmp_gt_i32 s29, 28
	s_cbranch_scc0 .LBB110_31
; %bb.14:
	;; [unrolled: 3-line block ×4, first 2 shown]
	s_cmp_eq_u32 s29, 46
	s_mov_b64 s[16:17], 0
	s_cbranch_scc0 .LBB110_169
; %bb.17:
	global_load_dword v4, v[0:1], off
	s_mov_b64 s[0:1], -1
	s_mov_b64 s[18:19], 0
	s_waitcnt vmcnt(0)
	v_lshlrev_b32_e32 v4, 16, v4
	s_branch .LBB110_171
.LBB110_18:
	s_mov_b64 s[0:1], 0
                                        ; implicit-def: $vgpr3
	s_cbranch_execnz .LBB110_86
	s_branch .LBB110_120
.LBB110_19:
	s_mov_b64 s[18:19], 0
                                        ; implicit-def: $vgpr4
	s_mov_b64 s[0:1], 0
	s_cbranch_execnz .LBB110_348
.LBB110_20:
	s_andn2_b64 vcc, exec, s[0:1]
	s_cbranch_vccnz .LBB110_396
.LBB110_21:
	s_cmp_lt_i32 s15, 1
	s_mov_b64 s[0:1], 0
	s_cbranch_scc1 .LBB110_27
; %bb.22:
	s_cmp_gt_i32 s15, 1
	s_cbranch_scc0 .LBB110_32
; %bb.23:
	s_cmp_eq_u32 s15, 2
	s_cbranch_scc0 .LBB110_35
; %bb.24:
	s_waitcnt vmcnt(0)
	v_cmp_le_f32_e64 s[16:17], v3, v4
	s_mov_b64 s[24:25], 0
	s_branch .LBB110_36
.LBB110_25:
	s_mov_b64 s[16:17], -1
	s_mov_b64 s[0:1], 0
                                        ; implicit-def: $vgpr3
	s_branch .LBB110_67
.LBB110_26:
	s_mov_b64 s[16:17], -1
	s_mov_b64 s[18:19], 0
	s_mov_b64 s[0:1], 0
                                        ; implicit-def: $vgpr4
	s_branch .LBB110_312
.LBB110_27:
                                        ; implicit-def: $sgpr16_sgpr17
	s_mov_b64 s[24:25], 0
	s_cbranch_execnz .LBB110_40
.LBB110_28:
	s_andn2_b64 vcc, exec, s[24:25]
	s_cbranch_vccnz .LBB110_41
.LBB110_29:
	s_waitcnt vmcnt(0)
	v_cmp_lt_f32_e32 vcc, v3, v4
	s_andn2_b64 s[16:17], s[16:17], exec
	s_and_b64 s[24:25], vcc, exec
	s_or_b64 s[16:17], s[16:17], s[24:25]
	s_cbranch_execz .LBB110_42
	s_branch .LBB110_43
.LBB110_30:
	s_mov_b64 s[16:17], -1
	s_mov_b64 s[0:1], 0
                                        ; implicit-def: $vgpr3
	s_branch .LBB110_62
.LBB110_31:
	s_mov_b64 s[16:17], -1
	s_mov_b64 s[18:19], 0
	s_mov_b64 s[0:1], 0
                                        ; implicit-def: $vgpr4
	s_branch .LBB110_293
.LBB110_32:
	s_mov_b64 s[28:29], -1
	s_mov_b64 s[24:25], 0
                                        ; implicit-def: $sgpr16_sgpr17
	s_branch .LBB110_37
.LBB110_33:
	s_mov_b64 s[16:17], -1
	s_branch .LBB110_54
.LBB110_34:
	s_mov_b64 s[16:17], -1
	s_mov_b64 s[18:19], 0
	s_mov_b64 s[0:1], 0
                                        ; implicit-def: $vgpr4
	s_branch .LBB110_288
.LBB110_35:
	s_mov_b64 s[24:25], -1
                                        ; implicit-def: $sgpr16_sgpr17
.LBB110_36:
	s_mov_b64 s[28:29], 0
.LBB110_37:
	s_and_b64 vcc, exec, s[28:29]
	s_cbranch_vccz .LBB110_39
; %bb.38:
	s_waitcnt vmcnt(0)
	v_cmp_gt_f32_e32 vcc, v3, v4
	s_andn2_b64 s[16:17], s[16:17], exec
	s_and_b64 s[28:29], vcc, exec
	s_or_b64 s[16:17], s[16:17], s[28:29]
.LBB110_39:
	s_branch .LBB110_28
.LBB110_40:
	s_cmp_lg_u32 s15, 0
	s_mov_b64 s[0:1], -1
	s_cselect_b64 s[24:25], -1, 0
	s_andn2_b64 vcc, exec, s[24:25]
	s_cbranch_vccz .LBB110_29
.LBB110_41:
	s_andn2_b64 vcc, exec, s[0:1]
	s_cbranch_vccnz .LBB110_43
.LBB110_42:
	s_waitcnt vmcnt(0)
	v_cmp_ge_f32_e32 vcc, v3, v4
	s_andn2_b64 s[0:1], s[16:17], exec
	s_and_b64 s[16:17], vcc, exec
	s_or_b64 s[16:17], s[0:1], s[16:17]
.LBB110_43:
	v_mul_lo_u32 v0, v2, s12
	v_mov_b32_e32 v1, s9
	s_and_b32 s34, s33, 0xff
	s_cmp_lt_i32 s34, 11
	s_waitcnt vmcnt(0)
	v_ashrrev_i32_e32 v3, 31, v0
	v_add_co_u32_e32 v0, vcc, s8, v0
	v_addc_co_u32_e32 v1, vcc, v1, v3, vcc
	s_cbranch_scc1 .LBB110_50
; %bb.44:
	s_and_b32 s35, 0xffff, s34
	s_cmp_gt_i32 s35, 25
	s_cbranch_scc0 .LBB110_51
; %bb.45:
	s_cmp_gt_i32 s35, 28
	s_cbranch_scc0 .LBB110_52
; %bb.46:
	;; [unrolled: 3-line block ×4, first 2 shown]
	s_mov_b64 s[28:29], 0
	s_mov_b64 s[0:1], -1
	s_cmp_eq_u32 s35, 46
	s_mov_b64 s[24:25], 0
	s_cbranch_scc0 .LBB110_175
; %bb.49:
	v_cndmask_b32_e64 v3, 0, 1.0, s[16:17]
	v_bfe_u32 v4, v3, 16, 1
	s_movk_i32 s0, 0x7fff
	v_add3_u32 v3, v3, v4, s0
	v_lshrrev_b32_e32 v3, 16, v3
	global_store_dword v[0:1], v3, off
	s_mov_b64 s[24:25], -1
	s_mov_b64 s[0:1], 0
	s_branch .LBB110_175
.LBB110_50:
	s_mov_b64 s[28:29], -1
	s_mov_b64 s[0:1], 0
	s_mov_b64 s[24:25], 0
	s_branch .LBB110_244
.LBB110_51:
	s_mov_b64 s[28:29], -1
	s_mov_b64 s[0:1], 0
	s_mov_b64 s[24:25], 0
	s_branch .LBB110_202
.LBB110_52:
	s_mov_b64 s[28:29], -1
	s_mov_b64 s[0:1], 0
	s_mov_b64 s[24:25], 0
	s_branch .LBB110_185
.LBB110_53:
	s_mov_b64 s[20:21], -1
.LBB110_54:
	s_mov_b64 s[0:1], 0
                                        ; implicit-def: $vgpr3
.LBB110_55:
	s_and_b64 vcc, exec, s[16:17]
	s_cbranch_vccz .LBB110_61
; %bb.56:
	s_cmp_eq_u32 s25, 44
	s_cbranch_scc0 .LBB110_60
; %bb.57:
	global_load_ubyte v3, v[0:1], off
	s_movk_i32 s16, 0xff
	v_mov_b32_e32 v4, 0x7f800001
	v_mov_b32_e32 v5, 0x400000
	s_mov_b64 s[0:1], -1
	s_mov_b64 s[20:21], 0
	s_waitcnt vmcnt(0)
	v_lshlrev_b32_e32 v6, 23, v3
	v_cmp_ne_u32_e32 vcc, s16, v3
	v_cndmask_b32_e32 v4, v4, v6, vcc
	v_cmp_ne_u32_e32 vcc, 0, v3
	v_cndmask_b32_e32 v3, v5, v4, vcc
	s_branch .LBB110_61
.LBB110_58:
	s_mov_b64 s[16:17], -1
	s_mov_b64 s[18:19], 0
	s_branch .LBB110_170
.LBB110_59:
	s_mov_b64 s[28:29], -1
	s_mov_b64 s[0:1], 0
	s_mov_b64 s[24:25], 0
	s_branch .LBB110_181
.LBB110_60:
	s_mov_b64 s[20:21], -1
                                        ; implicit-def: $vgpr3
.LBB110_61:
	s_mov_b64 s[16:17], 0
.LBB110_62:
	s_and_b64 vcc, exec, s[16:17]
	s_cbranch_vccz .LBB110_66
; %bb.63:
	s_cmp_eq_u32 s25, 29
	s_cbranch_scc0 .LBB110_65
; %bb.64:
	global_load_dwordx2 v[3:4], v[0:1], off
	s_mov_b64 s[0:1], -1
	s_mov_b64 s[20:21], 0
	s_mov_b64 s[16:17], 0
	s_waitcnt vmcnt(0)
	v_ffbh_u32_e32 v5, v4
	v_min_u32_e32 v5, 32, v5
	v_lshlrev_b64 v[3:4], v5, v[3:4]
	v_min_u32_e32 v3, 1, v3
	v_or_b32_e32 v3, v4, v3
	v_cvt_f32_u32_e32 v3, v3
	v_sub_u32_e32 v4, 32, v5
	v_ldexp_f32 v3, v3, v4
	s_branch .LBB110_67
.LBB110_65:
	s_mov_b64 s[20:21], -1
                                        ; implicit-def: $vgpr3
.LBB110_66:
	s_mov_b64 s[16:17], 0
.LBB110_67:
	s_and_b64 vcc, exec, s[16:17]
	s_cbranch_vccz .LBB110_85
; %bb.68:
	s_cmp_lt_i32 s25, 27
	s_cbranch_scc1 .LBB110_71
; %bb.69:
	s_cmp_gt_i32 s25, 27
	s_cbranch_scc0 .LBB110_72
; %bb.70:
	global_load_dword v3, v[0:1], off
	s_mov_b64 s[0:1], 0
	s_waitcnt vmcnt(0)
	v_cvt_f32_u32_e32 v3, v3
	s_branch .LBB110_73
.LBB110_71:
	s_mov_b64 s[0:1], -1
                                        ; implicit-def: $vgpr3
	s_branch .LBB110_76
.LBB110_72:
	s_mov_b64 s[0:1], -1
                                        ; implicit-def: $vgpr3
.LBB110_73:
	s_andn2_b64 vcc, exec, s[0:1]
	s_cbranch_vccnz .LBB110_75
; %bb.74:
	global_load_ushort v3, v[0:1], off
	s_waitcnt vmcnt(0)
	v_cvt_f32_u32_e32 v3, v3
.LBB110_75:
	s_mov_b64 s[0:1], 0
.LBB110_76:
	s_andn2_b64 vcc, exec, s[0:1]
	s_cbranch_vccnz .LBB110_84
; %bb.77:
	global_load_ubyte v4, v[0:1], off
	s_movk_i32 s0, 0x7f
	s_waitcnt vmcnt(0)
	v_cmp_lt_i16_e32 vcc, s0, v4
	s_mov_b64 s[0:1], 0
	s_and_saveexec_b64 s[16:17], vcc
	s_xor_b64 s[16:17], exec, s[16:17]
	s_cbranch_execz .LBB110_97
; %bb.78:
	s_movk_i32 s0, 0x80
	v_cmp_eq_u16_e32 vcc, s0, v4
	s_mov_b64 s[0:1], -1
	s_and_saveexec_b64 s[18:19], vcc
; %bb.79:
	s_xor_b64 s[0:1], exec, -1
; %bb.80:
	s_or_b64 exec, exec, s[18:19]
	s_and_b64 s[0:1], s[0:1], exec
	s_or_saveexec_b64 s[16:17], s[16:17]
	v_mov_b32_e32 v3, 0x7f800001
	s_xor_b64 exec, exec, s[16:17]
	s_cbranch_execnz .LBB110_98
.LBB110_81:
	s_or_b64 exec, exec, s[16:17]
	s_and_saveexec_b64 s[16:17], s[0:1]
	s_cbranch_execz .LBB110_83
.LBB110_82:
	v_lshlrev_b32_e32 v3, 24, v4
	v_and_b32_e32 v4, 0xffff, v4
	v_and_b32_e32 v5, 7, v4
	v_ffbh_u32_e32 v7, v5
	v_min_u32_e32 v7, 32, v7
	v_subrev_u32_e32 v8, 28, v7
	v_bfe_u32 v6, v4, 3, 4
	v_lshlrev_b32_e32 v4, v8, v4
	v_sub_u32_e32 v7, 29, v7
	v_and_b32_e32 v4, 7, v4
	v_cmp_eq_u32_e32 vcc, 0, v6
	v_cndmask_b32_e32 v6, v6, v7, vcc
	v_cndmask_b32_e32 v4, v5, v4, vcc
	v_mov_b32_e32 v5, 0x3b800000
	v_lshlrev_b32_e32 v4, 20, v4
	v_and_b32_e32 v3, 0x80000000, v3
	v_lshl_add_u32 v5, v6, 23, v5
	v_or3_b32 v3, v3, v5, v4
.LBB110_83:
	s_or_b64 exec, exec, s[16:17]
.LBB110_84:
	s_mov_b64 s[0:1], -1
.LBB110_85:
	s_branch .LBB110_120
.LBB110_86:
	s_cmp_gt_i32 s25, 22
	s_cbranch_scc0 .LBB110_96
; %bb.87:
	s_cmp_lt_i32 s25, 24
	s_cbranch_scc1 .LBB110_99
; %bb.88:
	s_cmp_gt_i32 s25, 24
	s_cbranch_scc0 .LBB110_100
; %bb.89:
	global_load_ubyte v4, v[0:1], off
	s_movk_i32 s0, 0x7f
	s_waitcnt vmcnt(0)
	v_cmp_lt_i16_e32 vcc, s0, v4
	s_mov_b64 s[0:1], 0
	s_and_saveexec_b64 s[16:17], vcc
	s_xor_b64 s[16:17], exec, s[16:17]
	s_cbranch_execz .LBB110_112
; %bb.90:
	s_movk_i32 s0, 0x80
	v_cmp_eq_u16_e32 vcc, s0, v4
	s_mov_b64 s[0:1], -1
	s_and_saveexec_b64 s[18:19], vcc
; %bb.91:
	s_xor_b64 s[0:1], exec, -1
; %bb.92:
	s_or_b64 exec, exec, s[18:19]
	s_and_b64 s[0:1], s[0:1], exec
	s_or_saveexec_b64 s[16:17], s[16:17]
	v_mov_b32_e32 v3, 0x7f800001
	s_xor_b64 exec, exec, s[16:17]
	s_cbranch_execnz .LBB110_113
.LBB110_93:
	s_or_b64 exec, exec, s[16:17]
	s_and_saveexec_b64 s[16:17], s[0:1]
	s_cbranch_execz .LBB110_95
.LBB110_94:
	v_lshlrev_b32_e32 v3, 24, v4
	v_and_b32_e32 v4, 0xffff, v4
	v_and_b32_e32 v5, 3, v4
	v_ffbh_u32_e32 v7, v5
	v_min_u32_e32 v7, 32, v7
	v_subrev_u32_e32 v8, 29, v7
	v_bfe_u32 v6, v4, 2, 5
	v_lshlrev_b32_e32 v4, v8, v4
	v_sub_u32_e32 v7, 30, v7
	v_and_b32_e32 v4, 3, v4
	v_cmp_eq_u32_e32 vcc, 0, v6
	v_cndmask_b32_e32 v6, v6, v7, vcc
	v_cndmask_b32_e32 v4, v5, v4, vcc
	v_mov_b32_e32 v5, 0x37800000
	v_lshlrev_b32_e32 v4, 21, v4
	v_and_b32_e32 v3, 0x80000000, v3
	v_lshl_add_u32 v5, v6, 23, v5
	v_or3_b32 v3, v3, v5, v4
.LBB110_95:
	s_or_b64 exec, exec, s[16:17]
	s_mov_b64 s[0:1], 0
	s_branch .LBB110_101
.LBB110_96:
	s_mov_b64 s[16:17], -1
                                        ; implicit-def: $vgpr3
	s_branch .LBB110_107
.LBB110_97:
	s_or_saveexec_b64 s[16:17], s[16:17]
	v_mov_b32_e32 v3, 0x7f800001
	s_xor_b64 exec, exec, s[16:17]
	s_cbranch_execz .LBB110_81
.LBB110_98:
	v_cmp_ne_u16_e32 vcc, 0, v4
	s_andn2_b64 s[0:1], s[0:1], exec
	s_and_b64 s[18:19], vcc, exec
	v_mov_b32_e32 v3, 0
	s_or_b64 s[0:1], s[0:1], s[18:19]
	s_or_b64 exec, exec, s[16:17]
	s_and_saveexec_b64 s[16:17], s[0:1]
	s_cbranch_execnz .LBB110_82
	s_branch .LBB110_83
.LBB110_99:
	s_mov_b64 s[0:1], -1
                                        ; implicit-def: $vgpr3
	s_branch .LBB110_104
.LBB110_100:
	s_mov_b64 s[0:1], -1
                                        ; implicit-def: $vgpr3
.LBB110_101:
	s_and_b64 vcc, exec, s[0:1]
	s_cbranch_vccz .LBB110_103
; %bb.102:
	global_load_ubyte v3, v[0:1], off
	s_mov_b32 s0, 0x7f800000
	s_waitcnt vmcnt(0)
	v_lshlrev_b32_e32 v3, 24, v3
	v_and_b32_e32 v4, 0x7f000000, v3
	v_ffbh_u32_e32 v5, v4
	v_min_u32_e32 v5, 32, v5
	v_sub_u32_e64 v5, v5, 4 clamp
	v_lshlrev_b32_e32 v7, v5, v4
	v_lshlrev_b32_e32 v5, 23, v5
	v_lshrrev_b32_e32 v7, 4, v7
	v_add_u32_e32 v6, 0x1000000, v4
	v_sub_u32_e32 v5, v7, v5
	v_ashrrev_i32_e32 v6, 8, v6
	v_add_u32_e32 v5, 0x3c000000, v5
	v_and_or_b32 v5, v6, s0, v5
	v_cmp_ne_u32_e32 vcc, 0, v4
	v_cndmask_b32_e32 v4, 0, v5, vcc
	s_brev_b32 s0, 1
	v_and_or_b32 v3, v3, s0, v4
.LBB110_103:
	s_mov_b64 s[0:1], 0
.LBB110_104:
	s_andn2_b64 vcc, exec, s[0:1]
	s_cbranch_vccnz .LBB110_106
; %bb.105:
	global_load_ubyte v3, v[0:1], off
	s_movk_i32 s0, 0x7f00
	s_brev_b32 s1, 16
	s_waitcnt vmcnt(0)
	v_lshlrev_b16_e32 v4, 8, v3
	v_lshlrev_b32_e32 v3, 25, v3
	v_lshrrev_b32_e32 v5, 4, v3
	v_and_or_b32 v6, v4, s0, 0.5
	v_or_b32_e32 v5, 0x70000000, v5
	v_add_f32_e32 v6, -0.5, v6
	v_mul_f32_e32 v5, 0x7800000, v5
	v_cmp_gt_u32_e32 vcc, s1, v3
	v_bfe_i32 v4, v4, 0, 16
	v_cndmask_b32_e32 v3, v5, v6, vcc
	s_brev_b32 s0, 1
	v_and_or_b32 v3, v4, s0, v3
.LBB110_106:
	s_mov_b64 s[16:17], 0
	s_mov_b64 s[0:1], -1
.LBB110_107:
	s_andn2_b64 vcc, exec, s[16:17]
	s_cbranch_vccnz .LBB110_120
; %bb.108:
	s_cmp_gt_i32 s25, 14
	s_cbranch_scc0 .LBB110_111
; %bb.109:
	s_cmp_eq_u32 s25, 15
	s_cbranch_scc0 .LBB110_114
; %bb.110:
	global_load_ushort v3, v[0:1], off
	s_mov_b64 s[0:1], -1
	s_mov_b64 s[20:21], 0
	s_waitcnt vmcnt(0)
	v_lshlrev_b32_e32 v3, 16, v3
	s_branch .LBB110_115
.LBB110_111:
	s_mov_b64 s[16:17], -1
                                        ; implicit-def: $vgpr3
	s_branch .LBB110_116
.LBB110_112:
	s_or_saveexec_b64 s[16:17], s[16:17]
	v_mov_b32_e32 v3, 0x7f800001
	s_xor_b64 exec, exec, s[16:17]
	s_cbranch_execz .LBB110_93
.LBB110_113:
	v_cmp_ne_u16_e32 vcc, 0, v4
	s_andn2_b64 s[0:1], s[0:1], exec
	s_and_b64 s[18:19], vcc, exec
	v_mov_b32_e32 v3, 0
	s_or_b64 s[0:1], s[0:1], s[18:19]
	s_or_b64 exec, exec, s[16:17]
	s_and_saveexec_b64 s[16:17], s[0:1]
	s_cbranch_execnz .LBB110_94
	s_branch .LBB110_95
.LBB110_114:
	s_mov_b64 s[20:21], -1
                                        ; implicit-def: $vgpr3
.LBB110_115:
	s_mov_b64 s[16:17], 0
.LBB110_116:
	s_and_b64 vcc, exec, s[16:17]
	s_cbranch_vccz .LBB110_120
; %bb.117:
	s_cmp_eq_u32 s25, 11
	s_cbranch_scc0 .LBB110_119
; %bb.118:
	global_load_ubyte v3, v[0:1], off
	s_mov_b64 s[0:1], -1
	s_mov_b64 s[20:21], 0
	s_waitcnt vmcnt(0)
	v_cmp_ne_u16_e32 vcc, 0, v3
	v_cndmask_b32_e64 v3, 0, 1.0, vcc
	s_branch .LBB110_120
.LBB110_119:
	s_mov_b64 s[20:21], -1
                                        ; implicit-def: $vgpr3
.LBB110_120:
	s_branch .LBB110_10
.LBB110_121:
	s_and_b32 s16, 0xffff, s24
	s_cmp_lt_i32 s16, 5
	s_cbranch_scc1 .LBB110_126
; %bb.122:
	s_cmp_lt_i32 s16, 8
	s_cbranch_scc1 .LBB110_127
; %bb.123:
	;; [unrolled: 3-line block ×3, first 2 shown]
	s_cmp_gt_i32 s16, 9
	s_cbranch_scc0 .LBB110_129
; %bb.125:
	global_load_dwordx2 v[3:4], v[0:1], off
	s_mov_b64 s[0:1], 0
	s_waitcnt vmcnt(0)
	v_cvt_f32_f64_e32 v3, v[3:4]
	s_branch .LBB110_130
.LBB110_126:
                                        ; implicit-def: $vgpr3
	s_branch .LBB110_148
.LBB110_127:
	s_mov_b64 s[0:1], -1
                                        ; implicit-def: $vgpr3
	s_branch .LBB110_136
.LBB110_128:
	s_mov_b64 s[0:1], -1
                                        ; implicit-def: $vgpr3
	s_branch .LBB110_133
.LBB110_129:
	s_mov_b64 s[0:1], -1
                                        ; implicit-def: $vgpr3
.LBB110_130:
	s_andn2_b64 vcc, exec, s[0:1]
	s_cbranch_vccnz .LBB110_132
; %bb.131:
	global_load_dword v3, v[0:1], off
.LBB110_132:
	s_mov_b64 s[0:1], 0
.LBB110_133:
	s_andn2_b64 vcc, exec, s[0:1]
	s_cbranch_vccnz .LBB110_135
; %bb.134:
	global_load_dword v3, v[0:1], off
	s_waitcnt vmcnt(0)
	v_cvt_f32_f16_e32 v3, v3
.LBB110_135:
	s_mov_b64 s[0:1], 0
.LBB110_136:
	s_andn2_b64 vcc, exec, s[0:1]
	s_cbranch_vccnz .LBB110_147
; %bb.137:
	s_cmp_lt_i32 s16, 6
	s_cbranch_scc1 .LBB110_140
; %bb.138:
	s_cmp_gt_i32 s16, 6
	s_cbranch_scc0 .LBB110_141
; %bb.139:
	global_load_dwordx2 v[3:4], v[0:1], off
	s_mov_b64 s[0:1], 0
	s_waitcnt vmcnt(0)
	v_cvt_f32_f64_e32 v3, v[3:4]
	s_branch .LBB110_142
.LBB110_140:
	s_mov_b64 s[0:1], -1
                                        ; implicit-def: $vgpr3
	s_branch .LBB110_145
.LBB110_141:
	s_mov_b64 s[0:1], -1
                                        ; implicit-def: $vgpr3
.LBB110_142:
	s_andn2_b64 vcc, exec, s[0:1]
	s_cbranch_vccnz .LBB110_144
; %bb.143:
	global_load_dword v3, v[0:1], off
.LBB110_144:
	s_mov_b64 s[0:1], 0
.LBB110_145:
	s_andn2_b64 vcc, exec, s[0:1]
	s_cbranch_vccnz .LBB110_147
; %bb.146:
	global_load_ushort v3, v[0:1], off
	s_waitcnt vmcnt(0)
	v_cvt_f32_f16_e32 v3, v3
.LBB110_147:
	s_cbranch_execnz .LBB110_167
.LBB110_148:
	s_cmp_lt_i32 s16, 2
	s_cbranch_scc1 .LBB110_152
; %bb.149:
	s_cmp_lt_i32 s16, 3
	s_cbranch_scc1 .LBB110_153
; %bb.150:
	s_cmp_gt_i32 s16, 3
	s_cbranch_scc0 .LBB110_154
; %bb.151:
	global_load_dwordx2 v[3:4], v[0:1], off
	s_mov_b64 s[0:1], 0
	s_waitcnt vmcnt(0)
	v_xor_b32_e32 v6, v3, v4
	v_ffbh_i32_e32 v5, v4
	v_ashrrev_i32_e32 v6, 31, v6
	v_add_u32_e32 v5, -1, v5
	v_add_u32_e32 v6, 32, v6
	v_min_u32_e32 v5, v5, v6
	v_lshlrev_b64 v[3:4], v5, v[3:4]
	v_min_u32_e32 v3, 1, v3
	v_or_b32_e32 v3, v4, v3
	v_cvt_f32_i32_e32 v3, v3
	v_sub_u32_e32 v4, 32, v5
	v_ldexp_f32 v3, v3, v4
	s_branch .LBB110_155
.LBB110_152:
	s_mov_b64 s[0:1], -1
                                        ; implicit-def: $vgpr3
	s_branch .LBB110_161
.LBB110_153:
	s_mov_b64 s[0:1], -1
                                        ; implicit-def: $vgpr3
	s_branch .LBB110_158
.LBB110_154:
	s_mov_b64 s[0:1], -1
                                        ; implicit-def: $vgpr3
.LBB110_155:
	s_andn2_b64 vcc, exec, s[0:1]
	s_cbranch_vccnz .LBB110_157
; %bb.156:
	global_load_dword v3, v[0:1], off
	s_waitcnt vmcnt(0)
	v_cvt_f32_i32_e32 v3, v3
.LBB110_157:
	s_mov_b64 s[0:1], 0
.LBB110_158:
	s_andn2_b64 vcc, exec, s[0:1]
	s_cbranch_vccnz .LBB110_160
; %bb.159:
	global_load_sshort v3, v[0:1], off
	s_waitcnt vmcnt(0)
	v_cvt_f32_i32_e32 v3, v3
.LBB110_160:
	s_mov_b64 s[0:1], 0
.LBB110_161:
	s_andn2_b64 vcc, exec, s[0:1]
	s_cbranch_vccnz .LBB110_167
; %bb.162:
	s_cmp_gt_i32 s16, 0
	s_cbranch_scc0 .LBB110_164
; %bb.163:
	global_load_sbyte v3, v[0:1], off
	s_mov_b64 s[0:1], 0
	s_waitcnt vmcnt(0)
	v_cvt_f32_i32_e32 v3, v3
	s_branch .LBB110_165
.LBB110_164:
	s_mov_b64 s[0:1], -1
                                        ; implicit-def: $vgpr3
.LBB110_165:
	s_andn2_b64 vcc, exec, s[0:1]
	s_cbranch_vccnz .LBB110_167
; %bb.166:
	global_load_ubyte v0, v[0:1], off
	s_waitcnt vmcnt(0)
	v_cvt_f32_ubyte0_e32 v3, v0
.LBB110_167:
	s_branch .LBB110_11
.LBB110_168:
	s_mov_b64 s[0:1], 0
	s_mov_b64 s[18:19], 0
	s_branch .LBB110_397
.LBB110_169:
	s_mov_b64 s[18:19], -1
.LBB110_170:
	s_mov_b64 s[0:1], 0
                                        ; implicit-def: $vgpr4
.LBB110_171:
	s_and_b64 vcc, exec, s[16:17]
	s_cbranch_vccz .LBB110_287
; %bb.172:
	s_cmp_eq_u32 s29, 44
	s_cbranch_scc0 .LBB110_286
; %bb.173:
	global_load_ubyte v4, v[0:1], off
	s_movk_i32 s16, 0xff
	v_mov_b32_e32 v5, 0x7f800001
	v_mov_b32_e32 v6, 0x400000
	s_mov_b64 s[0:1], -1
	s_mov_b64 s[18:19], 0
	s_waitcnt vmcnt(0)
	v_lshlrev_b32_e32 v7, 23, v4
	v_cmp_ne_u32_e32 vcc, s16, v4
	v_cndmask_b32_e32 v5, v5, v7, vcc
	v_cmp_ne_u32_e32 vcc, 0, v4
	v_cndmask_b32_e32 v4, v6, v5, vcc
	s_branch .LBB110_287
.LBB110_174:
	s_mov_b64 s[28:29], -1
	s_mov_b64 s[0:1], 0
	s_mov_b64 s[24:25], 0
.LBB110_175:
	s_and_b64 vcc, exec, s[28:29]
	s_cbranch_vccz .LBB110_180
; %bb.176:
	s_cmp_eq_u32 s35, 44
	s_mov_b64 s[0:1], -1
	s_cbranch_scc0 .LBB110_180
; %bb.177:
	v_cndmask_b32_e64 v4, 0, 1.0, s[16:17]
	v_lshrrev_b32_e32 v3, 23, v4
	s_movk_i32 s0, 0xff
	v_cmp_ne_u32_e32 vcc, s0, v3
	v_mov_b32_e32 v5, 0xff
	s_and_saveexec_b64 s[24:25], vcc
; %bb.178:
	s_mov_b32 s0, 0x3fffff
	v_and_b32_e32 v5, 0x400000, v4
	v_and_or_b32 v4, v4, s0, v3
	v_cmp_ne_u32_e32 vcc, 0, v5
	v_cmp_ne_u32_e64 s[0:1], 0, v4
	s_and_b64 s[0:1], vcc, s[0:1]
	v_cndmask_b32_e64 v4, 0, 1, s[0:1]
	v_add_u32_e32 v5, v3, v4
; %bb.179:
	s_or_b64 exec, exec, s[24:25]
	s_mov_b64 s[24:25], -1
	s_mov_b64 s[0:1], 0
	global_store_byte v[0:1], v5, off
.LBB110_180:
	s_mov_b64 s[28:29], 0
.LBB110_181:
	s_and_b64 vcc, exec, s[28:29]
	s_cbranch_vccz .LBB110_184
; %bb.182:
	s_cmp_eq_u32 s35, 29
	s_mov_b64 s[0:1], -1
	s_cbranch_scc0 .LBB110_184
; %bb.183:
	s_mov_b32 s0, 0
	v_cndmask_b32_e64 v3, 0, 1, s[16:17]
	v_mov_b32_e32 v4, s0
	global_store_dwordx2 v[0:1], v[3:4], off
	s_mov_b64 s[24:25], -1
	s_mov_b64 s[0:1], 0
.LBB110_184:
	s_mov_b64 s[28:29], 0
.LBB110_185:
	s_and_b64 vcc, exec, s[28:29]
	s_cbranch_vccz .LBB110_201
; %bb.186:
	s_cmp_lt_i32 s35, 27
	s_mov_b64 s[24:25], -1
	s_cbranch_scc1 .LBB110_192
; %bb.187:
	s_cmp_gt_i32 s35, 27
	s_cbranch_scc0 .LBB110_189
; %bb.188:
	v_cndmask_b32_e64 v3, 0, 1, s[16:17]
	s_mov_b64 s[24:25], 0
	global_store_dword v[0:1], v3, off
.LBB110_189:
	s_andn2_b64 vcc, exec, s[24:25]
	s_cbranch_vccnz .LBB110_191
; %bb.190:
	v_cndmask_b32_e64 v3, 0, 1, s[16:17]
	global_store_short v[0:1], v3, off
.LBB110_191:
	s_mov_b64 s[24:25], 0
.LBB110_192:
	s_andn2_b64 vcc, exec, s[24:25]
	s_cbranch_vccnz .LBB110_200
; %bb.193:
	v_cndmask_b32_e64 v4, 0, 1.0, s[16:17]
	s_mov_b32 s24, 0x43800000
	v_cmp_gt_u32_e32 vcc, s24, v4
	v_mov_b32_e32 v5, 0x80
	s_and_saveexec_b64 s[24:25], vcc
	s_cbranch_execz .LBB110_199
; %bb.194:
	s_mov_b32 s28, 0x3bffffff
	v_cmp_lt_u32_e32 vcc, s28, v4
	s_mov_b64 s[28:29], 0
                                        ; implicit-def: $vgpr3
	s_and_saveexec_b64 s[30:31], vcc
	s_xor_b64 s[30:31], exec, s[30:31]
	s_cbranch_execz .LBB110_428
; %bb.195:
	v_bfe_u32 v3, v4, 20, 1
	s_mov_b32 s36, 0x487ffff
	v_add3_u32 v3, v4, v3, s36
	s_mov_b64 s[28:29], exec
	v_lshrrev_b32_e32 v3, 20, v3
                                        ; implicit-def: $vgpr4
	s_andn2_saveexec_b64 s[30:31], s[30:31]
	s_cbranch_execnz .LBB110_429
.LBB110_196:
	s_or_b64 exec, exec, s[30:31]
	v_mov_b32_e32 v5, 0
	s_and_saveexec_b64 s[30:31], s[28:29]
.LBB110_197:
	v_mov_b32_e32 v5, v3
.LBB110_198:
	s_or_b64 exec, exec, s[30:31]
.LBB110_199:
	s_or_b64 exec, exec, s[24:25]
	global_store_byte v[0:1], v5, off
.LBB110_200:
	s_mov_b64 s[24:25], -1
.LBB110_201:
	s_mov_b64 s[28:29], 0
.LBB110_202:
	s_and_b64 vcc, exec, s[28:29]
	s_cbranch_vccz .LBB110_243
; %bb.203:
	s_cmp_gt_i32 s35, 22
	s_mov_b64 s[28:29], -1
	s_cbranch_scc0 .LBB110_235
; %bb.204:
	s_cmp_lt_i32 s35, 24
	s_mov_b64 s[24:25], -1
	s_cbranch_scc1 .LBB110_224
; %bb.205:
	s_cmp_gt_i32 s35, 24
	s_cbranch_scc0 .LBB110_213
; %bb.206:
	v_cndmask_b32_e64 v4, 0, 1.0, s[16:17]
	s_mov_b32 s24, 0x47800000
	v_cmp_gt_u32_e32 vcc, s24, v4
	v_mov_b32_e32 v5, 0x80
	s_and_saveexec_b64 s[24:25], vcc
	s_cbranch_execz .LBB110_212
; %bb.207:
	s_mov_b32 s28, 0x37ffffff
	v_cmp_lt_u32_e32 vcc, s28, v4
	s_mov_b64 s[28:29], 0
                                        ; implicit-def: $vgpr3
	s_and_saveexec_b64 s[30:31], vcc
	s_xor_b64 s[30:31], exec, s[30:31]
	s_cbranch_execz .LBB110_547
; %bb.208:
	v_bfe_u32 v3, v4, 21, 1
	s_mov_b32 s36, 0x88fffff
	v_add3_u32 v3, v4, v3, s36
	s_mov_b64 s[28:29], exec
	v_lshrrev_b32_e32 v3, 21, v3
                                        ; implicit-def: $vgpr4
	s_andn2_saveexec_b64 s[30:31], s[30:31]
	s_cbranch_execnz .LBB110_548
.LBB110_209:
	s_or_b64 exec, exec, s[30:31]
	v_mov_b32_e32 v5, 0
	s_and_saveexec_b64 s[30:31], s[28:29]
.LBB110_210:
	v_mov_b32_e32 v5, v3
.LBB110_211:
	s_or_b64 exec, exec, s[30:31]
.LBB110_212:
	s_or_b64 exec, exec, s[24:25]
	s_mov_b64 s[24:25], 0
	global_store_byte v[0:1], v5, off
.LBB110_213:
	s_and_b64 vcc, exec, s[24:25]
	s_cbranch_vccz .LBB110_223
; %bb.214:
	v_cndmask_b32_e64 v3, 0, 1.0, s[16:17]
	s_mov_b32 s24, 0x43f00000
	v_cmp_gt_u32_e32 vcc, s24, v3
                                        ; implicit-def: $vgpr4
	s_and_saveexec_b64 s[24:25], vcc
	s_xor_b64 s[24:25], exec, s[24:25]
	s_cbranch_execz .LBB110_220
; %bb.215:
	s_mov_b32 s28, 0x3c7fffff
	v_cmp_lt_u32_e32 vcc, s28, v3
                                        ; implicit-def: $vgpr4
	s_and_saveexec_b64 s[28:29], vcc
	s_xor_b64 s[28:29], exec, s[28:29]
; %bb.216:
	v_bfe_u32 v4, v3, 20, 1
	s_mov_b32 s30, 0x407ffff
	v_add3_u32 v3, v3, v4, s30
	v_lshrrev_b32_e32 v4, 20, v3
	v_and_b32_e32 v3, 0xff00000, v3
	s_mov_b32 s30, 0x7f00000
	v_mov_b32_e32 v5, 0x7e
	v_cmp_ne_u32_e32 vcc, s30, v3
	v_cndmask_b32_e32 v4, v5, v4, vcc
                                        ; implicit-def: $vgpr3
; %bb.217:
	s_andn2_saveexec_b64 s[28:29], s[28:29]
; %bb.218:
	v_add_f32_e32 v4, 0x46800000, v3
; %bb.219:
	s_or_b64 exec, exec, s[28:29]
                                        ; implicit-def: $vgpr3
.LBB110_220:
	s_andn2_saveexec_b64 s[24:25], s[24:25]
; %bb.221:
	s_mov_b32 s28, 0x7f800000
	v_mov_b32_e32 v4, 0x7e
	v_mov_b32_e32 v5, 0x7f
	v_cmp_lt_u32_e32 vcc, s28, v3
	v_cndmask_b32_e32 v4, v4, v5, vcc
; %bb.222:
	s_or_b64 exec, exec, s[24:25]
	global_store_byte v[0:1], v4, off
.LBB110_223:
	s_mov_b64 s[24:25], 0
.LBB110_224:
	s_andn2_b64 vcc, exec, s[24:25]
	s_cbranch_vccnz .LBB110_234
; %bb.225:
	v_cndmask_b32_e64 v3, 0, 1.0, s[16:17]
	s_mov_b32 s24, 0x47800000
	v_cmp_gt_u32_e32 vcc, s24, v3
                                        ; implicit-def: $vgpr4
	s_and_saveexec_b64 s[24:25], vcc
	s_xor_b64 s[24:25], exec, s[24:25]
	s_cbranch_execz .LBB110_231
; %bb.226:
	s_mov_b32 s28, 0x387fffff
	v_cmp_lt_u32_e32 vcc, s28, v3
                                        ; implicit-def: $vgpr4
	s_and_saveexec_b64 s[28:29], vcc
	s_xor_b64 s[28:29], exec, s[28:29]
; %bb.227:
	v_bfe_u32 v4, v3, 21, 1
	s_mov_b32 s30, 0x80fffff
	v_add3_u32 v3, v3, v4, s30
	v_lshrrev_b32_e32 v4, 21, v3
                                        ; implicit-def: $vgpr3
; %bb.228:
	s_andn2_saveexec_b64 s[28:29], s[28:29]
; %bb.229:
	v_add_f32_e32 v4, 0x43000000, v3
; %bb.230:
	s_or_b64 exec, exec, s[28:29]
                                        ; implicit-def: $vgpr3
.LBB110_231:
	s_andn2_saveexec_b64 s[24:25], s[24:25]
; %bb.232:
	s_mov_b32 s28, 0x7f800000
	v_mov_b32_e32 v4, 0x7c
	v_mov_b32_e32 v5, 0x7f
	v_cmp_lt_u32_e32 vcc, s28, v3
	v_cndmask_b32_e32 v4, v4, v5, vcc
; %bb.233:
	s_or_b64 exec, exec, s[24:25]
	global_store_byte v[0:1], v4, off
.LBB110_234:
	s_mov_b64 s[28:29], 0
	s_mov_b64 s[24:25], -1
.LBB110_235:
	s_andn2_b64 vcc, exec, s[28:29]
	s_cbranch_vccnz .LBB110_243
; %bb.236:
	s_cmp_gt_i32 s35, 14
	s_mov_b64 s[28:29], -1
	s_cbranch_scc0 .LBB110_240
; %bb.237:
	s_cmp_eq_u32 s35, 15
	s_mov_b64 s[0:1], -1
	s_cbranch_scc0 .LBB110_239
; %bb.238:
	v_cndmask_b32_e64 v3, 0, 1.0, s[16:17]
	v_bfe_u32 v4, v3, 16, 1
	s_movk_i32 s0, 0x7fff
	v_add3_u32 v3, v3, v4, s0
	global_store_short_d16_hi v[0:1], v3, off
	s_mov_b64 s[24:25], -1
	s_mov_b64 s[0:1], 0
.LBB110_239:
	s_mov_b64 s[28:29], 0
.LBB110_240:
	s_and_b64 vcc, exec, s[28:29]
	s_cbranch_vccz .LBB110_243
; %bb.241:
	s_cmp_eq_u32 s35, 11
	s_mov_b64 s[0:1], -1
	s_cbranch_scc0 .LBB110_243
; %bb.242:
	v_cndmask_b32_e64 v3, 0, 1, s[16:17]
	s_mov_b64 s[24:25], -1
	s_mov_b64 s[0:1], 0
	global_store_byte v[0:1], v3, off
.LBB110_243:
	s_mov_b64 s[28:29], 0
.LBB110_244:
	s_and_b64 vcc, exec, s[28:29]
	s_cbranch_vccz .LBB110_283
; %bb.245:
	s_and_b32 s28, 0xffff, s34
	s_cmp_lt_i32 s28, 5
	s_mov_b64 s[24:25], -1
	s_cbranch_scc1 .LBB110_266
; %bb.246:
	s_cmp_lt_i32 s28, 8
	s_cbranch_scc1 .LBB110_256
; %bb.247:
	s_cmp_lt_i32 s28, 9
	s_cbranch_scc1 .LBB110_253
; %bb.248:
	s_cmp_gt_i32 s28, 9
	s_cbranch_scc0 .LBB110_250
; %bb.249:
	v_cndmask_b32_e64 v3, 0, 1, s[16:17]
	v_cvt_f64_u32_e32 v[3:4], v3
	v_mov_b32_e32 v5, 0
	v_mov_b32_e32 v6, v5
	s_mov_b64 s[24:25], 0
	global_store_dwordx4 v[0:1], v[3:6], off
.LBB110_250:
	s_andn2_b64 vcc, exec, s[24:25]
	s_cbranch_vccnz .LBB110_252
; %bb.251:
	v_cndmask_b32_e64 v3, 0, 1.0, s[16:17]
	v_mov_b32_e32 v4, 0
	global_store_dwordx2 v[0:1], v[3:4], off
.LBB110_252:
	s_mov_b64 s[24:25], 0
.LBB110_253:
	s_andn2_b64 vcc, exec, s[24:25]
	s_cbranch_vccnz .LBB110_255
; %bb.254:
	v_cndmask_b32_e64 v3, 0, 1.0, s[16:17]
	v_cvt_f16_f32_e32 v3, v3
	global_store_dword v[0:1], v3, off
.LBB110_255:
	s_mov_b64 s[24:25], 0
.LBB110_256:
	s_andn2_b64 vcc, exec, s[24:25]
	s_cbranch_vccnz .LBB110_265
; %bb.257:
	s_cmp_lt_i32 s28, 6
	s_mov_b64 s[24:25], -1
	s_cbranch_scc1 .LBB110_263
; %bb.258:
	s_cmp_gt_i32 s28, 6
	s_cbranch_scc0 .LBB110_260
; %bb.259:
	v_cndmask_b32_e64 v3, 0, 1, s[16:17]
	v_cvt_f64_u32_e32 v[3:4], v3
	s_mov_b64 s[24:25], 0
	global_store_dwordx2 v[0:1], v[3:4], off
.LBB110_260:
	s_andn2_b64 vcc, exec, s[24:25]
	s_cbranch_vccnz .LBB110_262
; %bb.261:
	v_cndmask_b32_e64 v3, 0, 1.0, s[16:17]
	global_store_dword v[0:1], v3, off
.LBB110_262:
	s_mov_b64 s[24:25], 0
.LBB110_263:
	s_andn2_b64 vcc, exec, s[24:25]
	s_cbranch_vccnz .LBB110_265
; %bb.264:
	v_cndmask_b32_e64 v3, 0, 1.0, s[16:17]
	v_cvt_f16_f32_e32 v3, v3
	global_store_short v[0:1], v3, off
.LBB110_265:
	s_mov_b64 s[24:25], 0
.LBB110_266:
	s_andn2_b64 vcc, exec, s[24:25]
	s_cbranch_vccnz .LBB110_282
; %bb.267:
	s_cmp_lt_i32 s28, 2
	s_mov_b64 s[24:25], -1
	s_cbranch_scc1 .LBB110_277
; %bb.268:
	s_cmp_lt_i32 s28, 3
	s_cbranch_scc1 .LBB110_274
; %bb.269:
	s_cmp_gt_i32 s28, 3
	s_cbranch_scc0 .LBB110_271
; %bb.270:
	s_mov_b32 s24, 0
	v_cndmask_b32_e64 v3, 0, 1, s[16:17]
	v_mov_b32_e32 v4, s24
	global_store_dwordx2 v[0:1], v[3:4], off
	s_mov_b64 s[24:25], 0
.LBB110_271:
	s_andn2_b64 vcc, exec, s[24:25]
	s_cbranch_vccnz .LBB110_273
; %bb.272:
	v_cndmask_b32_e64 v3, 0, 1, s[16:17]
	global_store_dword v[0:1], v3, off
.LBB110_273:
	s_mov_b64 s[24:25], 0
.LBB110_274:
	s_andn2_b64 vcc, exec, s[24:25]
	s_cbranch_vccnz .LBB110_276
; %bb.275:
	v_cndmask_b32_e64 v3, 0, 1, s[16:17]
	global_store_short v[0:1], v3, off
.LBB110_276:
	s_mov_b64 s[24:25], 0
.LBB110_277:
	s_andn2_b64 vcc, exec, s[24:25]
	s_cbranch_vccnz .LBB110_282
; %bb.278:
	s_mov_b64 s[24:25], -1
	s_cmp_gt_i32 s28, 0
	v_cndmask_b32_e64 v3, 0, 1, s[16:17]
	s_cbranch_scc0 .LBB110_280
; %bb.279:
	global_store_byte v[0:1], v3, off
	s_mov_b64 s[24:25], 0
.LBB110_280:
	s_andn2_b64 vcc, exec, s[24:25]
	s_cbranch_vccnz .LBB110_282
; %bb.281:
	global_store_byte v[0:1], v3, off
.LBB110_282:
	s_mov_b64 s[24:25], -1
.LBB110_283:
	s_andn2_b64 vcc, exec, s[24:25]
	s_cbranch_vccnz .LBB110_285
; %bb.284:
	v_add_u32_e32 v2, 0x80, v2
	s_mov_b64 s[24:25], -1
	s_branch .LBB110_398
.LBB110_285:
	s_mov_b64 s[24:25], 0
                                        ; implicit-def: $vgpr2
	s_branch .LBB110_398
.LBB110_286:
	s_mov_b64 s[18:19], -1
                                        ; implicit-def: $vgpr4
.LBB110_287:
	s_mov_b64 s[16:17], 0
.LBB110_288:
	s_and_b64 vcc, exec, s[16:17]
	s_cbranch_vccz .LBB110_292
; %bb.289:
	s_cmp_eq_u32 s29, 29
	s_cbranch_scc0 .LBB110_291
; %bb.290:
	global_load_dwordx2 v[4:5], v[0:1], off
	s_mov_b64 s[0:1], -1
	s_mov_b64 s[18:19], 0
	s_mov_b64 s[16:17], 0
	s_waitcnt vmcnt(0)
	v_ffbh_u32_e32 v6, v5
	v_min_u32_e32 v6, 32, v6
	v_lshlrev_b64 v[4:5], v6, v[4:5]
	v_min_u32_e32 v4, 1, v4
	v_or_b32_e32 v4, v5, v4
	v_cvt_f32_u32_e32 v4, v4
	v_sub_u32_e32 v5, 32, v6
	v_ldexp_f32 v4, v4, v5
	s_branch .LBB110_293
.LBB110_291:
	s_mov_b64 s[18:19], -1
                                        ; implicit-def: $vgpr4
.LBB110_292:
	s_mov_b64 s[16:17], 0
.LBB110_293:
	s_and_b64 vcc, exec, s[16:17]
	s_cbranch_vccz .LBB110_311
; %bb.294:
	s_cmp_lt_i32 s29, 27
	s_cbranch_scc1 .LBB110_297
; %bb.295:
	s_cmp_gt_i32 s29, 27
	s_cbranch_scc0 .LBB110_298
; %bb.296:
	global_load_dword v4, v[0:1], off
	s_mov_b64 s[0:1], 0
	s_waitcnt vmcnt(0)
	v_cvt_f32_u32_e32 v4, v4
	s_branch .LBB110_299
.LBB110_297:
	s_mov_b64 s[0:1], -1
                                        ; implicit-def: $vgpr4
	s_branch .LBB110_302
.LBB110_298:
	s_mov_b64 s[0:1], -1
                                        ; implicit-def: $vgpr4
.LBB110_299:
	s_andn2_b64 vcc, exec, s[0:1]
	s_cbranch_vccnz .LBB110_301
; %bb.300:
	global_load_ushort v4, v[0:1], off
	s_waitcnt vmcnt(0)
	v_cvt_f32_u32_e32 v4, v4
.LBB110_301:
	s_mov_b64 s[0:1], 0
.LBB110_302:
	s_andn2_b64 vcc, exec, s[0:1]
	s_cbranch_vccnz .LBB110_310
; %bb.303:
	global_load_ubyte v5, v[0:1], off
	s_movk_i32 s0, 0x7f
	s_waitcnt vmcnt(0)
	v_cmp_lt_i16_e32 vcc, s0, v5
	s_mov_b64 s[0:1], 0
	s_and_saveexec_b64 s[16:17], vcc
	s_xor_b64 s[16:17], exec, s[16:17]
	s_cbranch_execz .LBB110_324
; %bb.304:
	s_movk_i32 s0, 0x80
	v_cmp_eq_u16_e32 vcc, s0, v5
	s_mov_b64 s[0:1], -1
	s_and_saveexec_b64 s[24:25], vcc
; %bb.305:
	s_xor_b64 s[0:1], exec, -1
; %bb.306:
	s_or_b64 exec, exec, s[24:25]
	s_and_b64 s[0:1], s[0:1], exec
	s_or_saveexec_b64 s[16:17], s[16:17]
	v_mov_b32_e32 v4, 0x7f800001
	s_xor_b64 exec, exec, s[16:17]
	s_cbranch_execnz .LBB110_325
.LBB110_307:
	s_or_b64 exec, exec, s[16:17]
	s_and_saveexec_b64 s[16:17], s[0:1]
	s_cbranch_execz .LBB110_309
.LBB110_308:
	v_lshlrev_b32_e32 v4, 24, v5
	v_and_b32_e32 v5, 0xffff, v5
	v_and_b32_e32 v6, 7, v5
	v_ffbh_u32_e32 v8, v6
	v_min_u32_e32 v8, 32, v8
	v_subrev_u32_e32 v9, 28, v8
	v_bfe_u32 v7, v5, 3, 4
	v_lshlrev_b32_e32 v5, v9, v5
	v_sub_u32_e32 v8, 29, v8
	v_and_b32_e32 v5, 7, v5
	v_cmp_eq_u32_e32 vcc, 0, v7
	v_cndmask_b32_e32 v7, v7, v8, vcc
	v_cndmask_b32_e32 v5, v6, v5, vcc
	v_mov_b32_e32 v6, 0x3b800000
	v_lshlrev_b32_e32 v5, 20, v5
	v_and_b32_e32 v4, 0x80000000, v4
	v_lshl_add_u32 v6, v7, 23, v6
	v_or3_b32 v4, v4, v6, v5
.LBB110_309:
	s_or_b64 exec, exec, s[16:17]
.LBB110_310:
	s_mov_b64 s[0:1], -1
.LBB110_311:
	s_mov_b64 s[16:17], 0
.LBB110_312:
	s_and_b64 vcc, exec, s[16:17]
	s_cbranch_vccz .LBB110_347
; %bb.313:
	s_cmp_gt_i32 s29, 22
	s_cbranch_scc0 .LBB110_323
; %bb.314:
	s_cmp_lt_i32 s29, 24
	s_cbranch_scc1 .LBB110_326
; %bb.315:
	s_cmp_gt_i32 s29, 24
	s_cbranch_scc0 .LBB110_327
; %bb.316:
	global_load_ubyte v5, v[0:1], off
	s_movk_i32 s0, 0x7f
	s_waitcnt vmcnt(0)
	v_cmp_lt_i16_e32 vcc, s0, v5
	s_mov_b64 s[0:1], 0
	s_and_saveexec_b64 s[16:17], vcc
	s_xor_b64 s[16:17], exec, s[16:17]
	s_cbranch_execz .LBB110_339
; %bb.317:
	s_movk_i32 s0, 0x80
	v_cmp_eq_u16_e32 vcc, s0, v5
	s_mov_b64 s[0:1], -1
	s_and_saveexec_b64 s[24:25], vcc
; %bb.318:
	s_xor_b64 s[0:1], exec, -1
; %bb.319:
	s_or_b64 exec, exec, s[24:25]
	s_and_b64 s[0:1], s[0:1], exec
	s_or_saveexec_b64 s[16:17], s[16:17]
	v_mov_b32_e32 v4, 0x7f800001
	s_xor_b64 exec, exec, s[16:17]
	s_cbranch_execnz .LBB110_340
.LBB110_320:
	s_or_b64 exec, exec, s[16:17]
	s_and_saveexec_b64 s[16:17], s[0:1]
	s_cbranch_execz .LBB110_322
.LBB110_321:
	v_lshlrev_b32_e32 v4, 24, v5
	v_and_b32_e32 v5, 0xffff, v5
	v_and_b32_e32 v6, 3, v5
	v_ffbh_u32_e32 v8, v6
	v_min_u32_e32 v8, 32, v8
	v_subrev_u32_e32 v9, 29, v8
	v_bfe_u32 v7, v5, 2, 5
	v_lshlrev_b32_e32 v5, v9, v5
	v_sub_u32_e32 v8, 30, v8
	v_and_b32_e32 v5, 3, v5
	v_cmp_eq_u32_e32 vcc, 0, v7
	v_cndmask_b32_e32 v7, v7, v8, vcc
	v_cndmask_b32_e32 v5, v6, v5, vcc
	v_mov_b32_e32 v6, 0x37800000
	v_lshlrev_b32_e32 v5, 21, v5
	v_and_b32_e32 v4, 0x80000000, v4
	v_lshl_add_u32 v6, v7, 23, v6
	v_or3_b32 v4, v4, v6, v5
.LBB110_322:
	s_or_b64 exec, exec, s[16:17]
	s_mov_b64 s[0:1], 0
	s_branch .LBB110_328
.LBB110_323:
	s_mov_b64 s[16:17], -1
                                        ; implicit-def: $vgpr4
	s_branch .LBB110_334
.LBB110_324:
	s_or_saveexec_b64 s[16:17], s[16:17]
	v_mov_b32_e32 v4, 0x7f800001
	s_xor_b64 exec, exec, s[16:17]
	s_cbranch_execz .LBB110_307
.LBB110_325:
	v_cmp_ne_u16_e32 vcc, 0, v5
	s_andn2_b64 s[0:1], s[0:1], exec
	s_and_b64 s[24:25], vcc, exec
	v_mov_b32_e32 v4, 0
	s_or_b64 s[0:1], s[0:1], s[24:25]
	s_or_b64 exec, exec, s[16:17]
	s_and_saveexec_b64 s[16:17], s[0:1]
	s_cbranch_execnz .LBB110_308
	s_branch .LBB110_309
.LBB110_326:
	s_mov_b64 s[0:1], -1
                                        ; implicit-def: $vgpr4
	s_branch .LBB110_331
.LBB110_327:
	s_mov_b64 s[0:1], -1
                                        ; implicit-def: $vgpr4
.LBB110_328:
	s_and_b64 vcc, exec, s[0:1]
	s_cbranch_vccz .LBB110_330
; %bb.329:
	global_load_ubyte v4, v[0:1], off
	s_mov_b32 s0, 0x7f800000
	s_waitcnt vmcnt(0)
	v_lshlrev_b32_e32 v4, 24, v4
	v_and_b32_e32 v5, 0x7f000000, v4
	v_ffbh_u32_e32 v6, v5
	v_min_u32_e32 v6, 32, v6
	v_sub_u32_e64 v6, v6, 4 clamp
	v_lshlrev_b32_e32 v8, v6, v5
	v_lshlrev_b32_e32 v6, 23, v6
	v_lshrrev_b32_e32 v8, 4, v8
	v_add_u32_e32 v7, 0x1000000, v5
	v_sub_u32_e32 v6, v8, v6
	v_ashrrev_i32_e32 v7, 8, v7
	v_add_u32_e32 v6, 0x3c000000, v6
	v_and_or_b32 v6, v7, s0, v6
	v_cmp_ne_u32_e32 vcc, 0, v5
	v_cndmask_b32_e32 v5, 0, v6, vcc
	s_brev_b32 s0, 1
	v_and_or_b32 v4, v4, s0, v5
.LBB110_330:
	s_mov_b64 s[0:1], 0
.LBB110_331:
	s_andn2_b64 vcc, exec, s[0:1]
	s_cbranch_vccnz .LBB110_333
; %bb.332:
	global_load_ubyte v4, v[0:1], off
	s_movk_i32 s0, 0x7f00
	s_brev_b32 s1, 16
	s_waitcnt vmcnt(0)
	v_lshlrev_b16_e32 v5, 8, v4
	v_lshlrev_b32_e32 v4, 25, v4
	v_lshrrev_b32_e32 v6, 4, v4
	v_and_or_b32 v7, v5, s0, 0.5
	v_or_b32_e32 v6, 0x70000000, v6
	v_add_f32_e32 v7, -0.5, v7
	v_mul_f32_e32 v6, 0x7800000, v6
	v_cmp_gt_u32_e32 vcc, s1, v4
	v_bfe_i32 v5, v5, 0, 16
	v_cndmask_b32_e32 v4, v6, v7, vcc
	s_brev_b32 s0, 1
	v_and_or_b32 v4, v5, s0, v4
.LBB110_333:
	s_mov_b64 s[16:17], 0
	s_mov_b64 s[0:1], -1
.LBB110_334:
	s_andn2_b64 vcc, exec, s[16:17]
	s_cbranch_vccnz .LBB110_347
; %bb.335:
	s_cmp_gt_i32 s29, 14
	s_cbranch_scc0 .LBB110_338
; %bb.336:
	s_cmp_eq_u32 s29, 15
	s_cbranch_scc0 .LBB110_341
; %bb.337:
	global_load_ushort v4, v[0:1], off
	s_mov_b64 s[0:1], -1
	s_mov_b64 s[18:19], 0
	s_waitcnt vmcnt(0)
	v_lshlrev_b32_e32 v4, 16, v4
	s_branch .LBB110_342
.LBB110_338:
	s_mov_b64 s[16:17], -1
                                        ; implicit-def: $vgpr4
	s_branch .LBB110_343
.LBB110_339:
	s_or_saveexec_b64 s[16:17], s[16:17]
	v_mov_b32_e32 v4, 0x7f800001
	s_xor_b64 exec, exec, s[16:17]
	s_cbranch_execz .LBB110_320
.LBB110_340:
	v_cmp_ne_u16_e32 vcc, 0, v5
	s_andn2_b64 s[0:1], s[0:1], exec
	s_and_b64 s[24:25], vcc, exec
	v_mov_b32_e32 v4, 0
	s_or_b64 s[0:1], s[0:1], s[24:25]
	s_or_b64 exec, exec, s[16:17]
	s_and_saveexec_b64 s[16:17], s[0:1]
	s_cbranch_execnz .LBB110_321
	s_branch .LBB110_322
.LBB110_341:
	s_mov_b64 s[18:19], -1
                                        ; implicit-def: $vgpr4
.LBB110_342:
	s_mov_b64 s[16:17], 0
.LBB110_343:
	s_and_b64 vcc, exec, s[16:17]
	s_cbranch_vccz .LBB110_347
; %bb.344:
	s_cmp_eq_u32 s29, 11
	s_cbranch_scc0 .LBB110_346
; %bb.345:
	global_load_ubyte v4, v[0:1], off
	s_mov_b64 s[0:1], -1
	s_mov_b64 s[18:19], 0
	s_waitcnt vmcnt(0)
	v_cmp_ne_u16_e32 vcc, 0, v4
	v_cndmask_b32_e64 v4, 0, 1.0, vcc
	s_branch .LBB110_347
.LBB110_346:
	s_mov_b64 s[18:19], -1
                                        ; implicit-def: $vgpr4
.LBB110_347:
	s_branch .LBB110_20
.LBB110_348:
	s_and_b32 s16, 0xffff, s28
	s_cmp_lt_i32 s16, 5
	s_cbranch_scc1 .LBB110_353
; %bb.349:
	s_cmp_lt_i32 s16, 8
	s_cbranch_scc1 .LBB110_354
; %bb.350:
	;; [unrolled: 3-line block ×3, first 2 shown]
	s_cmp_gt_i32 s16, 9
	s_cbranch_scc0 .LBB110_356
; %bb.352:
	global_load_dwordx2 v[4:5], v[0:1], off
	s_mov_b64 s[0:1], 0
	s_waitcnt vmcnt(0)
	v_cvt_f32_f64_e32 v4, v[4:5]
	s_branch .LBB110_357
.LBB110_353:
	s_mov_b64 s[0:1], -1
                                        ; implicit-def: $vgpr4
	s_branch .LBB110_375
.LBB110_354:
	s_mov_b64 s[0:1], -1
                                        ; implicit-def: $vgpr4
	s_branch .LBB110_363
.LBB110_355:
	s_mov_b64 s[0:1], -1
                                        ; implicit-def: $vgpr4
	s_branch .LBB110_360
.LBB110_356:
	s_mov_b64 s[0:1], -1
                                        ; implicit-def: $vgpr4
.LBB110_357:
	s_andn2_b64 vcc, exec, s[0:1]
	s_cbranch_vccnz .LBB110_359
; %bb.358:
	global_load_dword v4, v[0:1], off
.LBB110_359:
	s_mov_b64 s[0:1], 0
.LBB110_360:
	s_andn2_b64 vcc, exec, s[0:1]
	s_cbranch_vccnz .LBB110_362
; %bb.361:
	global_load_dword v4, v[0:1], off
	s_waitcnt vmcnt(0)
	v_cvt_f32_f16_e32 v4, v4
.LBB110_362:
	s_mov_b64 s[0:1], 0
.LBB110_363:
	s_andn2_b64 vcc, exec, s[0:1]
	s_cbranch_vccnz .LBB110_374
; %bb.364:
	s_cmp_lt_i32 s16, 6
	s_cbranch_scc1 .LBB110_367
; %bb.365:
	s_cmp_gt_i32 s16, 6
	s_cbranch_scc0 .LBB110_368
; %bb.366:
	global_load_dwordx2 v[4:5], v[0:1], off
	s_mov_b64 s[0:1], 0
	s_waitcnt vmcnt(0)
	v_cvt_f32_f64_e32 v4, v[4:5]
	s_branch .LBB110_369
.LBB110_367:
	s_mov_b64 s[0:1], -1
                                        ; implicit-def: $vgpr4
	s_branch .LBB110_372
.LBB110_368:
	s_mov_b64 s[0:1], -1
                                        ; implicit-def: $vgpr4
.LBB110_369:
	s_andn2_b64 vcc, exec, s[0:1]
	s_cbranch_vccnz .LBB110_371
; %bb.370:
	global_load_dword v4, v[0:1], off
.LBB110_371:
	s_mov_b64 s[0:1], 0
.LBB110_372:
	s_andn2_b64 vcc, exec, s[0:1]
	s_cbranch_vccnz .LBB110_374
; %bb.373:
	global_load_ushort v4, v[0:1], off
	s_waitcnt vmcnt(0)
	v_cvt_f32_f16_e32 v4, v4
.LBB110_374:
	s_mov_b64 s[0:1], 0
.LBB110_375:
	s_andn2_b64 vcc, exec, s[0:1]
	s_cbranch_vccnz .LBB110_395
; %bb.376:
	s_cmp_lt_i32 s16, 2
	s_cbranch_scc1 .LBB110_380
; %bb.377:
	s_cmp_lt_i32 s16, 3
	s_cbranch_scc1 .LBB110_381
; %bb.378:
	s_cmp_gt_i32 s16, 3
	s_cbranch_scc0 .LBB110_382
; %bb.379:
	global_load_dwordx2 v[4:5], v[0:1], off
	s_mov_b64 s[0:1], 0
	s_waitcnt vmcnt(0)
	v_xor_b32_e32 v7, v4, v5
	v_ffbh_i32_e32 v6, v5
	v_ashrrev_i32_e32 v7, 31, v7
	v_add_u32_e32 v6, -1, v6
	v_add_u32_e32 v7, 32, v7
	v_min_u32_e32 v6, v6, v7
	v_lshlrev_b64 v[4:5], v6, v[4:5]
	v_min_u32_e32 v4, 1, v4
	v_or_b32_e32 v4, v5, v4
	v_cvt_f32_i32_e32 v4, v4
	v_sub_u32_e32 v5, 32, v6
	v_ldexp_f32 v4, v4, v5
	s_branch .LBB110_383
.LBB110_380:
	s_mov_b64 s[0:1], -1
                                        ; implicit-def: $vgpr4
	s_branch .LBB110_389
.LBB110_381:
	s_mov_b64 s[0:1], -1
                                        ; implicit-def: $vgpr4
	s_branch .LBB110_386
.LBB110_382:
	s_mov_b64 s[0:1], -1
                                        ; implicit-def: $vgpr4
.LBB110_383:
	s_andn2_b64 vcc, exec, s[0:1]
	s_cbranch_vccnz .LBB110_385
; %bb.384:
	global_load_dword v4, v[0:1], off
	s_waitcnt vmcnt(0)
	v_cvt_f32_i32_e32 v4, v4
.LBB110_385:
	s_mov_b64 s[0:1], 0
.LBB110_386:
	s_andn2_b64 vcc, exec, s[0:1]
	s_cbranch_vccnz .LBB110_388
; %bb.387:
	global_load_sshort v4, v[0:1], off
	s_waitcnt vmcnt(0)
	v_cvt_f32_i32_e32 v4, v4
.LBB110_388:
	s_mov_b64 s[0:1], 0
.LBB110_389:
	s_andn2_b64 vcc, exec, s[0:1]
	s_cbranch_vccnz .LBB110_395
; %bb.390:
	s_cmp_gt_i32 s16, 0
	s_cbranch_scc0 .LBB110_392
; %bb.391:
	global_load_sbyte v4, v[0:1], off
	s_mov_b64 s[0:1], 0
	s_waitcnt vmcnt(0)
	v_cvt_f32_i32_e32 v4, v4
	s_branch .LBB110_393
.LBB110_392:
	s_mov_b64 s[0:1], -1
                                        ; implicit-def: $vgpr4
.LBB110_393:
	s_andn2_b64 vcc, exec, s[0:1]
	s_cbranch_vccnz .LBB110_395
; %bb.394:
	global_load_ubyte v0, v[0:1], off
	s_waitcnt vmcnt(0)
	v_cvt_f32_ubyte0_e32 v4, v0
.LBB110_395:
	s_branch .LBB110_21
.LBB110_396:
	s_mov_b64 s[0:1], 0
.LBB110_397:
                                        ; implicit-def: $vgpr2
	s_mov_b64 s[24:25], 0
.LBB110_398:
	s_and_b64 s[16:17], s[0:1], exec
	s_and_b64 s[18:19], s[18:19], exec
	;; [unrolled: 1-line block ×3, first 2 shown]
	s_orn2_b64 s[0:1], s[24:25], exec
.LBB110_399:
	s_or_b64 exec, exec, s[22:23]
	s_mov_b64 s[30:31], 0
	s_mov_b64 s[28:29], 0
                                        ; implicit-def: $sgpr56
                                        ; implicit-def: $vgpr0_vgpr1
                                        ; implicit-def: $vgpr3
	s_and_saveexec_b64 s[22:23], s[0:1]
	s_cbranch_execz .LBB110_408
; %bb.400:
	v_cmp_gt_i32_e32 vcc, s48, v2
	s_mov_b64 s[0:1], -1
	s_mov_b64 s[24:25], s[20:21]
	s_mov_b64 s[26:27], s[18:19]
	;; [unrolled: 1-line block ×3, first 2 shown]
	s_and_saveexec_b64 s[30:31], vcc
	s_cbranch_execz .LBB110_806
; %bb.401:
	v_mul_lo_u32 v0, v2, s13
	v_mov_b32_e32 v1, s11
	s_and_b32 s34, s55, 0xff
	s_cmp_lt_i32 s34, 11
	s_waitcnt vmcnt(0)
	v_ashrrev_i32_e32 v3, 31, v0
	v_add_co_u32_e32 v0, vcc, s10, v0
	v_addc_co_u32_e32 v1, vcc, v1, v3, vcc
	s_cbranch_scc1 .LBB110_411
; %bb.402:
	s_and_b32 s35, 0xffff, s34
	s_cmp_gt_i32 s35, 25
	s_cbranch_scc0 .LBB110_420
; %bb.403:
	s_cmp_gt_i32 s35, 28
	s_cbranch_scc0 .LBB110_422
; %bb.404:
	;; [unrolled: 3-line block ×4, first 2 shown]
	s_cmp_eq_u32 s35, 46
	s_mov_b64 s[26:27], 0
	s_cbranch_scc0 .LBB110_430
; %bb.407:
	global_load_dword v3, v[0:1], off
	s_mov_b64 s[24:25], 0
	s_waitcnt vmcnt(0)
	v_lshlrev_b32_e32 v3, 16, v3
	s_branch .LBB110_431
.LBB110_408:
	s_or_b64 exec, exec, s[22:23]
	s_mov_b64 s[22:23], 0
	s_and_saveexec_b64 s[0:1], s[20:21]
	s_cbranch_execnz .LBB110_1298
.LBB110_409:
	s_or_b64 exec, exec, s[0:1]
	s_and_saveexec_b64 s[0:1], s[26:27]
	s_xor_b64 s[0:1], exec, s[0:1]
	s_cbranch_execz .LBB110_1299
.LBB110_410:
	global_load_ubyte v3, v[0:1], off
	s_or_b64 s[28:29], s[28:29], exec
	s_waitcnt vmcnt(0)
	v_cmp_ne_u16_e32 vcc, 0, v3
	v_cndmask_b32_e64 v3, 0, 1.0, vcc
	s_or_b64 exec, exec, s[0:1]
	s_and_saveexec_b64 s[0:1], s[30:31]
	s_cbranch_execz .LBB110_1345
	s_branch .LBB110_1300
.LBB110_411:
	s_mov_b64 s[0:1], 0
                                        ; implicit-def: $vgpr3
	s_mov_b64 s[24:25], s[20:21]
	s_cbranch_execnz .LBB110_497
.LBB110_412:
	s_andn2_b64 vcc, exec, s[0:1]
	s_cbranch_vccnz .LBB110_545
.LBB110_413:
	v_mul_lo_u32 v0, v2, s14
	v_mov_b32_e32 v1, s3
	s_and_b32 s36, s54, 0xff
	s_cmp_lt_i32 s36, 11
	v_ashrrev_i32_e32 v4, 31, v0
	v_add_co_u32_e32 v0, vcc, s2, v0
	v_addc_co_u32_e32 v1, vcc, v1, v4, vcc
	s_cbranch_scc1 .LBB110_421
; %bb.414:
	s_and_b32 s37, 0xffff, s36
	s_cmp_gt_i32 s37, 25
	s_cbranch_scc0 .LBB110_423
; %bb.415:
	s_cmp_gt_i32 s37, 28
	s_cbranch_scc0 .LBB110_425
; %bb.416:
	;; [unrolled: 3-line block ×4, first 2 shown]
	s_cmp_eq_u32 s37, 46
	s_mov_b64 s[28:29], 0
	s_cbranch_scc0 .LBB110_549
; %bb.419:
	global_load_dword v4, v[0:1], off
	s_mov_b64 s[0:1], -1
	s_mov_b64 s[26:27], 0
	s_waitcnt vmcnt(0)
	v_lshlrev_b32_e32 v4, 16, v4
	s_branch .LBB110_550
.LBB110_420:
	s_mov_b64 s[26:27], -1
	s_mov_b64 s[0:1], 0
	s_mov_b64 s[24:25], s[20:21]
                                        ; implicit-def: $vgpr3
	s_branch .LBB110_461
.LBB110_421:
	s_mov_b64 s[28:29], -1
	s_mov_b64 s[0:1], 0
                                        ; implicit-def: $vgpr4
	s_mov_b64 s[26:27], s[18:19]
	s_branch .LBB110_615
.LBB110_422:
	s_mov_b64 s[26:27], -1
	s_mov_b64 s[0:1], 0
	s_mov_b64 s[24:25], s[20:21]
                                        ; implicit-def: $vgpr3
	s_branch .LBB110_442
.LBB110_423:
	s_mov_b64 s[28:29], -1
	s_mov_b64 s[0:1], 0
	s_mov_b64 s[26:27], s[18:19]
                                        ; implicit-def: $vgpr4
	s_branch .LBB110_579
.LBB110_424:
	s_mov_b64 s[26:27], -1
	s_mov_b64 s[0:1], 0
	s_mov_b64 s[24:25], s[20:21]
                                        ; implicit-def: $vgpr3
	s_branch .LBB110_437
.LBB110_425:
	s_mov_b64 s[28:29], -1
	s_mov_b64 s[0:1], 0
	s_mov_b64 s[26:27], s[18:19]
                                        ; implicit-def: $vgpr4
	s_branch .LBB110_560
.LBB110_426:
	s_mov_b64 s[26:27], -1
	s_mov_b64 s[0:1], 0
	s_mov_b64 s[24:25], s[20:21]
                                        ; implicit-def: $vgpr3
	s_branch .LBB110_431
.LBB110_427:
	s_mov_b64 s[28:29], -1
	s_mov_b64 s[0:1], 0
	s_mov_b64 s[26:27], s[18:19]
                                        ; implicit-def: $vgpr4
	s_branch .LBB110_555
.LBB110_428:
	s_andn2_saveexec_b64 s[30:31], s[30:31]
	s_cbranch_execz .LBB110_196
.LBB110_429:
	v_add_f32_e32 v3, 0x46000000, v4
	v_and_b32_e32 v3, 0xff, v3
	v_cmp_ne_u32_e32 vcc, 0, v3
	s_andn2_b64 s[28:29], s[28:29], exec
	s_and_b64 s[36:37], vcc, exec
	s_or_b64 s[28:29], s[28:29], s[36:37]
	s_or_b64 exec, exec, s[30:31]
	v_mov_b32_e32 v5, 0
	s_and_saveexec_b64 s[30:31], s[28:29]
	s_cbranch_execnz .LBB110_197
	s_branch .LBB110_198
.LBB110_430:
	s_mov_b64 s[24:25], -1
                                        ; implicit-def: $vgpr3
	s_mov_b64 s[0:1], 0
.LBB110_431:
	s_and_b64 vcc, exec, s[26:27]
	s_cbranch_vccz .LBB110_436
; %bb.432:
	s_cmp_eq_u32 s35, 44
	s_cbranch_scc0 .LBB110_435
; %bb.433:
	global_load_ubyte v3, v[0:1], off
	s_movk_i32 s24, 0xff
	v_mov_b32_e32 v4, 0x7f800001
	v_mov_b32_e32 v5, 0x400000
	s_mov_b64 s[0:1], -1
	s_waitcnt vmcnt(0)
	v_lshlrev_b32_e32 v6, 23, v3
	v_cmp_ne_u32_e32 vcc, s24, v3
	v_cndmask_b32_e32 v4, v4, v6, vcc
	v_cmp_ne_u32_e32 vcc, 0, v3
	v_cndmask_b32_e32 v3, v5, v4, vcc
	s_mov_b64 s[24:25], 0
	s_branch .LBB110_436
.LBB110_434:
	s_mov_b64 s[28:29], -1
	s_mov_b64 s[0:1], 0
	s_mov_b64 s[26:27], s[18:19]
                                        ; implicit-def: $vgpr4
	s_branch .LBB110_550
.LBB110_435:
	s_mov_b64 s[24:25], -1
                                        ; implicit-def: $vgpr3
.LBB110_436:
	s_mov_b64 s[26:27], 0
.LBB110_437:
	s_and_b64 vcc, exec, s[26:27]
	s_cbranch_vccz .LBB110_441
; %bb.438:
	s_cmp_eq_u32 s35, 29
	s_cbranch_scc0 .LBB110_440
; %bb.439:
	global_load_dwordx2 v[3:4], v[0:1], off
	s_mov_b64 s[0:1], -1
	s_mov_b64 s[24:25], 0
	s_mov_b64 s[26:27], 0
	s_waitcnt vmcnt(0)
	v_ffbh_u32_e32 v5, v4
	v_min_u32_e32 v5, 32, v5
	v_lshlrev_b64 v[3:4], v5, v[3:4]
	v_min_u32_e32 v3, 1, v3
	v_or_b32_e32 v3, v4, v3
	v_cvt_f32_u32_e32 v3, v3
	v_sub_u32_e32 v4, 32, v5
	v_ldexp_f32 v3, v3, v4
	s_branch .LBB110_442
.LBB110_440:
	s_mov_b64 s[24:25], -1
                                        ; implicit-def: $vgpr3
.LBB110_441:
	s_mov_b64 s[26:27], 0
.LBB110_442:
	s_and_b64 vcc, exec, s[26:27]
	s_cbranch_vccz .LBB110_460
; %bb.443:
	s_cmp_lt_i32 s35, 27
	s_cbranch_scc1 .LBB110_446
; %bb.444:
	s_cmp_gt_i32 s35, 27
	s_cbranch_scc0 .LBB110_447
; %bb.445:
	global_load_dword v3, v[0:1], off
	s_mov_b64 s[0:1], 0
	s_waitcnt vmcnt(0)
	v_cvt_f32_u32_e32 v3, v3
	s_branch .LBB110_448
.LBB110_446:
	s_mov_b64 s[0:1], -1
                                        ; implicit-def: $vgpr3
	s_branch .LBB110_451
.LBB110_447:
	s_mov_b64 s[0:1], -1
                                        ; implicit-def: $vgpr3
.LBB110_448:
	s_andn2_b64 vcc, exec, s[0:1]
	s_cbranch_vccnz .LBB110_450
; %bb.449:
	global_load_ushort v3, v[0:1], off
	s_waitcnt vmcnt(0)
	v_cvt_f32_u32_e32 v3, v3
.LBB110_450:
	s_mov_b64 s[0:1], 0
.LBB110_451:
	s_andn2_b64 vcc, exec, s[0:1]
	s_cbranch_vccnz .LBB110_459
; %bb.452:
	global_load_ubyte v4, v[0:1], off
	s_movk_i32 s0, 0x7f
	s_waitcnt vmcnt(0)
	v_cmp_lt_i16_e32 vcc, s0, v4
	s_mov_b64 s[0:1], 0
	s_and_saveexec_b64 s[26:27], vcc
	s_xor_b64 s[26:27], exec, s[26:27]
	s_cbranch_execz .LBB110_473
; %bb.453:
	s_movk_i32 s0, 0x80
	v_cmp_eq_u16_e32 vcc, s0, v4
	s_mov_b64 s[0:1], -1
	s_and_saveexec_b64 s[28:29], vcc
; %bb.454:
	s_xor_b64 s[0:1], exec, -1
; %bb.455:
	s_or_b64 exec, exec, s[28:29]
	s_and_b64 s[0:1], s[0:1], exec
	s_or_saveexec_b64 s[26:27], s[26:27]
	v_mov_b32_e32 v3, 0x7f800001
	s_xor_b64 exec, exec, s[26:27]
	s_cbranch_execnz .LBB110_474
.LBB110_456:
	s_or_b64 exec, exec, s[26:27]
	s_and_saveexec_b64 s[26:27], s[0:1]
	s_cbranch_execz .LBB110_458
.LBB110_457:
	v_lshlrev_b32_e32 v3, 24, v4
	v_and_b32_e32 v4, 0xffff, v4
	v_and_b32_e32 v5, 7, v4
	v_ffbh_u32_e32 v7, v5
	v_min_u32_e32 v7, 32, v7
	v_subrev_u32_e32 v8, 28, v7
	v_bfe_u32 v6, v4, 3, 4
	v_lshlrev_b32_e32 v4, v8, v4
	v_sub_u32_e32 v7, 29, v7
	v_and_b32_e32 v4, 7, v4
	v_cmp_eq_u32_e32 vcc, 0, v6
	v_cndmask_b32_e32 v6, v6, v7, vcc
	v_cndmask_b32_e32 v4, v5, v4, vcc
	v_mov_b32_e32 v5, 0x3b800000
	v_lshlrev_b32_e32 v4, 20, v4
	v_and_b32_e32 v3, 0x80000000, v3
	v_lshl_add_u32 v5, v6, 23, v5
	v_or3_b32 v3, v3, v5, v4
.LBB110_458:
	s_or_b64 exec, exec, s[26:27]
.LBB110_459:
	s_mov_b64 s[0:1], -1
.LBB110_460:
	s_mov_b64 s[26:27], 0
.LBB110_461:
	s_and_b64 vcc, exec, s[26:27]
	s_cbranch_vccz .LBB110_496
; %bb.462:
	s_cmp_gt_i32 s35, 22
	s_cbranch_scc0 .LBB110_472
; %bb.463:
	s_cmp_lt_i32 s35, 24
	s_cbranch_scc1 .LBB110_475
; %bb.464:
	s_cmp_gt_i32 s35, 24
	s_cbranch_scc0 .LBB110_476
; %bb.465:
	global_load_ubyte v4, v[0:1], off
	s_movk_i32 s0, 0x7f
	s_waitcnt vmcnt(0)
	v_cmp_lt_i16_e32 vcc, s0, v4
	s_mov_b64 s[0:1], 0
	s_and_saveexec_b64 s[26:27], vcc
	s_xor_b64 s[26:27], exec, s[26:27]
	s_cbranch_execz .LBB110_488
; %bb.466:
	s_movk_i32 s0, 0x80
	v_cmp_eq_u16_e32 vcc, s0, v4
	s_mov_b64 s[0:1], -1
	s_and_saveexec_b64 s[28:29], vcc
; %bb.467:
	s_xor_b64 s[0:1], exec, -1
; %bb.468:
	s_or_b64 exec, exec, s[28:29]
	s_and_b64 s[0:1], s[0:1], exec
	s_or_saveexec_b64 s[26:27], s[26:27]
	v_mov_b32_e32 v3, 0x7f800001
	s_xor_b64 exec, exec, s[26:27]
	s_cbranch_execnz .LBB110_489
.LBB110_469:
	s_or_b64 exec, exec, s[26:27]
	s_and_saveexec_b64 s[26:27], s[0:1]
	s_cbranch_execz .LBB110_471
.LBB110_470:
	v_lshlrev_b32_e32 v3, 24, v4
	v_and_b32_e32 v4, 0xffff, v4
	v_and_b32_e32 v5, 3, v4
	v_ffbh_u32_e32 v7, v5
	v_min_u32_e32 v7, 32, v7
	v_subrev_u32_e32 v8, 29, v7
	v_bfe_u32 v6, v4, 2, 5
	v_lshlrev_b32_e32 v4, v8, v4
	v_sub_u32_e32 v7, 30, v7
	v_and_b32_e32 v4, 3, v4
	v_cmp_eq_u32_e32 vcc, 0, v6
	v_cndmask_b32_e32 v6, v6, v7, vcc
	v_cndmask_b32_e32 v4, v5, v4, vcc
	v_mov_b32_e32 v5, 0x37800000
	v_lshlrev_b32_e32 v4, 21, v4
	v_and_b32_e32 v3, 0x80000000, v3
	v_lshl_add_u32 v5, v6, 23, v5
	v_or3_b32 v3, v3, v5, v4
.LBB110_471:
	s_or_b64 exec, exec, s[26:27]
	s_mov_b64 s[0:1], 0
	s_branch .LBB110_477
.LBB110_472:
	s_mov_b64 s[26:27], -1
                                        ; implicit-def: $vgpr3
	s_branch .LBB110_483
.LBB110_473:
	s_or_saveexec_b64 s[26:27], s[26:27]
	v_mov_b32_e32 v3, 0x7f800001
	s_xor_b64 exec, exec, s[26:27]
	s_cbranch_execz .LBB110_456
.LBB110_474:
	v_cmp_ne_u16_e32 vcc, 0, v4
	s_andn2_b64 s[0:1], s[0:1], exec
	s_and_b64 s[28:29], vcc, exec
	v_mov_b32_e32 v3, 0
	s_or_b64 s[0:1], s[0:1], s[28:29]
	s_or_b64 exec, exec, s[26:27]
	s_and_saveexec_b64 s[26:27], s[0:1]
	s_cbranch_execnz .LBB110_457
	s_branch .LBB110_458
.LBB110_475:
	s_mov_b64 s[0:1], -1
                                        ; implicit-def: $vgpr3
	s_branch .LBB110_480
.LBB110_476:
	s_mov_b64 s[0:1], -1
                                        ; implicit-def: $vgpr3
.LBB110_477:
	s_and_b64 vcc, exec, s[0:1]
	s_cbranch_vccz .LBB110_479
; %bb.478:
	global_load_ubyte v3, v[0:1], off
	s_mov_b32 s0, 0x7f800000
	s_waitcnt vmcnt(0)
	v_lshlrev_b32_e32 v3, 24, v3
	v_and_b32_e32 v4, 0x7f000000, v3
	v_ffbh_u32_e32 v5, v4
	v_min_u32_e32 v5, 32, v5
	v_sub_u32_e64 v5, v5, 4 clamp
	v_lshlrev_b32_e32 v7, v5, v4
	v_lshlrev_b32_e32 v5, 23, v5
	v_lshrrev_b32_e32 v7, 4, v7
	v_add_u32_e32 v6, 0x1000000, v4
	v_sub_u32_e32 v5, v7, v5
	v_ashrrev_i32_e32 v6, 8, v6
	v_add_u32_e32 v5, 0x3c000000, v5
	v_and_or_b32 v5, v6, s0, v5
	v_cmp_ne_u32_e32 vcc, 0, v4
	v_cndmask_b32_e32 v4, 0, v5, vcc
	s_brev_b32 s0, 1
	v_and_or_b32 v3, v3, s0, v4
.LBB110_479:
	s_mov_b64 s[0:1], 0
.LBB110_480:
	s_andn2_b64 vcc, exec, s[0:1]
	s_cbranch_vccnz .LBB110_482
; %bb.481:
	global_load_ubyte v3, v[0:1], off
	s_movk_i32 s0, 0x7f00
	s_brev_b32 s1, 16
	s_waitcnt vmcnt(0)
	v_lshlrev_b16_e32 v4, 8, v3
	v_lshlrev_b32_e32 v3, 25, v3
	v_lshrrev_b32_e32 v5, 4, v3
	v_and_or_b32 v6, v4, s0, 0.5
	v_or_b32_e32 v5, 0x70000000, v5
	v_add_f32_e32 v6, -0.5, v6
	v_mul_f32_e32 v5, 0x7800000, v5
	v_cmp_gt_u32_e32 vcc, s1, v3
	v_bfe_i32 v4, v4, 0, 16
	v_cndmask_b32_e32 v3, v5, v6, vcc
	s_brev_b32 s0, 1
	v_and_or_b32 v3, v4, s0, v3
.LBB110_482:
	s_mov_b64 s[26:27], 0
	s_mov_b64 s[0:1], -1
.LBB110_483:
	s_andn2_b64 vcc, exec, s[26:27]
	s_cbranch_vccnz .LBB110_496
; %bb.484:
	s_cmp_gt_i32 s35, 14
	s_cbranch_scc0 .LBB110_487
; %bb.485:
	s_cmp_eq_u32 s35, 15
	s_cbranch_scc0 .LBB110_490
; %bb.486:
	global_load_ushort v3, v[0:1], off
	s_mov_b64 s[0:1], -1
	s_mov_b64 s[24:25], 0
	s_waitcnt vmcnt(0)
	v_lshlrev_b32_e32 v3, 16, v3
	s_branch .LBB110_491
.LBB110_487:
	s_mov_b64 s[26:27], -1
                                        ; implicit-def: $vgpr3
	s_branch .LBB110_492
.LBB110_488:
	s_or_saveexec_b64 s[26:27], s[26:27]
	v_mov_b32_e32 v3, 0x7f800001
	s_xor_b64 exec, exec, s[26:27]
	s_cbranch_execz .LBB110_469
.LBB110_489:
	v_cmp_ne_u16_e32 vcc, 0, v4
	s_andn2_b64 s[0:1], s[0:1], exec
	s_and_b64 s[28:29], vcc, exec
	v_mov_b32_e32 v3, 0
	s_or_b64 s[0:1], s[0:1], s[28:29]
	s_or_b64 exec, exec, s[26:27]
	s_and_saveexec_b64 s[26:27], s[0:1]
	s_cbranch_execnz .LBB110_470
	s_branch .LBB110_471
.LBB110_490:
	s_mov_b64 s[24:25], -1
                                        ; implicit-def: $vgpr3
.LBB110_491:
	s_mov_b64 s[26:27], 0
.LBB110_492:
	s_and_b64 vcc, exec, s[26:27]
	s_cbranch_vccz .LBB110_496
; %bb.493:
	s_cmp_eq_u32 s35, 11
	s_cbranch_scc0 .LBB110_495
; %bb.494:
	global_load_ubyte v3, v[0:1], off
	s_mov_b64 s[0:1], -1
	s_mov_b64 s[24:25], 0
	s_waitcnt vmcnt(0)
	v_cmp_ne_u16_e32 vcc, 0, v3
	v_cndmask_b32_e64 v3, 0, 1.0, vcc
	s_branch .LBB110_496
.LBB110_495:
	s_mov_b64 s[24:25], -1
                                        ; implicit-def: $vgpr3
.LBB110_496:
	s_branch .LBB110_412
.LBB110_497:
	s_and_b32 s26, 0xffff, s34
	s_cmp_lt_i32 s26, 5
	s_cbranch_scc1 .LBB110_502
; %bb.498:
	s_cmp_lt_i32 s26, 8
	s_cbranch_scc1 .LBB110_503
; %bb.499:
	;; [unrolled: 3-line block ×3, first 2 shown]
	s_cmp_gt_i32 s26, 9
	s_cbranch_scc0 .LBB110_505
; %bb.501:
	global_load_dwordx2 v[3:4], v[0:1], off
	s_mov_b64 s[0:1], 0
	s_waitcnt vmcnt(0)
	v_cvt_f32_f64_e32 v3, v[3:4]
	s_branch .LBB110_506
.LBB110_502:
	s_mov_b64 s[0:1], -1
                                        ; implicit-def: $vgpr3
	s_branch .LBB110_524
.LBB110_503:
	s_mov_b64 s[0:1], -1
                                        ; implicit-def: $vgpr3
	s_branch .LBB110_512
.LBB110_504:
	s_mov_b64 s[0:1], -1
                                        ; implicit-def: $vgpr3
	s_branch .LBB110_509
.LBB110_505:
	s_mov_b64 s[0:1], -1
                                        ; implicit-def: $vgpr3
.LBB110_506:
	s_andn2_b64 vcc, exec, s[0:1]
	s_cbranch_vccnz .LBB110_508
; %bb.507:
	global_load_dword v3, v[0:1], off
.LBB110_508:
	s_mov_b64 s[0:1], 0
.LBB110_509:
	s_andn2_b64 vcc, exec, s[0:1]
	s_cbranch_vccnz .LBB110_511
; %bb.510:
	global_load_dword v3, v[0:1], off
	s_waitcnt vmcnt(0)
	v_cvt_f32_f16_e32 v3, v3
.LBB110_511:
	s_mov_b64 s[0:1], 0
.LBB110_512:
	s_andn2_b64 vcc, exec, s[0:1]
	s_cbranch_vccnz .LBB110_523
; %bb.513:
	s_cmp_lt_i32 s26, 6
	s_cbranch_scc1 .LBB110_516
; %bb.514:
	s_cmp_gt_i32 s26, 6
	s_cbranch_scc0 .LBB110_517
; %bb.515:
	global_load_dwordx2 v[3:4], v[0:1], off
	s_mov_b64 s[0:1], 0
	s_waitcnt vmcnt(0)
	v_cvt_f32_f64_e32 v3, v[3:4]
	s_branch .LBB110_518
.LBB110_516:
	s_mov_b64 s[0:1], -1
                                        ; implicit-def: $vgpr3
	s_branch .LBB110_521
.LBB110_517:
	s_mov_b64 s[0:1], -1
                                        ; implicit-def: $vgpr3
.LBB110_518:
	s_andn2_b64 vcc, exec, s[0:1]
	s_cbranch_vccnz .LBB110_520
; %bb.519:
	global_load_dword v3, v[0:1], off
.LBB110_520:
	s_mov_b64 s[0:1], 0
.LBB110_521:
	s_andn2_b64 vcc, exec, s[0:1]
	s_cbranch_vccnz .LBB110_523
; %bb.522:
	global_load_ushort v3, v[0:1], off
	s_waitcnt vmcnt(0)
	v_cvt_f32_f16_e32 v3, v3
.LBB110_523:
	s_mov_b64 s[0:1], 0
.LBB110_524:
	s_andn2_b64 vcc, exec, s[0:1]
	s_cbranch_vccnz .LBB110_544
; %bb.525:
	s_cmp_lt_i32 s26, 2
	s_cbranch_scc1 .LBB110_529
; %bb.526:
	s_cmp_lt_i32 s26, 3
	s_cbranch_scc1 .LBB110_530
; %bb.527:
	s_cmp_gt_i32 s26, 3
	s_cbranch_scc0 .LBB110_531
; %bb.528:
	global_load_dwordx2 v[3:4], v[0:1], off
	s_mov_b64 s[0:1], 0
	s_waitcnt vmcnt(0)
	v_xor_b32_e32 v6, v3, v4
	v_ffbh_i32_e32 v5, v4
	v_ashrrev_i32_e32 v6, 31, v6
	v_add_u32_e32 v5, -1, v5
	v_add_u32_e32 v6, 32, v6
	v_min_u32_e32 v5, v5, v6
	v_lshlrev_b64 v[3:4], v5, v[3:4]
	v_min_u32_e32 v3, 1, v3
	v_or_b32_e32 v3, v4, v3
	v_cvt_f32_i32_e32 v3, v3
	v_sub_u32_e32 v4, 32, v5
	v_ldexp_f32 v3, v3, v4
	s_branch .LBB110_532
.LBB110_529:
	s_mov_b64 s[0:1], -1
                                        ; implicit-def: $vgpr3
	s_branch .LBB110_538
.LBB110_530:
	s_mov_b64 s[0:1], -1
                                        ; implicit-def: $vgpr3
	s_branch .LBB110_535
.LBB110_531:
	s_mov_b64 s[0:1], -1
                                        ; implicit-def: $vgpr3
.LBB110_532:
	s_andn2_b64 vcc, exec, s[0:1]
	s_cbranch_vccnz .LBB110_534
; %bb.533:
	global_load_dword v3, v[0:1], off
	s_waitcnt vmcnt(0)
	v_cvt_f32_i32_e32 v3, v3
.LBB110_534:
	s_mov_b64 s[0:1], 0
.LBB110_535:
	s_andn2_b64 vcc, exec, s[0:1]
	s_cbranch_vccnz .LBB110_537
; %bb.536:
	global_load_sshort v3, v[0:1], off
	s_waitcnt vmcnt(0)
	v_cvt_f32_i32_e32 v3, v3
.LBB110_537:
	s_mov_b64 s[0:1], 0
.LBB110_538:
	s_andn2_b64 vcc, exec, s[0:1]
	s_cbranch_vccnz .LBB110_544
; %bb.539:
	s_cmp_gt_i32 s26, 0
	s_cbranch_scc0 .LBB110_541
; %bb.540:
	global_load_sbyte v3, v[0:1], off
	s_mov_b64 s[0:1], 0
	s_waitcnt vmcnt(0)
	v_cvt_f32_i32_e32 v3, v3
	s_branch .LBB110_542
.LBB110_541:
	s_mov_b64 s[0:1], -1
                                        ; implicit-def: $vgpr3
.LBB110_542:
	s_andn2_b64 vcc, exec, s[0:1]
	s_cbranch_vccnz .LBB110_544
; %bb.543:
	global_load_ubyte v0, v[0:1], off
	s_waitcnt vmcnt(0)
	v_cvt_f32_ubyte0_e32 v3, v0
.LBB110_544:
	s_branch .LBB110_413
.LBB110_545:
	s_mov_b64 s[34:35], 0
	s_mov_b64 s[0:1], s[16:17]
	;; [unrolled: 1-line block ×3, first 2 shown]
.LBB110_546:
                                        ; implicit-def: $vgpr2
	s_branch .LBB110_805
.LBB110_547:
	s_andn2_saveexec_b64 s[30:31], s[30:31]
	s_cbranch_execz .LBB110_209
.LBB110_548:
	v_add_f32_e32 v3, 0x42800000, v4
	v_and_b32_e32 v3, 0xff, v3
	v_cmp_ne_u32_e32 vcc, 0, v3
	s_andn2_b64 s[28:29], s[28:29], exec
	s_and_b64 s[36:37], vcc, exec
	s_or_b64 s[28:29], s[28:29], s[36:37]
	s_or_b64 exec, exec, s[30:31]
	v_mov_b32_e32 v5, 0
	s_and_saveexec_b64 s[30:31], s[28:29]
	s_cbranch_execnz .LBB110_210
	s_branch .LBB110_211
.LBB110_549:
	s_mov_b64 s[26:27], -1
                                        ; implicit-def: $vgpr4
	s_mov_b64 s[0:1], 0
.LBB110_550:
	s_and_b64 vcc, exec, s[28:29]
	s_cbranch_vccz .LBB110_554
; %bb.551:
	s_cmp_eq_u32 s37, 44
	s_cbranch_scc0 .LBB110_553
; %bb.552:
	global_load_ubyte v4, v[0:1], off
	s_movk_i32 s26, 0xff
	v_mov_b32_e32 v5, 0x7f800001
	v_mov_b32_e32 v6, 0x400000
	s_mov_b64 s[0:1], -1
	s_waitcnt vmcnt(0)
	v_lshlrev_b32_e32 v7, 23, v4
	v_cmp_ne_u32_e32 vcc, s26, v4
	v_cndmask_b32_e32 v5, v5, v7, vcc
	v_cmp_ne_u32_e32 vcc, 0, v4
	v_cndmask_b32_e32 v4, v6, v5, vcc
	s_mov_b64 s[26:27], 0
	s_branch .LBB110_554
.LBB110_553:
	s_mov_b64 s[26:27], -1
                                        ; implicit-def: $vgpr4
.LBB110_554:
	s_mov_b64 s[28:29], 0
.LBB110_555:
	s_and_b64 vcc, exec, s[28:29]
	s_cbranch_vccz .LBB110_559
; %bb.556:
	s_cmp_eq_u32 s37, 29
	s_cbranch_scc0 .LBB110_558
; %bb.557:
	global_load_dwordx2 v[4:5], v[0:1], off
	s_mov_b64 s[0:1], -1
	s_mov_b64 s[26:27], 0
	s_mov_b64 s[28:29], 0
	s_waitcnt vmcnt(0)
	v_ffbh_u32_e32 v6, v5
	v_min_u32_e32 v6, 32, v6
	v_lshlrev_b64 v[4:5], v6, v[4:5]
	v_min_u32_e32 v4, 1, v4
	v_or_b32_e32 v4, v5, v4
	v_cvt_f32_u32_e32 v4, v4
	v_sub_u32_e32 v5, 32, v6
	v_ldexp_f32 v4, v4, v5
	s_branch .LBB110_560
.LBB110_558:
	s_mov_b64 s[26:27], -1
                                        ; implicit-def: $vgpr4
.LBB110_559:
	s_mov_b64 s[28:29], 0
.LBB110_560:
	s_and_b64 vcc, exec, s[28:29]
	s_cbranch_vccz .LBB110_578
; %bb.561:
	s_cmp_lt_i32 s37, 27
	s_cbranch_scc1 .LBB110_564
; %bb.562:
	s_cmp_gt_i32 s37, 27
	s_cbranch_scc0 .LBB110_565
; %bb.563:
	global_load_dword v4, v[0:1], off
	s_mov_b64 s[0:1], 0
	s_waitcnt vmcnt(0)
	v_cvt_f32_u32_e32 v4, v4
	s_branch .LBB110_566
.LBB110_564:
	s_mov_b64 s[0:1], -1
                                        ; implicit-def: $vgpr4
	s_branch .LBB110_569
.LBB110_565:
	s_mov_b64 s[0:1], -1
                                        ; implicit-def: $vgpr4
.LBB110_566:
	s_andn2_b64 vcc, exec, s[0:1]
	s_cbranch_vccnz .LBB110_568
; %bb.567:
	global_load_ushort v4, v[0:1], off
	s_waitcnt vmcnt(0)
	v_cvt_f32_u32_e32 v4, v4
.LBB110_568:
	s_mov_b64 s[0:1], 0
.LBB110_569:
	s_andn2_b64 vcc, exec, s[0:1]
	s_cbranch_vccnz .LBB110_577
; %bb.570:
	global_load_ubyte v5, v[0:1], off
	s_movk_i32 s0, 0x7f
	s_waitcnt vmcnt(0)
	v_cmp_lt_i16_e32 vcc, s0, v5
	s_mov_b64 s[0:1], 0
	s_and_saveexec_b64 s[28:29], vcc
	s_xor_b64 s[28:29], exec, s[28:29]
	s_cbranch_execz .LBB110_591
; %bb.571:
	s_movk_i32 s0, 0x80
	v_cmp_eq_u16_e32 vcc, s0, v5
	s_mov_b64 s[0:1], -1
	s_and_saveexec_b64 s[34:35], vcc
; %bb.572:
	s_xor_b64 s[0:1], exec, -1
; %bb.573:
	s_or_b64 exec, exec, s[34:35]
	s_and_b64 s[0:1], s[0:1], exec
	s_or_saveexec_b64 s[28:29], s[28:29]
	v_mov_b32_e32 v4, 0x7f800001
	s_xor_b64 exec, exec, s[28:29]
	s_cbranch_execnz .LBB110_592
.LBB110_574:
	s_or_b64 exec, exec, s[28:29]
	s_and_saveexec_b64 s[28:29], s[0:1]
	s_cbranch_execz .LBB110_576
.LBB110_575:
	v_lshlrev_b32_e32 v4, 24, v5
	v_and_b32_e32 v5, 0xffff, v5
	v_and_b32_e32 v6, 7, v5
	v_ffbh_u32_e32 v8, v6
	v_min_u32_e32 v8, 32, v8
	v_subrev_u32_e32 v9, 28, v8
	v_bfe_u32 v7, v5, 3, 4
	v_lshlrev_b32_e32 v5, v9, v5
	v_sub_u32_e32 v8, 29, v8
	v_and_b32_e32 v5, 7, v5
	v_cmp_eq_u32_e32 vcc, 0, v7
	v_cndmask_b32_e32 v7, v7, v8, vcc
	v_cndmask_b32_e32 v5, v6, v5, vcc
	v_mov_b32_e32 v6, 0x3b800000
	v_lshlrev_b32_e32 v5, 20, v5
	v_and_b32_e32 v4, 0x80000000, v4
	v_lshl_add_u32 v6, v7, 23, v6
	v_or3_b32 v4, v4, v6, v5
.LBB110_576:
	s_or_b64 exec, exec, s[28:29]
.LBB110_577:
	s_mov_b64 s[0:1], -1
.LBB110_578:
	s_mov_b64 s[28:29], 0
.LBB110_579:
	s_and_b64 vcc, exec, s[28:29]
	s_cbranch_vccz .LBB110_614
; %bb.580:
	s_cmp_gt_i32 s37, 22
	s_cbranch_scc0 .LBB110_590
; %bb.581:
	s_cmp_lt_i32 s37, 24
	s_cbranch_scc1 .LBB110_593
; %bb.582:
	s_cmp_gt_i32 s37, 24
	s_cbranch_scc0 .LBB110_594
; %bb.583:
	global_load_ubyte v5, v[0:1], off
	s_movk_i32 s0, 0x7f
	s_waitcnt vmcnt(0)
	v_cmp_lt_i16_e32 vcc, s0, v5
	s_mov_b64 s[0:1], 0
	s_and_saveexec_b64 s[28:29], vcc
	s_xor_b64 s[28:29], exec, s[28:29]
	s_cbranch_execz .LBB110_606
; %bb.584:
	s_movk_i32 s0, 0x80
	v_cmp_eq_u16_e32 vcc, s0, v5
	s_mov_b64 s[0:1], -1
	s_and_saveexec_b64 s[34:35], vcc
; %bb.585:
	s_xor_b64 s[0:1], exec, -1
; %bb.586:
	s_or_b64 exec, exec, s[34:35]
	s_and_b64 s[0:1], s[0:1], exec
	s_or_saveexec_b64 s[28:29], s[28:29]
	v_mov_b32_e32 v4, 0x7f800001
	s_xor_b64 exec, exec, s[28:29]
	s_cbranch_execnz .LBB110_607
.LBB110_587:
	s_or_b64 exec, exec, s[28:29]
	s_and_saveexec_b64 s[28:29], s[0:1]
	s_cbranch_execz .LBB110_589
.LBB110_588:
	v_lshlrev_b32_e32 v4, 24, v5
	v_and_b32_e32 v5, 0xffff, v5
	v_and_b32_e32 v6, 3, v5
	v_ffbh_u32_e32 v8, v6
	v_min_u32_e32 v8, 32, v8
	v_subrev_u32_e32 v9, 29, v8
	v_bfe_u32 v7, v5, 2, 5
	v_lshlrev_b32_e32 v5, v9, v5
	v_sub_u32_e32 v8, 30, v8
	v_and_b32_e32 v5, 3, v5
	v_cmp_eq_u32_e32 vcc, 0, v7
	v_cndmask_b32_e32 v7, v7, v8, vcc
	v_cndmask_b32_e32 v5, v6, v5, vcc
	v_mov_b32_e32 v6, 0x37800000
	v_lshlrev_b32_e32 v5, 21, v5
	v_and_b32_e32 v4, 0x80000000, v4
	v_lshl_add_u32 v6, v7, 23, v6
	v_or3_b32 v4, v4, v6, v5
.LBB110_589:
	s_or_b64 exec, exec, s[28:29]
	s_mov_b64 s[0:1], 0
	s_branch .LBB110_595
.LBB110_590:
	s_mov_b64 s[28:29], -1
                                        ; implicit-def: $vgpr4
	s_branch .LBB110_601
.LBB110_591:
	s_or_saveexec_b64 s[28:29], s[28:29]
	v_mov_b32_e32 v4, 0x7f800001
	s_xor_b64 exec, exec, s[28:29]
	s_cbranch_execz .LBB110_574
.LBB110_592:
	v_cmp_ne_u16_e32 vcc, 0, v5
	s_andn2_b64 s[0:1], s[0:1], exec
	s_and_b64 s[34:35], vcc, exec
	v_mov_b32_e32 v4, 0
	s_or_b64 s[0:1], s[0:1], s[34:35]
	s_or_b64 exec, exec, s[28:29]
	s_and_saveexec_b64 s[28:29], s[0:1]
	s_cbranch_execnz .LBB110_575
	s_branch .LBB110_576
.LBB110_593:
	s_mov_b64 s[0:1], -1
                                        ; implicit-def: $vgpr4
	s_branch .LBB110_598
.LBB110_594:
	s_mov_b64 s[0:1], -1
                                        ; implicit-def: $vgpr4
.LBB110_595:
	s_and_b64 vcc, exec, s[0:1]
	s_cbranch_vccz .LBB110_597
; %bb.596:
	global_load_ubyte v4, v[0:1], off
	s_mov_b32 s0, 0x7f800000
	s_waitcnt vmcnt(0)
	v_lshlrev_b32_e32 v4, 24, v4
	v_and_b32_e32 v5, 0x7f000000, v4
	v_ffbh_u32_e32 v6, v5
	v_min_u32_e32 v6, 32, v6
	v_sub_u32_e64 v6, v6, 4 clamp
	v_lshlrev_b32_e32 v8, v6, v5
	v_lshlrev_b32_e32 v6, 23, v6
	v_lshrrev_b32_e32 v8, 4, v8
	v_add_u32_e32 v7, 0x1000000, v5
	v_sub_u32_e32 v6, v8, v6
	v_ashrrev_i32_e32 v7, 8, v7
	v_add_u32_e32 v6, 0x3c000000, v6
	v_and_or_b32 v6, v7, s0, v6
	v_cmp_ne_u32_e32 vcc, 0, v5
	v_cndmask_b32_e32 v5, 0, v6, vcc
	s_brev_b32 s0, 1
	v_and_or_b32 v4, v4, s0, v5
.LBB110_597:
	s_mov_b64 s[0:1], 0
.LBB110_598:
	s_andn2_b64 vcc, exec, s[0:1]
	s_cbranch_vccnz .LBB110_600
; %bb.599:
	global_load_ubyte v4, v[0:1], off
	s_movk_i32 s0, 0x7f00
	s_brev_b32 s1, 16
	s_waitcnt vmcnt(0)
	v_lshlrev_b16_e32 v5, 8, v4
	v_lshlrev_b32_e32 v4, 25, v4
	v_lshrrev_b32_e32 v6, 4, v4
	v_and_or_b32 v7, v5, s0, 0.5
	v_or_b32_e32 v6, 0x70000000, v6
	v_add_f32_e32 v7, -0.5, v7
	v_mul_f32_e32 v6, 0x7800000, v6
	v_cmp_gt_u32_e32 vcc, s1, v4
	v_bfe_i32 v5, v5, 0, 16
	v_cndmask_b32_e32 v4, v6, v7, vcc
	s_brev_b32 s0, 1
	v_and_or_b32 v4, v5, s0, v4
.LBB110_600:
	s_mov_b64 s[28:29], 0
	s_mov_b64 s[0:1], -1
.LBB110_601:
	s_andn2_b64 vcc, exec, s[28:29]
	s_cbranch_vccnz .LBB110_614
; %bb.602:
	s_cmp_gt_i32 s37, 14
	s_cbranch_scc0 .LBB110_605
; %bb.603:
	s_cmp_eq_u32 s37, 15
	s_cbranch_scc0 .LBB110_608
; %bb.604:
	global_load_ushort v4, v[0:1], off
	s_mov_b64 s[0:1], -1
	s_mov_b64 s[26:27], 0
	s_waitcnt vmcnt(0)
	v_lshlrev_b32_e32 v4, 16, v4
	s_branch .LBB110_609
.LBB110_605:
	s_mov_b64 s[28:29], -1
                                        ; implicit-def: $vgpr4
	s_branch .LBB110_610
.LBB110_606:
	s_or_saveexec_b64 s[28:29], s[28:29]
	v_mov_b32_e32 v4, 0x7f800001
	s_xor_b64 exec, exec, s[28:29]
	s_cbranch_execz .LBB110_587
.LBB110_607:
	v_cmp_ne_u16_e32 vcc, 0, v5
	s_andn2_b64 s[0:1], s[0:1], exec
	s_and_b64 s[34:35], vcc, exec
	v_mov_b32_e32 v4, 0
	s_or_b64 s[0:1], s[0:1], s[34:35]
	s_or_b64 exec, exec, s[28:29]
	s_and_saveexec_b64 s[28:29], s[0:1]
	s_cbranch_execnz .LBB110_588
	s_branch .LBB110_589
.LBB110_608:
	s_mov_b64 s[26:27], -1
                                        ; implicit-def: $vgpr4
.LBB110_609:
	s_mov_b64 s[28:29], 0
.LBB110_610:
	s_and_b64 vcc, exec, s[28:29]
	s_cbranch_vccz .LBB110_614
; %bb.611:
	s_cmp_eq_u32 s37, 11
	s_cbranch_scc0 .LBB110_613
; %bb.612:
	global_load_ubyte v4, v[0:1], off
	s_mov_b64 s[0:1], -1
	s_mov_b64 s[26:27], 0
	s_waitcnt vmcnt(0)
	v_cmp_ne_u16_e32 vcc, 0, v4
	v_cndmask_b32_e64 v4, 0, 1.0, vcc
	s_branch .LBB110_614
.LBB110_613:
	s_mov_b64 s[26:27], -1
                                        ; implicit-def: $vgpr4
.LBB110_614:
	s_mov_b64 s[28:29], 0
.LBB110_615:
	s_and_b64 vcc, exec, s[28:29]
	s_cbranch_vccz .LBB110_664
; %bb.616:
	s_and_b32 s28, 0xffff, s36
	s_cmp_lt_i32 s28, 5
	s_cbranch_scc1 .LBB110_621
; %bb.617:
	s_cmp_lt_i32 s28, 8
	s_cbranch_scc1 .LBB110_622
; %bb.618:
	;; [unrolled: 3-line block ×3, first 2 shown]
	s_cmp_gt_i32 s28, 9
	s_cbranch_scc0 .LBB110_624
; %bb.620:
	global_load_dwordx2 v[4:5], v[0:1], off
	s_mov_b64 s[0:1], 0
	s_waitcnt vmcnt(0)
	v_cvt_f32_f64_e32 v4, v[4:5]
	s_branch .LBB110_625
.LBB110_621:
	s_mov_b64 s[0:1], -1
                                        ; implicit-def: $vgpr4
	s_branch .LBB110_643
.LBB110_622:
	s_mov_b64 s[0:1], -1
                                        ; implicit-def: $vgpr4
	s_branch .LBB110_631
.LBB110_623:
	s_mov_b64 s[0:1], -1
                                        ; implicit-def: $vgpr4
	s_branch .LBB110_628
.LBB110_624:
	s_mov_b64 s[0:1], -1
                                        ; implicit-def: $vgpr4
.LBB110_625:
	s_andn2_b64 vcc, exec, s[0:1]
	s_cbranch_vccnz .LBB110_627
; %bb.626:
	global_load_dword v4, v[0:1], off
.LBB110_627:
	s_mov_b64 s[0:1], 0
.LBB110_628:
	s_andn2_b64 vcc, exec, s[0:1]
	s_cbranch_vccnz .LBB110_630
; %bb.629:
	global_load_dword v4, v[0:1], off
	s_waitcnt vmcnt(0)
	v_cvt_f32_f16_e32 v4, v4
.LBB110_630:
	s_mov_b64 s[0:1], 0
.LBB110_631:
	s_andn2_b64 vcc, exec, s[0:1]
	s_cbranch_vccnz .LBB110_642
; %bb.632:
	s_cmp_lt_i32 s28, 6
	s_cbranch_scc1 .LBB110_635
; %bb.633:
	s_cmp_gt_i32 s28, 6
	s_cbranch_scc0 .LBB110_636
; %bb.634:
	global_load_dwordx2 v[4:5], v[0:1], off
	s_mov_b64 s[0:1], 0
	s_waitcnt vmcnt(0)
	v_cvt_f32_f64_e32 v4, v[4:5]
	s_branch .LBB110_637
.LBB110_635:
	s_mov_b64 s[0:1], -1
                                        ; implicit-def: $vgpr4
	s_branch .LBB110_640
.LBB110_636:
	s_mov_b64 s[0:1], -1
                                        ; implicit-def: $vgpr4
.LBB110_637:
	s_andn2_b64 vcc, exec, s[0:1]
	s_cbranch_vccnz .LBB110_639
; %bb.638:
	global_load_dword v4, v[0:1], off
.LBB110_639:
	s_mov_b64 s[0:1], 0
.LBB110_640:
	s_andn2_b64 vcc, exec, s[0:1]
	s_cbranch_vccnz .LBB110_642
; %bb.641:
	global_load_ushort v4, v[0:1], off
	s_waitcnt vmcnt(0)
	v_cvt_f32_f16_e32 v4, v4
.LBB110_642:
	s_mov_b64 s[0:1], 0
.LBB110_643:
	s_andn2_b64 vcc, exec, s[0:1]
	s_cbranch_vccnz .LBB110_663
; %bb.644:
	s_cmp_lt_i32 s28, 2
	s_cbranch_scc1 .LBB110_648
; %bb.645:
	s_cmp_lt_i32 s28, 3
	s_cbranch_scc1 .LBB110_649
; %bb.646:
	s_cmp_gt_i32 s28, 3
	s_cbranch_scc0 .LBB110_650
; %bb.647:
	global_load_dwordx2 v[4:5], v[0:1], off
	s_mov_b64 s[0:1], 0
	s_waitcnt vmcnt(0)
	v_xor_b32_e32 v7, v4, v5
	v_ffbh_i32_e32 v6, v5
	v_ashrrev_i32_e32 v7, 31, v7
	v_add_u32_e32 v6, -1, v6
	v_add_u32_e32 v7, 32, v7
	v_min_u32_e32 v6, v6, v7
	v_lshlrev_b64 v[4:5], v6, v[4:5]
	v_min_u32_e32 v4, 1, v4
	v_or_b32_e32 v4, v5, v4
	v_cvt_f32_i32_e32 v4, v4
	v_sub_u32_e32 v5, 32, v6
	v_ldexp_f32 v4, v4, v5
	s_branch .LBB110_651
.LBB110_648:
	s_mov_b64 s[0:1], -1
                                        ; implicit-def: $vgpr4
	s_branch .LBB110_657
.LBB110_649:
	s_mov_b64 s[0:1], -1
                                        ; implicit-def: $vgpr4
	s_branch .LBB110_654
.LBB110_650:
	s_mov_b64 s[0:1], -1
                                        ; implicit-def: $vgpr4
.LBB110_651:
	s_andn2_b64 vcc, exec, s[0:1]
	s_cbranch_vccnz .LBB110_653
; %bb.652:
	global_load_dword v4, v[0:1], off
	s_waitcnt vmcnt(0)
	v_cvt_f32_i32_e32 v4, v4
.LBB110_653:
	s_mov_b64 s[0:1], 0
.LBB110_654:
	s_andn2_b64 vcc, exec, s[0:1]
	s_cbranch_vccnz .LBB110_656
; %bb.655:
	global_load_sshort v4, v[0:1], off
	s_waitcnt vmcnt(0)
	v_cvt_f32_i32_e32 v4, v4
.LBB110_656:
	s_mov_b64 s[0:1], 0
.LBB110_657:
	s_andn2_b64 vcc, exec, s[0:1]
	s_cbranch_vccnz .LBB110_663
; %bb.658:
	s_cmp_gt_i32 s28, 0
	s_cbranch_scc0 .LBB110_660
; %bb.659:
	global_load_sbyte v4, v[0:1], off
	s_mov_b64 s[0:1], 0
	s_waitcnt vmcnt(0)
	v_cvt_f32_i32_e32 v4, v4
	s_branch .LBB110_661
.LBB110_660:
	s_mov_b64 s[0:1], -1
                                        ; implicit-def: $vgpr4
.LBB110_661:
	s_andn2_b64 vcc, exec, s[0:1]
	s_cbranch_vccnz .LBB110_663
; %bb.662:
	global_load_ubyte v0, v[0:1], off
	s_waitcnt vmcnt(0)
	v_cvt_f32_ubyte0_e32 v4, v0
.LBB110_663:
	s_mov_b64 s[0:1], -1
.LBB110_664:
	s_andn2_b64 vcc, exec, s[0:1]
	s_cbranch_vccnz .LBB110_669
; %bb.665:
	s_cmp_lt_i32 s15, 1
	s_mov_b64 s[0:1], 0
	s_cbranch_scc1 .LBB110_670
; %bb.666:
	s_cmp_gt_i32 s15, 1
	s_cbranch_scc0 .LBB110_671
; %bb.667:
	s_cmp_eq_u32 s15, 2
	s_cbranch_scc0 .LBB110_672
; %bb.668:
	s_waitcnt vmcnt(0)
	v_cmp_le_f32_e64 s[28:29], v3, v4
	s_mov_b64 s[34:35], 0
	s_branch .LBB110_673
.LBB110_669:
	s_mov_b64 s[34:35], 0
                                        ; implicit-def: $vgpr2
	s_mov_b64 s[0:1], s[16:17]
	s_branch .LBB110_805
.LBB110_670:
	s_mov_b64 s[36:37], -1
                                        ; implicit-def: $sgpr28_sgpr29
	s_mov_b64 s[34:35], 0
	s_branch .LBB110_677
.LBB110_671:
	s_mov_b64 s[36:37], -1
	s_mov_b64 s[34:35], 0
                                        ; implicit-def: $sgpr28_sgpr29
	s_branch .LBB110_674
.LBB110_672:
	s_mov_b64 s[34:35], -1
                                        ; implicit-def: $sgpr28_sgpr29
.LBB110_673:
	s_mov_b64 s[36:37], 0
.LBB110_674:
	s_and_b64 vcc, exec, s[36:37]
	s_cbranch_vccz .LBB110_676
; %bb.675:
	s_waitcnt vmcnt(0)
	v_cmp_gt_f32_e32 vcc, v3, v4
	s_andn2_b64 s[28:29], s[28:29], exec
	s_and_b64 s[36:37], vcc, exec
	s_or_b64 s[28:29], s[28:29], s[36:37]
.LBB110_676:
	s_mov_b64 s[36:37], 0
.LBB110_677:
	s_and_b64 vcc, exec, s[36:37]
	s_cbranch_vccz .LBB110_688
; %bb.678:
	s_cmp_lg_u32 s15, 0
	s_mov_b64 s[0:1], -1
	s_cselect_b64 s[34:35], -1, 0
	s_andn2_b64 vcc, exec, s[34:35]
	s_cbranch_vccz .LBB110_689
.LBB110_679:
	s_andn2_b64 vcc, exec, s[0:1]
	s_cbranch_vccnz .LBB110_681
.LBB110_680:
	s_waitcnt vmcnt(0)
	v_cmp_ge_f32_e32 vcc, v3, v4
	s_andn2_b64 s[0:1], s[28:29], exec
	s_and_b64 s[28:29], vcc, exec
	s_or_b64 s[28:29], s[0:1], s[28:29]
.LBB110_681:
	v_mul_lo_u32 v0, v2, s12
	v_mov_b32_e32 v1, s9
	s_and_b32 s40, s33, 0xff
	s_cmp_lt_i32 s40, 11
	s_waitcnt vmcnt(0)
	v_ashrrev_i32_e32 v3, 31, v0
	v_add_co_u32_e32 v0, vcc, s8, v0
	v_addc_co_u32_e32 v1, vcc, v1, v3, vcc
	s_cbranch_scc1 .LBB110_690
; %bb.682:
	s_and_b32 s41, 0xffff, s40
	s_cmp_gt_i32 s41, 25
	s_cbranch_scc0 .LBB110_691
; %bb.683:
	s_cmp_gt_i32 s41, 28
	s_cbranch_scc0 .LBB110_692
; %bb.684:
	;; [unrolled: 3-line block ×4, first 2 shown]
	s_mov_b64 s[36:37], 0
	s_mov_b64 s[0:1], -1
	s_cmp_eq_u32 s41, 46
	s_mov_b64 s[34:35], 0
	s_cbranch_scc0 .LBB110_695
; %bb.687:
	v_cndmask_b32_e64 v3, 0, 1.0, s[28:29]
	v_bfe_u32 v4, v3, 16, 1
	s_movk_i32 s0, 0x7fff
	v_add3_u32 v3, v3, v4, s0
	v_lshrrev_b32_e32 v3, 16, v3
	global_store_dword v[0:1], v3, off
	s_mov_b64 s[34:35], -1
	s_mov_b64 s[0:1], 0
	s_branch .LBB110_695
.LBB110_688:
	s_andn2_b64 vcc, exec, s[34:35]
	s_cbranch_vccnz .LBB110_679
.LBB110_689:
	s_waitcnt vmcnt(0)
	v_cmp_lt_f32_e32 vcc, v3, v4
	s_andn2_b64 s[28:29], s[28:29], exec
	s_and_b64 s[34:35], vcc, exec
	s_or_b64 s[28:29], s[28:29], s[34:35]
	s_cbranch_execz .LBB110_680
	s_branch .LBB110_681
.LBB110_690:
	s_mov_b64 s[36:37], -1
	s_mov_b64 s[34:35], 0
	s_mov_b64 s[0:1], s[16:17]
	s_branch .LBB110_764
.LBB110_691:
	s_mov_b64 s[36:37], -1
	s_mov_b64 s[34:35], 0
	s_mov_b64 s[0:1], s[16:17]
	s_branch .LBB110_722
.LBB110_692:
	s_mov_b64 s[36:37], -1
	s_mov_b64 s[34:35], 0
	s_mov_b64 s[0:1], s[16:17]
	s_branch .LBB110_705
.LBB110_693:
	s_mov_b64 s[36:37], -1
	s_mov_b64 s[34:35], 0
	s_mov_b64 s[0:1], s[16:17]
	s_branch .LBB110_701
.LBB110_694:
	s_mov_b64 s[36:37], -1
	s_mov_b64 s[34:35], 0
	s_mov_b64 s[0:1], s[16:17]
.LBB110_695:
	s_and_b64 vcc, exec, s[36:37]
	s_cbranch_vccz .LBB110_700
; %bb.696:
	s_cmp_eq_u32 s41, 44
	s_mov_b64 s[0:1], -1
	s_cbranch_scc0 .LBB110_700
; %bb.697:
	v_cndmask_b32_e64 v4, 0, 1.0, s[28:29]
	v_lshrrev_b32_e32 v3, 23, v4
	s_movk_i32 s0, 0xff
	v_cmp_ne_u32_e32 vcc, s0, v3
	v_mov_b32_e32 v5, 0xff
	s_and_saveexec_b64 s[34:35], vcc
; %bb.698:
	s_mov_b32 s0, 0x3fffff
	v_and_b32_e32 v5, 0x400000, v4
	v_and_or_b32 v4, v4, s0, v3
	v_cmp_ne_u32_e32 vcc, 0, v5
	v_cmp_ne_u32_e64 s[0:1], 0, v4
	s_and_b64 s[0:1], vcc, s[0:1]
	v_cndmask_b32_e64 v4, 0, 1, s[0:1]
	v_add_u32_e32 v5, v3, v4
; %bb.699:
	s_or_b64 exec, exec, s[34:35]
	s_mov_b64 s[34:35], -1
	s_mov_b64 s[0:1], 0
	global_store_byte v[0:1], v5, off
.LBB110_700:
	s_mov_b64 s[36:37], 0
.LBB110_701:
	s_and_b64 vcc, exec, s[36:37]
	s_cbranch_vccz .LBB110_704
; %bb.702:
	s_cmp_eq_u32 s41, 29
	s_mov_b64 s[0:1], -1
	s_cbranch_scc0 .LBB110_704
; %bb.703:
	s_mov_b32 s0, 0
	v_cndmask_b32_e64 v3, 0, 1, s[28:29]
	v_mov_b32_e32 v4, s0
	global_store_dwordx2 v[0:1], v[3:4], off
	s_mov_b64 s[34:35], -1
	s_mov_b64 s[0:1], 0
.LBB110_704:
	s_mov_b64 s[36:37], 0
.LBB110_705:
	s_and_b64 vcc, exec, s[36:37]
	s_cbranch_vccz .LBB110_721
; %bb.706:
	s_cmp_lt_i32 s41, 27
	s_mov_b64 s[34:35], -1
	s_cbranch_scc1 .LBB110_712
; %bb.707:
	s_cmp_gt_i32 s41, 27
	s_cbranch_scc0 .LBB110_709
; %bb.708:
	v_cndmask_b32_e64 v3, 0, 1, s[28:29]
	s_mov_b64 s[34:35], 0
	global_store_dword v[0:1], v3, off
.LBB110_709:
	s_andn2_b64 vcc, exec, s[34:35]
	s_cbranch_vccnz .LBB110_711
; %bb.710:
	v_cndmask_b32_e64 v3, 0, 1, s[28:29]
	global_store_short v[0:1], v3, off
.LBB110_711:
	s_mov_b64 s[34:35], 0
.LBB110_712:
	s_andn2_b64 vcc, exec, s[34:35]
	s_cbranch_vccnz .LBB110_720
; %bb.713:
	v_cndmask_b32_e64 v4, 0, 1.0, s[28:29]
	s_mov_b32 s34, 0x43800000
	v_cmp_gt_u32_e32 vcc, s34, v4
	v_mov_b32_e32 v5, 0x80
	s_and_saveexec_b64 s[34:35], vcc
	s_cbranch_execz .LBB110_719
; %bb.714:
	s_mov_b32 s36, 0x3bffffff
	v_cmp_lt_u32_e32 vcc, s36, v4
	s_mov_b64 s[36:37], 0
                                        ; implicit-def: $vgpr3
	s_and_saveexec_b64 s[38:39], vcc
	s_xor_b64 s[38:39], exec, s[38:39]
	s_cbranch_execz .LBB110_821
; %bb.715:
	v_bfe_u32 v3, v4, 20, 1
	s_mov_b32 s42, 0x487ffff
	v_add3_u32 v3, v4, v3, s42
	s_mov_b64 s[36:37], exec
	v_lshrrev_b32_e32 v3, 20, v3
                                        ; implicit-def: $vgpr4
	s_andn2_saveexec_b64 s[38:39], s[38:39]
	s_cbranch_execnz .LBB110_822
.LBB110_716:
	s_or_b64 exec, exec, s[38:39]
	v_mov_b32_e32 v5, 0
	s_and_saveexec_b64 s[38:39], s[36:37]
.LBB110_717:
	v_mov_b32_e32 v5, v3
.LBB110_718:
	s_or_b64 exec, exec, s[38:39]
.LBB110_719:
	s_or_b64 exec, exec, s[34:35]
	global_store_byte v[0:1], v5, off
.LBB110_720:
	s_mov_b64 s[34:35], -1
.LBB110_721:
	s_mov_b64 s[36:37], 0
.LBB110_722:
	s_and_b64 vcc, exec, s[36:37]
	s_cbranch_vccz .LBB110_763
; %bb.723:
	s_cmp_gt_i32 s41, 22
	s_mov_b64 s[36:37], -1
	s_cbranch_scc0 .LBB110_755
; %bb.724:
	s_cmp_lt_i32 s41, 24
	s_mov_b64 s[34:35], -1
	s_cbranch_scc1 .LBB110_744
; %bb.725:
	s_cmp_gt_i32 s41, 24
	s_cbranch_scc0 .LBB110_733
; %bb.726:
	v_cndmask_b32_e64 v4, 0, 1.0, s[28:29]
	s_mov_b32 s34, 0x47800000
	v_cmp_gt_u32_e32 vcc, s34, v4
	v_mov_b32_e32 v5, 0x80
	s_and_saveexec_b64 s[34:35], vcc
	s_cbranch_execz .LBB110_732
; %bb.727:
	s_mov_b32 s36, 0x37ffffff
	v_cmp_lt_u32_e32 vcc, s36, v4
	s_mov_b64 s[36:37], 0
                                        ; implicit-def: $vgpr3
	s_and_saveexec_b64 s[38:39], vcc
	s_xor_b64 s[38:39], exec, s[38:39]
	s_cbranch_execz .LBB110_953
; %bb.728:
	v_bfe_u32 v3, v4, 21, 1
	s_mov_b32 s42, 0x88fffff
	v_add3_u32 v3, v4, v3, s42
	s_mov_b64 s[36:37], exec
	v_lshrrev_b32_e32 v3, 21, v3
                                        ; implicit-def: $vgpr4
	s_andn2_saveexec_b64 s[38:39], s[38:39]
	s_cbranch_execnz .LBB110_954
.LBB110_729:
	s_or_b64 exec, exec, s[38:39]
	v_mov_b32_e32 v5, 0
	s_and_saveexec_b64 s[38:39], s[36:37]
.LBB110_730:
	v_mov_b32_e32 v5, v3
.LBB110_731:
	s_or_b64 exec, exec, s[38:39]
.LBB110_732:
	s_or_b64 exec, exec, s[34:35]
	s_mov_b64 s[34:35], 0
	global_store_byte v[0:1], v5, off
.LBB110_733:
	s_and_b64 vcc, exec, s[34:35]
	s_cbranch_vccz .LBB110_743
; %bb.734:
	v_cndmask_b32_e64 v3, 0, 1.0, s[28:29]
	s_mov_b32 s34, 0x43f00000
	v_cmp_gt_u32_e32 vcc, s34, v3
                                        ; implicit-def: $vgpr4
	s_and_saveexec_b64 s[34:35], vcc
	s_xor_b64 s[34:35], exec, s[34:35]
	s_cbranch_execz .LBB110_740
; %bb.735:
	s_mov_b32 s36, 0x3c7fffff
	v_cmp_lt_u32_e32 vcc, s36, v3
                                        ; implicit-def: $vgpr4
	s_and_saveexec_b64 s[36:37], vcc
	s_xor_b64 s[36:37], exec, s[36:37]
; %bb.736:
	v_bfe_u32 v4, v3, 20, 1
	s_mov_b32 s38, 0x407ffff
	v_add3_u32 v3, v3, v4, s38
	v_lshrrev_b32_e32 v4, 20, v3
	v_and_b32_e32 v3, 0xff00000, v3
	s_mov_b32 s38, 0x7f00000
	v_mov_b32_e32 v5, 0x7e
	v_cmp_ne_u32_e32 vcc, s38, v3
	v_cndmask_b32_e32 v4, v5, v4, vcc
                                        ; implicit-def: $vgpr3
; %bb.737:
	s_andn2_saveexec_b64 s[36:37], s[36:37]
; %bb.738:
	v_add_f32_e32 v4, 0x46800000, v3
; %bb.739:
	s_or_b64 exec, exec, s[36:37]
                                        ; implicit-def: $vgpr3
.LBB110_740:
	s_andn2_saveexec_b64 s[34:35], s[34:35]
; %bb.741:
	s_mov_b32 s36, 0x7f800000
	v_mov_b32_e32 v4, 0x7e
	v_mov_b32_e32 v5, 0x7f
	v_cmp_lt_u32_e32 vcc, s36, v3
	v_cndmask_b32_e32 v4, v4, v5, vcc
; %bb.742:
	s_or_b64 exec, exec, s[34:35]
	global_store_byte v[0:1], v4, off
.LBB110_743:
	s_mov_b64 s[34:35], 0
.LBB110_744:
	s_andn2_b64 vcc, exec, s[34:35]
	s_cbranch_vccnz .LBB110_754
; %bb.745:
	v_cndmask_b32_e64 v3, 0, 1.0, s[28:29]
	s_mov_b32 s34, 0x47800000
	v_cmp_gt_u32_e32 vcc, s34, v3
                                        ; implicit-def: $vgpr4
	s_and_saveexec_b64 s[34:35], vcc
	s_xor_b64 s[34:35], exec, s[34:35]
	s_cbranch_execz .LBB110_751
; %bb.746:
	s_mov_b32 s36, 0x387fffff
	v_cmp_lt_u32_e32 vcc, s36, v3
                                        ; implicit-def: $vgpr4
	s_and_saveexec_b64 s[36:37], vcc
	s_xor_b64 s[36:37], exec, s[36:37]
; %bb.747:
	v_bfe_u32 v4, v3, 21, 1
	s_mov_b32 s38, 0x80fffff
	v_add3_u32 v3, v3, v4, s38
	v_lshrrev_b32_e32 v4, 21, v3
                                        ; implicit-def: $vgpr3
; %bb.748:
	s_andn2_saveexec_b64 s[36:37], s[36:37]
; %bb.749:
	v_add_f32_e32 v4, 0x43000000, v3
; %bb.750:
	s_or_b64 exec, exec, s[36:37]
                                        ; implicit-def: $vgpr3
.LBB110_751:
	s_andn2_saveexec_b64 s[34:35], s[34:35]
; %bb.752:
	s_mov_b32 s36, 0x7f800000
	v_mov_b32_e32 v4, 0x7c
	v_mov_b32_e32 v5, 0x7f
	v_cmp_lt_u32_e32 vcc, s36, v3
	v_cndmask_b32_e32 v4, v4, v5, vcc
; %bb.753:
	s_or_b64 exec, exec, s[34:35]
	global_store_byte v[0:1], v4, off
.LBB110_754:
	s_mov_b64 s[36:37], 0
	s_mov_b64 s[34:35], -1
.LBB110_755:
	s_andn2_b64 vcc, exec, s[36:37]
	s_cbranch_vccnz .LBB110_763
; %bb.756:
	s_cmp_gt_i32 s41, 14
	s_mov_b64 s[36:37], -1
	s_cbranch_scc0 .LBB110_760
; %bb.757:
	s_cmp_eq_u32 s41, 15
	s_mov_b64 s[0:1], -1
	s_cbranch_scc0 .LBB110_759
; %bb.758:
	v_cndmask_b32_e64 v3, 0, 1.0, s[28:29]
	v_bfe_u32 v4, v3, 16, 1
	s_movk_i32 s0, 0x7fff
	v_add3_u32 v3, v3, v4, s0
	global_store_short_d16_hi v[0:1], v3, off
	s_mov_b64 s[34:35], -1
	s_mov_b64 s[0:1], 0
.LBB110_759:
	s_mov_b64 s[36:37], 0
.LBB110_760:
	s_and_b64 vcc, exec, s[36:37]
	s_cbranch_vccz .LBB110_763
; %bb.761:
	s_cmp_eq_u32 s41, 11
	s_mov_b64 s[0:1], -1
	s_cbranch_scc0 .LBB110_763
; %bb.762:
	v_cndmask_b32_e64 v3, 0, 1, s[28:29]
	s_mov_b64 s[34:35], -1
	s_mov_b64 s[0:1], 0
	global_store_byte v[0:1], v3, off
.LBB110_763:
	s_mov_b64 s[36:37], 0
.LBB110_764:
	s_and_b64 vcc, exec, s[36:37]
	s_cbranch_vccz .LBB110_803
; %bb.765:
	s_and_b32 s36, 0xffff, s40
	s_cmp_lt_i32 s36, 5
	s_mov_b64 s[34:35], -1
	s_cbranch_scc1 .LBB110_786
; %bb.766:
	s_cmp_lt_i32 s36, 8
	s_cbranch_scc1 .LBB110_776
; %bb.767:
	s_cmp_lt_i32 s36, 9
	s_cbranch_scc1 .LBB110_773
; %bb.768:
	s_cmp_gt_i32 s36, 9
	s_cbranch_scc0 .LBB110_770
; %bb.769:
	v_cndmask_b32_e64 v3, 0, 1, s[28:29]
	v_cvt_f64_u32_e32 v[3:4], v3
	v_mov_b32_e32 v5, 0
	v_mov_b32_e32 v6, v5
	s_mov_b64 s[34:35], 0
	global_store_dwordx4 v[0:1], v[3:6], off
.LBB110_770:
	s_andn2_b64 vcc, exec, s[34:35]
	s_cbranch_vccnz .LBB110_772
; %bb.771:
	v_cndmask_b32_e64 v3, 0, 1.0, s[28:29]
	v_mov_b32_e32 v4, 0
	global_store_dwordx2 v[0:1], v[3:4], off
.LBB110_772:
	s_mov_b64 s[34:35], 0
.LBB110_773:
	s_andn2_b64 vcc, exec, s[34:35]
	s_cbranch_vccnz .LBB110_775
; %bb.774:
	v_cndmask_b32_e64 v3, 0, 1.0, s[28:29]
	v_cvt_f16_f32_e32 v3, v3
	global_store_dword v[0:1], v3, off
.LBB110_775:
	s_mov_b64 s[34:35], 0
.LBB110_776:
	s_andn2_b64 vcc, exec, s[34:35]
	s_cbranch_vccnz .LBB110_785
; %bb.777:
	s_cmp_lt_i32 s36, 6
	s_mov_b64 s[34:35], -1
	s_cbranch_scc1 .LBB110_783
; %bb.778:
	s_cmp_gt_i32 s36, 6
	s_cbranch_scc0 .LBB110_780
; %bb.779:
	v_cndmask_b32_e64 v3, 0, 1, s[28:29]
	v_cvt_f64_u32_e32 v[3:4], v3
	s_mov_b64 s[34:35], 0
	global_store_dwordx2 v[0:1], v[3:4], off
.LBB110_780:
	s_andn2_b64 vcc, exec, s[34:35]
	s_cbranch_vccnz .LBB110_782
; %bb.781:
	v_cndmask_b32_e64 v3, 0, 1.0, s[28:29]
	global_store_dword v[0:1], v3, off
.LBB110_782:
	s_mov_b64 s[34:35], 0
.LBB110_783:
	s_andn2_b64 vcc, exec, s[34:35]
	s_cbranch_vccnz .LBB110_785
; %bb.784:
	v_cndmask_b32_e64 v3, 0, 1.0, s[28:29]
	v_cvt_f16_f32_e32 v3, v3
	global_store_short v[0:1], v3, off
.LBB110_785:
	s_mov_b64 s[34:35], 0
.LBB110_786:
	s_andn2_b64 vcc, exec, s[34:35]
	s_cbranch_vccnz .LBB110_802
; %bb.787:
	s_cmp_lt_i32 s36, 2
	s_mov_b64 s[34:35], -1
	s_cbranch_scc1 .LBB110_797
; %bb.788:
	s_cmp_lt_i32 s36, 3
	s_cbranch_scc1 .LBB110_794
; %bb.789:
	s_cmp_gt_i32 s36, 3
	s_cbranch_scc0 .LBB110_791
; %bb.790:
	s_mov_b32 s34, 0
	v_cndmask_b32_e64 v3, 0, 1, s[28:29]
	v_mov_b32_e32 v4, s34
	s_mov_b64 s[34:35], 0
	global_store_dwordx2 v[0:1], v[3:4], off
.LBB110_791:
	s_andn2_b64 vcc, exec, s[34:35]
	s_cbranch_vccnz .LBB110_793
; %bb.792:
	v_cndmask_b32_e64 v3, 0, 1, s[28:29]
	global_store_dword v[0:1], v3, off
.LBB110_793:
	s_mov_b64 s[34:35], 0
.LBB110_794:
	s_andn2_b64 vcc, exec, s[34:35]
	s_cbranch_vccnz .LBB110_796
; %bb.795:
	v_cndmask_b32_e64 v3, 0, 1, s[28:29]
	global_store_short v[0:1], v3, off
.LBB110_796:
	s_mov_b64 s[34:35], 0
.LBB110_797:
	s_andn2_b64 vcc, exec, s[34:35]
	s_cbranch_vccnz .LBB110_802
; %bb.798:
	s_mov_b64 s[34:35], -1
	s_cmp_gt_i32 s36, 0
	v_cndmask_b32_e64 v3, 0, 1, s[28:29]
	s_cbranch_scc0 .LBB110_800
; %bb.799:
	s_mov_b64 s[34:35], 0
	global_store_byte v[0:1], v3, off
.LBB110_800:
	s_andn2_b64 vcc, exec, s[34:35]
	s_cbranch_vccnz .LBB110_802
; %bb.801:
	global_store_byte v[0:1], v3, off
.LBB110_802:
	s_mov_b64 s[34:35], -1
.LBB110_803:
	s_andn2_b64 vcc, exec, s[34:35]
	s_cbranch_vccnz .LBB110_816
; %bb.804:
	v_add_u32_e32 v2, 0x80, v2
	s_mov_b64 s[34:35], -1
.LBB110_805:
	s_andn2_b64 s[28:29], s[16:17], exec
	s_and_b64 s[0:1], s[0:1], exec
	s_or_b64 s[28:29], s[28:29], s[0:1]
	s_andn2_b64 s[0:1], s[18:19], exec
	s_and_b64 s[26:27], s[26:27], exec
	s_or_b64 s[26:27], s[0:1], s[26:27]
	;; [unrolled: 3-line block ×3, first 2 shown]
	s_orn2_b64 s[0:1], s[34:35], exec
.LBB110_806:
	s_or_b64 exec, exec, s[30:31]
	s_mov_b64 s[34:35], 0
	s_mov_b64 s[36:37], 0
	;; [unrolled: 1-line block ×3, first 2 shown]
                                        ; implicit-def: $sgpr56
                                        ; implicit-def: $vgpr0_vgpr1
                                        ; implicit-def: $vgpr3
	s_and_saveexec_b64 s[30:31], s[0:1]
	s_cbranch_execz .LBB110_1297
; %bb.807:
	v_cmp_gt_i32_e32 vcc, s48, v2
	s_mov_b64 s[46:47], -1
	s_mov_b64 s[0:1], s[24:25]
	s_mov_b64 s[38:39], s[26:27]
	;; [unrolled: 1-line block ×3, first 2 shown]
	s_and_saveexec_b64 s[34:35], vcc
	s_cbranch_execz .LBB110_1212
; %bb.808:
	v_mul_lo_u32 v0, v2, s13
	v_mov_b32_e32 v1, s11
	s_and_b32 s42, s55, 0xff
	s_cmp_lt_i32 s42, 11
	s_waitcnt vmcnt(0)
	v_ashrrev_i32_e32 v3, 31, v0
	v_add_co_u32_e32 v0, vcc, s10, v0
	v_addc_co_u32_e32 v1, vcc, v1, v3, vcc
	s_cbranch_scc1 .LBB110_815
; %bb.809:
	s_and_b32 s43, 0xffff, s42
	s_cmp_gt_i32 s43, 25
	s_cbranch_scc0 .LBB110_817
; %bb.810:
	s_cmp_gt_i32 s43, 28
	s_cbranch_scc0 .LBB110_818
; %bb.811:
	;; [unrolled: 3-line block ×4, first 2 shown]
	s_cmp_eq_u32 s43, 46
	s_mov_b64 s[38:39], 0
	s_cbranch_scc0 .LBB110_823
; %bb.814:
	global_load_dword v3, v[0:1], off
	s_mov_b64 s[0:1], -1
	s_waitcnt vmcnt(0)
	v_lshlrev_b32_e32 v3, 16, v3
	s_branch .LBB110_824
.LBB110_815:
	s_mov_b64 s[38:39], -1
	s_mov_b64 s[0:1], 0
                                        ; implicit-def: $vgpr3
	s_mov_b64 s[36:37], s[24:25]
	s_branch .LBB110_889
.LBB110_816:
	s_mov_b64 s[34:35], 0
	s_branch .LBB110_546
.LBB110_817:
	s_mov_b64 s[38:39], -1
	s_mov_b64 s[0:1], 0
	s_mov_b64 s[36:37], s[24:25]
                                        ; implicit-def: $vgpr3
	s_branch .LBB110_853
.LBB110_818:
	s_mov_b64 s[38:39], -1
	s_mov_b64 s[0:1], 0
	s_mov_b64 s[36:37], s[24:25]
                                        ; implicit-def: $vgpr3
	s_branch .LBB110_834
.LBB110_819:
	s_mov_b64 s[38:39], -1
	s_mov_b64 s[0:1], 0
	s_mov_b64 s[36:37], s[24:25]
                                        ; implicit-def: $vgpr3
	s_branch .LBB110_829
.LBB110_820:
	s_mov_b64 s[38:39], -1
	s_mov_b64 s[0:1], 0
	s_mov_b64 s[36:37], s[24:25]
                                        ; implicit-def: $vgpr3
	s_branch .LBB110_824
.LBB110_821:
	s_andn2_saveexec_b64 s[38:39], s[38:39]
	s_cbranch_execz .LBB110_716
.LBB110_822:
	v_add_f32_e32 v3, 0x46000000, v4
	v_and_b32_e32 v3, 0xff, v3
	v_cmp_ne_u32_e32 vcc, 0, v3
	s_andn2_b64 s[36:37], s[36:37], exec
	s_and_b64 s[42:43], vcc, exec
	s_or_b64 s[36:37], s[36:37], s[42:43]
	s_or_b64 exec, exec, s[38:39]
	v_mov_b32_e32 v5, 0
	s_and_saveexec_b64 s[38:39], s[36:37]
	s_cbranch_execnz .LBB110_717
	s_branch .LBB110_718
.LBB110_823:
	s_mov_b64 s[36:37], -1
                                        ; implicit-def: $vgpr3
	s_mov_b64 s[0:1], 0
.LBB110_824:
	s_and_b64 vcc, exec, s[38:39]
	s_cbranch_vccz .LBB110_828
; %bb.825:
	s_cmp_eq_u32 s43, 44
	s_cbranch_scc0 .LBB110_827
; %bb.826:
	global_load_ubyte v3, v[0:1], off
	s_movk_i32 s36, 0xff
	v_mov_b32_e32 v4, 0x7f800001
	v_mov_b32_e32 v5, 0x400000
	s_mov_b64 s[0:1], -1
	s_waitcnt vmcnt(0)
	v_lshlrev_b32_e32 v6, 23, v3
	v_cmp_ne_u32_e32 vcc, s36, v3
	v_cndmask_b32_e32 v4, v4, v6, vcc
	v_cmp_ne_u32_e32 vcc, 0, v3
	v_cndmask_b32_e32 v3, v5, v4, vcc
	s_mov_b64 s[36:37], 0
	s_branch .LBB110_828
.LBB110_827:
	s_mov_b64 s[36:37], -1
                                        ; implicit-def: $vgpr3
.LBB110_828:
	s_mov_b64 s[38:39], 0
.LBB110_829:
	s_and_b64 vcc, exec, s[38:39]
	s_cbranch_vccz .LBB110_833
; %bb.830:
	s_cmp_eq_u32 s43, 29
	s_cbranch_scc0 .LBB110_832
; %bb.831:
	global_load_dwordx2 v[3:4], v[0:1], off
	s_mov_b64 s[0:1], -1
	s_mov_b64 s[36:37], 0
	s_mov_b64 s[38:39], 0
	s_waitcnt vmcnt(0)
	v_ffbh_u32_e32 v5, v4
	v_min_u32_e32 v5, 32, v5
	v_lshlrev_b64 v[3:4], v5, v[3:4]
	v_min_u32_e32 v3, 1, v3
	v_or_b32_e32 v3, v4, v3
	v_cvt_f32_u32_e32 v3, v3
	v_sub_u32_e32 v4, 32, v5
	v_ldexp_f32 v3, v3, v4
	s_branch .LBB110_834
.LBB110_832:
	s_mov_b64 s[36:37], -1
                                        ; implicit-def: $vgpr3
.LBB110_833:
	s_mov_b64 s[38:39], 0
.LBB110_834:
	s_and_b64 vcc, exec, s[38:39]
	s_cbranch_vccz .LBB110_852
; %bb.835:
	s_cmp_lt_i32 s43, 27
	s_cbranch_scc1 .LBB110_838
; %bb.836:
	s_cmp_gt_i32 s43, 27
	s_cbranch_scc0 .LBB110_839
; %bb.837:
	global_load_dword v3, v[0:1], off
	s_mov_b64 s[0:1], 0
	s_waitcnt vmcnt(0)
	v_cvt_f32_u32_e32 v3, v3
	s_branch .LBB110_840
.LBB110_838:
	s_mov_b64 s[0:1], -1
                                        ; implicit-def: $vgpr3
	s_branch .LBB110_843
.LBB110_839:
	s_mov_b64 s[0:1], -1
                                        ; implicit-def: $vgpr3
.LBB110_840:
	s_andn2_b64 vcc, exec, s[0:1]
	s_cbranch_vccnz .LBB110_842
; %bb.841:
	global_load_ushort v3, v[0:1], off
	s_waitcnt vmcnt(0)
	v_cvt_f32_u32_e32 v3, v3
.LBB110_842:
	s_mov_b64 s[0:1], 0
.LBB110_843:
	s_andn2_b64 vcc, exec, s[0:1]
	s_cbranch_vccnz .LBB110_851
; %bb.844:
	global_load_ubyte v4, v[0:1], off
	s_movk_i32 s0, 0x7f
	s_waitcnt vmcnt(0)
	v_cmp_lt_i16_e32 vcc, s0, v4
	s_mov_b64 s[0:1], 0
	s_and_saveexec_b64 s[38:39], vcc
	s_xor_b64 s[38:39], exec, s[38:39]
	s_cbranch_execz .LBB110_865
; %bb.845:
	s_movk_i32 s0, 0x80
	v_cmp_eq_u16_e32 vcc, s0, v4
	s_mov_b64 s[0:1], -1
	s_and_saveexec_b64 s[40:41], vcc
; %bb.846:
	s_xor_b64 s[0:1], exec, -1
; %bb.847:
	s_or_b64 exec, exec, s[40:41]
	s_and_b64 s[0:1], s[0:1], exec
	s_or_saveexec_b64 s[38:39], s[38:39]
	v_mov_b32_e32 v3, 0x7f800001
	s_xor_b64 exec, exec, s[38:39]
	s_cbranch_execnz .LBB110_866
.LBB110_848:
	s_or_b64 exec, exec, s[38:39]
	s_and_saveexec_b64 s[38:39], s[0:1]
	s_cbranch_execz .LBB110_850
.LBB110_849:
	v_lshlrev_b32_e32 v3, 24, v4
	v_and_b32_e32 v4, 0xffff, v4
	v_and_b32_e32 v5, 7, v4
	v_ffbh_u32_e32 v7, v5
	v_min_u32_e32 v7, 32, v7
	v_subrev_u32_e32 v8, 28, v7
	v_bfe_u32 v6, v4, 3, 4
	v_lshlrev_b32_e32 v4, v8, v4
	v_sub_u32_e32 v7, 29, v7
	v_and_b32_e32 v4, 7, v4
	v_cmp_eq_u32_e32 vcc, 0, v6
	v_cndmask_b32_e32 v6, v6, v7, vcc
	v_cndmask_b32_e32 v4, v5, v4, vcc
	v_mov_b32_e32 v5, 0x3b800000
	v_lshlrev_b32_e32 v4, 20, v4
	v_and_b32_e32 v3, 0x80000000, v3
	v_lshl_add_u32 v5, v6, 23, v5
	v_or3_b32 v3, v3, v5, v4
.LBB110_850:
	s_or_b64 exec, exec, s[38:39]
.LBB110_851:
	s_mov_b64 s[0:1], -1
.LBB110_852:
	s_mov_b64 s[38:39], 0
.LBB110_853:
	s_and_b64 vcc, exec, s[38:39]
	s_cbranch_vccz .LBB110_888
; %bb.854:
	s_cmp_gt_i32 s43, 22
	s_cbranch_scc0 .LBB110_864
; %bb.855:
	s_cmp_lt_i32 s43, 24
	s_cbranch_scc1 .LBB110_867
; %bb.856:
	s_cmp_gt_i32 s43, 24
	s_cbranch_scc0 .LBB110_868
; %bb.857:
	global_load_ubyte v4, v[0:1], off
	s_movk_i32 s0, 0x7f
	s_waitcnt vmcnt(0)
	v_cmp_lt_i16_e32 vcc, s0, v4
	s_mov_b64 s[0:1], 0
	s_and_saveexec_b64 s[38:39], vcc
	s_xor_b64 s[38:39], exec, s[38:39]
	s_cbranch_execz .LBB110_880
; %bb.858:
	s_movk_i32 s0, 0x80
	v_cmp_eq_u16_e32 vcc, s0, v4
	s_mov_b64 s[0:1], -1
	s_and_saveexec_b64 s[40:41], vcc
; %bb.859:
	s_xor_b64 s[0:1], exec, -1
; %bb.860:
	s_or_b64 exec, exec, s[40:41]
	s_and_b64 s[0:1], s[0:1], exec
	s_or_saveexec_b64 s[38:39], s[38:39]
	v_mov_b32_e32 v3, 0x7f800001
	s_xor_b64 exec, exec, s[38:39]
	s_cbranch_execnz .LBB110_881
.LBB110_861:
	s_or_b64 exec, exec, s[38:39]
	s_and_saveexec_b64 s[38:39], s[0:1]
	s_cbranch_execz .LBB110_863
.LBB110_862:
	v_lshlrev_b32_e32 v3, 24, v4
	v_and_b32_e32 v4, 0xffff, v4
	v_and_b32_e32 v5, 3, v4
	v_ffbh_u32_e32 v7, v5
	v_min_u32_e32 v7, 32, v7
	v_subrev_u32_e32 v8, 29, v7
	v_bfe_u32 v6, v4, 2, 5
	v_lshlrev_b32_e32 v4, v8, v4
	v_sub_u32_e32 v7, 30, v7
	v_and_b32_e32 v4, 3, v4
	v_cmp_eq_u32_e32 vcc, 0, v6
	v_cndmask_b32_e32 v6, v6, v7, vcc
	v_cndmask_b32_e32 v4, v5, v4, vcc
	v_mov_b32_e32 v5, 0x37800000
	v_lshlrev_b32_e32 v4, 21, v4
	v_and_b32_e32 v3, 0x80000000, v3
	v_lshl_add_u32 v5, v6, 23, v5
	v_or3_b32 v3, v3, v5, v4
.LBB110_863:
	s_or_b64 exec, exec, s[38:39]
	s_mov_b64 s[0:1], 0
	s_branch .LBB110_869
.LBB110_864:
	s_mov_b64 s[38:39], -1
                                        ; implicit-def: $vgpr3
	s_branch .LBB110_875
.LBB110_865:
	s_or_saveexec_b64 s[38:39], s[38:39]
	v_mov_b32_e32 v3, 0x7f800001
	s_xor_b64 exec, exec, s[38:39]
	s_cbranch_execz .LBB110_848
.LBB110_866:
	v_cmp_ne_u16_e32 vcc, 0, v4
	s_andn2_b64 s[0:1], s[0:1], exec
	s_and_b64 s[40:41], vcc, exec
	v_mov_b32_e32 v3, 0
	s_or_b64 s[0:1], s[0:1], s[40:41]
	s_or_b64 exec, exec, s[38:39]
	s_and_saveexec_b64 s[38:39], s[0:1]
	s_cbranch_execnz .LBB110_849
	s_branch .LBB110_850
.LBB110_867:
	s_mov_b64 s[0:1], -1
                                        ; implicit-def: $vgpr3
	s_branch .LBB110_872
.LBB110_868:
	s_mov_b64 s[0:1], -1
                                        ; implicit-def: $vgpr3
.LBB110_869:
	s_and_b64 vcc, exec, s[0:1]
	s_cbranch_vccz .LBB110_871
; %bb.870:
	global_load_ubyte v3, v[0:1], off
	s_mov_b32 s0, 0x7f800000
	s_waitcnt vmcnt(0)
	v_lshlrev_b32_e32 v3, 24, v3
	v_and_b32_e32 v4, 0x7f000000, v3
	v_ffbh_u32_e32 v5, v4
	v_min_u32_e32 v5, 32, v5
	v_sub_u32_e64 v5, v5, 4 clamp
	v_lshlrev_b32_e32 v7, v5, v4
	v_lshlrev_b32_e32 v5, 23, v5
	v_lshrrev_b32_e32 v7, 4, v7
	v_add_u32_e32 v6, 0x1000000, v4
	v_sub_u32_e32 v5, v7, v5
	v_ashrrev_i32_e32 v6, 8, v6
	v_add_u32_e32 v5, 0x3c000000, v5
	v_and_or_b32 v5, v6, s0, v5
	v_cmp_ne_u32_e32 vcc, 0, v4
	v_cndmask_b32_e32 v4, 0, v5, vcc
	s_brev_b32 s0, 1
	v_and_or_b32 v3, v3, s0, v4
.LBB110_871:
	s_mov_b64 s[0:1], 0
.LBB110_872:
	s_andn2_b64 vcc, exec, s[0:1]
	s_cbranch_vccnz .LBB110_874
; %bb.873:
	global_load_ubyte v3, v[0:1], off
	s_movk_i32 s0, 0x7f00
	s_brev_b32 s1, 16
	s_waitcnt vmcnt(0)
	v_lshlrev_b16_e32 v4, 8, v3
	v_lshlrev_b32_e32 v3, 25, v3
	v_lshrrev_b32_e32 v5, 4, v3
	v_and_or_b32 v6, v4, s0, 0.5
	v_or_b32_e32 v5, 0x70000000, v5
	v_add_f32_e32 v6, -0.5, v6
	v_mul_f32_e32 v5, 0x7800000, v5
	v_cmp_gt_u32_e32 vcc, s1, v3
	v_bfe_i32 v4, v4, 0, 16
	v_cndmask_b32_e32 v3, v5, v6, vcc
	s_brev_b32 s0, 1
	v_and_or_b32 v3, v4, s0, v3
.LBB110_874:
	s_mov_b64 s[38:39], 0
	s_mov_b64 s[0:1], -1
.LBB110_875:
	s_andn2_b64 vcc, exec, s[38:39]
	s_cbranch_vccnz .LBB110_888
; %bb.876:
	s_cmp_gt_i32 s43, 14
	s_cbranch_scc0 .LBB110_879
; %bb.877:
	s_cmp_eq_u32 s43, 15
	s_cbranch_scc0 .LBB110_882
; %bb.878:
	global_load_ushort v3, v[0:1], off
	s_mov_b64 s[0:1], -1
	s_mov_b64 s[36:37], 0
	s_waitcnt vmcnt(0)
	v_lshlrev_b32_e32 v3, 16, v3
	s_branch .LBB110_883
.LBB110_879:
	s_mov_b64 s[38:39], -1
                                        ; implicit-def: $vgpr3
	s_branch .LBB110_884
.LBB110_880:
	s_or_saveexec_b64 s[38:39], s[38:39]
	v_mov_b32_e32 v3, 0x7f800001
	s_xor_b64 exec, exec, s[38:39]
	s_cbranch_execz .LBB110_861
.LBB110_881:
	v_cmp_ne_u16_e32 vcc, 0, v4
	s_andn2_b64 s[0:1], s[0:1], exec
	s_and_b64 s[40:41], vcc, exec
	v_mov_b32_e32 v3, 0
	s_or_b64 s[0:1], s[0:1], s[40:41]
	s_or_b64 exec, exec, s[38:39]
	s_and_saveexec_b64 s[38:39], s[0:1]
	s_cbranch_execnz .LBB110_862
	s_branch .LBB110_863
.LBB110_882:
	s_mov_b64 s[36:37], -1
                                        ; implicit-def: $vgpr3
.LBB110_883:
	s_mov_b64 s[38:39], 0
.LBB110_884:
	s_and_b64 vcc, exec, s[38:39]
	s_cbranch_vccz .LBB110_888
; %bb.885:
	s_cmp_eq_u32 s43, 11
	s_cbranch_scc0 .LBB110_887
; %bb.886:
	global_load_ubyte v3, v[0:1], off
	s_mov_b64 s[0:1], -1
	s_mov_b64 s[36:37], 0
	s_waitcnt vmcnt(0)
	v_cmp_ne_u16_e32 vcc, 0, v3
	v_cndmask_b32_e64 v3, 0, 1.0, vcc
	s_branch .LBB110_888
.LBB110_887:
	s_mov_b64 s[36:37], -1
                                        ; implicit-def: $vgpr3
.LBB110_888:
	s_mov_b64 s[38:39], 0
.LBB110_889:
	s_and_b64 vcc, exec, s[38:39]
	s_cbranch_vccz .LBB110_938
; %bb.890:
	s_and_b32 s38, 0xffff, s42
	s_cmp_lt_i32 s38, 5
	s_cbranch_scc1 .LBB110_895
; %bb.891:
	s_cmp_lt_i32 s38, 8
	s_cbranch_scc1 .LBB110_896
; %bb.892:
	;; [unrolled: 3-line block ×3, first 2 shown]
	s_cmp_gt_i32 s38, 9
	s_cbranch_scc0 .LBB110_898
; %bb.894:
	global_load_dwordx2 v[3:4], v[0:1], off
	s_mov_b64 s[0:1], 0
	s_waitcnt vmcnt(0)
	v_cvt_f32_f64_e32 v3, v[3:4]
	s_branch .LBB110_899
.LBB110_895:
	s_mov_b64 s[0:1], -1
                                        ; implicit-def: $vgpr3
	s_branch .LBB110_917
.LBB110_896:
	s_mov_b64 s[0:1], -1
                                        ; implicit-def: $vgpr3
	s_branch .LBB110_905
.LBB110_897:
	s_mov_b64 s[0:1], -1
                                        ; implicit-def: $vgpr3
	s_branch .LBB110_902
.LBB110_898:
	s_mov_b64 s[0:1], -1
                                        ; implicit-def: $vgpr3
.LBB110_899:
	s_andn2_b64 vcc, exec, s[0:1]
	s_cbranch_vccnz .LBB110_901
; %bb.900:
	global_load_dword v3, v[0:1], off
.LBB110_901:
	s_mov_b64 s[0:1], 0
.LBB110_902:
	s_andn2_b64 vcc, exec, s[0:1]
	s_cbranch_vccnz .LBB110_904
; %bb.903:
	global_load_dword v3, v[0:1], off
	s_waitcnt vmcnt(0)
	v_cvt_f32_f16_e32 v3, v3
.LBB110_904:
	s_mov_b64 s[0:1], 0
.LBB110_905:
	s_andn2_b64 vcc, exec, s[0:1]
	s_cbranch_vccnz .LBB110_916
; %bb.906:
	s_cmp_lt_i32 s38, 6
	s_cbranch_scc1 .LBB110_909
; %bb.907:
	s_cmp_gt_i32 s38, 6
	s_cbranch_scc0 .LBB110_910
; %bb.908:
	global_load_dwordx2 v[3:4], v[0:1], off
	s_mov_b64 s[0:1], 0
	s_waitcnt vmcnt(0)
	v_cvt_f32_f64_e32 v3, v[3:4]
	s_branch .LBB110_911
.LBB110_909:
	s_mov_b64 s[0:1], -1
                                        ; implicit-def: $vgpr3
	s_branch .LBB110_914
.LBB110_910:
	s_mov_b64 s[0:1], -1
                                        ; implicit-def: $vgpr3
.LBB110_911:
	s_andn2_b64 vcc, exec, s[0:1]
	s_cbranch_vccnz .LBB110_913
; %bb.912:
	global_load_dword v3, v[0:1], off
.LBB110_913:
	s_mov_b64 s[0:1], 0
.LBB110_914:
	s_andn2_b64 vcc, exec, s[0:1]
	s_cbranch_vccnz .LBB110_916
; %bb.915:
	global_load_ushort v3, v[0:1], off
	s_waitcnt vmcnt(0)
	v_cvt_f32_f16_e32 v3, v3
.LBB110_916:
	s_mov_b64 s[0:1], 0
.LBB110_917:
	s_andn2_b64 vcc, exec, s[0:1]
	s_cbranch_vccnz .LBB110_937
; %bb.918:
	s_cmp_lt_i32 s38, 2
	s_cbranch_scc1 .LBB110_922
; %bb.919:
	s_cmp_lt_i32 s38, 3
	s_cbranch_scc1 .LBB110_923
; %bb.920:
	s_cmp_gt_i32 s38, 3
	s_cbranch_scc0 .LBB110_924
; %bb.921:
	global_load_dwordx2 v[3:4], v[0:1], off
	s_mov_b64 s[0:1], 0
	s_waitcnt vmcnt(0)
	v_xor_b32_e32 v6, v3, v4
	v_ffbh_i32_e32 v5, v4
	v_ashrrev_i32_e32 v6, 31, v6
	v_add_u32_e32 v5, -1, v5
	v_add_u32_e32 v6, 32, v6
	v_min_u32_e32 v5, v5, v6
	v_lshlrev_b64 v[3:4], v5, v[3:4]
	v_min_u32_e32 v3, 1, v3
	v_or_b32_e32 v3, v4, v3
	v_cvt_f32_i32_e32 v3, v3
	v_sub_u32_e32 v4, 32, v5
	v_ldexp_f32 v3, v3, v4
	s_branch .LBB110_925
.LBB110_922:
	s_mov_b64 s[0:1], -1
                                        ; implicit-def: $vgpr3
	s_branch .LBB110_931
.LBB110_923:
	s_mov_b64 s[0:1], -1
                                        ; implicit-def: $vgpr3
	s_branch .LBB110_928
.LBB110_924:
	s_mov_b64 s[0:1], -1
                                        ; implicit-def: $vgpr3
.LBB110_925:
	s_andn2_b64 vcc, exec, s[0:1]
	s_cbranch_vccnz .LBB110_927
; %bb.926:
	global_load_dword v3, v[0:1], off
	s_waitcnt vmcnt(0)
	v_cvt_f32_i32_e32 v3, v3
.LBB110_927:
	s_mov_b64 s[0:1], 0
.LBB110_928:
	s_andn2_b64 vcc, exec, s[0:1]
	s_cbranch_vccnz .LBB110_930
; %bb.929:
	global_load_sshort v3, v[0:1], off
	s_waitcnt vmcnt(0)
	v_cvt_f32_i32_e32 v3, v3
.LBB110_930:
	s_mov_b64 s[0:1], 0
.LBB110_931:
	s_andn2_b64 vcc, exec, s[0:1]
	s_cbranch_vccnz .LBB110_937
; %bb.932:
	s_cmp_gt_i32 s38, 0
	s_cbranch_scc0 .LBB110_934
; %bb.933:
	global_load_sbyte v3, v[0:1], off
	s_mov_b64 s[0:1], 0
	s_waitcnt vmcnt(0)
	v_cvt_f32_i32_e32 v3, v3
	s_branch .LBB110_935
.LBB110_934:
	s_mov_b64 s[0:1], -1
                                        ; implicit-def: $vgpr3
.LBB110_935:
	s_andn2_b64 vcc, exec, s[0:1]
	s_cbranch_vccnz .LBB110_937
; %bb.936:
	global_load_ubyte v0, v[0:1], off
	s_waitcnt vmcnt(0)
	v_cvt_f32_ubyte0_e32 v3, v0
.LBB110_937:
	s_mov_b64 s[0:1], -1
.LBB110_938:
	s_andn2_b64 vcc, exec, s[0:1]
	s_cbranch_vccnz .LBB110_946
; %bb.939:
	v_mul_lo_u32 v0, v2, s14
	v_mov_b32_e32 v1, s3
	s_and_b32 s44, s54, 0xff
	s_cmp_lt_i32 s44, 11
	v_ashrrev_i32_e32 v4, 31, v0
	v_add_co_u32_e32 v0, vcc, s2, v0
	v_addc_co_u32_e32 v1, vcc, v1, v4, vcc
	s_cbranch_scc1 .LBB110_948
; %bb.940:
	s_and_b32 s45, 0xffff, s44
	s_cmp_gt_i32 s45, 25
	s_cbranch_scc0 .LBB110_949
; %bb.941:
	s_cmp_gt_i32 s45, 28
	s_cbranch_scc0 .LBB110_950
; %bb.942:
	;; [unrolled: 3-line block ×4, first 2 shown]
	s_cmp_eq_u32 s45, 46
	s_mov_b64 s[40:41], 0
	s_cbranch_scc0 .LBB110_955
; %bb.945:
	global_load_dword v4, v[0:1], off
	s_mov_b64 s[0:1], -1
	s_mov_b64 s[38:39], 0
	s_waitcnt vmcnt(0)
	v_lshlrev_b32_e32 v4, 16, v4
	s_branch .LBB110_956
.LBB110_946:
	s_mov_b64 s[42:43], 0
	s_mov_b64 s[0:1], s[28:29]
	;; [unrolled: 1-line block ×3, first 2 shown]
.LBB110_947:
                                        ; implicit-def: $vgpr2
	s_branch .LBB110_1211
.LBB110_948:
	s_mov_b64 s[40:41], -1
	s_mov_b64 s[0:1], 0
                                        ; implicit-def: $vgpr4
	s_mov_b64 s[38:39], s[26:27]
	s_branch .LBB110_1021
.LBB110_949:
	s_mov_b64 s[40:41], -1
	s_mov_b64 s[0:1], 0
	s_mov_b64 s[38:39], s[26:27]
                                        ; implicit-def: $vgpr4
	s_branch .LBB110_985
.LBB110_950:
	s_mov_b64 s[40:41], -1
	s_mov_b64 s[0:1], 0
	s_mov_b64 s[38:39], s[26:27]
                                        ; implicit-def: $vgpr4
	s_branch .LBB110_966
.LBB110_951:
	s_mov_b64 s[40:41], -1
	s_mov_b64 s[0:1], 0
	s_mov_b64 s[38:39], s[26:27]
                                        ; implicit-def: $vgpr4
	s_branch .LBB110_961
.LBB110_952:
	s_mov_b64 s[40:41], -1
	s_mov_b64 s[0:1], 0
	s_mov_b64 s[38:39], s[26:27]
                                        ; implicit-def: $vgpr4
	s_branch .LBB110_956
.LBB110_953:
	s_andn2_saveexec_b64 s[38:39], s[38:39]
	s_cbranch_execz .LBB110_729
.LBB110_954:
	v_add_f32_e32 v3, 0x42800000, v4
	v_and_b32_e32 v3, 0xff, v3
	v_cmp_ne_u32_e32 vcc, 0, v3
	s_andn2_b64 s[36:37], s[36:37], exec
	s_and_b64 s[42:43], vcc, exec
	s_or_b64 s[36:37], s[36:37], s[42:43]
	s_or_b64 exec, exec, s[38:39]
	v_mov_b32_e32 v5, 0
	s_and_saveexec_b64 s[38:39], s[36:37]
	s_cbranch_execnz .LBB110_730
	s_branch .LBB110_731
.LBB110_955:
	s_mov_b64 s[38:39], -1
                                        ; implicit-def: $vgpr4
	s_mov_b64 s[0:1], 0
.LBB110_956:
	s_and_b64 vcc, exec, s[40:41]
	s_cbranch_vccz .LBB110_960
; %bb.957:
	s_cmp_eq_u32 s45, 44
	s_cbranch_scc0 .LBB110_959
; %bb.958:
	global_load_ubyte v4, v[0:1], off
	s_movk_i32 s38, 0xff
	v_mov_b32_e32 v5, 0x7f800001
	v_mov_b32_e32 v6, 0x400000
	s_mov_b64 s[0:1], -1
	s_waitcnt vmcnt(0)
	v_lshlrev_b32_e32 v7, 23, v4
	v_cmp_ne_u32_e32 vcc, s38, v4
	v_cndmask_b32_e32 v5, v5, v7, vcc
	v_cmp_ne_u32_e32 vcc, 0, v4
	v_cndmask_b32_e32 v4, v6, v5, vcc
	s_mov_b64 s[38:39], 0
	s_branch .LBB110_960
.LBB110_959:
	s_mov_b64 s[38:39], -1
                                        ; implicit-def: $vgpr4
.LBB110_960:
	s_mov_b64 s[40:41], 0
.LBB110_961:
	s_and_b64 vcc, exec, s[40:41]
	s_cbranch_vccz .LBB110_965
; %bb.962:
	s_cmp_eq_u32 s45, 29
	s_cbranch_scc0 .LBB110_964
; %bb.963:
	global_load_dwordx2 v[4:5], v[0:1], off
	s_mov_b64 s[0:1], -1
	s_mov_b64 s[38:39], 0
	s_mov_b64 s[40:41], 0
	s_waitcnt vmcnt(0)
	v_ffbh_u32_e32 v6, v5
	v_min_u32_e32 v6, 32, v6
	v_lshlrev_b64 v[4:5], v6, v[4:5]
	v_min_u32_e32 v4, 1, v4
	v_or_b32_e32 v4, v5, v4
	v_cvt_f32_u32_e32 v4, v4
	v_sub_u32_e32 v5, 32, v6
	v_ldexp_f32 v4, v4, v5
	s_branch .LBB110_966
.LBB110_964:
	s_mov_b64 s[38:39], -1
                                        ; implicit-def: $vgpr4
.LBB110_965:
	s_mov_b64 s[40:41], 0
.LBB110_966:
	s_and_b64 vcc, exec, s[40:41]
	s_cbranch_vccz .LBB110_984
; %bb.967:
	s_cmp_lt_i32 s45, 27
	s_cbranch_scc1 .LBB110_970
; %bb.968:
	s_cmp_gt_i32 s45, 27
	s_cbranch_scc0 .LBB110_971
; %bb.969:
	global_load_dword v4, v[0:1], off
	s_mov_b64 s[0:1], 0
	s_waitcnt vmcnt(0)
	v_cvt_f32_u32_e32 v4, v4
	s_branch .LBB110_972
.LBB110_970:
	s_mov_b64 s[0:1], -1
                                        ; implicit-def: $vgpr4
	s_branch .LBB110_975
.LBB110_971:
	s_mov_b64 s[0:1], -1
                                        ; implicit-def: $vgpr4
.LBB110_972:
	s_andn2_b64 vcc, exec, s[0:1]
	s_cbranch_vccnz .LBB110_974
; %bb.973:
	global_load_ushort v4, v[0:1], off
	s_waitcnt vmcnt(0)
	v_cvt_f32_u32_e32 v4, v4
.LBB110_974:
	s_mov_b64 s[0:1], 0
.LBB110_975:
	s_andn2_b64 vcc, exec, s[0:1]
	s_cbranch_vccnz .LBB110_983
; %bb.976:
	global_load_ubyte v5, v[0:1], off
	s_movk_i32 s0, 0x7f
	s_waitcnt vmcnt(0)
	v_cmp_lt_i16_e32 vcc, s0, v5
	s_mov_b64 s[0:1], 0
	s_and_saveexec_b64 s[40:41], vcc
	s_xor_b64 s[40:41], exec, s[40:41]
	s_cbranch_execz .LBB110_997
; %bb.977:
	s_movk_i32 s0, 0x80
	v_cmp_eq_u16_e32 vcc, s0, v5
	s_mov_b64 s[0:1], -1
	s_and_saveexec_b64 s[42:43], vcc
; %bb.978:
	s_xor_b64 s[0:1], exec, -1
; %bb.979:
	s_or_b64 exec, exec, s[42:43]
	s_and_b64 s[0:1], s[0:1], exec
	s_or_saveexec_b64 s[40:41], s[40:41]
	v_mov_b32_e32 v4, 0x7f800001
	s_xor_b64 exec, exec, s[40:41]
	s_cbranch_execnz .LBB110_998
.LBB110_980:
	s_or_b64 exec, exec, s[40:41]
	s_and_saveexec_b64 s[40:41], s[0:1]
	s_cbranch_execz .LBB110_982
.LBB110_981:
	v_lshlrev_b32_e32 v4, 24, v5
	v_and_b32_e32 v5, 0xffff, v5
	v_and_b32_e32 v6, 7, v5
	v_ffbh_u32_e32 v8, v6
	v_min_u32_e32 v8, 32, v8
	v_subrev_u32_e32 v9, 28, v8
	v_bfe_u32 v7, v5, 3, 4
	v_lshlrev_b32_e32 v5, v9, v5
	v_sub_u32_e32 v8, 29, v8
	v_and_b32_e32 v5, 7, v5
	v_cmp_eq_u32_e32 vcc, 0, v7
	v_cndmask_b32_e32 v7, v7, v8, vcc
	v_cndmask_b32_e32 v5, v6, v5, vcc
	v_mov_b32_e32 v6, 0x3b800000
	v_lshlrev_b32_e32 v5, 20, v5
	v_and_b32_e32 v4, 0x80000000, v4
	v_lshl_add_u32 v6, v7, 23, v6
	v_or3_b32 v4, v4, v6, v5
.LBB110_982:
	s_or_b64 exec, exec, s[40:41]
.LBB110_983:
	s_mov_b64 s[0:1], -1
.LBB110_984:
	s_mov_b64 s[40:41], 0
.LBB110_985:
	s_and_b64 vcc, exec, s[40:41]
	s_cbranch_vccz .LBB110_1020
; %bb.986:
	s_cmp_gt_i32 s45, 22
	s_cbranch_scc0 .LBB110_996
; %bb.987:
	s_cmp_lt_i32 s45, 24
	s_cbranch_scc1 .LBB110_999
; %bb.988:
	s_cmp_gt_i32 s45, 24
	s_cbranch_scc0 .LBB110_1000
; %bb.989:
	global_load_ubyte v5, v[0:1], off
	s_movk_i32 s0, 0x7f
	s_waitcnt vmcnt(0)
	v_cmp_lt_i16_e32 vcc, s0, v5
	s_mov_b64 s[0:1], 0
	s_and_saveexec_b64 s[40:41], vcc
	s_xor_b64 s[40:41], exec, s[40:41]
	s_cbranch_execz .LBB110_1012
; %bb.990:
	s_movk_i32 s0, 0x80
	v_cmp_eq_u16_e32 vcc, s0, v5
	s_mov_b64 s[0:1], -1
	s_and_saveexec_b64 s[42:43], vcc
; %bb.991:
	s_xor_b64 s[0:1], exec, -1
; %bb.992:
	s_or_b64 exec, exec, s[42:43]
	s_and_b64 s[0:1], s[0:1], exec
	s_or_saveexec_b64 s[40:41], s[40:41]
	v_mov_b32_e32 v4, 0x7f800001
	s_xor_b64 exec, exec, s[40:41]
	s_cbranch_execnz .LBB110_1013
.LBB110_993:
	s_or_b64 exec, exec, s[40:41]
	s_and_saveexec_b64 s[40:41], s[0:1]
	s_cbranch_execz .LBB110_995
.LBB110_994:
	v_lshlrev_b32_e32 v4, 24, v5
	v_and_b32_e32 v5, 0xffff, v5
	v_and_b32_e32 v6, 3, v5
	v_ffbh_u32_e32 v8, v6
	v_min_u32_e32 v8, 32, v8
	v_subrev_u32_e32 v9, 29, v8
	v_bfe_u32 v7, v5, 2, 5
	v_lshlrev_b32_e32 v5, v9, v5
	v_sub_u32_e32 v8, 30, v8
	v_and_b32_e32 v5, 3, v5
	v_cmp_eq_u32_e32 vcc, 0, v7
	v_cndmask_b32_e32 v7, v7, v8, vcc
	v_cndmask_b32_e32 v5, v6, v5, vcc
	v_mov_b32_e32 v6, 0x37800000
	v_lshlrev_b32_e32 v5, 21, v5
	v_and_b32_e32 v4, 0x80000000, v4
	v_lshl_add_u32 v6, v7, 23, v6
	v_or3_b32 v4, v4, v6, v5
.LBB110_995:
	s_or_b64 exec, exec, s[40:41]
	s_mov_b64 s[0:1], 0
	s_branch .LBB110_1001
.LBB110_996:
	s_mov_b64 s[40:41], -1
                                        ; implicit-def: $vgpr4
	s_branch .LBB110_1007
.LBB110_997:
	s_or_saveexec_b64 s[40:41], s[40:41]
	v_mov_b32_e32 v4, 0x7f800001
	s_xor_b64 exec, exec, s[40:41]
	s_cbranch_execz .LBB110_980
.LBB110_998:
	v_cmp_ne_u16_e32 vcc, 0, v5
	s_andn2_b64 s[0:1], s[0:1], exec
	s_and_b64 s[42:43], vcc, exec
	v_mov_b32_e32 v4, 0
	s_or_b64 s[0:1], s[0:1], s[42:43]
	s_or_b64 exec, exec, s[40:41]
	s_and_saveexec_b64 s[40:41], s[0:1]
	s_cbranch_execnz .LBB110_981
	s_branch .LBB110_982
.LBB110_999:
	s_mov_b64 s[0:1], -1
                                        ; implicit-def: $vgpr4
	s_branch .LBB110_1004
.LBB110_1000:
	s_mov_b64 s[0:1], -1
                                        ; implicit-def: $vgpr4
.LBB110_1001:
	s_and_b64 vcc, exec, s[0:1]
	s_cbranch_vccz .LBB110_1003
; %bb.1002:
	global_load_ubyte v4, v[0:1], off
	s_mov_b32 s0, 0x7f800000
	s_waitcnt vmcnt(0)
	v_lshlrev_b32_e32 v4, 24, v4
	v_and_b32_e32 v5, 0x7f000000, v4
	v_ffbh_u32_e32 v6, v5
	v_min_u32_e32 v6, 32, v6
	v_sub_u32_e64 v6, v6, 4 clamp
	v_lshlrev_b32_e32 v8, v6, v5
	v_lshlrev_b32_e32 v6, 23, v6
	v_lshrrev_b32_e32 v8, 4, v8
	v_add_u32_e32 v7, 0x1000000, v5
	v_sub_u32_e32 v6, v8, v6
	v_ashrrev_i32_e32 v7, 8, v7
	v_add_u32_e32 v6, 0x3c000000, v6
	v_and_or_b32 v6, v7, s0, v6
	v_cmp_ne_u32_e32 vcc, 0, v5
	v_cndmask_b32_e32 v5, 0, v6, vcc
	s_brev_b32 s0, 1
	v_and_or_b32 v4, v4, s0, v5
.LBB110_1003:
	s_mov_b64 s[0:1], 0
.LBB110_1004:
	s_andn2_b64 vcc, exec, s[0:1]
	s_cbranch_vccnz .LBB110_1006
; %bb.1005:
	global_load_ubyte v4, v[0:1], off
	s_movk_i32 s0, 0x7f00
	s_brev_b32 s1, 16
	s_waitcnt vmcnt(0)
	v_lshlrev_b16_e32 v5, 8, v4
	v_lshlrev_b32_e32 v4, 25, v4
	v_lshrrev_b32_e32 v6, 4, v4
	v_and_or_b32 v7, v5, s0, 0.5
	v_or_b32_e32 v6, 0x70000000, v6
	v_add_f32_e32 v7, -0.5, v7
	v_mul_f32_e32 v6, 0x7800000, v6
	v_cmp_gt_u32_e32 vcc, s1, v4
	v_bfe_i32 v5, v5, 0, 16
	v_cndmask_b32_e32 v4, v6, v7, vcc
	s_brev_b32 s0, 1
	v_and_or_b32 v4, v5, s0, v4
.LBB110_1006:
	s_mov_b64 s[40:41], 0
	s_mov_b64 s[0:1], -1
.LBB110_1007:
	s_andn2_b64 vcc, exec, s[40:41]
	s_cbranch_vccnz .LBB110_1020
; %bb.1008:
	s_cmp_gt_i32 s45, 14
	s_cbranch_scc0 .LBB110_1011
; %bb.1009:
	s_cmp_eq_u32 s45, 15
	s_cbranch_scc0 .LBB110_1014
; %bb.1010:
	global_load_ushort v4, v[0:1], off
	s_mov_b64 s[0:1], -1
	s_mov_b64 s[38:39], 0
	s_waitcnt vmcnt(0)
	v_lshlrev_b32_e32 v4, 16, v4
	s_branch .LBB110_1015
.LBB110_1011:
	s_mov_b64 s[40:41], -1
                                        ; implicit-def: $vgpr4
	s_branch .LBB110_1016
.LBB110_1012:
	s_or_saveexec_b64 s[40:41], s[40:41]
	v_mov_b32_e32 v4, 0x7f800001
	s_xor_b64 exec, exec, s[40:41]
	s_cbranch_execz .LBB110_993
.LBB110_1013:
	v_cmp_ne_u16_e32 vcc, 0, v5
	s_andn2_b64 s[0:1], s[0:1], exec
	s_and_b64 s[42:43], vcc, exec
	v_mov_b32_e32 v4, 0
	s_or_b64 s[0:1], s[0:1], s[42:43]
	s_or_b64 exec, exec, s[40:41]
	s_and_saveexec_b64 s[40:41], s[0:1]
	s_cbranch_execnz .LBB110_994
	s_branch .LBB110_995
.LBB110_1014:
	s_mov_b64 s[38:39], -1
                                        ; implicit-def: $vgpr4
.LBB110_1015:
	s_mov_b64 s[40:41], 0
.LBB110_1016:
	s_and_b64 vcc, exec, s[40:41]
	s_cbranch_vccz .LBB110_1020
; %bb.1017:
	s_cmp_eq_u32 s45, 11
	s_cbranch_scc0 .LBB110_1019
; %bb.1018:
	global_load_ubyte v4, v[0:1], off
	s_mov_b64 s[0:1], -1
	s_mov_b64 s[38:39], 0
	s_waitcnt vmcnt(0)
	v_cmp_ne_u16_e32 vcc, 0, v4
	v_cndmask_b32_e64 v4, 0, 1.0, vcc
	s_branch .LBB110_1020
.LBB110_1019:
	s_mov_b64 s[38:39], -1
                                        ; implicit-def: $vgpr4
.LBB110_1020:
	s_mov_b64 s[40:41], 0
.LBB110_1021:
	s_and_b64 vcc, exec, s[40:41]
	s_cbranch_vccz .LBB110_1070
; %bb.1022:
	s_and_b32 s40, 0xffff, s44
	s_cmp_lt_i32 s40, 5
	s_cbranch_scc1 .LBB110_1027
; %bb.1023:
	s_cmp_lt_i32 s40, 8
	s_cbranch_scc1 .LBB110_1028
; %bb.1024:
	;; [unrolled: 3-line block ×3, first 2 shown]
	s_cmp_gt_i32 s40, 9
	s_cbranch_scc0 .LBB110_1030
; %bb.1026:
	global_load_dwordx2 v[4:5], v[0:1], off
	s_mov_b64 s[0:1], 0
	s_waitcnt vmcnt(0)
	v_cvt_f32_f64_e32 v4, v[4:5]
	s_branch .LBB110_1031
.LBB110_1027:
	s_mov_b64 s[0:1], -1
                                        ; implicit-def: $vgpr4
	s_branch .LBB110_1049
.LBB110_1028:
	s_mov_b64 s[0:1], -1
                                        ; implicit-def: $vgpr4
	s_branch .LBB110_1037
.LBB110_1029:
	s_mov_b64 s[0:1], -1
                                        ; implicit-def: $vgpr4
	s_branch .LBB110_1034
.LBB110_1030:
	s_mov_b64 s[0:1], -1
                                        ; implicit-def: $vgpr4
.LBB110_1031:
	s_andn2_b64 vcc, exec, s[0:1]
	s_cbranch_vccnz .LBB110_1033
; %bb.1032:
	global_load_dword v4, v[0:1], off
.LBB110_1033:
	s_mov_b64 s[0:1], 0
.LBB110_1034:
	s_andn2_b64 vcc, exec, s[0:1]
	s_cbranch_vccnz .LBB110_1036
; %bb.1035:
	global_load_dword v4, v[0:1], off
	s_waitcnt vmcnt(0)
	v_cvt_f32_f16_e32 v4, v4
.LBB110_1036:
	s_mov_b64 s[0:1], 0
.LBB110_1037:
	s_andn2_b64 vcc, exec, s[0:1]
	s_cbranch_vccnz .LBB110_1048
; %bb.1038:
	s_cmp_lt_i32 s40, 6
	s_cbranch_scc1 .LBB110_1041
; %bb.1039:
	s_cmp_gt_i32 s40, 6
	s_cbranch_scc0 .LBB110_1042
; %bb.1040:
	global_load_dwordx2 v[4:5], v[0:1], off
	s_mov_b64 s[0:1], 0
	s_waitcnt vmcnt(0)
	v_cvt_f32_f64_e32 v4, v[4:5]
	s_branch .LBB110_1043
.LBB110_1041:
	s_mov_b64 s[0:1], -1
                                        ; implicit-def: $vgpr4
	s_branch .LBB110_1046
.LBB110_1042:
	s_mov_b64 s[0:1], -1
                                        ; implicit-def: $vgpr4
.LBB110_1043:
	s_andn2_b64 vcc, exec, s[0:1]
	s_cbranch_vccnz .LBB110_1045
; %bb.1044:
	global_load_dword v4, v[0:1], off
.LBB110_1045:
	s_mov_b64 s[0:1], 0
.LBB110_1046:
	s_andn2_b64 vcc, exec, s[0:1]
	s_cbranch_vccnz .LBB110_1048
; %bb.1047:
	global_load_ushort v4, v[0:1], off
	s_waitcnt vmcnt(0)
	v_cvt_f32_f16_e32 v4, v4
.LBB110_1048:
	s_mov_b64 s[0:1], 0
.LBB110_1049:
	s_andn2_b64 vcc, exec, s[0:1]
	s_cbranch_vccnz .LBB110_1069
; %bb.1050:
	s_cmp_lt_i32 s40, 2
	s_cbranch_scc1 .LBB110_1054
; %bb.1051:
	s_cmp_lt_i32 s40, 3
	s_cbranch_scc1 .LBB110_1055
; %bb.1052:
	s_cmp_gt_i32 s40, 3
	s_cbranch_scc0 .LBB110_1056
; %bb.1053:
	global_load_dwordx2 v[4:5], v[0:1], off
	s_mov_b64 s[0:1], 0
	s_waitcnt vmcnt(0)
	v_xor_b32_e32 v7, v4, v5
	v_ffbh_i32_e32 v6, v5
	v_ashrrev_i32_e32 v7, 31, v7
	v_add_u32_e32 v6, -1, v6
	v_add_u32_e32 v7, 32, v7
	v_min_u32_e32 v6, v6, v7
	v_lshlrev_b64 v[4:5], v6, v[4:5]
	v_min_u32_e32 v4, 1, v4
	v_or_b32_e32 v4, v5, v4
	v_cvt_f32_i32_e32 v4, v4
	v_sub_u32_e32 v5, 32, v6
	v_ldexp_f32 v4, v4, v5
	s_branch .LBB110_1057
.LBB110_1054:
	s_mov_b64 s[0:1], -1
                                        ; implicit-def: $vgpr4
	s_branch .LBB110_1063
.LBB110_1055:
	s_mov_b64 s[0:1], -1
                                        ; implicit-def: $vgpr4
	s_branch .LBB110_1060
.LBB110_1056:
	s_mov_b64 s[0:1], -1
                                        ; implicit-def: $vgpr4
.LBB110_1057:
	s_andn2_b64 vcc, exec, s[0:1]
	s_cbranch_vccnz .LBB110_1059
; %bb.1058:
	global_load_dword v4, v[0:1], off
	s_waitcnt vmcnt(0)
	v_cvt_f32_i32_e32 v4, v4
.LBB110_1059:
	s_mov_b64 s[0:1], 0
.LBB110_1060:
	s_andn2_b64 vcc, exec, s[0:1]
	s_cbranch_vccnz .LBB110_1062
; %bb.1061:
	global_load_sshort v4, v[0:1], off
	s_waitcnt vmcnt(0)
	v_cvt_f32_i32_e32 v4, v4
.LBB110_1062:
	s_mov_b64 s[0:1], 0
.LBB110_1063:
	s_andn2_b64 vcc, exec, s[0:1]
	s_cbranch_vccnz .LBB110_1069
; %bb.1064:
	s_cmp_gt_i32 s40, 0
	s_cbranch_scc0 .LBB110_1066
; %bb.1065:
	global_load_sbyte v4, v[0:1], off
	s_mov_b64 s[0:1], 0
	s_waitcnt vmcnt(0)
	v_cvt_f32_i32_e32 v4, v4
	s_branch .LBB110_1067
.LBB110_1066:
	s_mov_b64 s[0:1], -1
                                        ; implicit-def: $vgpr4
.LBB110_1067:
	s_andn2_b64 vcc, exec, s[0:1]
	s_cbranch_vccnz .LBB110_1069
; %bb.1068:
	global_load_ubyte v0, v[0:1], off
	s_waitcnt vmcnt(0)
	v_cvt_f32_ubyte0_e32 v4, v0
.LBB110_1069:
	s_mov_b64 s[0:1], -1
.LBB110_1070:
	s_andn2_b64 vcc, exec, s[0:1]
	s_cbranch_vccnz .LBB110_1075
; %bb.1071:
	s_cmp_lt_i32 s15, 1
	s_mov_b64 s[0:1], 0
	s_cbranch_scc1 .LBB110_1076
; %bb.1072:
	s_cmp_gt_i32 s15, 1
	s_cbranch_scc0 .LBB110_1077
; %bb.1073:
	s_cmp_eq_u32 s15, 2
	s_cbranch_scc0 .LBB110_1078
; %bb.1074:
	s_waitcnt vmcnt(0)
	v_cmp_le_f32_e64 s[40:41], v3, v4
	s_mov_b64 s[42:43], 0
	s_branch .LBB110_1079
.LBB110_1075:
	s_mov_b64 s[42:43], 0
                                        ; implicit-def: $vgpr2
	s_mov_b64 s[0:1], s[28:29]
	s_branch .LBB110_1211
.LBB110_1076:
	s_mov_b64 s[44:45], -1
                                        ; implicit-def: $sgpr40_sgpr41
	s_mov_b64 s[42:43], 0
	s_branch .LBB110_1083
.LBB110_1077:
	s_mov_b64 s[44:45], -1
	s_mov_b64 s[42:43], 0
                                        ; implicit-def: $sgpr40_sgpr41
	s_branch .LBB110_1080
.LBB110_1078:
	s_mov_b64 s[42:43], -1
                                        ; implicit-def: $sgpr40_sgpr41
.LBB110_1079:
	s_mov_b64 s[44:45], 0
.LBB110_1080:
	s_and_b64 vcc, exec, s[44:45]
	s_cbranch_vccz .LBB110_1082
; %bb.1081:
	s_waitcnt vmcnt(0)
	v_cmp_gt_f32_e32 vcc, v3, v4
	s_andn2_b64 s[40:41], s[40:41], exec
	s_and_b64 s[44:45], vcc, exec
	s_or_b64 s[40:41], s[40:41], s[44:45]
.LBB110_1082:
	s_mov_b64 s[44:45], 0
.LBB110_1083:
	s_and_b64 vcc, exec, s[44:45]
	s_cbranch_vccz .LBB110_1094
; %bb.1084:
	s_cmp_lg_u32 s15, 0
	s_mov_b64 s[0:1], -1
	s_cselect_b64 s[42:43], -1, 0
	s_andn2_b64 vcc, exec, s[42:43]
	s_cbranch_vccz .LBB110_1095
.LBB110_1085:
	s_andn2_b64 vcc, exec, s[0:1]
	s_cbranch_vccnz .LBB110_1087
.LBB110_1086:
	s_waitcnt vmcnt(0)
	v_cmp_ge_f32_e32 vcc, v3, v4
	s_andn2_b64 s[0:1], s[40:41], exec
	s_and_b64 s[40:41], vcc, exec
	s_or_b64 s[40:41], s[0:1], s[40:41]
.LBB110_1087:
	v_mul_lo_u32 v0, v2, s12
	v_mov_b32_e32 v1, s9
	s_and_b32 s49, s33, 0xff
	s_cmp_lt_i32 s49, 11
	s_waitcnt vmcnt(0)
	v_ashrrev_i32_e32 v3, 31, v0
	v_add_co_u32_e32 v0, vcc, s8, v0
	v_addc_co_u32_e32 v1, vcc, v1, v3, vcc
	s_cbranch_scc1 .LBB110_1096
; %bb.1088:
	s_and_b32 s50, 0xffff, s49
	s_cmp_gt_i32 s50, 25
	s_cbranch_scc0 .LBB110_1097
; %bb.1089:
	s_cmp_gt_i32 s50, 28
	s_cbranch_scc0 .LBB110_1098
; %bb.1090:
	s_cmp_gt_i32 s50, 43
	s_cbranch_scc0 .LBB110_1099
; %bb.1091:
	s_cmp_gt_i32 s50, 45
	s_cbranch_scc0 .LBB110_1100
; %bb.1092:
	s_mov_b64 s[44:45], 0
	s_mov_b64 s[0:1], -1
	s_cmp_eq_u32 s50, 46
	s_mov_b64 s[42:43], 0
	s_cbranch_scc0 .LBB110_1101
; %bb.1093:
	v_cndmask_b32_e64 v3, 0, 1.0, s[40:41]
	v_bfe_u32 v4, v3, 16, 1
	s_movk_i32 s0, 0x7fff
	v_add3_u32 v3, v3, v4, s0
	v_lshrrev_b32_e32 v3, 16, v3
	global_store_dword v[0:1], v3, off
	s_mov_b64 s[42:43], -1
	s_mov_b64 s[0:1], 0
	s_branch .LBB110_1101
.LBB110_1094:
	s_andn2_b64 vcc, exec, s[42:43]
	s_cbranch_vccnz .LBB110_1085
.LBB110_1095:
	s_waitcnt vmcnt(0)
	v_cmp_lt_f32_e32 vcc, v3, v4
	s_andn2_b64 s[40:41], s[40:41], exec
	s_and_b64 s[42:43], vcc, exec
	s_or_b64 s[40:41], s[40:41], s[42:43]
	s_cbranch_execz .LBB110_1086
	s_branch .LBB110_1087
.LBB110_1096:
	s_mov_b64 s[44:45], -1
	s_mov_b64 s[42:43], 0
	s_mov_b64 s[0:1], s[28:29]
	s_branch .LBB110_1170
.LBB110_1097:
	s_mov_b64 s[44:45], -1
	s_mov_b64 s[42:43], 0
	s_mov_b64 s[0:1], s[28:29]
	s_branch .LBB110_1128
.LBB110_1098:
	s_mov_b64 s[44:45], -1
	s_mov_b64 s[42:43], 0
	s_mov_b64 s[0:1], s[28:29]
	s_branch .LBB110_1111
.LBB110_1099:
	s_mov_b64 s[44:45], -1
	s_mov_b64 s[42:43], 0
	s_mov_b64 s[0:1], s[28:29]
	s_branch .LBB110_1107
.LBB110_1100:
	s_mov_b64 s[44:45], -1
	s_mov_b64 s[42:43], 0
	s_mov_b64 s[0:1], s[28:29]
.LBB110_1101:
	s_and_b64 vcc, exec, s[44:45]
	s_cbranch_vccz .LBB110_1106
; %bb.1102:
	s_cmp_eq_u32 s50, 44
	s_mov_b64 s[0:1], -1
	s_cbranch_scc0 .LBB110_1106
; %bb.1103:
	v_cndmask_b32_e64 v4, 0, 1.0, s[40:41]
	v_lshrrev_b32_e32 v3, 23, v4
	s_movk_i32 s0, 0xff
	v_cmp_ne_u32_e32 vcc, s0, v3
	v_mov_b32_e32 v5, 0xff
	s_and_saveexec_b64 s[42:43], vcc
; %bb.1104:
	s_mov_b32 s0, 0x3fffff
	v_and_b32_e32 v5, 0x400000, v4
	v_and_or_b32 v4, v4, s0, v3
	v_cmp_ne_u32_e32 vcc, 0, v5
	v_cmp_ne_u32_e64 s[0:1], 0, v4
	s_and_b64 s[0:1], vcc, s[0:1]
	v_cndmask_b32_e64 v4, 0, 1, s[0:1]
	v_add_u32_e32 v5, v3, v4
; %bb.1105:
	s_or_b64 exec, exec, s[42:43]
	s_mov_b64 s[42:43], -1
	s_mov_b64 s[0:1], 0
	global_store_byte v[0:1], v5, off
.LBB110_1106:
	s_mov_b64 s[44:45], 0
.LBB110_1107:
	s_and_b64 vcc, exec, s[44:45]
	s_cbranch_vccz .LBB110_1110
; %bb.1108:
	s_cmp_eq_u32 s50, 29
	s_mov_b64 s[0:1], -1
	s_cbranch_scc0 .LBB110_1110
; %bb.1109:
	s_mov_b32 s0, 0
	v_cndmask_b32_e64 v3, 0, 1, s[40:41]
	v_mov_b32_e32 v4, s0
	global_store_dwordx2 v[0:1], v[3:4], off
	s_mov_b64 s[42:43], -1
	s_mov_b64 s[0:1], 0
.LBB110_1110:
	s_mov_b64 s[44:45], 0
.LBB110_1111:
	s_and_b64 vcc, exec, s[44:45]
	s_cbranch_vccz .LBB110_1127
; %bb.1112:
	s_cmp_lt_i32 s50, 27
	s_mov_b64 s[42:43], -1
	s_cbranch_scc1 .LBB110_1118
; %bb.1113:
	s_cmp_gt_i32 s50, 27
	s_cbranch_scc0 .LBB110_1115
; %bb.1114:
	v_cndmask_b32_e64 v3, 0, 1, s[40:41]
	s_mov_b64 s[42:43], 0
	global_store_dword v[0:1], v3, off
.LBB110_1115:
	s_andn2_b64 vcc, exec, s[42:43]
	s_cbranch_vccnz .LBB110_1117
; %bb.1116:
	v_cndmask_b32_e64 v3, 0, 1, s[40:41]
	global_store_short v[0:1], v3, off
.LBB110_1117:
	s_mov_b64 s[42:43], 0
.LBB110_1118:
	s_andn2_b64 vcc, exec, s[42:43]
	s_cbranch_vccnz .LBB110_1126
; %bb.1119:
	v_cndmask_b32_e64 v4, 0, 1.0, s[40:41]
	s_mov_b32 s42, 0x43800000
	v_cmp_gt_u32_e32 vcc, s42, v4
	v_mov_b32_e32 v5, 0x80
	s_and_saveexec_b64 s[42:43], vcc
	s_cbranch_execz .LBB110_1125
; %bb.1120:
	s_mov_b32 s44, 0x3bffffff
	v_cmp_lt_u32_e32 vcc, s44, v4
	s_mov_b64 s[44:45], 0
                                        ; implicit-def: $vgpr3
	s_and_saveexec_b64 s[46:47], vcc
	s_xor_b64 s[46:47], exec, s[46:47]
	s_cbranch_execz .LBB110_1227
; %bb.1121:
	v_bfe_u32 v3, v4, 20, 1
	s_mov_b32 s51, 0x487ffff
	v_add3_u32 v3, v4, v3, s51
	s_mov_b64 s[44:45], exec
	v_lshrrev_b32_e32 v3, 20, v3
                                        ; implicit-def: $vgpr4
	s_andn2_saveexec_b64 s[46:47], s[46:47]
	s_cbranch_execnz .LBB110_1228
.LBB110_1122:
	s_or_b64 exec, exec, s[46:47]
	v_mov_b32_e32 v5, 0
	s_and_saveexec_b64 s[46:47], s[44:45]
.LBB110_1123:
	v_mov_b32_e32 v5, v3
.LBB110_1124:
	s_or_b64 exec, exec, s[46:47]
.LBB110_1125:
	s_or_b64 exec, exec, s[42:43]
	global_store_byte v[0:1], v5, off
.LBB110_1126:
	s_mov_b64 s[42:43], -1
.LBB110_1127:
	s_mov_b64 s[44:45], 0
.LBB110_1128:
	s_and_b64 vcc, exec, s[44:45]
	s_cbranch_vccz .LBB110_1169
; %bb.1129:
	s_cmp_gt_i32 s50, 22
	s_mov_b64 s[44:45], -1
	s_cbranch_scc0 .LBB110_1161
; %bb.1130:
	s_cmp_lt_i32 s50, 24
	s_mov_b64 s[42:43], -1
	s_cbranch_scc1 .LBB110_1150
; %bb.1131:
	s_cmp_gt_i32 s50, 24
	s_cbranch_scc0 .LBB110_1139
; %bb.1132:
	v_cndmask_b32_e64 v4, 0, 1.0, s[40:41]
	s_mov_b32 s42, 0x47800000
	v_cmp_gt_u32_e32 vcc, s42, v4
	v_mov_b32_e32 v5, 0x80
	s_and_saveexec_b64 s[42:43], vcc
	s_cbranch_execz .LBB110_1138
; %bb.1133:
	s_mov_b32 s44, 0x37ffffff
	v_cmp_lt_u32_e32 vcc, s44, v4
	s_mov_b64 s[44:45], 0
                                        ; implicit-def: $vgpr3
	s_and_saveexec_b64 s[46:47], vcc
	s_xor_b64 s[46:47], exec, s[46:47]
	s_cbranch_execz .LBB110_2297
; %bb.1134:
	v_bfe_u32 v3, v4, 21, 1
	s_mov_b32 s51, 0x88fffff
	v_add3_u32 v3, v4, v3, s51
	s_mov_b64 s[44:45], exec
	v_lshrrev_b32_e32 v3, 21, v3
                                        ; implicit-def: $vgpr4
	s_andn2_saveexec_b64 s[46:47], s[46:47]
	s_cbranch_execnz .LBB110_2298
.LBB110_1135:
	s_or_b64 exec, exec, s[46:47]
	v_mov_b32_e32 v5, 0
	s_and_saveexec_b64 s[46:47], s[44:45]
.LBB110_1136:
	v_mov_b32_e32 v5, v3
.LBB110_1137:
	s_or_b64 exec, exec, s[46:47]
.LBB110_1138:
	s_or_b64 exec, exec, s[42:43]
	s_mov_b64 s[42:43], 0
	global_store_byte v[0:1], v5, off
.LBB110_1139:
	s_and_b64 vcc, exec, s[42:43]
	s_cbranch_vccz .LBB110_1149
; %bb.1140:
	v_cndmask_b32_e64 v3, 0, 1.0, s[40:41]
	s_mov_b32 s42, 0x43f00000
	v_cmp_gt_u32_e32 vcc, s42, v3
                                        ; implicit-def: $vgpr4
	s_and_saveexec_b64 s[42:43], vcc
	s_xor_b64 s[42:43], exec, s[42:43]
	s_cbranch_execz .LBB110_1146
; %bb.1141:
	s_mov_b32 s44, 0x3c7fffff
	v_cmp_lt_u32_e32 vcc, s44, v3
                                        ; implicit-def: $vgpr4
	s_and_saveexec_b64 s[44:45], vcc
	s_xor_b64 s[44:45], exec, s[44:45]
; %bb.1142:
	v_bfe_u32 v4, v3, 20, 1
	s_mov_b32 s46, 0x407ffff
	v_add3_u32 v3, v3, v4, s46
	v_lshrrev_b32_e32 v4, 20, v3
	v_and_b32_e32 v3, 0xff00000, v3
	s_mov_b32 s46, 0x7f00000
	v_mov_b32_e32 v5, 0x7e
	v_cmp_ne_u32_e32 vcc, s46, v3
	v_cndmask_b32_e32 v4, v5, v4, vcc
                                        ; implicit-def: $vgpr3
; %bb.1143:
	s_andn2_saveexec_b64 s[44:45], s[44:45]
; %bb.1144:
	v_add_f32_e32 v4, 0x46800000, v3
; %bb.1145:
	s_or_b64 exec, exec, s[44:45]
                                        ; implicit-def: $vgpr3
.LBB110_1146:
	s_andn2_saveexec_b64 s[42:43], s[42:43]
; %bb.1147:
	s_mov_b32 s44, 0x7f800000
	v_mov_b32_e32 v4, 0x7e
	v_mov_b32_e32 v5, 0x7f
	v_cmp_lt_u32_e32 vcc, s44, v3
	v_cndmask_b32_e32 v4, v4, v5, vcc
; %bb.1148:
	s_or_b64 exec, exec, s[42:43]
	global_store_byte v[0:1], v4, off
.LBB110_1149:
	s_mov_b64 s[42:43], 0
.LBB110_1150:
	s_andn2_b64 vcc, exec, s[42:43]
	s_cbranch_vccnz .LBB110_1160
; %bb.1151:
	v_cndmask_b32_e64 v3, 0, 1.0, s[40:41]
	s_mov_b32 s42, 0x47800000
	v_cmp_gt_u32_e32 vcc, s42, v3
                                        ; implicit-def: $vgpr4
	s_and_saveexec_b64 s[42:43], vcc
	s_xor_b64 s[42:43], exec, s[42:43]
	s_cbranch_execz .LBB110_1157
; %bb.1152:
	s_mov_b32 s44, 0x387fffff
	v_cmp_lt_u32_e32 vcc, s44, v3
                                        ; implicit-def: $vgpr4
	s_and_saveexec_b64 s[44:45], vcc
	s_xor_b64 s[44:45], exec, s[44:45]
; %bb.1153:
	v_bfe_u32 v4, v3, 21, 1
	s_mov_b32 s46, 0x80fffff
	v_add3_u32 v3, v3, v4, s46
	v_lshrrev_b32_e32 v4, 21, v3
                                        ; implicit-def: $vgpr3
; %bb.1154:
	s_andn2_saveexec_b64 s[44:45], s[44:45]
; %bb.1155:
	v_add_f32_e32 v4, 0x43000000, v3
; %bb.1156:
	s_or_b64 exec, exec, s[44:45]
                                        ; implicit-def: $vgpr3
.LBB110_1157:
	s_andn2_saveexec_b64 s[42:43], s[42:43]
; %bb.1158:
	s_mov_b32 s44, 0x7f800000
	v_mov_b32_e32 v4, 0x7c
	v_mov_b32_e32 v5, 0x7f
	v_cmp_lt_u32_e32 vcc, s44, v3
	v_cndmask_b32_e32 v4, v4, v5, vcc
; %bb.1159:
	s_or_b64 exec, exec, s[42:43]
	global_store_byte v[0:1], v4, off
.LBB110_1160:
	s_mov_b64 s[44:45], 0
	s_mov_b64 s[42:43], -1
.LBB110_1161:
	s_andn2_b64 vcc, exec, s[44:45]
	s_cbranch_vccnz .LBB110_1169
; %bb.1162:
	s_cmp_gt_i32 s50, 14
	s_mov_b64 s[44:45], -1
	s_cbranch_scc0 .LBB110_1166
; %bb.1163:
	s_cmp_eq_u32 s50, 15
	s_mov_b64 s[0:1], -1
	s_cbranch_scc0 .LBB110_1165
; %bb.1164:
	v_cndmask_b32_e64 v3, 0, 1.0, s[40:41]
	v_bfe_u32 v4, v3, 16, 1
	s_movk_i32 s0, 0x7fff
	v_add3_u32 v3, v3, v4, s0
	global_store_short_d16_hi v[0:1], v3, off
	s_mov_b64 s[42:43], -1
	s_mov_b64 s[0:1], 0
.LBB110_1165:
	s_mov_b64 s[44:45], 0
.LBB110_1166:
	s_and_b64 vcc, exec, s[44:45]
	s_cbranch_vccz .LBB110_1169
; %bb.1167:
	s_cmp_eq_u32 s50, 11
	s_mov_b64 s[0:1], -1
	s_cbranch_scc0 .LBB110_1169
; %bb.1168:
	v_cndmask_b32_e64 v3, 0, 1, s[40:41]
	s_mov_b64 s[42:43], -1
	s_mov_b64 s[0:1], 0
	global_store_byte v[0:1], v3, off
.LBB110_1169:
	s_mov_b64 s[44:45], 0
.LBB110_1170:
	s_and_b64 vcc, exec, s[44:45]
	s_cbranch_vccz .LBB110_1209
; %bb.1171:
	s_and_b32 s44, 0xffff, s49
	s_cmp_lt_i32 s44, 5
	s_mov_b64 s[42:43], -1
	s_cbranch_scc1 .LBB110_1192
; %bb.1172:
	s_cmp_lt_i32 s44, 8
	s_cbranch_scc1 .LBB110_1182
; %bb.1173:
	s_cmp_lt_i32 s44, 9
	s_cbranch_scc1 .LBB110_1179
; %bb.1174:
	s_cmp_gt_i32 s44, 9
	s_cbranch_scc0 .LBB110_1176
; %bb.1175:
	v_cndmask_b32_e64 v3, 0, 1, s[40:41]
	v_cvt_f64_u32_e32 v[3:4], v3
	v_mov_b32_e32 v5, 0
	v_mov_b32_e32 v6, v5
	s_mov_b64 s[42:43], 0
	global_store_dwordx4 v[0:1], v[3:6], off
.LBB110_1176:
	s_andn2_b64 vcc, exec, s[42:43]
	s_cbranch_vccnz .LBB110_1178
; %bb.1177:
	v_cndmask_b32_e64 v3, 0, 1.0, s[40:41]
	v_mov_b32_e32 v4, 0
	global_store_dwordx2 v[0:1], v[3:4], off
.LBB110_1178:
	s_mov_b64 s[42:43], 0
.LBB110_1179:
	s_andn2_b64 vcc, exec, s[42:43]
	s_cbranch_vccnz .LBB110_1181
; %bb.1180:
	v_cndmask_b32_e64 v3, 0, 1.0, s[40:41]
	v_cvt_f16_f32_e32 v3, v3
	global_store_dword v[0:1], v3, off
.LBB110_1181:
	s_mov_b64 s[42:43], 0
.LBB110_1182:
	s_andn2_b64 vcc, exec, s[42:43]
	s_cbranch_vccnz .LBB110_1191
; %bb.1183:
	s_cmp_lt_i32 s44, 6
	s_mov_b64 s[42:43], -1
	s_cbranch_scc1 .LBB110_1189
; %bb.1184:
	s_cmp_gt_i32 s44, 6
	s_cbranch_scc0 .LBB110_1186
; %bb.1185:
	v_cndmask_b32_e64 v3, 0, 1, s[40:41]
	v_cvt_f64_u32_e32 v[3:4], v3
	s_mov_b64 s[42:43], 0
	global_store_dwordx2 v[0:1], v[3:4], off
.LBB110_1186:
	s_andn2_b64 vcc, exec, s[42:43]
	s_cbranch_vccnz .LBB110_1188
; %bb.1187:
	v_cndmask_b32_e64 v3, 0, 1.0, s[40:41]
	global_store_dword v[0:1], v3, off
.LBB110_1188:
	s_mov_b64 s[42:43], 0
.LBB110_1189:
	s_andn2_b64 vcc, exec, s[42:43]
	s_cbranch_vccnz .LBB110_1191
; %bb.1190:
	v_cndmask_b32_e64 v3, 0, 1.0, s[40:41]
	v_cvt_f16_f32_e32 v3, v3
	global_store_short v[0:1], v3, off
.LBB110_1191:
	s_mov_b64 s[42:43], 0
.LBB110_1192:
	s_andn2_b64 vcc, exec, s[42:43]
	s_cbranch_vccnz .LBB110_1208
; %bb.1193:
	s_cmp_lt_i32 s44, 2
	s_mov_b64 s[42:43], -1
	s_cbranch_scc1 .LBB110_1203
; %bb.1194:
	s_cmp_lt_i32 s44, 3
	s_cbranch_scc1 .LBB110_1200
; %bb.1195:
	s_cmp_gt_i32 s44, 3
	s_cbranch_scc0 .LBB110_1197
; %bb.1196:
	s_mov_b32 s42, 0
	v_cndmask_b32_e64 v3, 0, 1, s[40:41]
	v_mov_b32_e32 v4, s42
	s_mov_b64 s[42:43], 0
	global_store_dwordx2 v[0:1], v[3:4], off
.LBB110_1197:
	s_andn2_b64 vcc, exec, s[42:43]
	s_cbranch_vccnz .LBB110_1199
; %bb.1198:
	v_cndmask_b32_e64 v3, 0, 1, s[40:41]
	global_store_dword v[0:1], v3, off
.LBB110_1199:
	s_mov_b64 s[42:43], 0
.LBB110_1200:
	s_andn2_b64 vcc, exec, s[42:43]
	s_cbranch_vccnz .LBB110_1202
; %bb.1201:
	v_cndmask_b32_e64 v3, 0, 1, s[40:41]
	global_store_short v[0:1], v3, off
.LBB110_1202:
	s_mov_b64 s[42:43], 0
.LBB110_1203:
	s_andn2_b64 vcc, exec, s[42:43]
	s_cbranch_vccnz .LBB110_1208
; %bb.1204:
	s_mov_b64 s[42:43], -1
	s_cmp_gt_i32 s44, 0
	v_cndmask_b32_e64 v3, 0, 1, s[40:41]
	s_cbranch_scc0 .LBB110_1206
; %bb.1205:
	s_mov_b64 s[42:43], 0
	global_store_byte v[0:1], v3, off
.LBB110_1206:
	s_andn2_b64 vcc, exec, s[42:43]
	s_cbranch_vccnz .LBB110_1208
; %bb.1207:
	global_store_byte v[0:1], v3, off
.LBB110_1208:
	s_mov_b64 s[42:43], -1
.LBB110_1209:
	s_andn2_b64 vcc, exec, s[42:43]
	s_cbranch_vccnz .LBB110_1222
; %bb.1210:
	v_add_u32_e32 v2, 0x80, v2
	s_mov_b64 s[42:43], -1
.LBB110_1211:
	s_andn2_b64 s[40:41], s[28:29], exec
	s_and_b64 s[0:1], s[0:1], exec
	s_or_b64 s[40:41], s[40:41], s[0:1]
	s_andn2_b64 s[0:1], s[26:27], exec
	s_and_b64 s[38:39], s[38:39], exec
	s_or_b64 s[38:39], s[0:1], s[38:39]
	s_andn2_b64 s[0:1], s[24:25], exec
	s_and_b64 s[36:37], s[36:37], exec
	s_or_b64 s[0:1], s[0:1], s[36:37]
	s_orn2_b64 s[46:47], s[42:43], exec
.LBB110_1212:
	s_or_b64 exec, exec, s[34:35]
	s_mov_b64 s[42:43], 0
	s_mov_b64 s[36:37], 0
	;; [unrolled: 1-line block ×3, first 2 shown]
                                        ; implicit-def: $sgpr56
                                        ; implicit-def: $vgpr0_vgpr1
                                        ; implicit-def: $vgpr3
	s_and_saveexec_b64 s[34:35], s[46:47]
	s_cbranch_execz .LBB110_1296
; %bb.1213:
	v_cmp_gt_i32_e32 vcc, s48, v2
	s_mov_b64 s[46:47], 0
	s_mov_b64 s[48:49], s[0:1]
	;; [unrolled: 1-line block ×4, first 2 shown]
                                        ; implicit-def: $sgpr56
                                        ; implicit-def: $vgpr0_vgpr1
                                        ; implicit-def: $vgpr3
	s_and_saveexec_b64 s[36:37], vcc
	s_cbranch_execz .LBB110_1295
; %bb.1214:
	v_mul_lo_u32 v0, v2, s13
	v_mov_b32_e32 v1, s11
	s_and_b32 s56, s55, 0xff
	s_cmp_lt_i32 s56, 11
	s_waitcnt vmcnt(0)
	v_ashrrev_i32_e32 v3, 31, v0
	v_add_co_u32_e32 v0, vcc, s10, v0
	v_addc_co_u32_e32 v1, vcc, v1, v3, vcc
	s_cbranch_scc1 .LBB110_1221
; %bb.1215:
	s_and_b32 s52, 0xffff, s56
	s_cmp_gt_i32 s52, 25
	s_cbranch_scc0 .LBB110_1223
; %bb.1216:
	s_cmp_gt_i32 s52, 28
	s_cbranch_scc0 .LBB110_1224
; %bb.1217:
	;; [unrolled: 3-line block ×4, first 2 shown]
	s_cmp_eq_u32 s52, 46
	s_mov_b64 s[48:49], 0
	s_cbranch_scc0 .LBB110_1229
; %bb.1220:
	global_load_dword v3, v[0:1], off
	s_mov_b64 s[46:47], -1
	s_waitcnt vmcnt(0)
	v_lshlrev_b32_e32 v3, 16, v3
	s_branch .LBB110_1231
.LBB110_1221:
	s_mov_b64 s[48:49], -1
                                        ; implicit-def: $vgpr3
	s_mov_b64 s[42:43], s[0:1]
	s_branch .LBB110_1294
.LBB110_1222:
	s_mov_b64 s[42:43], 0
	s_branch .LBB110_947
.LBB110_1223:
	s_mov_b64 s[48:49], -1
	s_mov_b64 s[42:43], s[0:1]
                                        ; implicit-def: $vgpr3
	s_branch .LBB110_1260
.LBB110_1224:
	s_mov_b64 s[48:49], -1
	s_mov_b64 s[42:43], s[0:1]
                                        ; implicit-def: $vgpr3
	s_branch .LBB110_1241
.LBB110_1225:
	s_mov_b64 s[48:49], -1
	s_mov_b64 s[42:43], s[0:1]
                                        ; implicit-def: $vgpr3
	s_branch .LBB110_1236
.LBB110_1226:
	s_mov_b64 s[48:49], -1
	s_mov_b64 s[42:43], s[0:1]
	s_branch .LBB110_1230
.LBB110_1227:
	s_andn2_saveexec_b64 s[46:47], s[46:47]
	s_cbranch_execz .LBB110_1122
.LBB110_1228:
	v_add_f32_e32 v3, 0x46000000, v4
	v_and_b32_e32 v3, 0xff, v3
	v_cmp_ne_u32_e32 vcc, 0, v3
	s_andn2_b64 s[44:45], s[44:45], exec
	s_and_b64 s[52:53], vcc, exec
	s_or_b64 s[44:45], s[44:45], s[52:53]
	s_or_b64 exec, exec, s[46:47]
	v_mov_b32_e32 v5, 0
	s_and_saveexec_b64 s[46:47], s[44:45]
	s_cbranch_execnz .LBB110_1123
	s_branch .LBB110_1124
.LBB110_1229:
	s_mov_b64 s[42:43], -1
.LBB110_1230:
                                        ; implicit-def: $vgpr3
.LBB110_1231:
	s_and_b64 vcc, exec, s[48:49]
	s_cbranch_vccz .LBB110_1235
; %bb.1232:
	s_cmp_eq_u32 s52, 44
	s_cbranch_scc0 .LBB110_1234
; %bb.1233:
	global_load_ubyte v3, v[0:1], off
	s_movk_i32 s46, 0xff
	v_mov_b32_e32 v4, 0x7f800001
	v_mov_b32_e32 v5, 0x400000
	s_mov_b64 s[42:43], 0
	s_waitcnt vmcnt(0)
	v_lshlrev_b32_e32 v6, 23, v3
	v_cmp_ne_u32_e32 vcc, s46, v3
	v_cndmask_b32_e32 v4, v4, v6, vcc
	v_cmp_ne_u32_e32 vcc, 0, v3
	v_cndmask_b32_e32 v3, v5, v4, vcc
	s_mov_b64 s[46:47], -1
	s_branch .LBB110_1235
.LBB110_1234:
	s_mov_b64 s[42:43], -1
                                        ; implicit-def: $vgpr3
.LBB110_1235:
	s_mov_b64 s[48:49], 0
.LBB110_1236:
	s_and_b64 vcc, exec, s[48:49]
	s_cbranch_vccz .LBB110_1240
; %bb.1237:
	s_cmp_eq_u32 s52, 29
	s_cbranch_scc0 .LBB110_1239
; %bb.1238:
	global_load_dwordx2 v[3:4], v[0:1], off
	s_mov_b64 s[42:43], 0
	s_mov_b64 s[46:47], -1
	s_mov_b64 s[48:49], 0
	s_waitcnt vmcnt(0)
	v_ffbh_u32_e32 v5, v4
	v_min_u32_e32 v5, 32, v5
	v_lshlrev_b64 v[3:4], v5, v[3:4]
	v_min_u32_e32 v3, 1, v3
	v_or_b32_e32 v3, v4, v3
	v_cvt_f32_u32_e32 v3, v3
	v_sub_u32_e32 v4, 32, v5
	v_ldexp_f32 v3, v3, v4
	s_branch .LBB110_1241
.LBB110_1239:
	s_mov_b64 s[42:43], -1
                                        ; implicit-def: $vgpr3
.LBB110_1240:
	s_mov_b64 s[48:49], 0
.LBB110_1241:
	s_and_b64 vcc, exec, s[48:49]
	s_cbranch_vccz .LBB110_1259
; %bb.1242:
	s_cmp_lt_i32 s52, 27
	s_cbranch_scc1 .LBB110_1245
; %bb.1243:
	s_cmp_gt_i32 s52, 27
	s_cbranch_scc0 .LBB110_1246
; %bb.1244:
	global_load_dword v3, v[0:1], off
	s_mov_b64 s[46:47], 0
	s_waitcnt vmcnt(0)
	v_cvt_f32_u32_e32 v3, v3
	s_branch .LBB110_1247
.LBB110_1245:
	s_mov_b64 s[46:47], -1
                                        ; implicit-def: $vgpr3
	s_branch .LBB110_1250
.LBB110_1246:
	s_mov_b64 s[46:47], -1
                                        ; implicit-def: $vgpr3
.LBB110_1247:
	s_andn2_b64 vcc, exec, s[46:47]
	s_cbranch_vccnz .LBB110_1249
; %bb.1248:
	global_load_ushort v3, v[0:1], off
	s_waitcnt vmcnt(0)
	v_cvt_f32_u32_e32 v3, v3
.LBB110_1249:
	s_mov_b64 s[46:47], 0
.LBB110_1250:
	s_andn2_b64 vcc, exec, s[46:47]
	s_cbranch_vccnz .LBB110_1258
; %bb.1251:
	global_load_ubyte v4, v[0:1], off
	s_movk_i32 s46, 0x7f
	s_waitcnt vmcnt(0)
	v_cmp_lt_i16_e32 vcc, s46, v4
	s_mov_b64 s[46:47], 0
	s_and_saveexec_b64 s[48:49], vcc
	s_xor_b64 s[48:49], exec, s[48:49]
	s_cbranch_execz .LBB110_1272
; %bb.1252:
	s_movk_i32 s46, 0x80
	v_cmp_eq_u16_e32 vcc, s46, v4
	s_mov_b64 s[46:47], -1
	s_and_saveexec_b64 s[50:51], vcc
; %bb.1253:
	s_xor_b64 s[46:47], exec, -1
; %bb.1254:
	s_or_b64 exec, exec, s[50:51]
	s_and_b64 s[46:47], s[46:47], exec
	s_or_saveexec_b64 s[48:49], s[48:49]
	v_mov_b32_e32 v3, 0x7f800001
	s_xor_b64 exec, exec, s[48:49]
	s_cbranch_execnz .LBB110_1273
.LBB110_1255:
	s_or_b64 exec, exec, s[48:49]
	s_and_saveexec_b64 s[48:49], s[46:47]
	s_cbranch_execz .LBB110_1257
.LBB110_1256:
	v_lshlrev_b32_e32 v3, 24, v4
	v_and_b32_e32 v4, 0xffff, v4
	v_and_b32_e32 v5, 7, v4
	v_ffbh_u32_e32 v7, v5
	v_min_u32_e32 v7, 32, v7
	v_subrev_u32_e32 v8, 28, v7
	v_bfe_u32 v6, v4, 3, 4
	v_lshlrev_b32_e32 v4, v8, v4
	v_sub_u32_e32 v7, 29, v7
	v_and_b32_e32 v4, 7, v4
	v_cmp_eq_u32_e32 vcc, 0, v6
	v_cndmask_b32_e32 v6, v6, v7, vcc
	v_cndmask_b32_e32 v4, v5, v4, vcc
	v_mov_b32_e32 v5, 0x3b800000
	v_lshlrev_b32_e32 v4, 20, v4
	v_and_b32_e32 v3, 0x80000000, v3
	v_lshl_add_u32 v5, v6, 23, v5
	v_or3_b32 v3, v3, v5, v4
.LBB110_1257:
	s_or_b64 exec, exec, s[48:49]
.LBB110_1258:
	s_mov_b64 s[46:47], -1
.LBB110_1259:
	s_mov_b64 s[48:49], 0
.LBB110_1260:
	s_and_b64 vcc, exec, s[48:49]
	s_cbranch_vccz .LBB110_1293
; %bb.1261:
	s_cmp_gt_i32 s52, 22
	s_cbranch_scc0 .LBB110_1271
; %bb.1262:
	s_cmp_lt_i32 s52, 24
	s_cbranch_scc1 .LBB110_1274
; %bb.1263:
	s_cmp_gt_i32 s52, 24
	s_cbranch_scc0 .LBB110_1275
; %bb.1264:
	global_load_ubyte v4, v[0:1], off
	s_movk_i32 s44, 0x7f
	s_waitcnt vmcnt(0)
	v_cmp_lt_i16_e32 vcc, s44, v4
	s_mov_b64 s[44:45], 0
	s_and_saveexec_b64 s[46:47], vcc
	s_xor_b64 s[46:47], exec, s[46:47]
	s_cbranch_execz .LBB110_1287
; %bb.1265:
	s_movk_i32 s44, 0x80
	v_cmp_eq_u16_e32 vcc, s44, v4
	s_mov_b64 s[44:45], -1
	s_and_saveexec_b64 s[48:49], vcc
; %bb.1266:
	s_xor_b64 s[44:45], exec, -1
; %bb.1267:
	s_or_b64 exec, exec, s[48:49]
	s_and_b64 s[44:45], s[44:45], exec
	s_or_saveexec_b64 s[46:47], s[46:47]
	v_mov_b32_e32 v3, 0x7f800001
	s_xor_b64 exec, exec, s[46:47]
	s_cbranch_execnz .LBB110_1288
.LBB110_1268:
	s_or_b64 exec, exec, s[46:47]
	s_and_saveexec_b64 s[46:47], s[44:45]
	s_cbranch_execz .LBB110_1270
.LBB110_1269:
	v_lshlrev_b32_e32 v3, 24, v4
	v_and_b32_e32 v4, 0xffff, v4
	v_and_b32_e32 v5, 3, v4
	v_ffbh_u32_e32 v7, v5
	v_min_u32_e32 v7, 32, v7
	v_subrev_u32_e32 v8, 29, v7
	v_bfe_u32 v6, v4, 2, 5
	v_lshlrev_b32_e32 v4, v8, v4
	v_sub_u32_e32 v7, 30, v7
	v_and_b32_e32 v4, 3, v4
	v_cmp_eq_u32_e32 vcc, 0, v6
	v_cndmask_b32_e32 v6, v6, v7, vcc
	v_cndmask_b32_e32 v4, v5, v4, vcc
	v_mov_b32_e32 v5, 0x37800000
	v_lshlrev_b32_e32 v4, 21, v4
	v_and_b32_e32 v3, 0x80000000, v3
	v_lshl_add_u32 v5, v6, 23, v5
	v_or3_b32 v3, v3, v5, v4
.LBB110_1270:
	s_or_b64 exec, exec, s[46:47]
	s_mov_b64 s[44:45], 0
	s_branch .LBB110_1276
.LBB110_1271:
	s_mov_b64 s[44:45], -1
                                        ; implicit-def: $vgpr3
	s_branch .LBB110_1282
.LBB110_1272:
	s_or_saveexec_b64 s[48:49], s[48:49]
	v_mov_b32_e32 v3, 0x7f800001
	s_xor_b64 exec, exec, s[48:49]
	s_cbranch_execz .LBB110_1255
.LBB110_1273:
	v_cmp_ne_u16_e32 vcc, 0, v4
	s_andn2_b64 s[46:47], s[46:47], exec
	s_and_b64 s[50:51], vcc, exec
	v_mov_b32_e32 v3, 0
	s_or_b64 s[46:47], s[46:47], s[50:51]
	s_or_b64 exec, exec, s[48:49]
	s_and_saveexec_b64 s[48:49], s[46:47]
	s_cbranch_execnz .LBB110_1256
	s_branch .LBB110_1257
.LBB110_1274:
	s_mov_b64 s[44:45], -1
                                        ; implicit-def: $vgpr3
	s_branch .LBB110_1279
.LBB110_1275:
	s_mov_b64 s[44:45], -1
                                        ; implicit-def: $vgpr3
.LBB110_1276:
	s_and_b64 vcc, exec, s[44:45]
	s_cbranch_vccz .LBB110_1278
; %bb.1277:
	global_load_ubyte v3, v[0:1], off
	s_mov_b32 s44, 0x7f800000
	s_waitcnt vmcnt(0)
	v_lshlrev_b32_e32 v3, 24, v3
	v_and_b32_e32 v4, 0x7f000000, v3
	v_ffbh_u32_e32 v5, v4
	v_min_u32_e32 v5, 32, v5
	v_sub_u32_e64 v5, v5, 4 clamp
	v_lshlrev_b32_e32 v7, v5, v4
	v_lshlrev_b32_e32 v5, 23, v5
	v_lshrrev_b32_e32 v7, 4, v7
	v_add_u32_e32 v6, 0x1000000, v4
	v_sub_u32_e32 v5, v7, v5
	v_ashrrev_i32_e32 v6, 8, v6
	v_add_u32_e32 v5, 0x3c000000, v5
	v_and_or_b32 v5, v6, s44, v5
	v_cmp_ne_u32_e32 vcc, 0, v4
	v_cndmask_b32_e32 v4, 0, v5, vcc
	s_brev_b32 s44, 1
	v_and_or_b32 v3, v3, s44, v4
.LBB110_1278:
	s_mov_b64 s[44:45], 0
.LBB110_1279:
	s_andn2_b64 vcc, exec, s[44:45]
	s_cbranch_vccnz .LBB110_1281
; %bb.1280:
	global_load_ubyte v3, v[0:1], off
	s_movk_i32 s44, 0x7f00
	s_brev_b32 s45, 16
	s_waitcnt vmcnt(0)
	v_lshlrev_b16_e32 v4, 8, v3
	v_lshlrev_b32_e32 v3, 25, v3
	v_lshrrev_b32_e32 v5, 4, v3
	v_and_or_b32 v6, v4, s44, 0.5
	v_or_b32_e32 v5, 0x70000000, v5
	v_add_f32_e32 v6, -0.5, v6
	v_mul_f32_e32 v5, 0x7800000, v5
	v_cmp_gt_u32_e32 vcc, s45, v3
	v_bfe_i32 v4, v4, 0, 16
	v_cndmask_b32_e32 v3, v5, v6, vcc
	s_brev_b32 s44, 1
	v_and_or_b32 v3, v4, s44, v3
.LBB110_1281:
	s_mov_b64 s[44:45], 0
	s_mov_b64 s[46:47], -1
.LBB110_1282:
	s_andn2_b64 vcc, exec, s[44:45]
	s_mov_b64 s[44:45], 0
	s_cbranch_vccnz .LBB110_1293
; %bb.1283:
	s_cmp_gt_i32 s52, 14
	s_cbranch_scc0 .LBB110_1286
; %bb.1284:
	s_cmp_eq_u32 s52, 15
	s_cbranch_scc0 .LBB110_1289
; %bb.1285:
	global_load_ushort v3, v[0:1], off
	s_mov_b64 s[42:43], 0
	s_mov_b64 s[46:47], -1
	s_waitcnt vmcnt(0)
	v_lshlrev_b32_e32 v3, 16, v3
	s_branch .LBB110_1290
.LBB110_1286:
	s_mov_b64 s[48:49], -1
                                        ; implicit-def: $vgpr3
	s_branch .LBB110_1291
.LBB110_1287:
	s_or_saveexec_b64 s[46:47], s[46:47]
	v_mov_b32_e32 v3, 0x7f800001
	s_xor_b64 exec, exec, s[46:47]
	s_cbranch_execz .LBB110_1268
.LBB110_1288:
	v_cmp_ne_u16_e32 vcc, 0, v4
	s_andn2_b64 s[44:45], s[44:45], exec
	s_and_b64 s[48:49], vcc, exec
	v_mov_b32_e32 v3, 0
	s_or_b64 s[44:45], s[44:45], s[48:49]
	s_or_b64 exec, exec, s[46:47]
	s_and_saveexec_b64 s[46:47], s[44:45]
	s_cbranch_execnz .LBB110_1269
	s_branch .LBB110_1270
.LBB110_1289:
	s_mov_b64 s[42:43], -1
                                        ; implicit-def: $vgpr3
.LBB110_1290:
	s_mov_b64 s[48:49], 0
.LBB110_1291:
	s_and_b64 vcc, exec, s[48:49]
	s_cbranch_vccz .LBB110_1293
; %bb.1292:
	s_cmp_lg_u32 s52, 11
	s_cselect_b64 s[48:49], -1, 0
	s_andn2_b64 s[42:43], s[42:43], exec
	s_and_b64 s[48:49], s[48:49], exec
	s_mov_b64 s[44:45], -1
	s_or_b64 s[42:43], s[42:43], s[48:49]
.LBB110_1293:
	s_mov_b64 s[48:49], 0
.LBB110_1294:
	s_and_b64 s[52:53], s[46:47], exec
	s_and_b64 s[46:47], s[44:45], exec
	s_andn2_b64 s[44:45], s[0:1], exec
	s_and_b64 s[42:43], s[42:43], exec
	s_and_b64 s[50:51], s[48:49], exec
	s_or_b64 s[48:49], s[44:45], s[42:43]
.LBB110_1295:
	s_or_b64 exec, exec, s[36:37]
	s_and_b64 s[42:43], s[46:47], exec
	s_andn2_b64 s[0:1], s[0:1], exec
	s_and_b64 s[46:47], s[48:49], exec
	s_and_b64 s[44:45], s[52:53], exec
	;; [unrolled: 1-line block ×3, first 2 shown]
	s_or_b64 s[0:1], s[0:1], s[46:47]
.LBB110_1296:
	s_or_b64 exec, exec, s[34:35]
	s_andn2_b64 s[28:29], s[28:29], exec
	s_and_b64 s[34:35], s[40:41], exec
	s_or_b64 s[28:29], s[28:29], s[34:35]
	s_andn2_b64 s[26:27], s[26:27], exec
	s_and_b64 s[34:35], s[38:39], exec
	s_andn2_b64 s[24:25], s[24:25], exec
	s_and_b64 s[0:1], s[0:1], exec
	s_or_b64 s[26:27], s[26:27], s[34:35]
	s_and_b64 s[38:39], s[44:45], exec
	s_and_b64 s[36:37], s[36:37], exec
	;; [unrolled: 1-line block ×3, first 2 shown]
	s_or_b64 s[24:25], s[24:25], s[0:1]
.LBB110_1297:
	s_or_b64 exec, exec, s[30:31]
	s_andn2_b64 s[0:1], s[16:17], exec
	s_and_b64 s[16:17], s[28:29], exec
	s_or_b64 s[16:17], s[0:1], s[16:17]
	s_andn2_b64 s[0:1], s[18:19], exec
	s_and_b64 s[18:19], s[26:27], exec
	s_or_b64 s[18:19], s[0:1], s[18:19]
	s_andn2_b64 s[0:1], s[20:21], exec
	s_and_b64 s[20:21], s[24:25], exec
	s_and_b64 s[28:29], s[38:39], exec
	;; [unrolled: 1-line block ×4, first 2 shown]
	s_or_b64 s[20:21], s[0:1], s[20:21]
	s_or_b64 exec, exec, s[22:23]
	s_mov_b64 s[22:23], 0
	s_and_saveexec_b64 s[0:1], s[20:21]
	s_cbranch_execz .LBB110_409
.LBB110_1298:
	s_mov_b64 s[22:23], exec
	s_andn2_b64 s[26:27], s[26:27], exec
	s_trap 2
	s_or_b64 exec, exec, s[0:1]
	s_and_saveexec_b64 s[0:1], s[26:27]
	s_xor_b64 s[0:1], exec, s[0:1]
	s_cbranch_execnz .LBB110_410
.LBB110_1299:
	s_or_b64 exec, exec, s[0:1]
	s_and_saveexec_b64 s[0:1], s[30:31]
	s_cbranch_execz .LBB110_1345
.LBB110_1300:
	s_sext_i32_i16 s20, s56
	s_cmp_lt_i32 s20, 5
	s_cbranch_scc1 .LBB110_1305
; %bb.1301:
	s_cmp_lt_i32 s20, 8
	s_cbranch_scc1 .LBB110_1306
; %bb.1302:
	;; [unrolled: 3-line block ×3, first 2 shown]
	s_cmp_gt_i32 s20, 9
	s_cbranch_scc0 .LBB110_1308
; %bb.1304:
	global_load_dwordx2 v[3:4], v[0:1], off
	s_mov_b64 s[20:21], 0
	s_waitcnt vmcnt(0)
	v_cvt_f32_f64_e32 v3, v[3:4]
	s_branch .LBB110_1309
.LBB110_1305:
                                        ; implicit-def: $vgpr3
	s_branch .LBB110_1326
.LBB110_1306:
                                        ; implicit-def: $vgpr3
	s_branch .LBB110_1315
.LBB110_1307:
	s_mov_b64 s[20:21], -1
                                        ; implicit-def: $vgpr3
	s_branch .LBB110_1312
.LBB110_1308:
	s_mov_b64 s[20:21], -1
                                        ; implicit-def: $vgpr3
.LBB110_1309:
	s_andn2_b64 vcc, exec, s[20:21]
	s_cbranch_vccnz .LBB110_1311
; %bb.1310:
	global_load_dword v3, v[0:1], off
.LBB110_1311:
	s_mov_b64 s[20:21], 0
.LBB110_1312:
	s_andn2_b64 vcc, exec, s[20:21]
	s_cbranch_vccnz .LBB110_1314
; %bb.1313:
	global_load_dword v3, v[0:1], off
	s_waitcnt vmcnt(0)
	v_cvt_f32_f16_e32 v3, v3
.LBB110_1314:
	s_cbranch_execnz .LBB110_1325
.LBB110_1315:
	s_sext_i32_i16 s20, s56
	s_cmp_lt_i32 s20, 6
	s_cbranch_scc1 .LBB110_1318
; %bb.1316:
	s_cmp_gt_i32 s20, 6
	s_cbranch_scc0 .LBB110_1319
; %bb.1317:
	global_load_dwordx2 v[3:4], v[0:1], off
	s_mov_b64 s[20:21], 0
	s_waitcnt vmcnt(0)
	v_cvt_f32_f64_e32 v3, v[3:4]
	s_branch .LBB110_1320
.LBB110_1318:
	s_mov_b64 s[20:21], -1
                                        ; implicit-def: $vgpr3
	s_branch .LBB110_1323
.LBB110_1319:
	s_mov_b64 s[20:21], -1
                                        ; implicit-def: $vgpr3
.LBB110_1320:
	s_andn2_b64 vcc, exec, s[20:21]
	s_cbranch_vccnz .LBB110_1322
; %bb.1321:
	global_load_dword v3, v[0:1], off
.LBB110_1322:
	s_mov_b64 s[20:21], 0
.LBB110_1323:
	s_andn2_b64 vcc, exec, s[20:21]
	s_cbranch_vccnz .LBB110_1325
; %bb.1324:
	global_load_ushort v3, v[0:1], off
	s_waitcnt vmcnt(0)
	v_cvt_f32_f16_e32 v3, v3
.LBB110_1325:
	s_cbranch_execnz .LBB110_1344
.LBB110_1326:
	s_sext_i32_i16 s20, s56
	s_cmp_lt_i32 s20, 2
	s_cbranch_scc1 .LBB110_1330
; %bb.1327:
	s_cmp_lt_i32 s20, 3
	s_cbranch_scc1 .LBB110_1331
; %bb.1328:
	s_cmp_gt_i32 s20, 3
	s_cbranch_scc0 .LBB110_1332
; %bb.1329:
	global_load_dwordx2 v[3:4], v[0:1], off
	s_mov_b64 s[20:21], 0
	s_waitcnt vmcnt(0)
	v_xor_b32_e32 v6, v3, v4
	v_ffbh_i32_e32 v5, v4
	v_ashrrev_i32_e32 v6, 31, v6
	v_add_u32_e32 v5, -1, v5
	v_add_u32_e32 v6, 32, v6
	v_min_u32_e32 v5, v5, v6
	v_lshlrev_b64 v[3:4], v5, v[3:4]
	v_min_u32_e32 v3, 1, v3
	v_or_b32_e32 v3, v4, v3
	v_cvt_f32_i32_e32 v3, v3
	v_sub_u32_e32 v4, 32, v5
	v_ldexp_f32 v3, v3, v4
	s_branch .LBB110_1333
.LBB110_1330:
                                        ; implicit-def: $vgpr3
	s_branch .LBB110_1339
.LBB110_1331:
	s_mov_b64 s[20:21], -1
                                        ; implicit-def: $vgpr3
	s_branch .LBB110_1336
.LBB110_1332:
	s_mov_b64 s[20:21], -1
                                        ; implicit-def: $vgpr3
.LBB110_1333:
	s_andn2_b64 vcc, exec, s[20:21]
	s_cbranch_vccnz .LBB110_1335
; %bb.1334:
	global_load_dword v3, v[0:1], off
	s_waitcnt vmcnt(0)
	v_cvt_f32_i32_e32 v3, v3
.LBB110_1335:
	s_mov_b64 s[20:21], 0
.LBB110_1336:
	s_andn2_b64 vcc, exec, s[20:21]
	s_cbranch_vccnz .LBB110_1338
; %bb.1337:
	global_load_sshort v3, v[0:1], off
	s_waitcnt vmcnt(0)
	v_cvt_f32_i32_e32 v3, v3
.LBB110_1338:
	s_cbranch_execnz .LBB110_1344
.LBB110_1339:
	s_sext_i32_i16 s20, s56
	s_cmp_gt_i32 s20, 0
	s_cbranch_scc0 .LBB110_1341
; %bb.1340:
	global_load_sbyte v3, v[0:1], off
	s_mov_b64 s[20:21], 0
	s_waitcnt vmcnt(0)
	v_cvt_f32_i32_e32 v3, v3
	s_branch .LBB110_1342
.LBB110_1341:
	s_mov_b64 s[20:21], -1
                                        ; implicit-def: $vgpr3
.LBB110_1342:
	s_andn2_b64 vcc, exec, s[20:21]
	s_cbranch_vccnz .LBB110_1344
; %bb.1343:
	global_load_ubyte v0, v[0:1], off
	s_waitcnt vmcnt(0)
	v_cvt_f32_ubyte0_e32 v3, v0
.LBB110_1344:
	s_or_b64 s[28:29], s[28:29], exec
.LBB110_1345:
	s_or_b64 exec, exec, s[0:1]
	s_mov_b64 s[24:25], 0
	s_mov_b64 s[30:31], 0
	;; [unrolled: 1-line block ×3, first 2 shown]
                                        ; implicit-def: $sgpr34
                                        ; implicit-def: $vgpr0_vgpr1
                                        ; implicit-def: $vgpr4
	s_and_saveexec_b64 s[0:1], s[28:29]
	s_cbranch_execz .LBB110_1353
; %bb.1346:
	v_mul_lo_u32 v0, v2, s14
	v_mov_b32_e32 v1, s3
	s_and_b32 s34, s54, 0xff
	s_cmp_lt_i32 s34, 11
	s_waitcnt vmcnt(0)
	v_ashrrev_i32_e32 v4, 31, v0
	v_add_co_u32_e32 v0, vcc, s2, v0
	v_addc_co_u32_e32 v1, vcc, v1, v4, vcc
	s_cbranch_scc1 .LBB110_1356
; %bb.1347:
	s_and_b32 s35, 0xffff, s34
	s_cmp_gt_i32 s35, 25
	s_cbranch_scc0 .LBB110_1357
; %bb.1348:
	s_cmp_gt_i32 s35, 28
	s_cbranch_scc0 .LBB110_1358
; %bb.1349:
	s_cmp_gt_i32 s35, 43
	s_cbranch_scc0 .LBB110_1359
; %bb.1350:
	s_cmp_gt_i32 s35, 45
	s_cbranch_scc0 .LBB110_1360
; %bb.1351:
	s_cmp_eq_u32 s35, 46
	s_mov_b64 s[28:29], 0
	s_cbranch_scc0 .LBB110_1361
; %bb.1352:
	global_load_dword v4, v[0:1], off
	s_mov_b64 s[20:21], 0
	s_mov_b64 s[26:27], -1
	s_waitcnt vmcnt(0)
	v_lshlrev_b32_e32 v4, 16, v4
	s_branch .LBB110_1363
.LBB110_1353:
	s_or_b64 exec, exec, s[0:1]
	s_and_saveexec_b64 s[0:1], s[18:19]
	s_cbranch_execnz .LBB110_1426
.LBB110_1354:
	s_or_b64 exec, exec, s[0:1]
	s_and_saveexec_b64 s[0:1], s[24:25]
	s_xor_b64 s[0:1], exec, s[0:1]
	s_cbranch_execz .LBB110_1427
.LBB110_1355:
	global_load_ubyte v4, v[0:1], off
	s_or_b64 s[26:27], s[26:27], exec
	s_waitcnt vmcnt(0)
	v_cmp_ne_u16_e32 vcc, 0, v4
	v_cndmask_b32_e64 v4, 0, 1.0, vcc
	s_or_b64 exec, exec, s[0:1]
	s_and_saveexec_b64 s[0:1], s[30:31]
	s_cbranch_execz .LBB110_1473
	s_branch .LBB110_1428
.LBB110_1356:
	s_mov_b64 s[28:29], -1
                                        ; implicit-def: $vgpr4
	s_mov_b64 s[20:21], s[18:19]
	s_branch .LBB110_1425
.LBB110_1357:
	s_mov_b64 s[20:21], s[18:19]
                                        ; implicit-def: $vgpr4
	s_cbranch_execnz .LBB110_1392
	s_branch .LBB110_1424
.LBB110_1358:
	s_mov_b64 s[28:29], -1
	s_mov_b64 s[20:21], s[18:19]
                                        ; implicit-def: $vgpr4
	s_branch .LBB110_1373
.LBB110_1359:
	s_mov_b64 s[28:29], -1
	s_mov_b64 s[20:21], s[18:19]
                                        ; implicit-def: $vgpr4
	s_branch .LBB110_1368
.LBB110_1360:
	s_mov_b64 s[28:29], -1
	s_mov_b64 s[20:21], s[18:19]
	s_branch .LBB110_1362
.LBB110_1361:
	s_mov_b64 s[20:21], -1
.LBB110_1362:
                                        ; implicit-def: $vgpr4
.LBB110_1363:
	s_and_b64 vcc, exec, s[28:29]
	s_cbranch_vccz .LBB110_1367
; %bb.1364:
	s_cmp_eq_u32 s35, 44
	s_cbranch_scc0 .LBB110_1366
; %bb.1365:
	global_load_ubyte v4, v[0:1], off
	s_movk_i32 s26, 0xff
	v_mov_b32_e32 v5, 0x7f800001
	v_mov_b32_e32 v6, 0x400000
	s_mov_b64 s[20:21], 0
	s_waitcnt vmcnt(0)
	v_lshlrev_b32_e32 v7, 23, v4
	v_cmp_ne_u32_e32 vcc, s26, v4
	v_cndmask_b32_e32 v5, v5, v7, vcc
	v_cmp_ne_u32_e32 vcc, 0, v4
	v_cndmask_b32_e32 v4, v6, v5, vcc
	s_mov_b64 s[26:27], -1
	s_branch .LBB110_1367
.LBB110_1366:
	s_mov_b64 s[20:21], -1
                                        ; implicit-def: $vgpr4
.LBB110_1367:
	s_mov_b64 s[28:29], 0
.LBB110_1368:
	s_and_b64 vcc, exec, s[28:29]
	s_cbranch_vccz .LBB110_1372
; %bb.1369:
	s_cmp_eq_u32 s35, 29
	s_cbranch_scc0 .LBB110_1371
; %bb.1370:
	global_load_dwordx2 v[4:5], v[0:1], off
	s_mov_b64 s[20:21], 0
	s_mov_b64 s[26:27], -1
	s_mov_b64 s[28:29], 0
	s_waitcnt vmcnt(0)
	v_ffbh_u32_e32 v6, v5
	v_min_u32_e32 v6, 32, v6
	v_lshlrev_b64 v[4:5], v6, v[4:5]
	v_min_u32_e32 v4, 1, v4
	v_or_b32_e32 v4, v5, v4
	v_cvt_f32_u32_e32 v4, v4
	v_sub_u32_e32 v5, 32, v6
	v_ldexp_f32 v4, v4, v5
	s_branch .LBB110_1373
.LBB110_1371:
	s_mov_b64 s[20:21], -1
                                        ; implicit-def: $vgpr4
.LBB110_1372:
	s_mov_b64 s[28:29], 0
.LBB110_1373:
	s_and_b64 vcc, exec, s[28:29]
	s_cbranch_vccz .LBB110_1391
; %bb.1374:
	s_cmp_lt_i32 s35, 27
	s_cbranch_scc1 .LBB110_1377
; %bb.1375:
	s_cmp_gt_i32 s35, 27
	s_cbranch_scc0 .LBB110_1378
; %bb.1376:
	global_load_dword v4, v[0:1], off
	s_mov_b64 s[26:27], 0
	s_waitcnt vmcnt(0)
	v_cvt_f32_u32_e32 v4, v4
	s_branch .LBB110_1379
.LBB110_1377:
	s_mov_b64 s[26:27], -1
                                        ; implicit-def: $vgpr4
	s_branch .LBB110_1382
.LBB110_1378:
	s_mov_b64 s[26:27], -1
                                        ; implicit-def: $vgpr4
.LBB110_1379:
	s_andn2_b64 vcc, exec, s[26:27]
	s_cbranch_vccnz .LBB110_1381
; %bb.1380:
	global_load_ushort v4, v[0:1], off
	s_waitcnt vmcnt(0)
	v_cvt_f32_u32_e32 v4, v4
.LBB110_1381:
	s_mov_b64 s[26:27], 0
.LBB110_1382:
	s_andn2_b64 vcc, exec, s[26:27]
	s_cbranch_vccnz .LBB110_1390
; %bb.1383:
	global_load_ubyte v5, v[0:1], off
	s_movk_i32 s26, 0x7f
	s_waitcnt vmcnt(0)
	v_cmp_lt_i16_e32 vcc, s26, v5
	s_mov_b64 s[26:27], 0
	s_and_saveexec_b64 s[28:29], vcc
	s_xor_b64 s[28:29], exec, s[28:29]
	s_cbranch_execz .LBB110_1403
; %bb.1384:
	s_movk_i32 s26, 0x80
	v_cmp_eq_u16_e32 vcc, s26, v5
	s_mov_b64 s[26:27], -1
	s_and_saveexec_b64 s[30:31], vcc
; %bb.1385:
	s_xor_b64 s[26:27], exec, -1
; %bb.1386:
	s_or_b64 exec, exec, s[30:31]
	s_and_b64 s[26:27], s[26:27], exec
	s_or_saveexec_b64 s[28:29], s[28:29]
	v_mov_b32_e32 v4, 0x7f800001
	s_xor_b64 exec, exec, s[28:29]
	s_cbranch_execnz .LBB110_1404
.LBB110_1387:
	s_or_b64 exec, exec, s[28:29]
	s_and_saveexec_b64 s[28:29], s[26:27]
	s_cbranch_execz .LBB110_1389
.LBB110_1388:
	v_lshlrev_b32_e32 v4, 24, v5
	v_and_b32_e32 v5, 0xffff, v5
	v_and_b32_e32 v6, 7, v5
	v_ffbh_u32_e32 v8, v6
	v_min_u32_e32 v8, 32, v8
	v_subrev_u32_e32 v9, 28, v8
	v_bfe_u32 v7, v5, 3, 4
	v_lshlrev_b32_e32 v5, v9, v5
	v_sub_u32_e32 v8, 29, v8
	v_and_b32_e32 v5, 7, v5
	v_cmp_eq_u32_e32 vcc, 0, v7
	v_cndmask_b32_e32 v7, v7, v8, vcc
	v_cndmask_b32_e32 v5, v6, v5, vcc
	v_mov_b32_e32 v6, 0x3b800000
	v_lshlrev_b32_e32 v5, 20, v5
	v_and_b32_e32 v4, 0x80000000, v4
	v_lshl_add_u32 v6, v7, 23, v6
	v_or3_b32 v4, v4, v6, v5
.LBB110_1389:
	s_or_b64 exec, exec, s[28:29]
.LBB110_1390:
	s_mov_b64 s[26:27], -1
.LBB110_1391:
	s_branch .LBB110_1424
.LBB110_1392:
	s_cmp_gt_i32 s35, 22
	s_cbranch_scc0 .LBB110_1402
; %bb.1393:
	s_cmp_lt_i32 s35, 24
	s_cbranch_scc1 .LBB110_1405
; %bb.1394:
	s_cmp_gt_i32 s35, 24
	s_cbranch_scc0 .LBB110_1406
; %bb.1395:
	global_load_ubyte v5, v[0:1], off
	s_movk_i32 s24, 0x7f
	s_waitcnt vmcnt(0)
	v_cmp_lt_i16_e32 vcc, s24, v5
	s_mov_b64 s[24:25], 0
	s_and_saveexec_b64 s[26:27], vcc
	s_xor_b64 s[26:27], exec, s[26:27]
	s_cbranch_execz .LBB110_1418
; %bb.1396:
	s_movk_i32 s24, 0x80
	v_cmp_eq_u16_e32 vcc, s24, v5
	s_mov_b64 s[24:25], -1
	s_and_saveexec_b64 s[28:29], vcc
; %bb.1397:
	s_xor_b64 s[24:25], exec, -1
; %bb.1398:
	s_or_b64 exec, exec, s[28:29]
	s_and_b64 s[24:25], s[24:25], exec
	s_or_saveexec_b64 s[26:27], s[26:27]
	v_mov_b32_e32 v4, 0x7f800001
	s_xor_b64 exec, exec, s[26:27]
	s_cbranch_execnz .LBB110_1419
.LBB110_1399:
	s_or_b64 exec, exec, s[26:27]
	s_and_saveexec_b64 s[26:27], s[24:25]
	s_cbranch_execz .LBB110_1401
.LBB110_1400:
	v_lshlrev_b32_e32 v4, 24, v5
	v_and_b32_e32 v5, 0xffff, v5
	v_and_b32_e32 v6, 3, v5
	v_ffbh_u32_e32 v8, v6
	v_min_u32_e32 v8, 32, v8
	v_subrev_u32_e32 v9, 29, v8
	v_bfe_u32 v7, v5, 2, 5
	v_lshlrev_b32_e32 v5, v9, v5
	v_sub_u32_e32 v8, 30, v8
	v_and_b32_e32 v5, 3, v5
	v_cmp_eq_u32_e32 vcc, 0, v7
	v_cndmask_b32_e32 v7, v7, v8, vcc
	v_cndmask_b32_e32 v5, v6, v5, vcc
	v_mov_b32_e32 v6, 0x37800000
	v_lshlrev_b32_e32 v5, 21, v5
	v_and_b32_e32 v4, 0x80000000, v4
	v_lshl_add_u32 v6, v7, 23, v6
	v_or3_b32 v4, v4, v6, v5
.LBB110_1401:
	s_or_b64 exec, exec, s[26:27]
	s_mov_b64 s[24:25], 0
	s_branch .LBB110_1407
.LBB110_1402:
	s_mov_b64 s[24:25], -1
                                        ; implicit-def: $vgpr4
	s_branch .LBB110_1413
.LBB110_1403:
	s_or_saveexec_b64 s[28:29], s[28:29]
	v_mov_b32_e32 v4, 0x7f800001
	s_xor_b64 exec, exec, s[28:29]
	s_cbranch_execz .LBB110_1387
.LBB110_1404:
	v_cmp_ne_u16_e32 vcc, 0, v5
	s_andn2_b64 s[26:27], s[26:27], exec
	s_and_b64 s[30:31], vcc, exec
	v_mov_b32_e32 v4, 0
	s_or_b64 s[26:27], s[26:27], s[30:31]
	s_or_b64 exec, exec, s[28:29]
	s_and_saveexec_b64 s[28:29], s[26:27]
	s_cbranch_execnz .LBB110_1388
	s_branch .LBB110_1389
.LBB110_1405:
	s_mov_b64 s[24:25], -1
                                        ; implicit-def: $vgpr4
	s_branch .LBB110_1410
.LBB110_1406:
	s_mov_b64 s[24:25], -1
                                        ; implicit-def: $vgpr4
.LBB110_1407:
	s_and_b64 vcc, exec, s[24:25]
	s_cbranch_vccz .LBB110_1409
; %bb.1408:
	global_load_ubyte v4, v[0:1], off
	s_mov_b32 s24, 0x7f800000
	s_waitcnt vmcnt(0)
	v_lshlrev_b32_e32 v4, 24, v4
	v_and_b32_e32 v5, 0x7f000000, v4
	v_ffbh_u32_e32 v6, v5
	v_min_u32_e32 v6, 32, v6
	v_sub_u32_e64 v6, v6, 4 clamp
	v_lshlrev_b32_e32 v8, v6, v5
	v_lshlrev_b32_e32 v6, 23, v6
	v_lshrrev_b32_e32 v8, 4, v8
	v_add_u32_e32 v7, 0x1000000, v5
	v_sub_u32_e32 v6, v8, v6
	v_ashrrev_i32_e32 v7, 8, v7
	v_add_u32_e32 v6, 0x3c000000, v6
	v_and_or_b32 v6, v7, s24, v6
	v_cmp_ne_u32_e32 vcc, 0, v5
	v_cndmask_b32_e32 v5, 0, v6, vcc
	s_brev_b32 s24, 1
	v_and_or_b32 v4, v4, s24, v5
.LBB110_1409:
	s_mov_b64 s[24:25], 0
.LBB110_1410:
	s_andn2_b64 vcc, exec, s[24:25]
	s_cbranch_vccnz .LBB110_1412
; %bb.1411:
	global_load_ubyte v4, v[0:1], off
	s_movk_i32 s24, 0x7f00
	s_brev_b32 s25, 16
	s_waitcnt vmcnt(0)
	v_lshlrev_b16_e32 v5, 8, v4
	v_lshlrev_b32_e32 v4, 25, v4
	v_lshrrev_b32_e32 v6, 4, v4
	v_and_or_b32 v7, v5, s24, 0.5
	v_or_b32_e32 v6, 0x70000000, v6
	v_add_f32_e32 v7, -0.5, v7
	v_mul_f32_e32 v6, 0x7800000, v6
	v_cmp_gt_u32_e32 vcc, s25, v4
	v_bfe_i32 v5, v5, 0, 16
	v_cndmask_b32_e32 v4, v6, v7, vcc
	s_brev_b32 s24, 1
	v_and_or_b32 v4, v5, s24, v4
.LBB110_1412:
	s_mov_b64 s[24:25], 0
	s_mov_b64 s[26:27], -1
.LBB110_1413:
	s_andn2_b64 vcc, exec, s[24:25]
	s_mov_b64 s[24:25], 0
	s_cbranch_vccnz .LBB110_1424
; %bb.1414:
	s_cmp_gt_i32 s35, 14
	s_cbranch_scc0 .LBB110_1417
; %bb.1415:
	s_cmp_eq_u32 s35, 15
	s_cbranch_scc0 .LBB110_1420
; %bb.1416:
	global_load_ushort v4, v[0:1], off
	s_mov_b64 s[20:21], 0
	s_mov_b64 s[26:27], -1
	s_waitcnt vmcnt(0)
	v_lshlrev_b32_e32 v4, 16, v4
	s_branch .LBB110_1421
.LBB110_1417:
	s_mov_b64 s[28:29], -1
                                        ; implicit-def: $vgpr4
	s_branch .LBB110_1422
.LBB110_1418:
	s_or_saveexec_b64 s[26:27], s[26:27]
	v_mov_b32_e32 v4, 0x7f800001
	s_xor_b64 exec, exec, s[26:27]
	s_cbranch_execz .LBB110_1399
.LBB110_1419:
	v_cmp_ne_u16_e32 vcc, 0, v5
	s_andn2_b64 s[24:25], s[24:25], exec
	s_and_b64 s[28:29], vcc, exec
	v_mov_b32_e32 v4, 0
	s_or_b64 s[24:25], s[24:25], s[28:29]
	s_or_b64 exec, exec, s[26:27]
	s_and_saveexec_b64 s[26:27], s[24:25]
	s_cbranch_execnz .LBB110_1400
	s_branch .LBB110_1401
.LBB110_1420:
	s_mov_b64 s[20:21], -1
                                        ; implicit-def: $vgpr4
.LBB110_1421:
	s_mov_b64 s[28:29], 0
.LBB110_1422:
	s_and_b64 vcc, exec, s[28:29]
	s_cbranch_vccz .LBB110_1424
; %bb.1423:
	s_cmp_lg_u32 s35, 11
	s_cselect_b64 s[28:29], -1, 0
	s_andn2_b64 s[20:21], s[20:21], exec
	s_and_b64 s[28:29], s[28:29], exec
	s_mov_b64 s[24:25], -1
	s_or_b64 s[20:21], s[20:21], s[28:29]
.LBB110_1424:
	s_mov_b64 s[28:29], 0
.LBB110_1425:
	s_andn2_b64 s[18:19], s[18:19], exec
	s_and_b64 s[20:21], s[20:21], exec
	s_and_b64 s[26:27], s[26:27], exec
	s_and_b64 s[30:31], s[28:29], exec
	s_and_b64 s[24:25], s[24:25], exec
	s_or_b64 s[18:19], s[18:19], s[20:21]
	s_or_b64 exec, exec, s[0:1]
	s_and_saveexec_b64 s[0:1], s[18:19]
	s_cbranch_execz .LBB110_1354
.LBB110_1426:
	s_or_b64 s[22:23], s[22:23], exec
	s_andn2_b64 s[24:25], s[24:25], exec
	s_trap 2
	s_or_b64 exec, exec, s[0:1]
	s_and_saveexec_b64 s[0:1], s[24:25]
	s_xor_b64 s[0:1], exec, s[0:1]
	s_cbranch_execnz .LBB110_1355
.LBB110_1427:
	s_or_b64 exec, exec, s[0:1]
	s_and_saveexec_b64 s[0:1], s[30:31]
	s_cbranch_execz .LBB110_1473
.LBB110_1428:
	s_sext_i32_i16 s18, s34
	s_cmp_lt_i32 s18, 5
	s_cbranch_scc1 .LBB110_1433
; %bb.1429:
	s_cmp_lt_i32 s18, 8
	s_cbranch_scc1 .LBB110_1434
; %bb.1430:
	;; [unrolled: 3-line block ×3, first 2 shown]
	s_cmp_gt_i32 s18, 9
	s_cbranch_scc0 .LBB110_1436
; %bb.1432:
	global_load_dwordx2 v[4:5], v[0:1], off
	s_mov_b64 s[18:19], 0
	s_waitcnt vmcnt(0)
	v_cvt_f32_f64_e32 v4, v[4:5]
	s_branch .LBB110_1437
.LBB110_1433:
                                        ; implicit-def: $vgpr4
	s_branch .LBB110_1454
.LBB110_1434:
                                        ; implicit-def: $vgpr4
	s_branch .LBB110_1443
.LBB110_1435:
	s_mov_b64 s[18:19], -1
                                        ; implicit-def: $vgpr4
	s_branch .LBB110_1440
.LBB110_1436:
	s_mov_b64 s[18:19], -1
                                        ; implicit-def: $vgpr4
.LBB110_1437:
	s_andn2_b64 vcc, exec, s[18:19]
	s_cbranch_vccnz .LBB110_1439
; %bb.1438:
	global_load_dword v4, v[0:1], off
.LBB110_1439:
	s_mov_b64 s[18:19], 0
.LBB110_1440:
	s_andn2_b64 vcc, exec, s[18:19]
	s_cbranch_vccnz .LBB110_1442
; %bb.1441:
	global_load_dword v4, v[0:1], off
	s_waitcnt vmcnt(0)
	v_cvt_f32_f16_e32 v4, v4
.LBB110_1442:
	s_cbranch_execnz .LBB110_1453
.LBB110_1443:
	s_sext_i32_i16 s18, s34
	s_cmp_lt_i32 s18, 6
	s_cbranch_scc1 .LBB110_1446
; %bb.1444:
	s_cmp_gt_i32 s18, 6
	s_cbranch_scc0 .LBB110_1447
; %bb.1445:
	global_load_dwordx2 v[4:5], v[0:1], off
	s_mov_b64 s[18:19], 0
	s_waitcnt vmcnt(0)
	v_cvt_f32_f64_e32 v4, v[4:5]
	s_branch .LBB110_1448
.LBB110_1446:
	s_mov_b64 s[18:19], -1
                                        ; implicit-def: $vgpr4
	s_branch .LBB110_1451
.LBB110_1447:
	s_mov_b64 s[18:19], -1
                                        ; implicit-def: $vgpr4
.LBB110_1448:
	s_andn2_b64 vcc, exec, s[18:19]
	s_cbranch_vccnz .LBB110_1450
; %bb.1449:
	global_load_dword v4, v[0:1], off
.LBB110_1450:
	s_mov_b64 s[18:19], 0
.LBB110_1451:
	s_andn2_b64 vcc, exec, s[18:19]
	s_cbranch_vccnz .LBB110_1453
; %bb.1452:
	global_load_ushort v4, v[0:1], off
	s_waitcnt vmcnt(0)
	v_cvt_f32_f16_e32 v4, v4
.LBB110_1453:
	s_cbranch_execnz .LBB110_1472
.LBB110_1454:
	s_sext_i32_i16 s18, s34
	s_cmp_lt_i32 s18, 2
	s_cbranch_scc1 .LBB110_1458
; %bb.1455:
	s_cmp_lt_i32 s18, 3
	s_cbranch_scc1 .LBB110_1459
; %bb.1456:
	s_cmp_gt_i32 s18, 3
	s_cbranch_scc0 .LBB110_1460
; %bb.1457:
	global_load_dwordx2 v[4:5], v[0:1], off
	s_mov_b64 s[18:19], 0
	s_waitcnt vmcnt(0)
	v_xor_b32_e32 v7, v4, v5
	v_ffbh_i32_e32 v6, v5
	v_ashrrev_i32_e32 v7, 31, v7
	v_add_u32_e32 v6, -1, v6
	v_add_u32_e32 v7, 32, v7
	v_min_u32_e32 v6, v6, v7
	v_lshlrev_b64 v[4:5], v6, v[4:5]
	v_min_u32_e32 v4, 1, v4
	v_or_b32_e32 v4, v5, v4
	v_cvt_f32_i32_e32 v4, v4
	v_sub_u32_e32 v5, 32, v6
	v_ldexp_f32 v4, v4, v5
	s_branch .LBB110_1461
.LBB110_1458:
                                        ; implicit-def: $vgpr4
	s_branch .LBB110_1467
.LBB110_1459:
	s_mov_b64 s[18:19], -1
                                        ; implicit-def: $vgpr4
	s_branch .LBB110_1464
.LBB110_1460:
	s_mov_b64 s[18:19], -1
                                        ; implicit-def: $vgpr4
.LBB110_1461:
	s_andn2_b64 vcc, exec, s[18:19]
	s_cbranch_vccnz .LBB110_1463
; %bb.1462:
	global_load_dword v4, v[0:1], off
	s_waitcnt vmcnt(0)
	v_cvt_f32_i32_e32 v4, v4
.LBB110_1463:
	s_mov_b64 s[18:19], 0
.LBB110_1464:
	s_andn2_b64 vcc, exec, s[18:19]
	s_cbranch_vccnz .LBB110_1466
; %bb.1465:
	global_load_sshort v4, v[0:1], off
	s_waitcnt vmcnt(0)
	v_cvt_f32_i32_e32 v4, v4
.LBB110_1466:
	s_cbranch_execnz .LBB110_1472
.LBB110_1467:
	s_sext_i32_i16 s18, s34
	s_cmp_gt_i32 s18, 0
	s_cbranch_scc0 .LBB110_1469
; %bb.1468:
	global_load_sbyte v4, v[0:1], off
	s_mov_b64 s[18:19], 0
	s_waitcnt vmcnt(0)
	v_cvt_f32_i32_e32 v4, v4
	s_branch .LBB110_1470
.LBB110_1469:
	s_mov_b64 s[18:19], -1
                                        ; implicit-def: $vgpr4
.LBB110_1470:
	s_andn2_b64 vcc, exec, s[18:19]
	s_cbranch_vccnz .LBB110_1472
; %bb.1471:
	global_load_ubyte v0, v[0:1], off
	s_waitcnt vmcnt(0)
	v_cvt_f32_ubyte0_e32 v4, v0
.LBB110_1472:
	s_or_b64 s[26:27], s[26:27], exec
.LBB110_1473:
	s_or_b64 exec, exec, s[0:1]
	s_mov_b64 s[28:29], 0
	s_mov_b64 s[24:25], 0
                                        ; implicit-def: $sgpr18_sgpr19
                                        ; implicit-def: $sgpr34
                                        ; implicit-def: $vgpr0_vgpr1
	s_and_saveexec_b64 s[20:21], s[26:27]
	s_cbranch_execz .LBB110_1478
; %bb.1474:
	s_cmp_lt_i32 s15, 1
	s_mov_b64 s[0:1], 0
	s_cbranch_scc1 .LBB110_1481
; %bb.1475:
	s_cmp_gt_i32 s15, 1
	s_cbranch_scc0 .LBB110_1482
; %bb.1476:
	s_cmp_eq_u32 s15, 2
	s_cbranch_scc0 .LBB110_1619
; %bb.1477:
	s_waitcnt vmcnt(0)
	v_cmp_le_f32_e64 s[18:19], v3, v4
	s_branch .LBB110_1484
.LBB110_1478:
	s_or_b64 exec, exec, s[20:21]
	s_and_saveexec_b64 s[0:1], s[16:17]
	s_cbranch_execnz .LBB110_1567
.LBB110_1479:
	s_or_b64 exec, exec, s[0:1]
	s_and_saveexec_b64 s[0:1], s[28:29]
	s_xor_b64 s[0:1], exec, s[0:1]
	s_cbranch_execz .LBB110_1568
.LBB110_1480:
	v_cndmask_b32_e64 v2, 0, 1, s[18:19]
	global_store_byte v[0:1], v2, off
	s_or_b64 exec, exec, s[0:1]
	s_and_saveexec_b64 s[0:1], s[24:25]
	s_xor_b64 s[0:1], exec, s[0:1]
	s_cbranch_execz .LBB110_1606
	s_branch .LBB110_1569
.LBB110_1481:
                                        ; implicit-def: $sgpr18_sgpr19
	s_cbranch_execnz .LBB110_1485
	s_branch .LBB110_1486
.LBB110_1482:
                                        ; implicit-def: $sgpr18_sgpr19
	s_cbranch_execz .LBB110_1484
; %bb.1483:
	s_waitcnt vmcnt(0)
	v_cmp_gt_f32_e32 vcc, v3, v4
	s_andn2_b64 s[18:19], s[18:19], exec
	s_and_b64 s[26:27], vcc, exec
	s_or_b64 s[18:19], s[18:19], s[26:27]
.LBB110_1484:
	s_branch .LBB110_1486
.LBB110_1485:
	s_cmp_lg_u32 s15, 0
	s_mov_b64 s[0:1], -1
	s_cselect_b64 s[24:25], -1, 0
.LBB110_1486:
	s_andn2_b64 vcc, exec, s[24:25]
	s_cbranch_vccnz .LBB110_1488
; %bb.1487:
	s_waitcnt vmcnt(0)
	v_cmp_lt_f32_e32 vcc, v3, v4
	s_andn2_b64 s[18:19], s[18:19], exec
	s_and_b64 s[24:25], vcc, exec
	s_or_b64 s[18:19], s[18:19], s[24:25]
	s_cbranch_execz .LBB110_1489
	s_branch .LBB110_1490
.LBB110_1488:
	s_andn2_b64 vcc, exec, s[0:1]
	s_cbranch_vccnz .LBB110_1490
.LBB110_1489:
	s_waitcnt vmcnt(0)
	v_cmp_ge_f32_e32 vcc, v3, v4
	s_andn2_b64 s[0:1], s[18:19], exec
	s_and_b64 s[18:19], vcc, exec
	s_or_b64 s[18:19], s[0:1], s[18:19]
.LBB110_1490:
	v_mul_lo_u32 v0, v2, s12
	v_mov_b32_e32 v1, s9
	s_and_b32 s34, s33, 0xff
	s_cmp_lt_i32 s34, 11
	v_ashrrev_i32_e32 v2, 31, v0
	v_add_co_u32_e32 v0, vcc, s8, v0
	v_addc_co_u32_e32 v1, vcc, v1, v2, vcc
	s_cbranch_scc1 .LBB110_1564
; %bb.1491:
	s_and_b32 s35, 0xffff, s34
	s_mov_b64 s[26:27], -1
	s_cmp_gt_i32 s35, 25
	s_mov_b64 s[0:1], s[16:17]
	s_cbranch_scc0 .LBB110_1524
; %bb.1492:
	s_mov_b64 s[24:25], -1
	s_cmp_gt_i32 s35, 28
	s_mov_b64 s[0:1], s[16:17]
	s_cbranch_scc0 .LBB110_1508
; %bb.1493:
	s_cmp_gt_i32 s35, 43
	s_mov_b64 s[0:1], s[16:17]
	s_cbranch_scc0 .LBB110_1504
; %bb.1494:
	;; [unrolled: 4-line block ×3, first 2 shown]
	s_cmp_eq_u32 s35, 46
	s_mov_b64 s[0:1], -1
	s_cbranch_scc0 .LBB110_1497
; %bb.1496:
	v_cndmask_b32_e64 v2, 0, 1.0, s[18:19]
	s_waitcnt vmcnt(0)
	v_bfe_u32 v3, v2, 16, 1
	s_movk_i32 s0, 0x7fff
	v_add3_u32 v2, v2, v3, s0
	v_lshrrev_b32_e32 v2, 16, v2
	global_store_dword v[0:1], v2, off
	s_mov_b64 s[0:1], 0
.LBB110_1497:
	s_mov_b64 s[24:25], 0
.LBB110_1498:
	s_and_b64 vcc, exec, s[24:25]
	s_cbranch_vccz .LBB110_1503
; %bb.1499:
	s_cmp_eq_u32 s35, 44
	s_mov_b64 s[0:1], -1
	s_cbranch_scc0 .LBB110_1503
; %bb.1500:
	s_waitcnt vmcnt(0)
	v_cndmask_b32_e64 v3, 0, 1.0, s[18:19]
	v_lshrrev_b32_e32 v2, 23, v3
	s_movk_i32 s0, 0xff
	v_cmp_ne_u32_e32 vcc, s0, v2
	v_mov_b32_e32 v4, 0xff
	s_and_saveexec_b64 s[24:25], vcc
; %bb.1501:
	s_mov_b32 s0, 0x3fffff
	v_and_b32_e32 v4, 0x400000, v3
	v_and_or_b32 v3, v3, s0, v2
	v_cmp_ne_u32_e32 vcc, 0, v4
	v_cmp_ne_u32_e64 s[0:1], 0, v3
	s_and_b64 s[0:1], vcc, s[0:1]
	v_cndmask_b32_e64 v3, 0, 1, s[0:1]
	v_add_u32_e32 v4, v2, v3
; %bb.1502:
	s_or_b64 exec, exec, s[24:25]
	s_mov_b64 s[0:1], 0
	global_store_byte v[0:1], v4, off
.LBB110_1503:
	s_mov_b64 s[24:25], 0
.LBB110_1504:
	s_and_b64 vcc, exec, s[24:25]
	s_cbranch_vccz .LBB110_1507
; %bb.1505:
	s_cmp_eq_u32 s35, 29
	s_mov_b64 s[0:1], -1
	s_cbranch_scc0 .LBB110_1507
; %bb.1506:
	s_mov_b32 s0, 0
	v_cndmask_b32_e64 v2, 0, 1, s[18:19]
	s_waitcnt vmcnt(0)
	v_mov_b32_e32 v3, s0
	global_store_dwordx2 v[0:1], v[2:3], off
	s_mov_b64 s[0:1], 0
.LBB110_1507:
	s_mov_b64 s[24:25], 0
.LBB110_1508:
	s_and_b64 vcc, exec, s[24:25]
	s_cbranch_vccz .LBB110_1523
; %bb.1509:
	s_cmp_lt_i32 s35, 27
	s_mov_b64 s[24:25], -1
	s_cbranch_scc1 .LBB110_1515
; %bb.1510:
	s_cmp_gt_i32 s35, 27
	v_cndmask_b32_e64 v2, 0, 1, s[18:19]
	s_cbranch_scc0 .LBB110_1512
; %bb.1511:
	s_mov_b64 s[24:25], 0
	global_store_dword v[0:1], v2, off
.LBB110_1512:
	s_andn2_b64 vcc, exec, s[24:25]
	s_cbranch_vccnz .LBB110_1514
; %bb.1513:
	global_store_short v[0:1], v2, off
.LBB110_1514:
	s_mov_b64 s[24:25], 0
.LBB110_1515:
	s_andn2_b64 vcc, exec, s[24:25]
	s_cbranch_vccnz .LBB110_1523
; %bb.1516:
	s_waitcnt vmcnt(0)
	v_cndmask_b32_e64 v3, 0, 1.0, s[18:19]
	s_mov_b32 s24, 0x43800000
	v_cmp_gt_u32_e32 vcc, s24, v3
	v_mov_b32_e32 v4, 0x80
	s_and_saveexec_b64 s[24:25], vcc
	s_cbranch_execz .LBB110_1522
; %bb.1517:
	s_mov_b32 s26, 0x3bffffff
	v_cmp_lt_u32_e32 vcc, s26, v3
	s_mov_b64 s[26:27], 0
                                        ; implicit-def: $vgpr2
	s_and_saveexec_b64 s[28:29], vcc
	s_xor_b64 s[28:29], exec, s[28:29]
	s_cbranch_execz .LBB110_1622
; %bb.1518:
	v_bfe_u32 v2, v3, 20, 1
	s_mov_b32 s30, 0x487ffff
	v_add3_u32 v2, v3, v2, s30
	s_mov_b64 s[26:27], exec
	v_lshrrev_b32_e32 v2, 20, v2
                                        ; implicit-def: $vgpr3
	s_andn2_saveexec_b64 s[28:29], s[28:29]
	s_cbranch_execnz .LBB110_1623
.LBB110_1519:
	s_or_b64 exec, exec, s[28:29]
	v_mov_b32_e32 v4, 0
	s_and_saveexec_b64 s[28:29], s[26:27]
.LBB110_1520:
	v_mov_b32_e32 v4, v2
.LBB110_1521:
	s_or_b64 exec, exec, s[28:29]
.LBB110_1522:
	s_or_b64 exec, exec, s[24:25]
	global_store_byte v[0:1], v4, off
.LBB110_1523:
	s_mov_b64 s[26:27], 0
.LBB110_1524:
	s_mov_b64 s[24:25], 0
	s_and_b64 vcc, exec, s[26:27]
	s_cbranch_vccz .LBB110_1565
; %bb.1525:
	s_cmp_gt_i32 s35, 22
	s_mov_b64 s[26:27], -1
	s_cbranch_scc0 .LBB110_1557
; %bb.1526:
	s_cmp_lt_i32 s35, 24
	s_cbranch_scc1 .LBB110_1546
; %bb.1527:
	s_cmp_gt_i32 s35, 24
	s_cbranch_scc0 .LBB110_1535
; %bb.1528:
	s_waitcnt vmcnt(0)
	v_cndmask_b32_e64 v3, 0, 1.0, s[18:19]
	s_mov_b32 s26, 0x47800000
	v_cmp_gt_u32_e32 vcc, s26, v3
	v_mov_b32_e32 v4, 0x80
	s_and_saveexec_b64 s[26:27], vcc
	s_cbranch_execz .LBB110_1534
; %bb.1529:
	s_mov_b32 s28, 0x37ffffff
	v_cmp_lt_u32_e32 vcc, s28, v3
	s_mov_b64 s[28:29], 0
                                        ; implicit-def: $vgpr2
	s_and_saveexec_b64 s[30:31], vcc
	s_xor_b64 s[30:31], exec, s[30:31]
	s_cbranch_execz .LBB110_1747
; %bb.1530:
	v_bfe_u32 v2, v3, 21, 1
	s_mov_b32 s36, 0x88fffff
	v_add3_u32 v2, v3, v2, s36
	s_mov_b64 s[28:29], exec
	v_lshrrev_b32_e32 v2, 21, v2
                                        ; implicit-def: $vgpr3
	s_andn2_saveexec_b64 s[30:31], s[30:31]
	s_cbranch_execnz .LBB110_1748
.LBB110_1531:
	s_or_b64 exec, exec, s[30:31]
	v_mov_b32_e32 v4, 0
	s_and_saveexec_b64 s[30:31], s[28:29]
.LBB110_1532:
	v_mov_b32_e32 v4, v2
.LBB110_1533:
	s_or_b64 exec, exec, s[30:31]
.LBB110_1534:
	s_or_b64 exec, exec, s[26:27]
	s_mov_b64 s[26:27], 0
	global_store_byte v[0:1], v4, off
.LBB110_1535:
	s_and_b64 vcc, exec, s[26:27]
	s_cbranch_vccz .LBB110_1545
; %bb.1536:
	v_cndmask_b32_e64 v2, 0, 1.0, s[18:19]
	s_mov_b32 s26, 0x43f00000
	v_cmp_gt_u32_e32 vcc, s26, v2
                                        ; implicit-def: $vgpr3
	s_and_saveexec_b64 s[26:27], vcc
	s_xor_b64 s[26:27], exec, s[26:27]
	s_cbranch_execz .LBB110_1542
; %bb.1537:
	s_mov_b32 s28, 0x3c7fffff
	v_cmp_lt_u32_e32 vcc, s28, v2
                                        ; implicit-def: $vgpr3
	s_and_saveexec_b64 s[28:29], vcc
	s_xor_b64 s[28:29], exec, s[28:29]
	s_cbranch_execz .LBB110_1539
; %bb.1538:
	s_waitcnt vmcnt(0)
	v_bfe_u32 v3, v2, 20, 1
	s_mov_b32 s30, 0x407ffff
	v_add3_u32 v2, v2, v3, s30
	v_lshrrev_b32_e32 v3, 20, v2
	v_and_b32_e32 v2, 0xff00000, v2
	s_mov_b32 s30, 0x7f00000
	v_mov_b32_e32 v4, 0x7e
	v_cmp_ne_u32_e32 vcc, s30, v2
	v_cndmask_b32_e32 v3, v4, v3, vcc
                                        ; implicit-def: $vgpr2
.LBB110_1539:
	s_andn2_saveexec_b64 s[28:29], s[28:29]
	s_cbranch_execz .LBB110_1541
; %bb.1540:
	s_waitcnt vmcnt(0)
	v_add_f32_e32 v3, 0x46800000, v2
.LBB110_1541:
	s_or_b64 exec, exec, s[28:29]
                                        ; implicit-def: $vgpr2
.LBB110_1542:
	s_andn2_saveexec_b64 s[26:27], s[26:27]
	s_cbranch_execz .LBB110_1544
; %bb.1543:
	s_mov_b32 s28, 0x7f800000
	s_waitcnt vmcnt(0)
	v_mov_b32_e32 v3, 0x7e
	v_mov_b32_e32 v4, 0x7f
	v_cmp_lt_u32_e32 vcc, s28, v2
	v_cndmask_b32_e32 v3, v3, v4, vcc
.LBB110_1544:
	s_or_b64 exec, exec, s[26:27]
	s_waitcnt vmcnt(0)
	global_store_byte v[0:1], v3, off
.LBB110_1545:
	s_mov_b64 s[26:27], 0
.LBB110_1546:
	s_andn2_b64 vcc, exec, s[26:27]
	s_cbranch_vccnz .LBB110_1556
; %bb.1547:
	v_cndmask_b32_e64 v2, 0, 1.0, s[18:19]
	s_mov_b32 s26, 0x47800000
	v_cmp_gt_u32_e32 vcc, s26, v2
                                        ; implicit-def: $vgpr3
	s_and_saveexec_b64 s[26:27], vcc
	s_xor_b64 s[26:27], exec, s[26:27]
	s_cbranch_execz .LBB110_1553
; %bb.1548:
	s_mov_b32 s28, 0x387fffff
	v_cmp_lt_u32_e32 vcc, s28, v2
                                        ; implicit-def: $vgpr3
	s_and_saveexec_b64 s[28:29], vcc
	s_xor_b64 s[28:29], exec, s[28:29]
	s_cbranch_execz .LBB110_1550
; %bb.1549:
	s_waitcnt vmcnt(0)
	v_bfe_u32 v3, v2, 21, 1
	s_mov_b32 s30, 0x80fffff
	v_add3_u32 v2, v2, v3, s30
	v_lshrrev_b32_e32 v3, 21, v2
                                        ; implicit-def: $vgpr2
.LBB110_1550:
	s_andn2_saveexec_b64 s[28:29], s[28:29]
	s_cbranch_execz .LBB110_1552
; %bb.1551:
	s_waitcnt vmcnt(0)
	v_add_f32_e32 v3, 0x43000000, v2
.LBB110_1552:
	s_or_b64 exec, exec, s[28:29]
                                        ; implicit-def: $vgpr2
.LBB110_1553:
	s_andn2_saveexec_b64 s[26:27], s[26:27]
	s_cbranch_execz .LBB110_1555
; %bb.1554:
	s_mov_b32 s28, 0x7f800000
	s_waitcnt vmcnt(0)
	v_mov_b32_e32 v3, 0x7c
	v_mov_b32_e32 v4, 0x7f
	v_cmp_lt_u32_e32 vcc, s28, v2
	v_cndmask_b32_e32 v3, v3, v4, vcc
.LBB110_1555:
	s_or_b64 exec, exec, s[26:27]
	s_waitcnt vmcnt(0)
	global_store_byte v[0:1], v3, off
.LBB110_1556:
	s_mov_b64 s[26:27], 0
.LBB110_1557:
	s_andn2_b64 vcc, exec, s[26:27]
	s_mov_b64 s[26:27], 0
	s_cbranch_vccnz .LBB110_1566
; %bb.1558:
	s_cmp_gt_i32 s35, 14
	s_mov_b64 s[28:29], -1
	s_cbranch_scc0 .LBB110_1562
; %bb.1559:
	s_cmp_eq_u32 s35, 15
	s_mov_b64 s[0:1], -1
	s_cbranch_scc0 .LBB110_1561
; %bb.1560:
	v_cndmask_b32_e64 v2, 0, 1.0, s[18:19]
	s_waitcnt vmcnt(0)
	v_bfe_u32 v3, v2, 16, 1
	s_movk_i32 s0, 0x7fff
	v_add3_u32 v2, v2, v3, s0
	global_store_short_d16_hi v[0:1], v2, off
	s_mov_b64 s[0:1], 0
.LBB110_1561:
	s_mov_b64 s[28:29], 0
.LBB110_1562:
	s_and_b64 vcc, exec, s[28:29]
	s_cbranch_vccz .LBB110_1566
; %bb.1563:
	s_cmp_lg_u32 s35, 11
	s_cselect_b64 s[28:29], -1, 0
	s_andn2_b64 s[0:1], s[0:1], exec
	s_and_b64 s[28:29], s[28:29], exec
	s_mov_b64 s[26:27], -1
	s_or_b64 s[0:1], s[0:1], s[28:29]
	s_branch .LBB110_1566
.LBB110_1564:
	s_mov_b64 s[26:27], 0
	s_mov_b64 s[24:25], -1
	s_mov_b64 s[0:1], s[16:17]
	s_branch .LBB110_1566
.LBB110_1565:
	s_mov_b64 s[26:27], 0
.LBB110_1566:
	s_andn2_b64 s[16:17], s[16:17], exec
	s_and_b64 s[0:1], s[0:1], exec
	s_and_b64 s[24:25], s[24:25], exec
	;; [unrolled: 1-line block ×3, first 2 shown]
	s_or_b64 s[16:17], s[16:17], s[0:1]
	s_or_b64 exec, exec, s[20:21]
	s_and_saveexec_b64 s[0:1], s[16:17]
	s_cbranch_execz .LBB110_1479
.LBB110_1567:
	s_or_b64 s[22:23], s[22:23], exec
	s_andn2_b64 s[28:29], s[28:29], exec
	s_trap 2
	s_or_b64 exec, exec, s[0:1]
	s_and_saveexec_b64 s[0:1], s[28:29]
	s_xor_b64 s[0:1], exec, s[0:1]
	s_cbranch_execnz .LBB110_1480
.LBB110_1568:
	s_or_b64 exec, exec, s[0:1]
	s_and_saveexec_b64 s[0:1], s[24:25]
	s_xor_b64 s[0:1], exec, s[0:1]
	s_cbranch_execz .LBB110_1606
.LBB110_1569:
	s_sext_i32_i16 s20, s34
	s_cmp_lt_i32 s20, 5
	s_mov_b64 s[16:17], -1
	s_cbranch_scc1 .LBB110_1590
; %bb.1570:
	s_cmp_lt_i32 s20, 8
	s_cbranch_scc1 .LBB110_1580
; %bb.1571:
	s_cmp_lt_i32 s20, 9
	s_cbranch_scc1 .LBB110_1577
; %bb.1572:
	s_cmp_gt_i32 s20, 9
	s_cbranch_scc0 .LBB110_1574
; %bb.1573:
	v_cndmask_b32_e64 v2, 0, 1, s[18:19]
	s_waitcnt vmcnt(0)
	v_cvt_f64_u32_e32 v[2:3], v2
	v_mov_b32_e32 v4, 0
	v_mov_b32_e32 v5, v4
	s_mov_b64 s[16:17], 0
	global_store_dwordx4 v[0:1], v[2:5], off
.LBB110_1574:
	s_andn2_b64 vcc, exec, s[16:17]
	s_cbranch_vccnz .LBB110_1576
; %bb.1575:
	v_cndmask_b32_e64 v2, 0, 1.0, s[18:19]
	s_waitcnt vmcnt(0)
	v_mov_b32_e32 v3, 0
	global_store_dwordx2 v[0:1], v[2:3], off
.LBB110_1576:
	s_mov_b64 s[16:17], 0
.LBB110_1577:
	s_andn2_b64 vcc, exec, s[16:17]
	s_cbranch_vccnz .LBB110_1579
; %bb.1578:
	v_cndmask_b32_e64 v2, 0, 1.0, s[18:19]
	v_cvt_f16_f32_e32 v2, v2
	global_store_dword v[0:1], v2, off
.LBB110_1579:
	s_mov_b64 s[16:17], 0
.LBB110_1580:
	s_andn2_b64 vcc, exec, s[16:17]
	s_cbranch_vccnz .LBB110_1589
; %bb.1581:
	s_sext_i32_i16 s20, s34
	s_cmp_lt_i32 s20, 6
	s_mov_b64 s[16:17], -1
	s_cbranch_scc1 .LBB110_1587
; %bb.1582:
	s_cmp_gt_i32 s20, 6
	s_cbranch_scc0 .LBB110_1584
; %bb.1583:
	v_cndmask_b32_e64 v2, 0, 1, s[18:19]
	s_waitcnt vmcnt(0)
	v_cvt_f64_u32_e32 v[2:3], v2
	s_mov_b64 s[16:17], 0
	global_store_dwordx2 v[0:1], v[2:3], off
.LBB110_1584:
	s_andn2_b64 vcc, exec, s[16:17]
	s_cbranch_vccnz .LBB110_1586
; %bb.1585:
	v_cndmask_b32_e64 v2, 0, 1.0, s[18:19]
	global_store_dword v[0:1], v2, off
.LBB110_1586:
	s_mov_b64 s[16:17], 0
.LBB110_1587:
	s_andn2_b64 vcc, exec, s[16:17]
	s_cbranch_vccnz .LBB110_1589
; %bb.1588:
	v_cndmask_b32_e64 v2, 0, 1.0, s[18:19]
	v_cvt_f16_f32_e32 v2, v2
	global_store_short v[0:1], v2, off
.LBB110_1589:
	s_mov_b64 s[16:17], 0
.LBB110_1590:
	s_andn2_b64 vcc, exec, s[16:17]
	s_cbranch_vccnz .LBB110_1606
; %bb.1591:
	s_sext_i32_i16 s20, s34
	s_cmp_lt_i32 s20, 2
	s_mov_b64 s[16:17], -1
	s_cbranch_scc1 .LBB110_1601
; %bb.1592:
	s_cmp_lt_i32 s20, 3
	s_cbranch_scc1 .LBB110_1598
; %bb.1593:
	s_cmp_gt_i32 s20, 3
	s_cbranch_scc0 .LBB110_1595
; %bb.1594:
	s_mov_b32 s16, 0
	v_cndmask_b32_e64 v2, 0, 1, s[18:19]
	s_waitcnt vmcnt(0)
	v_mov_b32_e32 v3, s16
	s_mov_b64 s[16:17], 0
	global_store_dwordx2 v[0:1], v[2:3], off
.LBB110_1595:
	s_andn2_b64 vcc, exec, s[16:17]
	s_cbranch_vccnz .LBB110_1597
; %bb.1596:
	v_cndmask_b32_e64 v2, 0, 1, s[18:19]
	global_store_dword v[0:1], v2, off
.LBB110_1597:
	s_mov_b64 s[16:17], 0
.LBB110_1598:
	s_andn2_b64 vcc, exec, s[16:17]
	s_cbranch_vccnz .LBB110_1600
; %bb.1599:
	v_cndmask_b32_e64 v2, 0, 1, s[18:19]
	global_store_short v[0:1], v2, off
.LBB110_1600:
	s_mov_b64 s[16:17], 0
.LBB110_1601:
	s_andn2_b64 vcc, exec, s[16:17]
	s_cbranch_vccnz .LBB110_1606
; %bb.1602:
	s_sext_i32_i16 s20, s34
	s_mov_b64 s[16:17], -1
	s_cmp_gt_i32 s20, 0
	v_cndmask_b32_e64 v2, 0, 1, s[18:19]
	s_cbranch_scc0 .LBB110_1604
; %bb.1603:
	s_mov_b64 s[16:17], 0
	global_store_byte v[0:1], v2, off
.LBB110_1604:
	s_andn2_b64 vcc, exec, s[16:17]
	s_cbranch_vccnz .LBB110_1606
; %bb.1605:
	global_store_byte v[0:1], v2, off
.LBB110_1606:
	s_or_b64 exec, exec, s[0:1]
	s_and_b64 s[16:17], s[22:23], exec
                                        ; implicit-def: $vgpr2
.LBB110_1607:
	s_or_saveexec_b64 s[6:7], s[6:7]
	s_mov_b64 s[0:1], 0
                                        ; implicit-def: $sgpr24_sgpr25
                                        ; implicit-def: $sgpr28
                                        ; implicit-def: $vgpr0_vgpr1
	s_xor_b64 exec, exec, s[6:7]
	s_cbranch_execz .LBB110_2700
; %bb.1608:
	s_waitcnt vmcnt(0)
	v_mul_lo_u32 v3, s13, v2
	v_mov_b32_e32 v1, s11
	s_and_b32 s30, s55, 0xff
	s_cmp_lt_i32 s30, 11
	v_ashrrev_i32_e32 v4, 31, v3
	v_add_co_u32_e32 v0, vcc, s10, v3
	v_addc_co_u32_e32 v1, vcc, v1, v4, vcc
	s_cbranch_scc1 .LBB110_1615
; %bb.1609:
	s_and_b32 s24, 0xffff, s30
	s_cmp_gt_i32 s24, 25
	s_cbranch_scc0 .LBB110_1617
; %bb.1610:
	s_cmp_gt_i32 s24, 28
	s_cbranch_scc0 .LBB110_1618
; %bb.1611:
	;; [unrolled: 3-line block ×4, first 2 shown]
	s_cmp_eq_u32 s24, 46
	s_mov_b64 s[18:19], 0
	s_cbranch_scc0 .LBB110_1624
; %bb.1614:
	global_load_dword v4, v[0:1], off
	s_mov_b64 s[20:21], -1
	s_waitcnt vmcnt(0)
	v_lshlrev_b32_e32 v5, 16, v4
	s_branch .LBB110_1625
.LBB110_1615:
	s_mov_b64 s[20:21], 0
                                        ; implicit-def: $vgpr5
	s_mov_b64 s[18:19], s[16:17]
	s_cbranch_execnz .LBB110_1688
.LBB110_1616:
	s_andn2_b64 vcc, exec, s[20:21]
	s_cbranch_vccz .LBB110_1733
	s_branch .LBB110_2697
.LBB110_1617:
	s_mov_b64 s[20:21], 0
                                        ; implicit-def: $vgpr5
	s_cbranch_execnz .LBB110_1653
	s_branch .LBB110_1684
.LBB110_1618:
	s_mov_b64 s[18:19], -1
	s_mov_b64 s[20:21], 0
                                        ; implicit-def: $vgpr5
	s_branch .LBB110_1634
.LBB110_1619:
	s_mov_b64 s[24:25], -1
                                        ; implicit-def: $sgpr18_sgpr19
	s_branch .LBB110_1484
.LBB110_1620:
	s_mov_b64 s[20:21], 0
                                        ; implicit-def: $vgpr5
	s_cbranch_execnz .LBB110_1630
	s_branch .LBB110_1633
.LBB110_1621:
	s_mov_b64 s[18:19], -1
	s_mov_b64 s[20:21], 0
                                        ; implicit-def: $vgpr5
	s_branch .LBB110_1625
.LBB110_1622:
	s_andn2_saveexec_b64 s[28:29], s[28:29]
	s_cbranch_execz .LBB110_1519
.LBB110_1623:
	v_add_f32_e32 v2, 0x46000000, v3
	v_and_b32_e32 v2, 0xff, v2
	v_cmp_ne_u32_e32 vcc, 0, v2
	s_andn2_b64 s[26:27], s[26:27], exec
	s_and_b64 s[30:31], vcc, exec
	s_or_b64 s[26:27], s[26:27], s[30:31]
	s_or_b64 exec, exec, s[28:29]
	v_mov_b32_e32 v4, 0
	s_and_saveexec_b64 s[28:29], s[26:27]
	s_cbranch_execnz .LBB110_1520
	s_branch .LBB110_1521
.LBB110_1624:
	s_mov_b64 s[0:1], -1
                                        ; implicit-def: $vgpr5
	s_mov_b64 s[20:21], 0
.LBB110_1625:
	s_and_b64 vcc, exec, s[18:19]
	s_cbranch_vccz .LBB110_1628
; %bb.1626:
	s_cmp_eq_u32 s24, 44
	s_cbranch_scc0 .LBB110_1629
; %bb.1627:
	global_load_ubyte v4, v[0:1], off
	s_movk_i32 s18, 0xff
	v_mov_b32_e32 v5, 0x7f800001
	v_mov_b32_e32 v6, 0x400000
	s_mov_b64 s[0:1], 0
	s_mov_b64 s[20:21], -1
	s_waitcnt vmcnt(0)
	v_lshlrev_b32_e32 v7, 23, v4
	v_cmp_ne_u32_e32 vcc, s18, v4
	v_cndmask_b32_e32 v5, v5, v7, vcc
	v_cmp_ne_u32_e32 vcc, 0, v4
	v_cndmask_b32_e32 v5, v6, v5, vcc
.LBB110_1628:
	s_branch .LBB110_1633
.LBB110_1629:
	s_mov_b64 s[0:1], -1
                                        ; implicit-def: $vgpr5
	s_branch .LBB110_1633
.LBB110_1630:
	s_cmp_eq_u32 s24, 29
	s_cbranch_scc0 .LBB110_1632
; %bb.1631:
	global_load_dwordx2 v[4:5], v[0:1], off
	s_mov_b64 s[0:1], 0
	s_mov_b64 s[20:21], -1
	s_mov_b64 s[18:19], 0
	s_waitcnt vmcnt(0)
	v_ffbh_u32_e32 v6, v5
	v_min_u32_e32 v6, 32, v6
	v_lshlrev_b64 v[4:5], v6, v[4:5]
	v_min_u32_e32 v4, 1, v4
	v_or_b32_e32 v4, v5, v4
	v_cvt_f32_u32_e32 v4, v4
	v_sub_u32_e32 v5, 32, v6
	v_ldexp_f32 v5, v4, v5
	s_branch .LBB110_1634
.LBB110_1632:
	s_mov_b64 s[0:1], -1
                                        ; implicit-def: $vgpr5
.LBB110_1633:
	s_mov_b64 s[18:19], 0
.LBB110_1634:
	s_and_b64 vcc, exec, s[18:19]
	s_cbranch_vccz .LBB110_1652
; %bb.1635:
	s_cmp_lt_i32 s24, 27
	s_cbranch_scc1 .LBB110_1638
; %bb.1636:
	s_cmp_gt_i32 s24, 27
	s_cbranch_scc0 .LBB110_1639
; %bb.1637:
	global_load_dword v4, v[0:1], off
	s_mov_b64 s[18:19], 0
	s_waitcnt vmcnt(0)
	v_cvt_f32_u32_e32 v5, v4
	s_branch .LBB110_1640
.LBB110_1638:
	s_mov_b64 s[18:19], -1
                                        ; implicit-def: $vgpr5
	s_branch .LBB110_1643
.LBB110_1639:
	s_mov_b64 s[18:19], -1
                                        ; implicit-def: $vgpr5
.LBB110_1640:
	s_andn2_b64 vcc, exec, s[18:19]
	s_cbranch_vccnz .LBB110_1642
; %bb.1641:
	global_load_ushort v4, v[0:1], off
	s_waitcnt vmcnt(0)
	v_cvt_f32_u32_e32 v5, v4
.LBB110_1642:
	s_mov_b64 s[18:19], 0
.LBB110_1643:
	s_andn2_b64 vcc, exec, s[18:19]
	s_cbranch_vccnz .LBB110_1651
; %bb.1644:
	global_load_ubyte v4, v[0:1], off
	s_movk_i32 s18, 0x7f
	s_waitcnt vmcnt(0)
	v_cmp_lt_i16_e32 vcc, s18, v4
	s_mov_b64 s[18:19], 0
	s_and_saveexec_b64 s[20:21], vcc
	s_xor_b64 s[20:21], exec, s[20:21]
	s_cbranch_execz .LBB110_1664
; %bb.1645:
	s_movk_i32 s18, 0x80
	v_cmp_eq_u16_e32 vcc, s18, v4
	s_mov_b64 s[18:19], -1
	s_and_saveexec_b64 s[22:23], vcc
; %bb.1646:
	s_xor_b64 s[18:19], exec, -1
; %bb.1647:
	s_or_b64 exec, exec, s[22:23]
	s_and_b64 s[18:19], s[18:19], exec
	s_or_saveexec_b64 s[20:21], s[20:21]
	v_mov_b32_e32 v5, 0x7f800001
	s_xor_b64 exec, exec, s[20:21]
	s_cbranch_execnz .LBB110_1665
.LBB110_1648:
	s_or_b64 exec, exec, s[20:21]
	s_and_saveexec_b64 s[20:21], s[18:19]
	s_cbranch_execz .LBB110_1650
.LBB110_1649:
	v_lshlrev_b32_e32 v5, 24, v4
	v_and_b32_e32 v4, 0xffff, v4
	v_and_b32_e32 v6, 7, v4
	v_ffbh_u32_e32 v8, v6
	v_min_u32_e32 v8, 32, v8
	v_subrev_u32_e32 v9, 28, v8
	v_bfe_u32 v7, v4, 3, 4
	v_lshlrev_b32_e32 v4, v9, v4
	v_sub_u32_e32 v8, 29, v8
	v_and_b32_e32 v4, 7, v4
	v_cmp_eq_u32_e32 vcc, 0, v7
	v_cndmask_b32_e32 v7, v7, v8, vcc
	v_cndmask_b32_e32 v4, v6, v4, vcc
	v_mov_b32_e32 v6, 0x3b800000
	v_lshlrev_b32_e32 v4, 20, v4
	v_and_b32_e32 v5, 0x80000000, v5
	v_lshl_add_u32 v6, v7, 23, v6
	v_or3_b32 v5, v5, v6, v4
.LBB110_1650:
	s_or_b64 exec, exec, s[20:21]
.LBB110_1651:
	s_mov_b64 s[20:21], -1
.LBB110_1652:
	s_branch .LBB110_1684
.LBB110_1653:
	s_cmp_gt_i32 s24, 22
	s_cbranch_scc0 .LBB110_1663
; %bb.1654:
	s_cmp_lt_i32 s24, 24
	s_cbranch_scc1 .LBB110_1666
; %bb.1655:
	s_cmp_gt_i32 s24, 24
	s_cbranch_scc0 .LBB110_1667
; %bb.1656:
	global_load_ubyte v4, v[0:1], off
	s_movk_i32 s4, 0x7f
	s_waitcnt vmcnt(0)
	v_cmp_lt_i16_e32 vcc, s4, v4
	s_mov_b64 s[4:5], 0
	s_and_saveexec_b64 s[18:19], vcc
	s_xor_b64 s[18:19], exec, s[18:19]
	s_cbranch_execz .LBB110_1678
; %bb.1657:
	s_movk_i32 s4, 0x80
	v_cmp_eq_u16_e32 vcc, s4, v4
	s_mov_b64 s[4:5], -1
	s_and_saveexec_b64 s[20:21], vcc
; %bb.1658:
	s_xor_b64 s[4:5], exec, -1
; %bb.1659:
	s_or_b64 exec, exec, s[20:21]
	s_and_b64 s[4:5], s[4:5], exec
	s_or_saveexec_b64 s[18:19], s[18:19]
	v_mov_b32_e32 v5, 0x7f800001
	s_xor_b64 exec, exec, s[18:19]
	s_cbranch_execnz .LBB110_1679
.LBB110_1660:
	s_or_b64 exec, exec, s[18:19]
	s_and_saveexec_b64 s[18:19], s[4:5]
	s_cbranch_execz .LBB110_1662
.LBB110_1661:
	v_lshlrev_b32_e32 v5, 24, v4
	v_and_b32_e32 v4, 0xffff, v4
	v_and_b32_e32 v6, 3, v4
	v_ffbh_u32_e32 v8, v6
	v_min_u32_e32 v8, 32, v8
	v_subrev_u32_e32 v9, 29, v8
	v_bfe_u32 v7, v4, 2, 5
	v_lshlrev_b32_e32 v4, v9, v4
	v_sub_u32_e32 v8, 30, v8
	v_and_b32_e32 v4, 3, v4
	v_cmp_eq_u32_e32 vcc, 0, v7
	v_cndmask_b32_e32 v7, v7, v8, vcc
	v_cndmask_b32_e32 v4, v6, v4, vcc
	v_mov_b32_e32 v6, 0x37800000
	v_lshlrev_b32_e32 v4, 21, v4
	v_and_b32_e32 v5, 0x80000000, v5
	v_lshl_add_u32 v6, v7, 23, v6
	v_or3_b32 v5, v5, v6, v4
.LBB110_1662:
	s_or_b64 exec, exec, s[18:19]
	s_mov_b64 s[4:5], 0
	s_branch .LBB110_1668
.LBB110_1663:
                                        ; implicit-def: $vgpr5
	s_mov_b64 s[4:5], 0
	s_branch .LBB110_1674
.LBB110_1664:
	s_or_saveexec_b64 s[20:21], s[20:21]
	v_mov_b32_e32 v5, 0x7f800001
	s_xor_b64 exec, exec, s[20:21]
	s_cbranch_execz .LBB110_1648
.LBB110_1665:
	v_cmp_ne_u16_e32 vcc, 0, v4
	s_andn2_b64 s[18:19], s[18:19], exec
	s_and_b64 s[22:23], vcc, exec
	v_mov_b32_e32 v5, 0
	s_or_b64 s[18:19], s[18:19], s[22:23]
	s_or_b64 exec, exec, s[20:21]
	s_and_saveexec_b64 s[20:21], s[18:19]
	s_cbranch_execnz .LBB110_1649
	s_branch .LBB110_1650
.LBB110_1666:
	s_mov_b64 s[4:5], -1
                                        ; implicit-def: $vgpr5
	s_branch .LBB110_1671
.LBB110_1667:
	s_mov_b64 s[4:5], -1
                                        ; implicit-def: $vgpr5
.LBB110_1668:
	s_and_b64 vcc, exec, s[4:5]
	s_cbranch_vccz .LBB110_1670
; %bb.1669:
	global_load_ubyte v4, v[0:1], off
	s_mov_b32 s4, 0x7f800000
	s_waitcnt vmcnt(0)
	v_lshlrev_b32_e32 v4, 24, v4
	v_and_b32_e32 v5, 0x7f000000, v4
	v_ffbh_u32_e32 v6, v5
	v_min_u32_e32 v6, 32, v6
	v_sub_u32_e64 v6, v6, 4 clamp
	v_lshlrev_b32_e32 v8, v6, v5
	v_lshlrev_b32_e32 v6, 23, v6
	v_lshrrev_b32_e32 v8, 4, v8
	v_add_u32_e32 v7, 0x1000000, v5
	v_sub_u32_e32 v6, v8, v6
	v_ashrrev_i32_e32 v7, 8, v7
	v_add_u32_e32 v6, 0x3c000000, v6
	v_and_or_b32 v6, v7, s4, v6
	v_cmp_ne_u32_e32 vcc, 0, v5
	v_cndmask_b32_e32 v5, 0, v6, vcc
	s_brev_b32 s4, 1
	v_and_or_b32 v5, v4, s4, v5
.LBB110_1670:
	s_mov_b64 s[4:5], 0
.LBB110_1671:
	s_andn2_b64 vcc, exec, s[4:5]
	s_cbranch_vccnz .LBB110_1673
; %bb.1672:
	global_load_ubyte v4, v[0:1], off
	s_movk_i32 s4, 0x7f00
	s_brev_b32 s5, 16
	s_waitcnt vmcnt(0)
	v_lshlrev_b16_e32 v5, 8, v4
	v_lshlrev_b32_e32 v4, 25, v4
	v_lshrrev_b32_e32 v6, 4, v4
	v_and_or_b32 v7, v5, s4, 0.5
	v_or_b32_e32 v6, 0x70000000, v6
	v_add_f32_e32 v7, -0.5, v7
	v_mul_f32_e32 v6, 0x7800000, v6
	v_cmp_gt_u32_e32 vcc, s5, v4
	v_bfe_i32 v5, v5, 0, 16
	v_cndmask_b32_e32 v4, v6, v7, vcc
	s_brev_b32 s4, 1
	v_and_or_b32 v5, v5, s4, v4
.LBB110_1673:
	s_mov_b64 s[20:21], -1
	s_mov_b64 s[4:5], 0
	s_cbranch_execnz .LBB110_1684
.LBB110_1674:
	s_cmp_gt_i32 s24, 14
	s_cbranch_scc0 .LBB110_1677
; %bb.1675:
	s_cmp_eq_u32 s24, 15
	s_cbranch_scc0 .LBB110_1680
; %bb.1676:
	global_load_ushort v4, v[0:1], off
	s_mov_b64 s[0:1], 0
	s_mov_b64 s[20:21], -1
	s_waitcnt vmcnt(0)
	v_lshlrev_b32_e32 v5, 16, v4
	s_branch .LBB110_1681
.LBB110_1677:
	s_mov_b64 s[18:19], -1
                                        ; implicit-def: $vgpr5
	s_branch .LBB110_1682
.LBB110_1678:
	s_or_saveexec_b64 s[18:19], s[18:19]
	v_mov_b32_e32 v5, 0x7f800001
	s_xor_b64 exec, exec, s[18:19]
	s_cbranch_execz .LBB110_1660
.LBB110_1679:
	v_cmp_ne_u16_e32 vcc, 0, v4
	s_andn2_b64 s[4:5], s[4:5], exec
	s_and_b64 s[20:21], vcc, exec
	v_mov_b32_e32 v5, 0
	s_or_b64 s[4:5], s[4:5], s[20:21]
	s_or_b64 exec, exec, s[18:19]
	s_and_saveexec_b64 s[18:19], s[4:5]
	s_cbranch_execnz .LBB110_1661
	s_branch .LBB110_1662
.LBB110_1680:
	s_mov_b64 s[0:1], -1
                                        ; implicit-def: $vgpr5
.LBB110_1681:
	s_mov_b64 s[18:19], 0
.LBB110_1682:
	s_and_b64 vcc, exec, s[18:19]
	s_cbranch_vccz .LBB110_1684
; %bb.1683:
	s_cmp_lg_u32 s24, 11
	s_mov_b64 s[4:5], -1
	s_cselect_b64 s[0:1], -1, 0
.LBB110_1684:
	s_and_b64 vcc, exec, s[0:1]
	s_mov_b64 s[18:19], s[16:17]
	s_cbranch_vccnz .LBB110_1745
; %bb.1685:
	s_andn2_b64 vcc, exec, s[4:5]
	s_cbranch_vccnz .LBB110_1687
.LBB110_1686:
	global_load_ubyte v4, v[0:1], off
	s_mov_b64 s[20:21], -1
	s_waitcnt vmcnt(0)
	v_cmp_ne_u16_e32 vcc, 0, v4
	v_cndmask_b32_e64 v5, 0, 1.0, vcc
.LBB110_1687:
	s_branch .LBB110_1616
.LBB110_1688:
	s_and_b32 s4, 0xffff, s30
	s_cmp_lt_i32 s4, 5
	s_cbranch_scc1 .LBB110_1693
; %bb.1689:
	s_cmp_lt_i32 s4, 8
	s_cbranch_scc1 .LBB110_1694
; %bb.1690:
	;; [unrolled: 3-line block ×3, first 2 shown]
	s_cmp_gt_i32 s4, 9
	s_cbranch_scc0 .LBB110_1696
; %bb.1692:
	global_load_dwordx2 v[4:5], v[0:1], off
	s_mov_b64 s[0:1], 0
	s_waitcnt vmcnt(0)
	v_cvt_f32_f64_e32 v5, v[4:5]
	s_branch .LBB110_1697
.LBB110_1693:
                                        ; implicit-def: $vgpr5
	s_branch .LBB110_1714
.LBB110_1694:
                                        ; implicit-def: $vgpr5
	s_branch .LBB110_1703
.LBB110_1695:
	s_mov_b64 s[0:1], -1
                                        ; implicit-def: $vgpr5
	s_branch .LBB110_1700
.LBB110_1696:
	s_mov_b64 s[0:1], -1
                                        ; implicit-def: $vgpr5
.LBB110_1697:
	s_andn2_b64 vcc, exec, s[0:1]
	s_cbranch_vccnz .LBB110_1699
; %bb.1698:
	global_load_dword v5, v[0:1], off
.LBB110_1699:
	s_mov_b64 s[0:1], 0
.LBB110_1700:
	s_andn2_b64 vcc, exec, s[0:1]
	s_cbranch_vccnz .LBB110_1702
; %bb.1701:
	global_load_dword v4, v[0:1], off
	s_waitcnt vmcnt(0)
	v_cvt_f32_f16_e32 v5, v4
.LBB110_1702:
	s_cbranch_execnz .LBB110_1713
.LBB110_1703:
	s_cmp_lt_i32 s4, 6
	s_cbranch_scc1 .LBB110_1706
; %bb.1704:
	s_cmp_gt_i32 s4, 6
	s_cbranch_scc0 .LBB110_1707
; %bb.1705:
	global_load_dwordx2 v[4:5], v[0:1], off
	s_mov_b64 s[0:1], 0
	s_waitcnt vmcnt(0)
	v_cvt_f32_f64_e32 v5, v[4:5]
	s_branch .LBB110_1708
.LBB110_1706:
	s_mov_b64 s[0:1], -1
                                        ; implicit-def: $vgpr5
	s_branch .LBB110_1711
.LBB110_1707:
	s_mov_b64 s[0:1], -1
                                        ; implicit-def: $vgpr5
.LBB110_1708:
	s_andn2_b64 vcc, exec, s[0:1]
	s_cbranch_vccnz .LBB110_1710
; %bb.1709:
	global_load_dword v5, v[0:1], off
.LBB110_1710:
	s_mov_b64 s[0:1], 0
.LBB110_1711:
	s_andn2_b64 vcc, exec, s[0:1]
	s_cbranch_vccnz .LBB110_1713
; %bb.1712:
	global_load_ushort v4, v[0:1], off
	s_waitcnt vmcnt(0)
	v_cvt_f32_f16_e32 v5, v4
.LBB110_1713:
	s_cbranch_execnz .LBB110_1732
.LBB110_1714:
	s_cmp_lt_i32 s4, 2
	s_cbranch_scc1 .LBB110_1718
; %bb.1715:
	s_cmp_lt_i32 s4, 3
	s_cbranch_scc1 .LBB110_1719
; %bb.1716:
	s_cmp_gt_i32 s4, 3
	s_cbranch_scc0 .LBB110_1720
; %bb.1717:
	global_load_dwordx2 v[4:5], v[0:1], off
	s_mov_b64 s[0:1], 0
	s_waitcnt vmcnt(0)
	v_xor_b32_e32 v7, v4, v5
	v_ffbh_i32_e32 v6, v5
	v_ashrrev_i32_e32 v7, 31, v7
	v_add_u32_e32 v6, -1, v6
	v_add_u32_e32 v7, 32, v7
	v_min_u32_e32 v6, v6, v7
	v_lshlrev_b64 v[4:5], v6, v[4:5]
	v_min_u32_e32 v4, 1, v4
	v_or_b32_e32 v4, v5, v4
	v_cvt_f32_i32_e32 v4, v4
	v_sub_u32_e32 v5, 32, v6
	v_ldexp_f32 v5, v4, v5
	s_branch .LBB110_1721
.LBB110_1718:
                                        ; implicit-def: $vgpr5
	s_branch .LBB110_1727
.LBB110_1719:
	s_mov_b64 s[0:1], -1
                                        ; implicit-def: $vgpr5
	s_branch .LBB110_1724
.LBB110_1720:
	s_mov_b64 s[0:1], -1
                                        ; implicit-def: $vgpr5
.LBB110_1721:
	s_andn2_b64 vcc, exec, s[0:1]
	s_cbranch_vccnz .LBB110_1723
; %bb.1722:
	global_load_dword v4, v[0:1], off
	s_waitcnt vmcnt(0)
	v_cvt_f32_i32_e32 v5, v4
.LBB110_1723:
	s_mov_b64 s[0:1], 0
.LBB110_1724:
	s_andn2_b64 vcc, exec, s[0:1]
	s_cbranch_vccnz .LBB110_1726
; %bb.1725:
	global_load_sshort v4, v[0:1], off
	s_waitcnt vmcnt(0)
	v_cvt_f32_i32_e32 v5, v4
.LBB110_1726:
	s_cbranch_execnz .LBB110_1732
.LBB110_1727:
	s_cmp_gt_i32 s4, 0
	s_cbranch_scc0 .LBB110_1729
; %bb.1728:
	global_load_sbyte v4, v[0:1], off
	s_mov_b64 s[0:1], 0
	s_waitcnt vmcnt(0)
	v_cvt_f32_i32_e32 v5, v4
	s_branch .LBB110_1730
.LBB110_1729:
	s_mov_b64 s[0:1], -1
                                        ; implicit-def: $vgpr5
.LBB110_1730:
	s_andn2_b64 vcc, exec, s[0:1]
	s_cbranch_vccnz .LBB110_1732
; %bb.1731:
	global_load_ubyte v0, v[0:1], off
	s_waitcnt vmcnt(0)
	v_cvt_f32_ubyte0_e32 v5, v0
.LBB110_1732:
.LBB110_1733:
	v_mul_lo_u32 v4, s14, v2
	v_mov_b32_e32 v1, s3
	s_and_b32 s31, s54, 0xff
	s_cmp_lt_i32 s31, 11
	v_ashrrev_i32_e32 v6, 31, v4
	v_add_co_u32_e32 v0, vcc, s2, v4
	v_addc_co_u32_e32 v1, vcc, v1, v6, vcc
	s_cbranch_scc1 .LBB110_1740
; %bb.1734:
	s_and_b32 s26, 0xffff, s31
	s_cmp_gt_i32 s26, 25
	s_mov_b64 s[4:5], 0
	s_cbranch_scc0 .LBB110_1742
; %bb.1735:
	s_cmp_gt_i32 s26, 28
	s_cbranch_scc0 .LBB110_1743
; %bb.1736:
	s_cmp_gt_i32 s26, 43
	;; [unrolled: 3-line block ×3, first 2 shown]
	s_cbranch_scc0 .LBB110_1746
; %bb.1738:
	s_cmp_eq_u32 s26, 46
	s_mov_b64 s[22:23], 0
	s_cbranch_scc0 .LBB110_1749
; %bb.1739:
	global_load_dword v6, v[0:1], off
	s_mov_b64 s[0:1], 0
	s_mov_b64 s[20:21], -1
	s_waitcnt vmcnt(0)
	v_lshlrev_b32_e32 v6, 16, v6
	s_branch .LBB110_1750
.LBB110_1740:
	s_mov_b64 s[20:21], 0
                                        ; implicit-def: $vgpr6
	s_cbranch_execnz .LBB110_1815
.LBB110_1741:
	s_andn2_b64 vcc, exec, s[20:21]
	s_cbranch_vccnz .LBB110_2697
	s_branch .LBB110_1862
.LBB110_1742:
	s_mov_b64 s[20:21], 0
	s_mov_b64 s[0:1], 0
                                        ; implicit-def: $vgpr6
	s_cbranch_execnz .LBB110_1779
	s_branch .LBB110_1811
.LBB110_1743:
	s_mov_b64 s[22:23], -1
	s_mov_b64 s[20:21], 0
	s_mov_b64 s[0:1], 0
                                        ; implicit-def: $vgpr6
	s_branch .LBB110_1760
.LBB110_1744:
	s_mov_b64 s[22:23], -1
	s_mov_b64 s[20:21], 0
	s_mov_b64 s[0:1], 0
                                        ; implicit-def: $vgpr6
	s_branch .LBB110_1755
.LBB110_1745:
	s_or_b64 s[18:19], s[16:17], exec
	s_trap 2
	s_cbranch_execz .LBB110_1686
	s_branch .LBB110_1687
.LBB110_1746:
	s_mov_b64 s[22:23], -1
	s_mov_b64 s[20:21], 0
	s_mov_b64 s[0:1], 0
                                        ; implicit-def: $vgpr6
	s_branch .LBB110_1750
.LBB110_1747:
	s_andn2_saveexec_b64 s[30:31], s[30:31]
	s_cbranch_execz .LBB110_1531
.LBB110_1748:
	v_add_f32_e32 v2, 0x42800000, v3
	v_and_b32_e32 v2, 0xff, v2
	v_cmp_ne_u32_e32 vcc, 0, v2
	s_andn2_b64 s[28:29], s[28:29], exec
	s_and_b64 s[36:37], vcc, exec
	s_or_b64 s[28:29], s[28:29], s[36:37]
	s_or_b64 exec, exec, s[30:31]
	v_mov_b32_e32 v4, 0
	s_and_saveexec_b64 s[30:31], s[28:29]
	s_cbranch_execnz .LBB110_1532
	s_branch .LBB110_1533
.LBB110_1749:
	s_mov_b64 s[0:1], -1
                                        ; implicit-def: $vgpr6
	s_mov_b64 s[20:21], 0
.LBB110_1750:
	s_and_b64 vcc, exec, s[22:23]
	s_cbranch_vccz .LBB110_1754
; %bb.1751:
	s_cmp_eq_u32 s26, 44
	s_cbranch_scc0 .LBB110_1753
; %bb.1752:
	global_load_ubyte v6, v[0:1], off
	s_movk_i32 s20, 0xff
	v_mov_b32_e32 v7, 0x7f800001
	v_mov_b32_e32 v8, 0x400000
	s_mov_b64 s[0:1], 0
	s_waitcnt vmcnt(0)
	v_lshlrev_b32_e32 v9, 23, v6
	v_cmp_ne_u32_e32 vcc, s20, v6
	v_cndmask_b32_e32 v7, v7, v9, vcc
	v_cmp_ne_u32_e32 vcc, 0, v6
	v_cndmask_b32_e32 v6, v8, v7, vcc
	s_mov_b64 s[20:21], -1
	s_branch .LBB110_1754
.LBB110_1753:
	s_mov_b64 s[0:1], -1
                                        ; implicit-def: $vgpr6
.LBB110_1754:
	s_mov_b64 s[22:23], 0
.LBB110_1755:
	s_and_b64 vcc, exec, s[22:23]
	s_cbranch_vccz .LBB110_1759
; %bb.1756:
	s_cmp_eq_u32 s26, 29
	s_cbranch_scc0 .LBB110_1758
; %bb.1757:
	global_load_dwordx2 v[6:7], v[0:1], off
	s_mov_b64 s[0:1], 0
	s_mov_b64 s[20:21], -1
	s_mov_b64 s[22:23], 0
	s_waitcnt vmcnt(0)
	v_ffbh_u32_e32 v8, v7
	v_min_u32_e32 v8, 32, v8
	v_lshlrev_b64 v[6:7], v8, v[6:7]
	v_min_u32_e32 v6, 1, v6
	v_or_b32_e32 v6, v7, v6
	v_cvt_f32_u32_e32 v6, v6
	v_sub_u32_e32 v7, 32, v8
	v_ldexp_f32 v6, v6, v7
	s_branch .LBB110_1760
.LBB110_1758:
	s_mov_b64 s[0:1], -1
                                        ; implicit-def: $vgpr6
.LBB110_1759:
	s_mov_b64 s[22:23], 0
.LBB110_1760:
	s_and_b64 vcc, exec, s[22:23]
	s_cbranch_vccz .LBB110_1778
; %bb.1761:
	s_cmp_lt_i32 s26, 27
	s_cbranch_scc1 .LBB110_1764
; %bb.1762:
	s_cmp_gt_i32 s26, 27
	s_cbranch_scc0 .LBB110_1765
; %bb.1763:
	global_load_dword v6, v[0:1], off
	s_mov_b64 s[20:21], 0
	s_waitcnt vmcnt(0)
	v_cvt_f32_u32_e32 v6, v6
	s_branch .LBB110_1766
.LBB110_1764:
	s_mov_b64 s[20:21], -1
                                        ; implicit-def: $vgpr6
	s_branch .LBB110_1769
.LBB110_1765:
	s_mov_b64 s[20:21], -1
                                        ; implicit-def: $vgpr6
.LBB110_1766:
	s_andn2_b64 vcc, exec, s[20:21]
	s_cbranch_vccnz .LBB110_1768
; %bb.1767:
	global_load_ushort v6, v[0:1], off
	s_waitcnt vmcnt(0)
	v_cvt_f32_u32_e32 v6, v6
.LBB110_1768:
	s_mov_b64 s[20:21], 0
.LBB110_1769:
	s_andn2_b64 vcc, exec, s[20:21]
	s_cbranch_vccnz .LBB110_1777
; %bb.1770:
	global_load_ubyte v7, v[0:1], off
	s_movk_i32 s20, 0x7f
	s_waitcnt vmcnt(0)
	v_cmp_lt_i16_e32 vcc, s20, v7
	s_mov_b64 s[20:21], 0
	s_and_saveexec_b64 s[22:23], vcc
	s_xor_b64 s[22:23], exec, s[22:23]
	s_cbranch_execz .LBB110_1790
; %bb.1771:
	s_movk_i32 s20, 0x80
	v_cmp_eq_u16_e32 vcc, s20, v7
	s_mov_b64 s[20:21], -1
	s_and_saveexec_b64 s[24:25], vcc
; %bb.1772:
	s_xor_b64 s[20:21], exec, -1
; %bb.1773:
	s_or_b64 exec, exec, s[24:25]
	s_and_b64 s[20:21], s[20:21], exec
	s_or_saveexec_b64 s[22:23], s[22:23]
	v_mov_b32_e32 v6, 0x7f800001
	s_xor_b64 exec, exec, s[22:23]
	s_cbranch_execnz .LBB110_1791
.LBB110_1774:
	s_or_b64 exec, exec, s[22:23]
	s_and_saveexec_b64 s[22:23], s[20:21]
	s_cbranch_execz .LBB110_1776
.LBB110_1775:
	v_lshlrev_b32_e32 v6, 24, v7
	v_and_b32_e32 v7, 0xffff, v7
	v_and_b32_e32 v8, 7, v7
	v_ffbh_u32_e32 v10, v8
	v_min_u32_e32 v10, 32, v10
	v_subrev_u32_e32 v11, 28, v10
	v_bfe_u32 v9, v7, 3, 4
	v_lshlrev_b32_e32 v7, v11, v7
	v_sub_u32_e32 v10, 29, v10
	v_and_b32_e32 v7, 7, v7
	v_cmp_eq_u32_e32 vcc, 0, v9
	v_cndmask_b32_e32 v9, v9, v10, vcc
	v_cndmask_b32_e32 v7, v8, v7, vcc
	v_mov_b32_e32 v8, 0x3b800000
	v_lshlrev_b32_e32 v7, 20, v7
	v_and_b32_e32 v6, 0x80000000, v6
	v_lshl_add_u32 v8, v9, 23, v8
	v_or3_b32 v6, v6, v8, v7
.LBB110_1776:
	s_or_b64 exec, exec, s[22:23]
.LBB110_1777:
	s_mov_b64 s[20:21], -1
.LBB110_1778:
	s_branch .LBB110_1811
.LBB110_1779:
	s_cmp_gt_i32 s26, 22
	s_cbranch_scc0 .LBB110_1789
; %bb.1780:
	s_cmp_lt_i32 s26, 24
	s_cbranch_scc1 .LBB110_1792
; %bb.1781:
	s_cmp_gt_i32 s26, 24
	s_cbranch_scc0 .LBB110_1793
; %bb.1782:
	global_load_ubyte v7, v[0:1], off
	s_movk_i32 s4, 0x7f
	s_waitcnt vmcnt(0)
	v_cmp_lt_i16_e32 vcc, s4, v7
	s_mov_b64 s[4:5], 0
	s_and_saveexec_b64 s[20:21], vcc
	s_xor_b64 s[20:21], exec, s[20:21]
	s_cbranch_execz .LBB110_1805
; %bb.1783:
	s_movk_i32 s4, 0x80
	v_cmp_eq_u16_e32 vcc, s4, v7
	s_mov_b64 s[4:5], -1
	s_and_saveexec_b64 s[22:23], vcc
; %bb.1784:
	s_xor_b64 s[4:5], exec, -1
; %bb.1785:
	s_or_b64 exec, exec, s[22:23]
	s_and_b64 s[4:5], s[4:5], exec
	s_or_saveexec_b64 s[20:21], s[20:21]
	v_mov_b32_e32 v6, 0x7f800001
	s_xor_b64 exec, exec, s[20:21]
	s_cbranch_execnz .LBB110_1806
.LBB110_1786:
	s_or_b64 exec, exec, s[20:21]
	s_and_saveexec_b64 s[20:21], s[4:5]
	s_cbranch_execz .LBB110_1788
.LBB110_1787:
	v_lshlrev_b32_e32 v6, 24, v7
	v_and_b32_e32 v7, 0xffff, v7
	v_and_b32_e32 v8, 3, v7
	v_ffbh_u32_e32 v10, v8
	v_min_u32_e32 v10, 32, v10
	v_subrev_u32_e32 v11, 29, v10
	v_bfe_u32 v9, v7, 2, 5
	v_lshlrev_b32_e32 v7, v11, v7
	v_sub_u32_e32 v10, 30, v10
	v_and_b32_e32 v7, 3, v7
	v_cmp_eq_u32_e32 vcc, 0, v9
	v_cndmask_b32_e32 v9, v9, v10, vcc
	v_cndmask_b32_e32 v7, v8, v7, vcc
	v_mov_b32_e32 v8, 0x37800000
	v_lshlrev_b32_e32 v7, 21, v7
	v_and_b32_e32 v6, 0x80000000, v6
	v_lshl_add_u32 v8, v9, 23, v8
	v_or3_b32 v6, v6, v8, v7
.LBB110_1788:
	s_or_b64 exec, exec, s[20:21]
	s_mov_b64 s[4:5], 0
	s_branch .LBB110_1794
.LBB110_1789:
	s_mov_b64 s[4:5], -1
                                        ; implicit-def: $vgpr6
	s_branch .LBB110_1800
.LBB110_1790:
	s_or_saveexec_b64 s[22:23], s[22:23]
	v_mov_b32_e32 v6, 0x7f800001
	s_xor_b64 exec, exec, s[22:23]
	s_cbranch_execz .LBB110_1774
.LBB110_1791:
	v_cmp_ne_u16_e32 vcc, 0, v7
	s_andn2_b64 s[20:21], s[20:21], exec
	s_and_b64 s[24:25], vcc, exec
	v_mov_b32_e32 v6, 0
	s_or_b64 s[20:21], s[20:21], s[24:25]
	s_or_b64 exec, exec, s[22:23]
	s_and_saveexec_b64 s[22:23], s[20:21]
	s_cbranch_execnz .LBB110_1775
	s_branch .LBB110_1776
.LBB110_1792:
	s_mov_b64 s[4:5], -1
                                        ; implicit-def: $vgpr6
	s_branch .LBB110_1797
.LBB110_1793:
	s_mov_b64 s[4:5], -1
                                        ; implicit-def: $vgpr6
.LBB110_1794:
	s_and_b64 vcc, exec, s[4:5]
	s_cbranch_vccz .LBB110_1796
; %bb.1795:
	global_load_ubyte v6, v[0:1], off
	s_mov_b32 s4, 0x7f800000
	s_waitcnt vmcnt(0)
	v_lshlrev_b32_e32 v6, 24, v6
	v_and_b32_e32 v7, 0x7f000000, v6
	v_ffbh_u32_e32 v8, v7
	v_min_u32_e32 v8, 32, v8
	v_sub_u32_e64 v8, v8, 4 clamp
	v_lshlrev_b32_e32 v10, v8, v7
	v_lshlrev_b32_e32 v8, 23, v8
	v_lshrrev_b32_e32 v10, 4, v10
	v_add_u32_e32 v9, 0x1000000, v7
	v_sub_u32_e32 v8, v10, v8
	v_ashrrev_i32_e32 v9, 8, v9
	v_add_u32_e32 v8, 0x3c000000, v8
	v_and_or_b32 v8, v9, s4, v8
	v_cmp_ne_u32_e32 vcc, 0, v7
	v_cndmask_b32_e32 v7, 0, v8, vcc
	s_brev_b32 s4, 1
	v_and_or_b32 v6, v6, s4, v7
.LBB110_1796:
	s_mov_b64 s[4:5], 0
.LBB110_1797:
	s_andn2_b64 vcc, exec, s[4:5]
	s_cbranch_vccnz .LBB110_1799
; %bb.1798:
	global_load_ubyte v6, v[0:1], off
	s_movk_i32 s4, 0x7f00
	s_brev_b32 s5, 16
	s_waitcnt vmcnt(0)
	v_lshlrev_b16_e32 v7, 8, v6
	v_lshlrev_b32_e32 v6, 25, v6
	v_lshrrev_b32_e32 v8, 4, v6
	v_and_or_b32 v9, v7, s4, 0.5
	v_or_b32_e32 v8, 0x70000000, v8
	v_add_f32_e32 v9, -0.5, v9
	v_mul_f32_e32 v8, 0x7800000, v8
	v_cmp_gt_u32_e32 vcc, s5, v6
	v_bfe_i32 v7, v7, 0, 16
	v_cndmask_b32_e32 v6, v8, v9, vcc
	s_brev_b32 s4, 1
	v_and_or_b32 v6, v7, s4, v6
.LBB110_1799:
	s_mov_b64 s[4:5], 0
	s_mov_b64 s[20:21], -1
.LBB110_1800:
	s_andn2_b64 vcc, exec, s[4:5]
	s_mov_b64 s[4:5], 0
	s_cbranch_vccnz .LBB110_1811
; %bb.1801:
	s_cmp_gt_i32 s26, 14
	s_cbranch_scc0 .LBB110_1804
; %bb.1802:
	s_cmp_eq_u32 s26, 15
	s_cbranch_scc0 .LBB110_1807
; %bb.1803:
	global_load_ushort v6, v[0:1], off
	s_mov_b64 s[0:1], 0
	s_mov_b64 s[20:21], -1
	s_waitcnt vmcnt(0)
	v_lshlrev_b32_e32 v6, 16, v6
	s_branch .LBB110_1808
.LBB110_1804:
	s_mov_b64 s[22:23], -1
                                        ; implicit-def: $vgpr6
	s_branch .LBB110_1809
.LBB110_1805:
	s_or_saveexec_b64 s[20:21], s[20:21]
	v_mov_b32_e32 v6, 0x7f800001
	s_xor_b64 exec, exec, s[20:21]
	s_cbranch_execz .LBB110_1786
.LBB110_1806:
	v_cmp_ne_u16_e32 vcc, 0, v7
	s_andn2_b64 s[4:5], s[4:5], exec
	s_and_b64 s[22:23], vcc, exec
	v_mov_b32_e32 v6, 0
	s_or_b64 s[4:5], s[4:5], s[22:23]
	s_or_b64 exec, exec, s[20:21]
	s_and_saveexec_b64 s[20:21], s[4:5]
	s_cbranch_execnz .LBB110_1787
	s_branch .LBB110_1788
.LBB110_1807:
	s_mov_b64 s[0:1], -1
                                        ; implicit-def: $vgpr6
.LBB110_1808:
	s_mov_b64 s[22:23], 0
.LBB110_1809:
	s_and_b64 vcc, exec, s[22:23]
	s_cbranch_vccz .LBB110_1811
; %bb.1810:
	s_cmp_lg_u32 s26, 11
	s_mov_b64 s[4:5], -1
	s_cselect_b64 s[0:1], -1, 0
.LBB110_1811:
	s_and_b64 vcc, exec, s[0:1]
	s_cbranch_vccnz .LBB110_1890
; %bb.1812:
	s_andn2_b64 vcc, exec, s[4:5]
	s_cbranch_vccnz .LBB110_1814
.LBB110_1813:
	global_load_ubyte v6, v[0:1], off
	s_mov_b64 s[20:21], -1
	s_waitcnt vmcnt(0)
	v_cmp_ne_u16_e32 vcc, 0, v6
	v_cndmask_b32_e64 v6, 0, 1.0, vcc
.LBB110_1814:
	s_branch .LBB110_1741
.LBB110_1815:
	s_and_b32 s4, 0xffff, s31
	s_cmp_lt_i32 s4, 5
	s_cbranch_scc1 .LBB110_1820
; %bb.1816:
	s_cmp_lt_i32 s4, 8
	s_cbranch_scc1 .LBB110_1821
; %bb.1817:
	;; [unrolled: 3-line block ×3, first 2 shown]
	s_cmp_gt_i32 s4, 9
	s_cbranch_scc0 .LBB110_1823
; %bb.1819:
	global_load_dwordx2 v[6:7], v[0:1], off
	s_mov_b64 s[0:1], 0
	s_waitcnt vmcnt(0)
	v_cvt_f32_f64_e32 v6, v[6:7]
	s_branch .LBB110_1824
.LBB110_1820:
                                        ; implicit-def: $vgpr6
	s_branch .LBB110_1842
.LBB110_1821:
	s_mov_b64 s[0:1], -1
                                        ; implicit-def: $vgpr6
	s_branch .LBB110_1830
.LBB110_1822:
	s_mov_b64 s[0:1], -1
                                        ; implicit-def: $vgpr6
	s_branch .LBB110_1827
.LBB110_1823:
	s_mov_b64 s[0:1], -1
                                        ; implicit-def: $vgpr6
.LBB110_1824:
	s_andn2_b64 vcc, exec, s[0:1]
	s_cbranch_vccnz .LBB110_1826
; %bb.1825:
	global_load_dword v6, v[0:1], off
.LBB110_1826:
	s_mov_b64 s[0:1], 0
.LBB110_1827:
	s_andn2_b64 vcc, exec, s[0:1]
	s_cbranch_vccnz .LBB110_1829
; %bb.1828:
	global_load_dword v6, v[0:1], off
	s_waitcnt vmcnt(0)
	v_cvt_f32_f16_e32 v6, v6
.LBB110_1829:
	s_mov_b64 s[0:1], 0
.LBB110_1830:
	s_andn2_b64 vcc, exec, s[0:1]
	s_cbranch_vccnz .LBB110_1841
; %bb.1831:
	s_cmp_lt_i32 s4, 6
	s_cbranch_scc1 .LBB110_1834
; %bb.1832:
	s_cmp_gt_i32 s4, 6
	s_cbranch_scc0 .LBB110_1835
; %bb.1833:
	global_load_dwordx2 v[6:7], v[0:1], off
	s_mov_b64 s[0:1], 0
	s_waitcnt vmcnt(0)
	v_cvt_f32_f64_e32 v6, v[6:7]
	s_branch .LBB110_1836
.LBB110_1834:
	s_mov_b64 s[0:1], -1
                                        ; implicit-def: $vgpr6
	s_branch .LBB110_1839
.LBB110_1835:
	s_mov_b64 s[0:1], -1
                                        ; implicit-def: $vgpr6
.LBB110_1836:
	s_andn2_b64 vcc, exec, s[0:1]
	s_cbranch_vccnz .LBB110_1838
; %bb.1837:
	global_load_dword v6, v[0:1], off
.LBB110_1838:
	s_mov_b64 s[0:1], 0
.LBB110_1839:
	s_andn2_b64 vcc, exec, s[0:1]
	s_cbranch_vccnz .LBB110_1841
; %bb.1840:
	global_load_ushort v6, v[0:1], off
	s_waitcnt vmcnt(0)
	v_cvt_f32_f16_e32 v6, v6
.LBB110_1841:
	s_cbranch_execnz .LBB110_1861
.LBB110_1842:
	s_cmp_lt_i32 s4, 2
	s_cbranch_scc1 .LBB110_1846
; %bb.1843:
	s_cmp_lt_i32 s4, 3
	s_cbranch_scc1 .LBB110_1847
; %bb.1844:
	s_cmp_gt_i32 s4, 3
	s_cbranch_scc0 .LBB110_1848
; %bb.1845:
	global_load_dwordx2 v[6:7], v[0:1], off
	s_mov_b64 s[0:1], 0
	s_waitcnt vmcnt(0)
	v_xor_b32_e32 v9, v6, v7
	v_ffbh_i32_e32 v8, v7
	v_ashrrev_i32_e32 v9, 31, v9
	v_add_u32_e32 v8, -1, v8
	v_add_u32_e32 v9, 32, v9
	v_min_u32_e32 v8, v8, v9
	v_lshlrev_b64 v[6:7], v8, v[6:7]
	v_min_u32_e32 v6, 1, v6
	v_or_b32_e32 v6, v7, v6
	v_cvt_f32_i32_e32 v6, v6
	v_sub_u32_e32 v7, 32, v8
	v_ldexp_f32 v6, v6, v7
	s_branch .LBB110_1849
.LBB110_1846:
	s_mov_b64 s[0:1], -1
                                        ; implicit-def: $vgpr6
	s_branch .LBB110_1855
.LBB110_1847:
	s_mov_b64 s[0:1], -1
                                        ; implicit-def: $vgpr6
	s_branch .LBB110_1852
.LBB110_1848:
	s_mov_b64 s[0:1], -1
                                        ; implicit-def: $vgpr6
.LBB110_1849:
	s_andn2_b64 vcc, exec, s[0:1]
	s_cbranch_vccnz .LBB110_1851
; %bb.1850:
	global_load_dword v6, v[0:1], off
	s_waitcnt vmcnt(0)
	v_cvt_f32_i32_e32 v6, v6
.LBB110_1851:
	s_mov_b64 s[0:1], 0
.LBB110_1852:
	s_andn2_b64 vcc, exec, s[0:1]
	s_cbranch_vccnz .LBB110_1854
; %bb.1853:
	global_load_sshort v6, v[0:1], off
	s_waitcnt vmcnt(0)
	v_cvt_f32_i32_e32 v6, v6
.LBB110_1854:
	s_mov_b64 s[0:1], 0
.LBB110_1855:
	s_andn2_b64 vcc, exec, s[0:1]
	s_cbranch_vccnz .LBB110_1861
; %bb.1856:
	s_cmp_gt_i32 s4, 0
	s_cbranch_scc0 .LBB110_1858
; %bb.1857:
	global_load_sbyte v6, v[0:1], off
	s_mov_b64 s[0:1], 0
	s_waitcnt vmcnt(0)
	v_cvt_f32_i32_e32 v6, v6
	s_branch .LBB110_1859
.LBB110_1858:
	s_mov_b64 s[0:1], -1
                                        ; implicit-def: $vgpr6
.LBB110_1859:
	s_andn2_b64 vcc, exec, s[0:1]
	s_cbranch_vccnz .LBB110_1861
; %bb.1860:
	global_load_ubyte v0, v[0:1], off
	s_waitcnt vmcnt(0)
	v_cvt_f32_ubyte0_e32 v6, v0
.LBB110_1861:
.LBB110_1862:
	s_cmp_lt_i32 s15, 1
	s_mov_b64 s[0:1], 0
	s_cbranch_scc1 .LBB110_1866
; %bb.1863:
	s_cmp_gt_i32 s15, 1
	s_cbranch_scc0 .LBB110_1867
; %bb.1864:
	s_cmp_eq_u32 s15, 2
	s_cbranch_scc0 .LBB110_1868
; %bb.1865:
	s_waitcnt vmcnt(0)
	v_cmp_le_f32_e64 s[4:5], v5, v6
	s_mov_b64 s[20:21], 0
	s_branch .LBB110_1869
.LBB110_1866:
                                        ; implicit-def: $sgpr4_sgpr5
	s_mov_b64 s[20:21], 0
	s_cbranch_execnz .LBB110_1873
	s_branch .LBB110_1874
.LBB110_1867:
	s_mov_b64 s[22:23], -1
	s_mov_b64 s[20:21], 0
                                        ; implicit-def: $sgpr4_sgpr5
	s_branch .LBB110_1870
.LBB110_1868:
	s_mov_b64 s[20:21], -1
                                        ; implicit-def: $sgpr4_sgpr5
.LBB110_1869:
	s_mov_b64 s[22:23], 0
.LBB110_1870:
	s_and_b64 vcc, exec, s[22:23]
	s_cbranch_vccz .LBB110_1872
; %bb.1871:
	s_waitcnt vmcnt(0)
	v_cmp_gt_f32_e32 vcc, v5, v6
	s_andn2_b64 s[4:5], s[4:5], exec
	s_and_b64 s[22:23], vcc, exec
	s_or_b64 s[4:5], s[4:5], s[22:23]
.LBB110_1872:
	s_branch .LBB110_1874
.LBB110_1873:
	s_cmp_lg_u32 s15, 0
	s_mov_b64 s[0:1], -1
	s_cselect_b64 s[20:21], -1, 0
.LBB110_1874:
	s_andn2_b64 vcc, exec, s[20:21]
	s_cbranch_vccnz .LBB110_1876
; %bb.1875:
	s_waitcnt vmcnt(0)
	v_cmp_lt_f32_e32 vcc, v5, v6
	s_andn2_b64 s[4:5], s[4:5], exec
	s_and_b64 s[20:21], vcc, exec
	s_or_b64 s[4:5], s[4:5], s[20:21]
	s_cbranch_execz .LBB110_1877
	s_branch .LBB110_1878
.LBB110_1876:
	s_andn2_b64 vcc, exec, s[0:1]
	s_cbranch_vccnz .LBB110_1878
.LBB110_1877:
	s_waitcnt vmcnt(0)
	v_cmp_ge_f32_e32 vcc, v5, v6
	s_andn2_b64 s[0:1], s[4:5], exec
	s_and_b64 s[4:5], vcc, exec
	s_or_b64 s[4:5], s[0:1], s[4:5]
.LBB110_1878:
	s_lshl_b32 s13, s13, 7
	v_add_u32_e32 v3, s13, v3
	v_ashrrev_i32_e32 v1, 31, v3
	s_waitcnt vmcnt(0)
	v_mov_b32_e32 v5, s11
	v_add_co_u32_e32 v0, vcc, s10, v3
	s_cmp_lt_i32 s30, 11
	v_addc_co_u32_e32 v1, vcc, v5, v1, vcc
	s_cbranch_scc1 .LBB110_1885
; %bb.1879:
	s_and_b32 s28, 0xffff, s30
	s_cmp_gt_i32 s28, 25
	s_mov_b64 s[20:21], 0
	s_cbranch_scc0 .LBB110_1887
; %bb.1880:
	s_cmp_gt_i32 s28, 28
	s_cbranch_scc0 .LBB110_1888
; %bb.1881:
	s_cmp_gt_i32 s28, 43
	;; [unrolled: 3-line block ×3, first 2 shown]
	s_cbranch_scc0 .LBB110_1891
; %bb.1883:
	s_cmp_eq_u32 s28, 46
	s_mov_b64 s[24:25], 0
	s_cbranch_scc0 .LBB110_1892
; %bb.1884:
	global_load_dword v5, v[0:1], off
	s_mov_b64 s[0:1], 0
	s_mov_b64 s[22:23], -1
	s_waitcnt vmcnt(0)
	v_lshlrev_b32_e32 v5, 16, v5
	s_branch .LBB110_1893
.LBB110_1885:
	s_mov_b64 s[22:23], 0
                                        ; implicit-def: $vgpr5
	s_cbranch_execnz .LBB110_1959
.LBB110_1886:
	s_andn2_b64 vcc, exec, s[22:23]
	s_cbranch_vccnz .LBB110_2697
	s_branch .LBB110_2007
.LBB110_1887:
	s_mov_b64 s[24:25], -1
	s_mov_b64 s[22:23], 0
	s_mov_b64 s[0:1], 0
                                        ; implicit-def: $vgpr5
	s_branch .LBB110_1922
.LBB110_1888:
	s_mov_b64 s[24:25], -1
	s_mov_b64 s[22:23], 0
	s_mov_b64 s[0:1], 0
                                        ; implicit-def: $vgpr5
	s_branch .LBB110_1903
.LBB110_1889:
	s_mov_b64 s[24:25], -1
	s_mov_b64 s[22:23], 0
	s_mov_b64 s[0:1], 0
                                        ; implicit-def: $vgpr5
	s_branch .LBB110_1898
.LBB110_1890:
	s_trap 2
	s_or_b64 s[18:19], s[18:19], exec
	s_cbranch_execz .LBB110_1813
	s_branch .LBB110_1814
.LBB110_1891:
	s_mov_b64 s[24:25], -1
	s_mov_b64 s[22:23], 0
	s_mov_b64 s[0:1], 0
                                        ; implicit-def: $vgpr5
	s_branch .LBB110_1893
.LBB110_1892:
	s_mov_b64 s[0:1], -1
                                        ; implicit-def: $vgpr5
	s_mov_b64 s[22:23], 0
.LBB110_1893:
	s_and_b64 vcc, exec, s[24:25]
	s_cbranch_vccz .LBB110_1897
; %bb.1894:
	s_cmp_eq_u32 s28, 44
	s_cbranch_scc0 .LBB110_1896
; %bb.1895:
	global_load_ubyte v5, v[0:1], off
	s_movk_i32 s22, 0xff
	v_mov_b32_e32 v6, 0x7f800001
	v_mov_b32_e32 v7, 0x400000
	s_mov_b64 s[0:1], 0
	s_waitcnt vmcnt(0)
	v_lshlrev_b32_e32 v8, 23, v5
	v_cmp_ne_u32_e32 vcc, s22, v5
	v_cndmask_b32_e32 v6, v6, v8, vcc
	v_cmp_ne_u32_e32 vcc, 0, v5
	v_cndmask_b32_e32 v5, v7, v6, vcc
	s_mov_b64 s[22:23], -1
	s_branch .LBB110_1897
.LBB110_1896:
	s_mov_b64 s[0:1], -1
                                        ; implicit-def: $vgpr5
.LBB110_1897:
	s_mov_b64 s[24:25], 0
.LBB110_1898:
	s_and_b64 vcc, exec, s[24:25]
	s_cbranch_vccz .LBB110_1902
; %bb.1899:
	s_cmp_eq_u32 s28, 29
	s_cbranch_scc0 .LBB110_1901
; %bb.1900:
	global_load_dwordx2 v[5:6], v[0:1], off
	s_mov_b64 s[0:1], 0
	s_mov_b64 s[22:23], -1
	s_mov_b64 s[24:25], 0
	s_waitcnt vmcnt(0)
	v_ffbh_u32_e32 v7, v6
	v_min_u32_e32 v7, 32, v7
	v_lshlrev_b64 v[5:6], v7, v[5:6]
	v_min_u32_e32 v5, 1, v5
	v_or_b32_e32 v5, v6, v5
	v_cvt_f32_u32_e32 v5, v5
	v_sub_u32_e32 v6, 32, v7
	v_ldexp_f32 v5, v5, v6
	s_branch .LBB110_1903
.LBB110_1901:
	s_mov_b64 s[0:1], -1
                                        ; implicit-def: $vgpr5
.LBB110_1902:
	s_mov_b64 s[24:25], 0
.LBB110_1903:
	s_and_b64 vcc, exec, s[24:25]
	s_cbranch_vccz .LBB110_1921
; %bb.1904:
	s_cmp_lt_i32 s28, 27
	s_cbranch_scc1 .LBB110_1907
; %bb.1905:
	s_cmp_gt_i32 s28, 27
	s_cbranch_scc0 .LBB110_1908
; %bb.1906:
	global_load_dword v5, v[0:1], off
	s_mov_b64 s[22:23], 0
	s_waitcnt vmcnt(0)
	v_cvt_f32_u32_e32 v5, v5
	s_branch .LBB110_1909
.LBB110_1907:
	s_mov_b64 s[22:23], -1
                                        ; implicit-def: $vgpr5
	s_branch .LBB110_1912
.LBB110_1908:
	s_mov_b64 s[22:23], -1
                                        ; implicit-def: $vgpr5
.LBB110_1909:
	s_andn2_b64 vcc, exec, s[22:23]
	s_cbranch_vccnz .LBB110_1911
; %bb.1910:
	global_load_ushort v5, v[0:1], off
	s_waitcnt vmcnt(0)
	v_cvt_f32_u32_e32 v5, v5
.LBB110_1911:
	s_mov_b64 s[22:23], 0
.LBB110_1912:
	s_andn2_b64 vcc, exec, s[22:23]
	s_cbranch_vccnz .LBB110_1920
; %bb.1913:
	global_load_ubyte v6, v[0:1], off
	s_movk_i32 s22, 0x7f
	s_waitcnt vmcnt(0)
	v_cmp_lt_i16_e32 vcc, s22, v6
	s_mov_b64 s[22:23], 0
	s_and_saveexec_b64 s[24:25], vcc
	s_xor_b64 s[24:25], exec, s[24:25]
	s_cbranch_execz .LBB110_1934
; %bb.1914:
	s_movk_i32 s22, 0x80
	v_cmp_eq_u16_e32 vcc, s22, v6
	s_mov_b64 s[22:23], -1
	s_and_saveexec_b64 s[26:27], vcc
; %bb.1915:
	s_xor_b64 s[22:23], exec, -1
; %bb.1916:
	s_or_b64 exec, exec, s[26:27]
	s_and_b64 s[22:23], s[22:23], exec
	s_or_saveexec_b64 s[24:25], s[24:25]
	v_mov_b32_e32 v5, 0x7f800001
	s_xor_b64 exec, exec, s[24:25]
	s_cbranch_execnz .LBB110_1935
.LBB110_1917:
	s_or_b64 exec, exec, s[24:25]
	s_and_saveexec_b64 s[24:25], s[22:23]
	s_cbranch_execz .LBB110_1919
.LBB110_1918:
	v_lshlrev_b32_e32 v5, 24, v6
	v_and_b32_e32 v6, 0xffff, v6
	v_and_b32_e32 v7, 7, v6
	v_ffbh_u32_e32 v9, v7
	v_min_u32_e32 v9, 32, v9
	v_subrev_u32_e32 v10, 28, v9
	v_bfe_u32 v8, v6, 3, 4
	v_lshlrev_b32_e32 v6, v10, v6
	v_sub_u32_e32 v9, 29, v9
	v_and_b32_e32 v6, 7, v6
	v_cmp_eq_u32_e32 vcc, 0, v8
	v_cndmask_b32_e32 v8, v8, v9, vcc
	v_cndmask_b32_e32 v6, v7, v6, vcc
	v_mov_b32_e32 v7, 0x3b800000
	v_lshlrev_b32_e32 v6, 20, v6
	v_and_b32_e32 v5, 0x80000000, v5
	v_lshl_add_u32 v7, v8, 23, v7
	v_or3_b32 v5, v5, v7, v6
.LBB110_1919:
	s_or_b64 exec, exec, s[24:25]
.LBB110_1920:
	s_mov_b64 s[22:23], -1
.LBB110_1921:
	s_mov_b64 s[24:25], 0
.LBB110_1922:
	s_and_b64 vcc, exec, s[24:25]
	s_cbranch_vccz .LBB110_1955
; %bb.1923:
	s_cmp_gt_i32 s28, 22
	s_cbranch_scc0 .LBB110_1933
; %bb.1924:
	s_cmp_lt_i32 s28, 24
	s_cbranch_scc1 .LBB110_1936
; %bb.1925:
	s_cmp_gt_i32 s28, 24
	s_cbranch_scc0 .LBB110_1937
; %bb.1926:
	global_load_ubyte v6, v[0:1], off
	s_movk_i32 s20, 0x7f
	s_waitcnt vmcnt(0)
	v_cmp_lt_i16_e32 vcc, s20, v6
	s_mov_b64 s[20:21], 0
	s_and_saveexec_b64 s[22:23], vcc
	s_xor_b64 s[22:23], exec, s[22:23]
	s_cbranch_execz .LBB110_1949
; %bb.1927:
	s_movk_i32 s20, 0x80
	v_cmp_eq_u16_e32 vcc, s20, v6
	s_mov_b64 s[20:21], -1
	s_and_saveexec_b64 s[24:25], vcc
; %bb.1928:
	s_xor_b64 s[20:21], exec, -1
; %bb.1929:
	s_or_b64 exec, exec, s[24:25]
	s_and_b64 s[20:21], s[20:21], exec
	s_or_saveexec_b64 s[22:23], s[22:23]
	v_mov_b32_e32 v5, 0x7f800001
	s_xor_b64 exec, exec, s[22:23]
	s_cbranch_execnz .LBB110_1950
.LBB110_1930:
	s_or_b64 exec, exec, s[22:23]
	s_and_saveexec_b64 s[22:23], s[20:21]
	s_cbranch_execz .LBB110_1932
.LBB110_1931:
	v_lshlrev_b32_e32 v5, 24, v6
	v_and_b32_e32 v6, 0xffff, v6
	v_and_b32_e32 v7, 3, v6
	v_ffbh_u32_e32 v9, v7
	v_min_u32_e32 v9, 32, v9
	v_subrev_u32_e32 v10, 29, v9
	v_bfe_u32 v8, v6, 2, 5
	v_lshlrev_b32_e32 v6, v10, v6
	v_sub_u32_e32 v9, 30, v9
	v_and_b32_e32 v6, 3, v6
	v_cmp_eq_u32_e32 vcc, 0, v8
	v_cndmask_b32_e32 v8, v8, v9, vcc
	v_cndmask_b32_e32 v6, v7, v6, vcc
	v_mov_b32_e32 v7, 0x37800000
	v_lshlrev_b32_e32 v6, 21, v6
	v_and_b32_e32 v5, 0x80000000, v5
	v_lshl_add_u32 v7, v8, 23, v7
	v_or3_b32 v5, v5, v7, v6
.LBB110_1932:
	s_or_b64 exec, exec, s[22:23]
	s_mov_b64 s[20:21], 0
	s_branch .LBB110_1938
.LBB110_1933:
	s_mov_b64 s[20:21], -1
                                        ; implicit-def: $vgpr5
	s_branch .LBB110_1944
.LBB110_1934:
	s_or_saveexec_b64 s[24:25], s[24:25]
	v_mov_b32_e32 v5, 0x7f800001
	s_xor_b64 exec, exec, s[24:25]
	s_cbranch_execz .LBB110_1917
.LBB110_1935:
	v_cmp_ne_u16_e32 vcc, 0, v6
	s_andn2_b64 s[22:23], s[22:23], exec
	s_and_b64 s[26:27], vcc, exec
	v_mov_b32_e32 v5, 0
	s_or_b64 s[22:23], s[22:23], s[26:27]
	s_or_b64 exec, exec, s[24:25]
	s_and_saveexec_b64 s[24:25], s[22:23]
	s_cbranch_execnz .LBB110_1918
	s_branch .LBB110_1919
.LBB110_1936:
	s_mov_b64 s[20:21], -1
                                        ; implicit-def: $vgpr5
	s_branch .LBB110_1941
.LBB110_1937:
	s_mov_b64 s[20:21], -1
                                        ; implicit-def: $vgpr5
.LBB110_1938:
	s_and_b64 vcc, exec, s[20:21]
	s_cbranch_vccz .LBB110_1940
; %bb.1939:
	global_load_ubyte v5, v[0:1], off
	s_mov_b32 s20, 0x7f800000
	s_waitcnt vmcnt(0)
	v_lshlrev_b32_e32 v5, 24, v5
	v_and_b32_e32 v6, 0x7f000000, v5
	v_ffbh_u32_e32 v7, v6
	v_min_u32_e32 v7, 32, v7
	v_sub_u32_e64 v7, v7, 4 clamp
	v_lshlrev_b32_e32 v9, v7, v6
	v_lshlrev_b32_e32 v7, 23, v7
	v_lshrrev_b32_e32 v9, 4, v9
	v_add_u32_e32 v8, 0x1000000, v6
	v_sub_u32_e32 v7, v9, v7
	v_ashrrev_i32_e32 v8, 8, v8
	v_add_u32_e32 v7, 0x3c000000, v7
	v_and_or_b32 v7, v8, s20, v7
	v_cmp_ne_u32_e32 vcc, 0, v6
	v_cndmask_b32_e32 v6, 0, v7, vcc
	s_brev_b32 s20, 1
	v_and_or_b32 v5, v5, s20, v6
.LBB110_1940:
	s_mov_b64 s[20:21], 0
.LBB110_1941:
	s_andn2_b64 vcc, exec, s[20:21]
	s_cbranch_vccnz .LBB110_1943
; %bb.1942:
	global_load_ubyte v5, v[0:1], off
	s_movk_i32 s20, 0x7f00
	s_brev_b32 s21, 16
	s_waitcnt vmcnt(0)
	v_lshlrev_b16_e32 v6, 8, v5
	v_lshlrev_b32_e32 v5, 25, v5
	v_lshrrev_b32_e32 v7, 4, v5
	v_and_or_b32 v8, v6, s20, 0.5
	v_or_b32_e32 v7, 0x70000000, v7
	v_add_f32_e32 v8, -0.5, v8
	v_mul_f32_e32 v7, 0x7800000, v7
	v_cmp_gt_u32_e32 vcc, s21, v5
	v_bfe_i32 v6, v6, 0, 16
	v_cndmask_b32_e32 v5, v7, v8, vcc
	s_brev_b32 s20, 1
	v_and_or_b32 v5, v6, s20, v5
.LBB110_1943:
	s_mov_b64 s[20:21], 0
	s_mov_b64 s[22:23], -1
.LBB110_1944:
	s_andn2_b64 vcc, exec, s[20:21]
	s_mov_b64 s[20:21], 0
	s_cbranch_vccnz .LBB110_1955
; %bb.1945:
	s_cmp_gt_i32 s28, 14
	s_cbranch_scc0 .LBB110_1948
; %bb.1946:
	s_cmp_eq_u32 s28, 15
	s_cbranch_scc0 .LBB110_1951
; %bb.1947:
	global_load_ushort v5, v[0:1], off
	s_mov_b64 s[0:1], 0
	s_mov_b64 s[22:23], -1
	s_waitcnt vmcnt(0)
	v_lshlrev_b32_e32 v5, 16, v5
	s_branch .LBB110_1952
.LBB110_1948:
	s_mov_b64 s[24:25], -1
                                        ; implicit-def: $vgpr5
	s_branch .LBB110_1953
.LBB110_1949:
	s_or_saveexec_b64 s[22:23], s[22:23]
	v_mov_b32_e32 v5, 0x7f800001
	s_xor_b64 exec, exec, s[22:23]
	s_cbranch_execz .LBB110_1930
.LBB110_1950:
	v_cmp_ne_u16_e32 vcc, 0, v6
	s_andn2_b64 s[20:21], s[20:21], exec
	s_and_b64 s[24:25], vcc, exec
	v_mov_b32_e32 v5, 0
	s_or_b64 s[20:21], s[20:21], s[24:25]
	s_or_b64 exec, exec, s[22:23]
	s_and_saveexec_b64 s[22:23], s[20:21]
	s_cbranch_execnz .LBB110_1931
	s_branch .LBB110_1932
.LBB110_1951:
	s_mov_b64 s[0:1], -1
                                        ; implicit-def: $vgpr5
.LBB110_1952:
	s_mov_b64 s[24:25], 0
.LBB110_1953:
	s_and_b64 vcc, exec, s[24:25]
	s_cbranch_vccz .LBB110_1955
; %bb.1954:
	s_cmp_lg_u32 s28, 11
	s_mov_b64 s[20:21], -1
	s_cselect_b64 s[0:1], -1, 0
.LBB110_1955:
	s_and_b64 vcc, exec, s[0:1]
	s_cbranch_vccnz .LBB110_2018
; %bb.1956:
	s_andn2_b64 vcc, exec, s[20:21]
	s_cbranch_vccnz .LBB110_1958
.LBB110_1957:
	global_load_ubyte v5, v[0:1], off
	s_mov_b64 s[22:23], -1
	s_waitcnt vmcnt(0)
	v_cmp_ne_u16_e32 vcc, 0, v5
	v_cndmask_b32_e64 v5, 0, 1.0, vcc
.LBB110_1958:
	s_branch .LBB110_1886
.LBB110_1959:
	s_and_b32 s20, 0xffff, s30
	s_cmp_lt_i32 s20, 5
	s_cbranch_scc1 .LBB110_1964
; %bb.1960:
	s_cmp_lt_i32 s20, 8
	s_cbranch_scc1 .LBB110_1965
; %bb.1961:
	;; [unrolled: 3-line block ×3, first 2 shown]
	s_cmp_gt_i32 s20, 9
	s_cbranch_scc0 .LBB110_1967
; %bb.1963:
	global_load_dwordx2 v[5:6], v[0:1], off
	s_mov_b64 s[0:1], 0
	s_waitcnt vmcnt(0)
	v_cvt_f32_f64_e32 v5, v[5:6]
	s_branch .LBB110_1968
.LBB110_1964:
	s_mov_b64 s[0:1], -1
                                        ; implicit-def: $vgpr5
	s_branch .LBB110_1986
.LBB110_1965:
	s_mov_b64 s[0:1], -1
                                        ; implicit-def: $vgpr5
	s_branch .LBB110_1974
.LBB110_1966:
	s_mov_b64 s[0:1], -1
                                        ; implicit-def: $vgpr5
	s_branch .LBB110_1971
.LBB110_1967:
	s_mov_b64 s[0:1], -1
                                        ; implicit-def: $vgpr5
.LBB110_1968:
	s_andn2_b64 vcc, exec, s[0:1]
	s_cbranch_vccnz .LBB110_1970
; %bb.1969:
	global_load_dword v5, v[0:1], off
.LBB110_1970:
	s_mov_b64 s[0:1], 0
.LBB110_1971:
	s_andn2_b64 vcc, exec, s[0:1]
	s_cbranch_vccnz .LBB110_1973
; %bb.1972:
	global_load_dword v5, v[0:1], off
	s_waitcnt vmcnt(0)
	v_cvt_f32_f16_e32 v5, v5
.LBB110_1973:
	s_mov_b64 s[0:1], 0
.LBB110_1974:
	s_andn2_b64 vcc, exec, s[0:1]
	s_cbranch_vccnz .LBB110_1985
; %bb.1975:
	s_cmp_lt_i32 s20, 6
	s_cbranch_scc1 .LBB110_1978
; %bb.1976:
	s_cmp_gt_i32 s20, 6
	s_cbranch_scc0 .LBB110_1979
; %bb.1977:
	global_load_dwordx2 v[5:6], v[0:1], off
	s_mov_b64 s[0:1], 0
	s_waitcnt vmcnt(0)
	v_cvt_f32_f64_e32 v5, v[5:6]
	s_branch .LBB110_1980
.LBB110_1978:
	s_mov_b64 s[0:1], -1
                                        ; implicit-def: $vgpr5
	s_branch .LBB110_1983
.LBB110_1979:
	s_mov_b64 s[0:1], -1
                                        ; implicit-def: $vgpr5
.LBB110_1980:
	s_andn2_b64 vcc, exec, s[0:1]
	s_cbranch_vccnz .LBB110_1982
; %bb.1981:
	global_load_dword v5, v[0:1], off
.LBB110_1982:
	s_mov_b64 s[0:1], 0
.LBB110_1983:
	s_andn2_b64 vcc, exec, s[0:1]
	s_cbranch_vccnz .LBB110_1985
; %bb.1984:
	global_load_ushort v5, v[0:1], off
	s_waitcnt vmcnt(0)
	v_cvt_f32_f16_e32 v5, v5
.LBB110_1985:
	s_mov_b64 s[0:1], 0
.LBB110_1986:
	s_andn2_b64 vcc, exec, s[0:1]
	s_cbranch_vccnz .LBB110_2006
; %bb.1987:
	s_cmp_lt_i32 s20, 2
	s_cbranch_scc1 .LBB110_1991
; %bb.1988:
	s_cmp_lt_i32 s20, 3
	s_cbranch_scc1 .LBB110_1992
; %bb.1989:
	s_cmp_gt_i32 s20, 3
	s_cbranch_scc0 .LBB110_1993
; %bb.1990:
	global_load_dwordx2 v[5:6], v[0:1], off
	s_mov_b64 s[0:1], 0
	s_waitcnt vmcnt(0)
	v_xor_b32_e32 v8, v5, v6
	v_ffbh_i32_e32 v7, v6
	v_ashrrev_i32_e32 v8, 31, v8
	v_add_u32_e32 v7, -1, v7
	v_add_u32_e32 v8, 32, v8
	v_min_u32_e32 v7, v7, v8
	v_lshlrev_b64 v[5:6], v7, v[5:6]
	v_min_u32_e32 v5, 1, v5
	v_or_b32_e32 v5, v6, v5
	v_cvt_f32_i32_e32 v5, v5
	v_sub_u32_e32 v6, 32, v7
	v_ldexp_f32 v5, v5, v6
	s_branch .LBB110_1994
.LBB110_1991:
	s_mov_b64 s[0:1], -1
                                        ; implicit-def: $vgpr5
	s_branch .LBB110_2000
.LBB110_1992:
	s_mov_b64 s[0:1], -1
                                        ; implicit-def: $vgpr5
	s_branch .LBB110_1997
.LBB110_1993:
	s_mov_b64 s[0:1], -1
                                        ; implicit-def: $vgpr5
.LBB110_1994:
	s_andn2_b64 vcc, exec, s[0:1]
	s_cbranch_vccnz .LBB110_1996
; %bb.1995:
	global_load_dword v5, v[0:1], off
	s_waitcnt vmcnt(0)
	v_cvt_f32_i32_e32 v5, v5
.LBB110_1996:
	s_mov_b64 s[0:1], 0
.LBB110_1997:
	s_andn2_b64 vcc, exec, s[0:1]
	s_cbranch_vccnz .LBB110_1999
; %bb.1998:
	global_load_sshort v5, v[0:1], off
	s_waitcnt vmcnt(0)
	v_cvt_f32_i32_e32 v5, v5
.LBB110_1999:
	s_mov_b64 s[0:1], 0
.LBB110_2000:
	s_andn2_b64 vcc, exec, s[0:1]
	s_cbranch_vccnz .LBB110_2006
; %bb.2001:
	s_cmp_gt_i32 s20, 0
	s_cbranch_scc0 .LBB110_2003
; %bb.2002:
	global_load_sbyte v5, v[0:1], off
	s_mov_b64 s[0:1], 0
	s_waitcnt vmcnt(0)
	v_cvt_f32_i32_e32 v5, v5
	s_branch .LBB110_2004
.LBB110_2003:
	s_mov_b64 s[0:1], -1
                                        ; implicit-def: $vgpr5
.LBB110_2004:
	s_andn2_b64 vcc, exec, s[0:1]
	s_cbranch_vccnz .LBB110_2006
; %bb.2005:
	global_load_ubyte v0, v[0:1], off
	s_waitcnt vmcnt(0)
	v_cvt_f32_ubyte0_e32 v5, v0
.LBB110_2006:
.LBB110_2007:
	s_lshl_b32 s14, s14, 7
	v_add_u32_e32 v4, s14, v4
	v_ashrrev_i32_e32 v1, 31, v4
	v_mov_b32_e32 v6, s3
	v_add_co_u32_e32 v0, vcc, s2, v4
	s_cmp_lt_i32 s31, 11
	v_addc_co_u32_e32 v1, vcc, v6, v1, vcc
	s_cbranch_scc1 .LBB110_2014
; %bb.2008:
	s_and_b32 s28, 0xffff, s31
	s_cmp_gt_i32 s28, 25
	s_mov_b64 s[20:21], 0
	s_cbranch_scc0 .LBB110_2015
; %bb.2009:
	s_cmp_gt_i32 s28, 28
	s_cbranch_scc0 .LBB110_2016
; %bb.2010:
	s_cmp_gt_i32 s28, 43
	;; [unrolled: 3-line block ×3, first 2 shown]
	s_cbranch_scc0 .LBB110_2019
; %bb.2012:
	s_cmp_eq_u32 s28, 46
	s_mov_b64 s[24:25], 0
	s_cbranch_scc0 .LBB110_2020
; %bb.2013:
	global_load_dword v6, v[0:1], off
	s_mov_b64 s[0:1], 0
	s_mov_b64 s[22:23], -1
	s_waitcnt vmcnt(0)
	v_lshlrev_b32_e32 v6, 16, v6
	s_branch .LBB110_2021
.LBB110_2014:
	s_mov_b64 s[0:1], -1
	s_mov_b64 s[22:23], 0
                                        ; implicit-def: $vgpr6
	s_branch .LBB110_2087
.LBB110_2015:
	s_mov_b64 s[24:25], -1
	s_mov_b64 s[22:23], 0
	s_mov_b64 s[0:1], 0
                                        ; implicit-def: $vgpr6
	s_branch .LBB110_2050
.LBB110_2016:
	s_mov_b64 s[24:25], -1
	s_mov_b64 s[22:23], 0
	s_mov_b64 s[0:1], 0
                                        ; implicit-def: $vgpr6
	s_branch .LBB110_2031
.LBB110_2017:
	s_mov_b64 s[24:25], -1
	s_mov_b64 s[22:23], 0
	s_mov_b64 s[0:1], 0
                                        ; implicit-def: $vgpr6
	s_branch .LBB110_2026
.LBB110_2018:
	s_trap 2
	s_or_b64 s[18:19], s[18:19], exec
	s_cbranch_execz .LBB110_1957
	s_branch .LBB110_1958
.LBB110_2019:
	s_mov_b64 s[24:25], -1
	s_mov_b64 s[22:23], 0
	s_mov_b64 s[0:1], 0
                                        ; implicit-def: $vgpr6
	s_branch .LBB110_2021
.LBB110_2020:
	s_mov_b64 s[0:1], -1
                                        ; implicit-def: $vgpr6
	s_mov_b64 s[22:23], 0
.LBB110_2021:
	s_and_b64 vcc, exec, s[24:25]
	s_cbranch_vccz .LBB110_2025
; %bb.2022:
	s_cmp_eq_u32 s28, 44
	s_cbranch_scc0 .LBB110_2024
; %bb.2023:
	global_load_ubyte v6, v[0:1], off
	s_movk_i32 s22, 0xff
	v_mov_b32_e32 v7, 0x7f800001
	v_mov_b32_e32 v8, 0x400000
	s_mov_b64 s[0:1], 0
	s_waitcnt vmcnt(0)
	v_lshlrev_b32_e32 v9, 23, v6
	v_cmp_ne_u32_e32 vcc, s22, v6
	v_cndmask_b32_e32 v7, v7, v9, vcc
	v_cmp_ne_u32_e32 vcc, 0, v6
	v_cndmask_b32_e32 v6, v8, v7, vcc
	s_mov_b64 s[22:23], -1
	s_branch .LBB110_2025
.LBB110_2024:
	s_mov_b64 s[0:1], -1
                                        ; implicit-def: $vgpr6
.LBB110_2025:
	s_mov_b64 s[24:25], 0
.LBB110_2026:
	s_and_b64 vcc, exec, s[24:25]
	s_cbranch_vccz .LBB110_2030
; %bb.2027:
	s_cmp_eq_u32 s28, 29
	s_cbranch_scc0 .LBB110_2029
; %bb.2028:
	global_load_dwordx2 v[6:7], v[0:1], off
	s_mov_b64 s[0:1], 0
	s_mov_b64 s[22:23], -1
	s_mov_b64 s[24:25], 0
	s_waitcnt vmcnt(0)
	v_ffbh_u32_e32 v8, v7
	v_min_u32_e32 v8, 32, v8
	v_lshlrev_b64 v[6:7], v8, v[6:7]
	v_min_u32_e32 v6, 1, v6
	v_or_b32_e32 v6, v7, v6
	v_cvt_f32_u32_e32 v6, v6
	v_sub_u32_e32 v7, 32, v8
	v_ldexp_f32 v6, v6, v7
	s_branch .LBB110_2031
.LBB110_2029:
	s_mov_b64 s[0:1], -1
                                        ; implicit-def: $vgpr6
.LBB110_2030:
	s_mov_b64 s[24:25], 0
.LBB110_2031:
	s_and_b64 vcc, exec, s[24:25]
	s_cbranch_vccz .LBB110_2049
; %bb.2032:
	s_cmp_lt_i32 s28, 27
	s_cbranch_scc1 .LBB110_2035
; %bb.2033:
	s_cmp_gt_i32 s28, 27
	s_cbranch_scc0 .LBB110_2036
; %bb.2034:
	global_load_dword v6, v[0:1], off
	s_mov_b64 s[22:23], 0
	s_waitcnt vmcnt(0)
	v_cvt_f32_u32_e32 v6, v6
	s_branch .LBB110_2037
.LBB110_2035:
	s_mov_b64 s[22:23], -1
                                        ; implicit-def: $vgpr6
	s_branch .LBB110_2040
.LBB110_2036:
	s_mov_b64 s[22:23], -1
                                        ; implicit-def: $vgpr6
.LBB110_2037:
	s_andn2_b64 vcc, exec, s[22:23]
	s_cbranch_vccnz .LBB110_2039
; %bb.2038:
	global_load_ushort v6, v[0:1], off
	s_waitcnt vmcnt(0)
	v_cvt_f32_u32_e32 v6, v6
.LBB110_2039:
	s_mov_b64 s[22:23], 0
.LBB110_2040:
	s_andn2_b64 vcc, exec, s[22:23]
	s_cbranch_vccnz .LBB110_2048
; %bb.2041:
	global_load_ubyte v7, v[0:1], off
	s_movk_i32 s22, 0x7f
	s_waitcnt vmcnt(0)
	v_cmp_lt_i16_e32 vcc, s22, v7
	s_mov_b64 s[22:23], 0
	s_and_saveexec_b64 s[24:25], vcc
	s_xor_b64 s[24:25], exec, s[24:25]
	s_cbranch_execz .LBB110_2062
; %bb.2042:
	s_movk_i32 s22, 0x80
	v_cmp_eq_u16_e32 vcc, s22, v7
	s_mov_b64 s[22:23], -1
	s_and_saveexec_b64 s[26:27], vcc
; %bb.2043:
	s_xor_b64 s[22:23], exec, -1
; %bb.2044:
	s_or_b64 exec, exec, s[26:27]
	s_and_b64 s[22:23], s[22:23], exec
	s_or_saveexec_b64 s[24:25], s[24:25]
	v_mov_b32_e32 v6, 0x7f800001
	s_xor_b64 exec, exec, s[24:25]
	s_cbranch_execnz .LBB110_2063
.LBB110_2045:
	s_or_b64 exec, exec, s[24:25]
	s_and_saveexec_b64 s[24:25], s[22:23]
	s_cbranch_execz .LBB110_2047
.LBB110_2046:
	v_lshlrev_b32_e32 v6, 24, v7
	v_and_b32_e32 v7, 0xffff, v7
	v_and_b32_e32 v8, 7, v7
	v_ffbh_u32_e32 v10, v8
	v_min_u32_e32 v10, 32, v10
	v_subrev_u32_e32 v11, 28, v10
	v_bfe_u32 v9, v7, 3, 4
	v_lshlrev_b32_e32 v7, v11, v7
	v_sub_u32_e32 v10, 29, v10
	v_and_b32_e32 v7, 7, v7
	v_cmp_eq_u32_e32 vcc, 0, v9
	v_cndmask_b32_e32 v9, v9, v10, vcc
	v_cndmask_b32_e32 v7, v8, v7, vcc
	v_mov_b32_e32 v8, 0x3b800000
	v_lshlrev_b32_e32 v7, 20, v7
	v_and_b32_e32 v6, 0x80000000, v6
	v_lshl_add_u32 v8, v9, 23, v8
	v_or3_b32 v6, v6, v8, v7
.LBB110_2047:
	s_or_b64 exec, exec, s[24:25]
.LBB110_2048:
	s_mov_b64 s[22:23], -1
.LBB110_2049:
	s_mov_b64 s[24:25], 0
.LBB110_2050:
	s_and_b64 vcc, exec, s[24:25]
	s_cbranch_vccz .LBB110_2083
; %bb.2051:
	s_cmp_gt_i32 s28, 22
	s_cbranch_scc0 .LBB110_2061
; %bb.2052:
	s_cmp_lt_i32 s28, 24
	s_cbranch_scc1 .LBB110_2064
; %bb.2053:
	s_cmp_gt_i32 s28, 24
	s_cbranch_scc0 .LBB110_2065
; %bb.2054:
	global_load_ubyte v7, v[0:1], off
	s_movk_i32 s20, 0x7f
	s_waitcnt vmcnt(0)
	v_cmp_lt_i16_e32 vcc, s20, v7
	s_mov_b64 s[20:21], 0
	s_and_saveexec_b64 s[22:23], vcc
	s_xor_b64 s[22:23], exec, s[22:23]
	s_cbranch_execz .LBB110_2077
; %bb.2055:
	s_movk_i32 s20, 0x80
	v_cmp_eq_u16_e32 vcc, s20, v7
	s_mov_b64 s[20:21], -1
	s_and_saveexec_b64 s[24:25], vcc
; %bb.2056:
	s_xor_b64 s[20:21], exec, -1
; %bb.2057:
	s_or_b64 exec, exec, s[24:25]
	s_and_b64 s[20:21], s[20:21], exec
	s_or_saveexec_b64 s[22:23], s[22:23]
	v_mov_b32_e32 v6, 0x7f800001
	s_xor_b64 exec, exec, s[22:23]
	s_cbranch_execnz .LBB110_2078
.LBB110_2058:
	s_or_b64 exec, exec, s[22:23]
	s_and_saveexec_b64 s[22:23], s[20:21]
	s_cbranch_execz .LBB110_2060
.LBB110_2059:
	v_lshlrev_b32_e32 v6, 24, v7
	v_and_b32_e32 v7, 0xffff, v7
	v_and_b32_e32 v8, 3, v7
	v_ffbh_u32_e32 v10, v8
	v_min_u32_e32 v10, 32, v10
	v_subrev_u32_e32 v11, 29, v10
	v_bfe_u32 v9, v7, 2, 5
	v_lshlrev_b32_e32 v7, v11, v7
	v_sub_u32_e32 v10, 30, v10
	v_and_b32_e32 v7, 3, v7
	v_cmp_eq_u32_e32 vcc, 0, v9
	v_cndmask_b32_e32 v9, v9, v10, vcc
	v_cndmask_b32_e32 v7, v8, v7, vcc
	v_mov_b32_e32 v8, 0x37800000
	v_lshlrev_b32_e32 v7, 21, v7
	v_and_b32_e32 v6, 0x80000000, v6
	v_lshl_add_u32 v8, v9, 23, v8
	v_or3_b32 v6, v6, v8, v7
.LBB110_2060:
	s_or_b64 exec, exec, s[22:23]
	s_mov_b64 s[20:21], 0
	s_branch .LBB110_2066
.LBB110_2061:
	s_mov_b64 s[20:21], -1
                                        ; implicit-def: $vgpr6
	s_branch .LBB110_2072
.LBB110_2062:
	s_or_saveexec_b64 s[24:25], s[24:25]
	v_mov_b32_e32 v6, 0x7f800001
	s_xor_b64 exec, exec, s[24:25]
	s_cbranch_execz .LBB110_2045
.LBB110_2063:
	v_cmp_ne_u16_e32 vcc, 0, v7
	s_andn2_b64 s[22:23], s[22:23], exec
	s_and_b64 s[26:27], vcc, exec
	v_mov_b32_e32 v6, 0
	s_or_b64 s[22:23], s[22:23], s[26:27]
	s_or_b64 exec, exec, s[24:25]
	s_and_saveexec_b64 s[24:25], s[22:23]
	s_cbranch_execnz .LBB110_2046
	s_branch .LBB110_2047
.LBB110_2064:
	s_mov_b64 s[20:21], -1
                                        ; implicit-def: $vgpr6
	s_branch .LBB110_2069
.LBB110_2065:
	s_mov_b64 s[20:21], -1
                                        ; implicit-def: $vgpr6
.LBB110_2066:
	s_and_b64 vcc, exec, s[20:21]
	s_cbranch_vccz .LBB110_2068
; %bb.2067:
	global_load_ubyte v6, v[0:1], off
	s_mov_b32 s20, 0x7f800000
	s_waitcnt vmcnt(0)
	v_lshlrev_b32_e32 v6, 24, v6
	v_and_b32_e32 v7, 0x7f000000, v6
	v_ffbh_u32_e32 v8, v7
	v_min_u32_e32 v8, 32, v8
	v_sub_u32_e64 v8, v8, 4 clamp
	v_lshlrev_b32_e32 v10, v8, v7
	v_lshlrev_b32_e32 v8, 23, v8
	v_lshrrev_b32_e32 v10, 4, v10
	v_add_u32_e32 v9, 0x1000000, v7
	v_sub_u32_e32 v8, v10, v8
	v_ashrrev_i32_e32 v9, 8, v9
	v_add_u32_e32 v8, 0x3c000000, v8
	v_and_or_b32 v8, v9, s20, v8
	v_cmp_ne_u32_e32 vcc, 0, v7
	v_cndmask_b32_e32 v7, 0, v8, vcc
	s_brev_b32 s20, 1
	v_and_or_b32 v6, v6, s20, v7
.LBB110_2068:
	s_mov_b64 s[20:21], 0
.LBB110_2069:
	s_andn2_b64 vcc, exec, s[20:21]
	s_cbranch_vccnz .LBB110_2071
; %bb.2070:
	global_load_ubyte v6, v[0:1], off
	s_movk_i32 s20, 0x7f00
	s_brev_b32 s21, 16
	s_waitcnt vmcnt(0)
	v_lshlrev_b16_e32 v7, 8, v6
	v_lshlrev_b32_e32 v6, 25, v6
	v_lshrrev_b32_e32 v8, 4, v6
	v_and_or_b32 v9, v7, s20, 0.5
	v_or_b32_e32 v8, 0x70000000, v8
	v_add_f32_e32 v9, -0.5, v9
	v_mul_f32_e32 v8, 0x7800000, v8
	v_cmp_gt_u32_e32 vcc, s21, v6
	v_bfe_i32 v7, v7, 0, 16
	v_cndmask_b32_e32 v6, v8, v9, vcc
	s_brev_b32 s20, 1
	v_and_or_b32 v6, v7, s20, v6
.LBB110_2071:
	s_mov_b64 s[20:21], 0
	s_mov_b64 s[22:23], -1
.LBB110_2072:
	s_andn2_b64 vcc, exec, s[20:21]
	s_mov_b64 s[20:21], 0
	s_cbranch_vccnz .LBB110_2083
; %bb.2073:
	s_cmp_gt_i32 s28, 14
	s_cbranch_scc0 .LBB110_2076
; %bb.2074:
	s_cmp_eq_u32 s28, 15
	s_cbranch_scc0 .LBB110_2079
; %bb.2075:
	global_load_ushort v6, v[0:1], off
	s_mov_b64 s[0:1], 0
	s_mov_b64 s[22:23], -1
	s_waitcnt vmcnt(0)
	v_lshlrev_b32_e32 v6, 16, v6
	s_branch .LBB110_2080
.LBB110_2076:
	s_mov_b64 s[24:25], -1
                                        ; implicit-def: $vgpr6
	s_branch .LBB110_2081
.LBB110_2077:
	s_or_saveexec_b64 s[22:23], s[22:23]
	v_mov_b32_e32 v6, 0x7f800001
	s_xor_b64 exec, exec, s[22:23]
	s_cbranch_execz .LBB110_2058
.LBB110_2078:
	v_cmp_ne_u16_e32 vcc, 0, v7
	s_andn2_b64 s[20:21], s[20:21], exec
	s_and_b64 s[24:25], vcc, exec
	v_mov_b32_e32 v6, 0
	s_or_b64 s[20:21], s[20:21], s[24:25]
	s_or_b64 exec, exec, s[22:23]
	s_and_saveexec_b64 s[22:23], s[20:21]
	s_cbranch_execnz .LBB110_2059
	s_branch .LBB110_2060
.LBB110_2079:
	s_mov_b64 s[0:1], -1
                                        ; implicit-def: $vgpr6
.LBB110_2080:
	s_mov_b64 s[24:25], 0
.LBB110_2081:
	s_and_b64 vcc, exec, s[24:25]
	s_cbranch_vccz .LBB110_2083
; %bb.2082:
	s_cmp_lg_u32 s28, 11
	s_mov_b64 s[20:21], -1
	s_cselect_b64 s[0:1], -1, 0
.LBB110_2083:
	s_and_b64 vcc, exec, s[0:1]
	s_cbranch_vccnz .LBB110_2165
; %bb.2084:
	s_andn2_b64 vcc, exec, s[20:21]
	s_cbranch_vccnz .LBB110_2086
.LBB110_2085:
	global_load_ubyte v6, v[0:1], off
	s_mov_b64 s[22:23], -1
	s_waitcnt vmcnt(0)
	v_cmp_ne_u16_e32 vcc, 0, v6
	v_cndmask_b32_e64 v6, 0, 1.0, vcc
.LBB110_2086:
	s_mov_b64 s[0:1], 0
.LBB110_2087:
	s_and_b64 vcc, exec, s[0:1]
	s_cbranch_vccz .LBB110_2136
; %bb.2088:
	s_and_b32 s20, 0xffff, s31
	s_cmp_lt_i32 s20, 5
	s_cbranch_scc1 .LBB110_2093
; %bb.2089:
	s_cmp_lt_i32 s20, 8
	s_cbranch_scc1 .LBB110_2094
; %bb.2090:
	s_cmp_lt_i32 s20, 9
	s_cbranch_scc1 .LBB110_2095
; %bb.2091:
	s_cmp_gt_i32 s20, 9
	s_cbranch_scc0 .LBB110_2096
; %bb.2092:
	global_load_dwordx2 v[6:7], v[0:1], off
	s_mov_b64 s[0:1], 0
	s_waitcnt vmcnt(0)
	v_cvt_f32_f64_e32 v6, v[6:7]
	s_branch .LBB110_2097
.LBB110_2093:
	s_mov_b64 s[0:1], -1
                                        ; implicit-def: $vgpr6
	s_branch .LBB110_2115
.LBB110_2094:
	s_mov_b64 s[0:1], -1
                                        ; implicit-def: $vgpr6
	s_branch .LBB110_2103
.LBB110_2095:
	s_mov_b64 s[0:1], -1
                                        ; implicit-def: $vgpr6
	s_branch .LBB110_2100
.LBB110_2096:
	s_mov_b64 s[0:1], -1
                                        ; implicit-def: $vgpr6
.LBB110_2097:
	s_andn2_b64 vcc, exec, s[0:1]
	s_cbranch_vccnz .LBB110_2099
; %bb.2098:
	global_load_dword v6, v[0:1], off
.LBB110_2099:
	s_mov_b64 s[0:1], 0
.LBB110_2100:
	s_andn2_b64 vcc, exec, s[0:1]
	s_cbranch_vccnz .LBB110_2102
; %bb.2101:
	global_load_dword v6, v[0:1], off
	s_waitcnt vmcnt(0)
	v_cvt_f32_f16_e32 v6, v6
.LBB110_2102:
	s_mov_b64 s[0:1], 0
.LBB110_2103:
	s_andn2_b64 vcc, exec, s[0:1]
	s_cbranch_vccnz .LBB110_2114
; %bb.2104:
	s_cmp_lt_i32 s20, 6
	s_cbranch_scc1 .LBB110_2107
; %bb.2105:
	s_cmp_gt_i32 s20, 6
	s_cbranch_scc0 .LBB110_2108
; %bb.2106:
	global_load_dwordx2 v[6:7], v[0:1], off
	s_mov_b64 s[0:1], 0
	s_waitcnt vmcnt(0)
	v_cvt_f32_f64_e32 v6, v[6:7]
	s_branch .LBB110_2109
.LBB110_2107:
	s_mov_b64 s[0:1], -1
                                        ; implicit-def: $vgpr6
	s_branch .LBB110_2112
.LBB110_2108:
	s_mov_b64 s[0:1], -1
                                        ; implicit-def: $vgpr6
.LBB110_2109:
	s_andn2_b64 vcc, exec, s[0:1]
	s_cbranch_vccnz .LBB110_2111
; %bb.2110:
	global_load_dword v6, v[0:1], off
.LBB110_2111:
	s_mov_b64 s[0:1], 0
.LBB110_2112:
	s_andn2_b64 vcc, exec, s[0:1]
	s_cbranch_vccnz .LBB110_2114
; %bb.2113:
	global_load_ushort v6, v[0:1], off
	s_waitcnt vmcnt(0)
	v_cvt_f32_f16_e32 v6, v6
.LBB110_2114:
	s_mov_b64 s[0:1], 0
.LBB110_2115:
	s_andn2_b64 vcc, exec, s[0:1]
	s_cbranch_vccnz .LBB110_2135
; %bb.2116:
	s_cmp_lt_i32 s20, 2
	s_cbranch_scc1 .LBB110_2120
; %bb.2117:
	s_cmp_lt_i32 s20, 3
	s_cbranch_scc1 .LBB110_2121
; %bb.2118:
	s_cmp_gt_i32 s20, 3
	s_cbranch_scc0 .LBB110_2122
; %bb.2119:
	global_load_dwordx2 v[6:7], v[0:1], off
	s_mov_b64 s[0:1], 0
	s_waitcnt vmcnt(0)
	v_xor_b32_e32 v9, v6, v7
	v_ffbh_i32_e32 v8, v7
	v_ashrrev_i32_e32 v9, 31, v9
	v_add_u32_e32 v8, -1, v8
	v_add_u32_e32 v9, 32, v9
	v_min_u32_e32 v8, v8, v9
	v_lshlrev_b64 v[6:7], v8, v[6:7]
	v_min_u32_e32 v6, 1, v6
	v_or_b32_e32 v6, v7, v6
	v_cvt_f32_i32_e32 v6, v6
	v_sub_u32_e32 v7, 32, v8
	v_ldexp_f32 v6, v6, v7
	s_branch .LBB110_2123
.LBB110_2120:
	s_mov_b64 s[0:1], -1
                                        ; implicit-def: $vgpr6
	s_branch .LBB110_2129
.LBB110_2121:
	s_mov_b64 s[0:1], -1
                                        ; implicit-def: $vgpr6
	s_branch .LBB110_2126
.LBB110_2122:
	s_mov_b64 s[0:1], -1
                                        ; implicit-def: $vgpr6
.LBB110_2123:
	s_andn2_b64 vcc, exec, s[0:1]
	s_cbranch_vccnz .LBB110_2125
; %bb.2124:
	global_load_dword v6, v[0:1], off
	s_waitcnt vmcnt(0)
	v_cvt_f32_i32_e32 v6, v6
.LBB110_2125:
	s_mov_b64 s[0:1], 0
.LBB110_2126:
	s_andn2_b64 vcc, exec, s[0:1]
	s_cbranch_vccnz .LBB110_2128
; %bb.2127:
	global_load_sshort v6, v[0:1], off
	s_waitcnt vmcnt(0)
	v_cvt_f32_i32_e32 v6, v6
.LBB110_2128:
	s_mov_b64 s[0:1], 0
.LBB110_2129:
	s_andn2_b64 vcc, exec, s[0:1]
	s_cbranch_vccnz .LBB110_2135
; %bb.2130:
	s_cmp_gt_i32 s20, 0
	s_cbranch_scc0 .LBB110_2132
; %bb.2131:
	global_load_sbyte v6, v[0:1], off
	s_mov_b64 s[0:1], 0
	s_waitcnt vmcnt(0)
	v_cvt_f32_i32_e32 v6, v6
	s_branch .LBB110_2133
.LBB110_2132:
	s_mov_b64 s[0:1], -1
                                        ; implicit-def: $vgpr6
.LBB110_2133:
	s_andn2_b64 vcc, exec, s[0:1]
	s_cbranch_vccnz .LBB110_2135
; %bb.2134:
	global_load_ubyte v0, v[0:1], off
	s_waitcnt vmcnt(0)
	v_cvt_f32_ubyte0_e32 v6, v0
.LBB110_2135:
	s_mov_b64 s[22:23], -1
.LBB110_2136:
	s_andn2_b64 vcc, exec, s[22:23]
	s_cbranch_vccnz .LBB110_2697
; %bb.2137:
	s_cmp_lt_i32 s15, 1
	s_mov_b64 s[0:1], 0
	s_cbranch_scc1 .LBB110_2141
; %bb.2138:
	s_cmp_gt_i32 s15, 1
	s_cbranch_scc0 .LBB110_2142
; %bb.2139:
	s_cmp_eq_u32 s15, 2
	s_cbranch_scc0 .LBB110_2143
; %bb.2140:
	s_waitcnt vmcnt(0)
	v_cmp_le_f32_e64 s[20:21], v5, v6
	s_mov_b64 s[22:23], 0
	s_branch .LBB110_2144
.LBB110_2141:
	s_mov_b64 s[24:25], -1
                                        ; implicit-def: $sgpr20_sgpr21
	s_mov_b64 s[22:23], 0
	s_branch .LBB110_2148
.LBB110_2142:
	s_mov_b64 s[24:25], -1
	s_mov_b64 s[22:23], 0
                                        ; implicit-def: $sgpr20_sgpr21
	s_branch .LBB110_2145
.LBB110_2143:
	s_mov_b64 s[22:23], -1
                                        ; implicit-def: $sgpr20_sgpr21
.LBB110_2144:
	s_mov_b64 s[24:25], 0
.LBB110_2145:
	s_and_b64 vcc, exec, s[24:25]
	s_cbranch_vccz .LBB110_2147
; %bb.2146:
	s_waitcnt vmcnt(0)
	v_cmp_gt_f32_e32 vcc, v5, v6
	s_andn2_b64 s[20:21], s[20:21], exec
	s_and_b64 s[24:25], vcc, exec
	s_or_b64 s[20:21], s[20:21], s[24:25]
.LBB110_2147:
	s_mov_b64 s[24:25], 0
.LBB110_2148:
	s_and_b64 vcc, exec, s[24:25]
	s_cbranch_vccz .LBB110_2159
; %bb.2149:
	s_cmp_lg_u32 s15, 0
	s_mov_b64 s[0:1], -1
	s_cselect_b64 s[22:23], -1, 0
	s_andn2_b64 vcc, exec, s[22:23]
	s_cbranch_vccz .LBB110_2160
.LBB110_2150:
	s_andn2_b64 vcc, exec, s[0:1]
	s_cbranch_vccnz .LBB110_2152
.LBB110_2151:
	s_waitcnt vmcnt(0)
	v_cmp_ge_f32_e32 vcc, v5, v6
	s_andn2_b64 s[0:1], s[20:21], exec
	s_and_b64 s[20:21], vcc, exec
	s_or_b64 s[20:21], s[0:1], s[20:21]
.LBB110_2152:
	v_add_u32_e32 v3, s13, v3
	v_ashrrev_i32_e32 v1, 31, v3
	s_waitcnt vmcnt(0)
	v_mov_b32_e32 v5, s11
	v_add_co_u32_e32 v0, vcc, s10, v3
	s_cmp_lt_i32 s30, 11
	v_addc_co_u32_e32 v1, vcc, v5, v1, vcc
	s_cbranch_scc1 .LBB110_2161
; %bb.2153:
	s_and_b32 s34, 0xffff, s30
	s_cmp_gt_i32 s34, 25
	s_mov_b64 s[22:23], 0
	s_cbranch_scc0 .LBB110_2162
; %bb.2154:
	s_cmp_gt_i32 s34, 28
	s_cbranch_scc0 .LBB110_2163
; %bb.2155:
	s_cmp_gt_i32 s34, 43
	;; [unrolled: 3-line block ×3, first 2 shown]
	s_cbranch_scc0 .LBB110_2166
; %bb.2157:
	s_cmp_eq_u32 s34, 46
	s_mov_b64 s[26:27], 0
	s_cbranch_scc0 .LBB110_2167
; %bb.2158:
	global_load_dword v5, v[0:1], off
	s_mov_b64 s[0:1], 0
	s_mov_b64 s[24:25], -1
	s_waitcnt vmcnt(0)
	v_lshlrev_b32_e32 v5, 16, v5
	s_branch .LBB110_2168
.LBB110_2159:
	s_andn2_b64 vcc, exec, s[22:23]
	s_cbranch_vccnz .LBB110_2150
.LBB110_2160:
	s_waitcnt vmcnt(0)
	v_cmp_lt_f32_e32 vcc, v5, v6
	s_andn2_b64 s[20:21], s[20:21], exec
	s_and_b64 s[22:23], vcc, exec
	s_or_b64 s[20:21], s[20:21], s[22:23]
	s_cbranch_execz .LBB110_2151
	s_branch .LBB110_2152
.LBB110_2161:
	s_mov_b64 s[0:1], -1
	s_mov_b64 s[24:25], 0
                                        ; implicit-def: $vgpr5
	s_branch .LBB110_2234
.LBB110_2162:
	s_mov_b64 s[26:27], -1
	s_mov_b64 s[24:25], 0
	s_mov_b64 s[0:1], 0
                                        ; implicit-def: $vgpr5
	s_branch .LBB110_2197
.LBB110_2163:
	s_mov_b64 s[26:27], -1
	s_mov_b64 s[24:25], 0
	s_mov_b64 s[0:1], 0
                                        ; implicit-def: $vgpr5
	s_branch .LBB110_2178
.LBB110_2164:
	s_mov_b64 s[26:27], -1
	s_mov_b64 s[24:25], 0
	s_mov_b64 s[0:1], 0
                                        ; implicit-def: $vgpr5
	s_branch .LBB110_2173
.LBB110_2165:
	s_trap 2
	s_or_b64 s[18:19], s[18:19], exec
	s_cbranch_execz .LBB110_2085
	s_branch .LBB110_2086
.LBB110_2166:
	s_mov_b64 s[26:27], -1
	s_mov_b64 s[24:25], 0
	s_mov_b64 s[0:1], 0
                                        ; implicit-def: $vgpr5
	s_branch .LBB110_2168
.LBB110_2167:
	s_mov_b64 s[0:1], -1
                                        ; implicit-def: $vgpr5
	s_mov_b64 s[24:25], 0
.LBB110_2168:
	s_and_b64 vcc, exec, s[26:27]
	s_cbranch_vccz .LBB110_2172
; %bb.2169:
	s_cmp_eq_u32 s34, 44
	s_cbranch_scc0 .LBB110_2171
; %bb.2170:
	global_load_ubyte v5, v[0:1], off
	s_movk_i32 s24, 0xff
	v_mov_b32_e32 v6, 0x7f800001
	v_mov_b32_e32 v7, 0x400000
	s_mov_b64 s[0:1], 0
	s_waitcnt vmcnt(0)
	v_lshlrev_b32_e32 v8, 23, v5
	v_cmp_ne_u32_e32 vcc, s24, v5
	v_cndmask_b32_e32 v6, v6, v8, vcc
	v_cmp_ne_u32_e32 vcc, 0, v5
	v_cndmask_b32_e32 v5, v7, v6, vcc
	s_mov_b64 s[24:25], -1
	s_branch .LBB110_2172
.LBB110_2171:
	s_mov_b64 s[0:1], -1
                                        ; implicit-def: $vgpr5
.LBB110_2172:
	s_mov_b64 s[26:27], 0
.LBB110_2173:
	s_and_b64 vcc, exec, s[26:27]
	s_cbranch_vccz .LBB110_2177
; %bb.2174:
	s_cmp_eq_u32 s34, 29
	s_cbranch_scc0 .LBB110_2176
; %bb.2175:
	global_load_dwordx2 v[5:6], v[0:1], off
	s_mov_b64 s[0:1], 0
	s_mov_b64 s[24:25], -1
	s_mov_b64 s[26:27], 0
	s_waitcnt vmcnt(0)
	v_ffbh_u32_e32 v7, v6
	v_min_u32_e32 v7, 32, v7
	v_lshlrev_b64 v[5:6], v7, v[5:6]
	v_min_u32_e32 v5, 1, v5
	v_or_b32_e32 v5, v6, v5
	v_cvt_f32_u32_e32 v5, v5
	v_sub_u32_e32 v6, 32, v7
	v_ldexp_f32 v5, v5, v6
	s_branch .LBB110_2178
.LBB110_2176:
	s_mov_b64 s[0:1], -1
                                        ; implicit-def: $vgpr5
.LBB110_2177:
	s_mov_b64 s[26:27], 0
.LBB110_2178:
	s_and_b64 vcc, exec, s[26:27]
	s_cbranch_vccz .LBB110_2196
; %bb.2179:
	s_cmp_lt_i32 s34, 27
	s_cbranch_scc1 .LBB110_2182
; %bb.2180:
	s_cmp_gt_i32 s34, 27
	s_cbranch_scc0 .LBB110_2183
; %bb.2181:
	global_load_dword v5, v[0:1], off
	s_mov_b64 s[24:25], 0
	s_waitcnt vmcnt(0)
	v_cvt_f32_u32_e32 v5, v5
	s_branch .LBB110_2184
.LBB110_2182:
	s_mov_b64 s[24:25], -1
                                        ; implicit-def: $vgpr5
	s_branch .LBB110_2187
.LBB110_2183:
	s_mov_b64 s[24:25], -1
                                        ; implicit-def: $vgpr5
.LBB110_2184:
	s_andn2_b64 vcc, exec, s[24:25]
	s_cbranch_vccnz .LBB110_2186
; %bb.2185:
	global_load_ushort v5, v[0:1], off
	s_waitcnt vmcnt(0)
	v_cvt_f32_u32_e32 v5, v5
.LBB110_2186:
	s_mov_b64 s[24:25], 0
.LBB110_2187:
	s_andn2_b64 vcc, exec, s[24:25]
	s_cbranch_vccnz .LBB110_2195
; %bb.2188:
	global_load_ubyte v6, v[0:1], off
	s_movk_i32 s24, 0x7f
	s_waitcnt vmcnt(0)
	v_cmp_lt_i16_e32 vcc, s24, v6
	s_mov_b64 s[24:25], 0
	s_and_saveexec_b64 s[26:27], vcc
	s_xor_b64 s[26:27], exec, s[26:27]
	s_cbranch_execz .LBB110_2209
; %bb.2189:
	s_movk_i32 s24, 0x80
	v_cmp_eq_u16_e32 vcc, s24, v6
	s_mov_b64 s[24:25], -1
	s_and_saveexec_b64 s[28:29], vcc
; %bb.2190:
	s_xor_b64 s[24:25], exec, -1
; %bb.2191:
	s_or_b64 exec, exec, s[28:29]
	s_and_b64 s[24:25], s[24:25], exec
	s_or_saveexec_b64 s[26:27], s[26:27]
	v_mov_b32_e32 v5, 0x7f800001
	s_xor_b64 exec, exec, s[26:27]
	s_cbranch_execnz .LBB110_2210
.LBB110_2192:
	s_or_b64 exec, exec, s[26:27]
	s_and_saveexec_b64 s[26:27], s[24:25]
	s_cbranch_execz .LBB110_2194
.LBB110_2193:
	v_lshlrev_b32_e32 v5, 24, v6
	v_and_b32_e32 v6, 0xffff, v6
	v_and_b32_e32 v7, 7, v6
	v_ffbh_u32_e32 v9, v7
	v_min_u32_e32 v9, 32, v9
	v_subrev_u32_e32 v10, 28, v9
	v_bfe_u32 v8, v6, 3, 4
	v_lshlrev_b32_e32 v6, v10, v6
	v_sub_u32_e32 v9, 29, v9
	v_and_b32_e32 v6, 7, v6
	v_cmp_eq_u32_e32 vcc, 0, v8
	v_cndmask_b32_e32 v8, v8, v9, vcc
	v_cndmask_b32_e32 v6, v7, v6, vcc
	v_mov_b32_e32 v7, 0x3b800000
	v_lshlrev_b32_e32 v6, 20, v6
	v_and_b32_e32 v5, 0x80000000, v5
	v_lshl_add_u32 v7, v8, 23, v7
	v_or3_b32 v5, v5, v7, v6
.LBB110_2194:
	s_or_b64 exec, exec, s[26:27]
.LBB110_2195:
	s_mov_b64 s[24:25], -1
.LBB110_2196:
	s_mov_b64 s[26:27], 0
.LBB110_2197:
	s_and_b64 vcc, exec, s[26:27]
	s_cbranch_vccz .LBB110_2230
; %bb.2198:
	s_cmp_gt_i32 s34, 22
	s_cbranch_scc0 .LBB110_2208
; %bb.2199:
	s_cmp_lt_i32 s34, 24
	s_cbranch_scc1 .LBB110_2211
; %bb.2200:
	s_cmp_gt_i32 s34, 24
	s_cbranch_scc0 .LBB110_2212
; %bb.2201:
	global_load_ubyte v6, v[0:1], off
	s_movk_i32 s22, 0x7f
	s_waitcnt vmcnt(0)
	v_cmp_lt_i16_e32 vcc, s22, v6
	s_mov_b64 s[22:23], 0
	s_and_saveexec_b64 s[24:25], vcc
	s_xor_b64 s[24:25], exec, s[24:25]
	s_cbranch_execz .LBB110_2224
; %bb.2202:
	s_movk_i32 s22, 0x80
	v_cmp_eq_u16_e32 vcc, s22, v6
	s_mov_b64 s[22:23], -1
	s_and_saveexec_b64 s[26:27], vcc
; %bb.2203:
	s_xor_b64 s[22:23], exec, -1
; %bb.2204:
	s_or_b64 exec, exec, s[26:27]
	s_and_b64 s[22:23], s[22:23], exec
	s_or_saveexec_b64 s[24:25], s[24:25]
	v_mov_b32_e32 v5, 0x7f800001
	s_xor_b64 exec, exec, s[24:25]
	s_cbranch_execnz .LBB110_2225
.LBB110_2205:
	s_or_b64 exec, exec, s[24:25]
	s_and_saveexec_b64 s[24:25], s[22:23]
	s_cbranch_execz .LBB110_2207
.LBB110_2206:
	v_lshlrev_b32_e32 v5, 24, v6
	v_and_b32_e32 v6, 0xffff, v6
	v_and_b32_e32 v7, 3, v6
	v_ffbh_u32_e32 v9, v7
	v_min_u32_e32 v9, 32, v9
	v_subrev_u32_e32 v10, 29, v9
	v_bfe_u32 v8, v6, 2, 5
	v_lshlrev_b32_e32 v6, v10, v6
	v_sub_u32_e32 v9, 30, v9
	v_and_b32_e32 v6, 3, v6
	v_cmp_eq_u32_e32 vcc, 0, v8
	v_cndmask_b32_e32 v8, v8, v9, vcc
	v_cndmask_b32_e32 v6, v7, v6, vcc
	v_mov_b32_e32 v7, 0x37800000
	v_lshlrev_b32_e32 v6, 21, v6
	v_and_b32_e32 v5, 0x80000000, v5
	v_lshl_add_u32 v7, v8, 23, v7
	v_or3_b32 v5, v5, v7, v6
.LBB110_2207:
	s_or_b64 exec, exec, s[24:25]
	s_mov_b64 s[22:23], 0
	s_branch .LBB110_2213
.LBB110_2208:
	s_mov_b64 s[22:23], -1
                                        ; implicit-def: $vgpr5
	s_branch .LBB110_2219
.LBB110_2209:
	s_or_saveexec_b64 s[26:27], s[26:27]
	v_mov_b32_e32 v5, 0x7f800001
	s_xor_b64 exec, exec, s[26:27]
	s_cbranch_execz .LBB110_2192
.LBB110_2210:
	v_cmp_ne_u16_e32 vcc, 0, v6
	s_andn2_b64 s[24:25], s[24:25], exec
	s_and_b64 s[28:29], vcc, exec
	v_mov_b32_e32 v5, 0
	s_or_b64 s[24:25], s[24:25], s[28:29]
	s_or_b64 exec, exec, s[26:27]
	s_and_saveexec_b64 s[26:27], s[24:25]
	s_cbranch_execnz .LBB110_2193
	s_branch .LBB110_2194
.LBB110_2211:
	s_mov_b64 s[22:23], -1
                                        ; implicit-def: $vgpr5
	s_branch .LBB110_2216
.LBB110_2212:
	s_mov_b64 s[22:23], -1
                                        ; implicit-def: $vgpr5
.LBB110_2213:
	s_and_b64 vcc, exec, s[22:23]
	s_cbranch_vccz .LBB110_2215
; %bb.2214:
	global_load_ubyte v5, v[0:1], off
	s_mov_b32 s22, 0x7f800000
	s_waitcnt vmcnt(0)
	v_lshlrev_b32_e32 v5, 24, v5
	v_and_b32_e32 v6, 0x7f000000, v5
	v_ffbh_u32_e32 v7, v6
	v_min_u32_e32 v7, 32, v7
	v_sub_u32_e64 v7, v7, 4 clamp
	v_lshlrev_b32_e32 v9, v7, v6
	v_lshlrev_b32_e32 v7, 23, v7
	v_lshrrev_b32_e32 v9, 4, v9
	v_add_u32_e32 v8, 0x1000000, v6
	v_sub_u32_e32 v7, v9, v7
	v_ashrrev_i32_e32 v8, 8, v8
	v_add_u32_e32 v7, 0x3c000000, v7
	v_and_or_b32 v7, v8, s22, v7
	v_cmp_ne_u32_e32 vcc, 0, v6
	v_cndmask_b32_e32 v6, 0, v7, vcc
	s_brev_b32 s22, 1
	v_and_or_b32 v5, v5, s22, v6
.LBB110_2215:
	s_mov_b64 s[22:23], 0
.LBB110_2216:
	s_andn2_b64 vcc, exec, s[22:23]
	s_cbranch_vccnz .LBB110_2218
; %bb.2217:
	global_load_ubyte v5, v[0:1], off
	s_movk_i32 s22, 0x7f00
	s_brev_b32 s23, 16
	s_waitcnt vmcnt(0)
	v_lshlrev_b16_e32 v6, 8, v5
	v_lshlrev_b32_e32 v5, 25, v5
	v_lshrrev_b32_e32 v7, 4, v5
	v_and_or_b32 v8, v6, s22, 0.5
	v_or_b32_e32 v7, 0x70000000, v7
	v_add_f32_e32 v8, -0.5, v8
	v_mul_f32_e32 v7, 0x7800000, v7
	v_cmp_gt_u32_e32 vcc, s23, v5
	v_bfe_i32 v6, v6, 0, 16
	v_cndmask_b32_e32 v5, v7, v8, vcc
	s_brev_b32 s22, 1
	v_and_or_b32 v5, v6, s22, v5
.LBB110_2218:
	s_mov_b64 s[22:23], 0
	s_mov_b64 s[24:25], -1
.LBB110_2219:
	s_andn2_b64 vcc, exec, s[22:23]
	s_mov_b64 s[22:23], 0
	s_cbranch_vccnz .LBB110_2230
; %bb.2220:
	s_cmp_gt_i32 s34, 14
	s_cbranch_scc0 .LBB110_2223
; %bb.2221:
	s_cmp_eq_u32 s34, 15
	s_cbranch_scc0 .LBB110_2226
; %bb.2222:
	global_load_ushort v5, v[0:1], off
	s_mov_b64 s[0:1], 0
	s_mov_b64 s[24:25], -1
	s_waitcnt vmcnt(0)
	v_lshlrev_b32_e32 v5, 16, v5
	s_branch .LBB110_2227
.LBB110_2223:
	s_mov_b64 s[26:27], -1
                                        ; implicit-def: $vgpr5
	s_branch .LBB110_2228
.LBB110_2224:
	s_or_saveexec_b64 s[24:25], s[24:25]
	v_mov_b32_e32 v5, 0x7f800001
	s_xor_b64 exec, exec, s[24:25]
	s_cbranch_execz .LBB110_2205
.LBB110_2225:
	v_cmp_ne_u16_e32 vcc, 0, v6
	s_andn2_b64 s[22:23], s[22:23], exec
	s_and_b64 s[26:27], vcc, exec
	v_mov_b32_e32 v5, 0
	s_or_b64 s[22:23], s[22:23], s[26:27]
	s_or_b64 exec, exec, s[24:25]
	s_and_saveexec_b64 s[24:25], s[22:23]
	s_cbranch_execnz .LBB110_2206
	s_branch .LBB110_2207
.LBB110_2226:
	s_mov_b64 s[0:1], -1
                                        ; implicit-def: $vgpr5
.LBB110_2227:
	s_mov_b64 s[26:27], 0
.LBB110_2228:
	s_and_b64 vcc, exec, s[26:27]
	s_cbranch_vccz .LBB110_2230
; %bb.2229:
	s_cmp_lg_u32 s34, 11
	s_mov_b64 s[22:23], -1
	s_cselect_b64 s[0:1], -1, 0
.LBB110_2230:
	s_and_b64 vcc, exec, s[0:1]
	s_cbranch_vccnz .LBB110_2295
; %bb.2231:
	s_andn2_b64 vcc, exec, s[22:23]
	s_cbranch_vccnz .LBB110_2233
.LBB110_2232:
	global_load_ubyte v5, v[0:1], off
	s_mov_b64 s[24:25], -1
	s_waitcnt vmcnt(0)
	v_cmp_ne_u16_e32 vcc, 0, v5
	v_cndmask_b32_e64 v5, 0, 1.0, vcc
.LBB110_2233:
	s_mov_b64 s[0:1], 0
.LBB110_2234:
	s_and_b64 vcc, exec, s[0:1]
	s_cbranch_vccz .LBB110_2283
; %bb.2235:
	s_and_b32 s22, 0xffff, s30
	s_cmp_lt_i32 s22, 5
	s_cbranch_scc1 .LBB110_2240
; %bb.2236:
	s_cmp_lt_i32 s22, 8
	s_cbranch_scc1 .LBB110_2241
; %bb.2237:
	;; [unrolled: 3-line block ×3, first 2 shown]
	s_cmp_gt_i32 s22, 9
	s_cbranch_scc0 .LBB110_2243
; %bb.2239:
	global_load_dwordx2 v[5:6], v[0:1], off
	s_mov_b64 s[0:1], 0
	s_waitcnt vmcnt(0)
	v_cvt_f32_f64_e32 v5, v[5:6]
	s_branch .LBB110_2244
.LBB110_2240:
	s_mov_b64 s[0:1], -1
                                        ; implicit-def: $vgpr5
	s_branch .LBB110_2262
.LBB110_2241:
	s_mov_b64 s[0:1], -1
                                        ; implicit-def: $vgpr5
	s_branch .LBB110_2250
.LBB110_2242:
	s_mov_b64 s[0:1], -1
                                        ; implicit-def: $vgpr5
	s_branch .LBB110_2247
.LBB110_2243:
	s_mov_b64 s[0:1], -1
                                        ; implicit-def: $vgpr5
.LBB110_2244:
	s_andn2_b64 vcc, exec, s[0:1]
	s_cbranch_vccnz .LBB110_2246
; %bb.2245:
	global_load_dword v5, v[0:1], off
.LBB110_2246:
	s_mov_b64 s[0:1], 0
.LBB110_2247:
	s_andn2_b64 vcc, exec, s[0:1]
	s_cbranch_vccnz .LBB110_2249
; %bb.2248:
	global_load_dword v5, v[0:1], off
	s_waitcnt vmcnt(0)
	v_cvt_f32_f16_e32 v5, v5
.LBB110_2249:
	s_mov_b64 s[0:1], 0
.LBB110_2250:
	s_andn2_b64 vcc, exec, s[0:1]
	s_cbranch_vccnz .LBB110_2261
; %bb.2251:
	s_cmp_lt_i32 s22, 6
	s_cbranch_scc1 .LBB110_2254
; %bb.2252:
	s_cmp_gt_i32 s22, 6
	s_cbranch_scc0 .LBB110_2255
; %bb.2253:
	global_load_dwordx2 v[5:6], v[0:1], off
	s_mov_b64 s[0:1], 0
	s_waitcnt vmcnt(0)
	v_cvt_f32_f64_e32 v5, v[5:6]
	s_branch .LBB110_2256
.LBB110_2254:
	s_mov_b64 s[0:1], -1
                                        ; implicit-def: $vgpr5
	s_branch .LBB110_2259
.LBB110_2255:
	s_mov_b64 s[0:1], -1
                                        ; implicit-def: $vgpr5
.LBB110_2256:
	s_andn2_b64 vcc, exec, s[0:1]
	s_cbranch_vccnz .LBB110_2258
; %bb.2257:
	global_load_dword v5, v[0:1], off
.LBB110_2258:
	s_mov_b64 s[0:1], 0
.LBB110_2259:
	s_andn2_b64 vcc, exec, s[0:1]
	s_cbranch_vccnz .LBB110_2261
; %bb.2260:
	global_load_ushort v5, v[0:1], off
	s_waitcnt vmcnt(0)
	v_cvt_f32_f16_e32 v5, v5
.LBB110_2261:
	s_mov_b64 s[0:1], 0
.LBB110_2262:
	s_andn2_b64 vcc, exec, s[0:1]
	s_cbranch_vccnz .LBB110_2282
; %bb.2263:
	s_cmp_lt_i32 s22, 2
	s_cbranch_scc1 .LBB110_2267
; %bb.2264:
	s_cmp_lt_i32 s22, 3
	s_cbranch_scc1 .LBB110_2268
; %bb.2265:
	s_cmp_gt_i32 s22, 3
	s_cbranch_scc0 .LBB110_2269
; %bb.2266:
	global_load_dwordx2 v[5:6], v[0:1], off
	s_mov_b64 s[0:1], 0
	s_waitcnt vmcnt(0)
	v_xor_b32_e32 v8, v5, v6
	v_ffbh_i32_e32 v7, v6
	v_ashrrev_i32_e32 v8, 31, v8
	v_add_u32_e32 v7, -1, v7
	v_add_u32_e32 v8, 32, v8
	v_min_u32_e32 v7, v7, v8
	v_lshlrev_b64 v[5:6], v7, v[5:6]
	v_min_u32_e32 v5, 1, v5
	v_or_b32_e32 v5, v6, v5
	v_cvt_f32_i32_e32 v5, v5
	v_sub_u32_e32 v6, 32, v7
	v_ldexp_f32 v5, v5, v6
	s_branch .LBB110_2270
.LBB110_2267:
	s_mov_b64 s[0:1], -1
                                        ; implicit-def: $vgpr5
	s_branch .LBB110_2276
.LBB110_2268:
	s_mov_b64 s[0:1], -1
                                        ; implicit-def: $vgpr5
	s_branch .LBB110_2273
.LBB110_2269:
	s_mov_b64 s[0:1], -1
                                        ; implicit-def: $vgpr5
.LBB110_2270:
	s_andn2_b64 vcc, exec, s[0:1]
	s_cbranch_vccnz .LBB110_2272
; %bb.2271:
	global_load_dword v5, v[0:1], off
	s_waitcnt vmcnt(0)
	v_cvt_f32_i32_e32 v5, v5
.LBB110_2272:
	s_mov_b64 s[0:1], 0
.LBB110_2273:
	s_andn2_b64 vcc, exec, s[0:1]
	s_cbranch_vccnz .LBB110_2275
; %bb.2274:
	global_load_sshort v5, v[0:1], off
	s_waitcnt vmcnt(0)
	v_cvt_f32_i32_e32 v5, v5
.LBB110_2275:
	s_mov_b64 s[0:1], 0
.LBB110_2276:
	s_andn2_b64 vcc, exec, s[0:1]
	s_cbranch_vccnz .LBB110_2282
; %bb.2277:
	s_cmp_gt_i32 s22, 0
	s_cbranch_scc0 .LBB110_2279
; %bb.2278:
	global_load_sbyte v5, v[0:1], off
	s_mov_b64 s[0:1], 0
	s_waitcnt vmcnt(0)
	v_cvt_f32_i32_e32 v5, v5
	s_branch .LBB110_2280
.LBB110_2279:
	s_mov_b64 s[0:1], -1
                                        ; implicit-def: $vgpr5
.LBB110_2280:
	s_andn2_b64 vcc, exec, s[0:1]
	s_cbranch_vccnz .LBB110_2282
; %bb.2281:
	global_load_ubyte v0, v[0:1], off
	s_waitcnt vmcnt(0)
	v_cvt_f32_ubyte0_e32 v5, v0
.LBB110_2282:
	s_mov_b64 s[24:25], -1
.LBB110_2283:
	s_andn2_b64 vcc, exec, s[24:25]
	s_cbranch_vccnz .LBB110_2697
; %bb.2284:
	v_add_u32_e32 v4, s14, v4
	v_ashrrev_i32_e32 v1, 31, v4
	v_mov_b32_e32 v6, s3
	v_add_co_u32_e32 v0, vcc, s2, v4
	s_cmp_lt_i32 s31, 11
	v_addc_co_u32_e32 v1, vcc, v6, v1, vcc
	s_cbranch_scc1 .LBB110_2291
; %bb.2285:
	s_and_b32 s34, 0xffff, s31
	s_cmp_gt_i32 s34, 25
	s_mov_b64 s[22:23], 0
	s_cbranch_scc0 .LBB110_2292
; %bb.2286:
	s_cmp_gt_i32 s34, 28
	s_cbranch_scc0 .LBB110_2293
; %bb.2287:
	s_cmp_gt_i32 s34, 43
	;; [unrolled: 3-line block ×3, first 2 shown]
	s_cbranch_scc0 .LBB110_2296
; %bb.2289:
	s_cmp_eq_u32 s34, 46
	s_mov_b64 s[26:27], 0
	s_cbranch_scc0 .LBB110_2299
; %bb.2290:
	global_load_dword v6, v[0:1], off
	s_mov_b64 s[0:1], 0
	s_mov_b64 s[24:25], -1
	s_waitcnt vmcnt(0)
	v_lshlrev_b32_e32 v6, 16, v6
	s_branch .LBB110_2300
.LBB110_2291:
	s_mov_b64 s[0:1], -1
	s_mov_b64 s[24:25], 0
                                        ; implicit-def: $vgpr6
	s_branch .LBB110_2366
.LBB110_2292:
	s_mov_b64 s[26:27], -1
	s_mov_b64 s[24:25], 0
	s_mov_b64 s[0:1], 0
                                        ; implicit-def: $vgpr6
	s_branch .LBB110_2329
.LBB110_2293:
	s_mov_b64 s[26:27], -1
	s_mov_b64 s[24:25], 0
	s_mov_b64 s[0:1], 0
                                        ; implicit-def: $vgpr6
	s_branch .LBB110_2310
.LBB110_2294:
	s_mov_b64 s[26:27], -1
	s_mov_b64 s[24:25], 0
	s_mov_b64 s[0:1], 0
                                        ; implicit-def: $vgpr6
	s_branch .LBB110_2305
.LBB110_2295:
	s_trap 2
	s_or_b64 s[18:19], s[18:19], exec
	s_cbranch_execz .LBB110_2232
	s_branch .LBB110_2233
.LBB110_2296:
	s_mov_b64 s[26:27], -1
	s_mov_b64 s[24:25], 0
	s_mov_b64 s[0:1], 0
                                        ; implicit-def: $vgpr6
	s_branch .LBB110_2300
.LBB110_2297:
	s_andn2_saveexec_b64 s[46:47], s[46:47]
	s_cbranch_execz .LBB110_1135
.LBB110_2298:
	v_add_f32_e32 v3, 0x42800000, v4
	v_and_b32_e32 v3, 0xff, v3
	v_cmp_ne_u32_e32 vcc, 0, v3
	s_andn2_b64 s[44:45], s[44:45], exec
	s_and_b64 s[52:53], vcc, exec
	s_or_b64 s[44:45], s[44:45], s[52:53]
	s_or_b64 exec, exec, s[46:47]
	v_mov_b32_e32 v5, 0
	s_and_saveexec_b64 s[46:47], s[44:45]
	s_cbranch_execnz .LBB110_1136
	s_branch .LBB110_1137
.LBB110_2299:
	s_mov_b64 s[0:1], -1
                                        ; implicit-def: $vgpr6
	s_mov_b64 s[24:25], 0
.LBB110_2300:
	s_and_b64 vcc, exec, s[26:27]
	s_cbranch_vccz .LBB110_2304
; %bb.2301:
	s_cmp_eq_u32 s34, 44
	s_cbranch_scc0 .LBB110_2303
; %bb.2302:
	global_load_ubyte v6, v[0:1], off
	s_movk_i32 s24, 0xff
	v_mov_b32_e32 v7, 0x7f800001
	v_mov_b32_e32 v8, 0x400000
	s_mov_b64 s[0:1], 0
	s_waitcnt vmcnt(0)
	v_lshlrev_b32_e32 v9, 23, v6
	v_cmp_ne_u32_e32 vcc, s24, v6
	v_cndmask_b32_e32 v7, v7, v9, vcc
	v_cmp_ne_u32_e32 vcc, 0, v6
	v_cndmask_b32_e32 v6, v8, v7, vcc
	s_mov_b64 s[24:25], -1
	s_branch .LBB110_2304
.LBB110_2303:
	s_mov_b64 s[0:1], -1
                                        ; implicit-def: $vgpr6
.LBB110_2304:
	s_mov_b64 s[26:27], 0
.LBB110_2305:
	s_and_b64 vcc, exec, s[26:27]
	s_cbranch_vccz .LBB110_2309
; %bb.2306:
	s_cmp_eq_u32 s34, 29
	s_cbranch_scc0 .LBB110_2308
; %bb.2307:
	global_load_dwordx2 v[6:7], v[0:1], off
	s_mov_b64 s[0:1], 0
	s_mov_b64 s[24:25], -1
	s_mov_b64 s[26:27], 0
	s_waitcnt vmcnt(0)
	v_ffbh_u32_e32 v8, v7
	v_min_u32_e32 v8, 32, v8
	v_lshlrev_b64 v[6:7], v8, v[6:7]
	v_min_u32_e32 v6, 1, v6
	v_or_b32_e32 v6, v7, v6
	v_cvt_f32_u32_e32 v6, v6
	v_sub_u32_e32 v7, 32, v8
	v_ldexp_f32 v6, v6, v7
	s_branch .LBB110_2310
.LBB110_2308:
	s_mov_b64 s[0:1], -1
                                        ; implicit-def: $vgpr6
.LBB110_2309:
	s_mov_b64 s[26:27], 0
.LBB110_2310:
	s_and_b64 vcc, exec, s[26:27]
	s_cbranch_vccz .LBB110_2328
; %bb.2311:
	s_cmp_lt_i32 s34, 27
	s_cbranch_scc1 .LBB110_2314
; %bb.2312:
	s_cmp_gt_i32 s34, 27
	s_cbranch_scc0 .LBB110_2315
; %bb.2313:
	global_load_dword v6, v[0:1], off
	s_mov_b64 s[24:25], 0
	s_waitcnt vmcnt(0)
	v_cvt_f32_u32_e32 v6, v6
	s_branch .LBB110_2316
.LBB110_2314:
	s_mov_b64 s[24:25], -1
                                        ; implicit-def: $vgpr6
	s_branch .LBB110_2319
.LBB110_2315:
	s_mov_b64 s[24:25], -1
                                        ; implicit-def: $vgpr6
.LBB110_2316:
	s_andn2_b64 vcc, exec, s[24:25]
	s_cbranch_vccnz .LBB110_2318
; %bb.2317:
	global_load_ushort v6, v[0:1], off
	s_waitcnt vmcnt(0)
	v_cvt_f32_u32_e32 v6, v6
.LBB110_2318:
	s_mov_b64 s[24:25], 0
.LBB110_2319:
	s_andn2_b64 vcc, exec, s[24:25]
	s_cbranch_vccnz .LBB110_2327
; %bb.2320:
	global_load_ubyte v7, v[0:1], off
	s_movk_i32 s24, 0x7f
	s_waitcnt vmcnt(0)
	v_cmp_lt_i16_e32 vcc, s24, v7
	s_mov_b64 s[24:25], 0
	s_and_saveexec_b64 s[26:27], vcc
	s_xor_b64 s[26:27], exec, s[26:27]
	s_cbranch_execz .LBB110_2341
; %bb.2321:
	s_movk_i32 s24, 0x80
	v_cmp_eq_u16_e32 vcc, s24, v7
	s_mov_b64 s[24:25], -1
	s_and_saveexec_b64 s[28:29], vcc
; %bb.2322:
	s_xor_b64 s[24:25], exec, -1
; %bb.2323:
	s_or_b64 exec, exec, s[28:29]
	s_and_b64 s[24:25], s[24:25], exec
	s_or_saveexec_b64 s[26:27], s[26:27]
	v_mov_b32_e32 v6, 0x7f800001
	s_xor_b64 exec, exec, s[26:27]
	s_cbranch_execnz .LBB110_2342
.LBB110_2324:
	s_or_b64 exec, exec, s[26:27]
	s_and_saveexec_b64 s[26:27], s[24:25]
	s_cbranch_execz .LBB110_2326
.LBB110_2325:
	v_lshlrev_b32_e32 v6, 24, v7
	v_and_b32_e32 v7, 0xffff, v7
	v_and_b32_e32 v8, 7, v7
	v_ffbh_u32_e32 v10, v8
	v_min_u32_e32 v10, 32, v10
	v_subrev_u32_e32 v11, 28, v10
	v_bfe_u32 v9, v7, 3, 4
	v_lshlrev_b32_e32 v7, v11, v7
	v_sub_u32_e32 v10, 29, v10
	v_and_b32_e32 v7, 7, v7
	v_cmp_eq_u32_e32 vcc, 0, v9
	v_cndmask_b32_e32 v9, v9, v10, vcc
	v_cndmask_b32_e32 v7, v8, v7, vcc
	v_mov_b32_e32 v8, 0x3b800000
	v_lshlrev_b32_e32 v7, 20, v7
	v_and_b32_e32 v6, 0x80000000, v6
	v_lshl_add_u32 v8, v9, 23, v8
	v_or3_b32 v6, v6, v8, v7
.LBB110_2326:
	s_or_b64 exec, exec, s[26:27]
.LBB110_2327:
	s_mov_b64 s[24:25], -1
.LBB110_2328:
	s_mov_b64 s[26:27], 0
.LBB110_2329:
	s_and_b64 vcc, exec, s[26:27]
	s_cbranch_vccz .LBB110_2362
; %bb.2330:
	s_cmp_gt_i32 s34, 22
	s_cbranch_scc0 .LBB110_2340
; %bb.2331:
	s_cmp_lt_i32 s34, 24
	s_cbranch_scc1 .LBB110_2343
; %bb.2332:
	s_cmp_gt_i32 s34, 24
	s_cbranch_scc0 .LBB110_2344
; %bb.2333:
	global_load_ubyte v7, v[0:1], off
	s_movk_i32 s22, 0x7f
	s_waitcnt vmcnt(0)
	v_cmp_lt_i16_e32 vcc, s22, v7
	s_mov_b64 s[22:23], 0
	s_and_saveexec_b64 s[24:25], vcc
	s_xor_b64 s[24:25], exec, s[24:25]
	s_cbranch_execz .LBB110_2356
; %bb.2334:
	s_movk_i32 s22, 0x80
	v_cmp_eq_u16_e32 vcc, s22, v7
	s_mov_b64 s[22:23], -1
	s_and_saveexec_b64 s[26:27], vcc
; %bb.2335:
	s_xor_b64 s[22:23], exec, -1
; %bb.2336:
	s_or_b64 exec, exec, s[26:27]
	s_and_b64 s[22:23], s[22:23], exec
	s_or_saveexec_b64 s[24:25], s[24:25]
	v_mov_b32_e32 v6, 0x7f800001
	s_xor_b64 exec, exec, s[24:25]
	s_cbranch_execnz .LBB110_2357
.LBB110_2337:
	s_or_b64 exec, exec, s[24:25]
	s_and_saveexec_b64 s[24:25], s[22:23]
	s_cbranch_execz .LBB110_2339
.LBB110_2338:
	v_lshlrev_b32_e32 v6, 24, v7
	v_and_b32_e32 v7, 0xffff, v7
	v_and_b32_e32 v8, 3, v7
	v_ffbh_u32_e32 v10, v8
	v_min_u32_e32 v10, 32, v10
	v_subrev_u32_e32 v11, 29, v10
	v_bfe_u32 v9, v7, 2, 5
	v_lshlrev_b32_e32 v7, v11, v7
	v_sub_u32_e32 v10, 30, v10
	v_and_b32_e32 v7, 3, v7
	v_cmp_eq_u32_e32 vcc, 0, v9
	v_cndmask_b32_e32 v9, v9, v10, vcc
	v_cndmask_b32_e32 v7, v8, v7, vcc
	v_mov_b32_e32 v8, 0x37800000
	v_lshlrev_b32_e32 v7, 21, v7
	v_and_b32_e32 v6, 0x80000000, v6
	v_lshl_add_u32 v8, v9, 23, v8
	v_or3_b32 v6, v6, v8, v7
.LBB110_2339:
	s_or_b64 exec, exec, s[24:25]
	s_mov_b64 s[22:23], 0
	s_branch .LBB110_2345
.LBB110_2340:
	s_mov_b64 s[22:23], -1
                                        ; implicit-def: $vgpr6
	s_branch .LBB110_2351
.LBB110_2341:
	s_or_saveexec_b64 s[26:27], s[26:27]
	v_mov_b32_e32 v6, 0x7f800001
	s_xor_b64 exec, exec, s[26:27]
	s_cbranch_execz .LBB110_2324
.LBB110_2342:
	v_cmp_ne_u16_e32 vcc, 0, v7
	s_andn2_b64 s[24:25], s[24:25], exec
	s_and_b64 s[28:29], vcc, exec
	v_mov_b32_e32 v6, 0
	s_or_b64 s[24:25], s[24:25], s[28:29]
	s_or_b64 exec, exec, s[26:27]
	s_and_saveexec_b64 s[26:27], s[24:25]
	s_cbranch_execnz .LBB110_2325
	s_branch .LBB110_2326
.LBB110_2343:
	s_mov_b64 s[22:23], -1
                                        ; implicit-def: $vgpr6
	s_branch .LBB110_2348
.LBB110_2344:
	s_mov_b64 s[22:23], -1
                                        ; implicit-def: $vgpr6
.LBB110_2345:
	s_and_b64 vcc, exec, s[22:23]
	s_cbranch_vccz .LBB110_2347
; %bb.2346:
	global_load_ubyte v6, v[0:1], off
	s_mov_b32 s22, 0x7f800000
	s_waitcnt vmcnt(0)
	v_lshlrev_b32_e32 v6, 24, v6
	v_and_b32_e32 v7, 0x7f000000, v6
	v_ffbh_u32_e32 v8, v7
	v_min_u32_e32 v8, 32, v8
	v_sub_u32_e64 v8, v8, 4 clamp
	v_lshlrev_b32_e32 v10, v8, v7
	v_lshlrev_b32_e32 v8, 23, v8
	v_lshrrev_b32_e32 v10, 4, v10
	v_add_u32_e32 v9, 0x1000000, v7
	v_sub_u32_e32 v8, v10, v8
	v_ashrrev_i32_e32 v9, 8, v9
	v_add_u32_e32 v8, 0x3c000000, v8
	v_and_or_b32 v8, v9, s22, v8
	v_cmp_ne_u32_e32 vcc, 0, v7
	v_cndmask_b32_e32 v7, 0, v8, vcc
	s_brev_b32 s22, 1
	v_and_or_b32 v6, v6, s22, v7
.LBB110_2347:
	s_mov_b64 s[22:23], 0
.LBB110_2348:
	s_andn2_b64 vcc, exec, s[22:23]
	s_cbranch_vccnz .LBB110_2350
; %bb.2349:
	global_load_ubyte v6, v[0:1], off
	s_movk_i32 s22, 0x7f00
	s_brev_b32 s23, 16
	s_waitcnt vmcnt(0)
	v_lshlrev_b16_e32 v7, 8, v6
	v_lshlrev_b32_e32 v6, 25, v6
	v_lshrrev_b32_e32 v8, 4, v6
	v_and_or_b32 v9, v7, s22, 0.5
	v_or_b32_e32 v8, 0x70000000, v8
	v_add_f32_e32 v9, -0.5, v9
	v_mul_f32_e32 v8, 0x7800000, v8
	v_cmp_gt_u32_e32 vcc, s23, v6
	v_bfe_i32 v7, v7, 0, 16
	v_cndmask_b32_e32 v6, v8, v9, vcc
	s_brev_b32 s22, 1
	v_and_or_b32 v6, v7, s22, v6
.LBB110_2350:
	s_mov_b64 s[22:23], 0
	s_mov_b64 s[24:25], -1
.LBB110_2351:
	s_andn2_b64 vcc, exec, s[22:23]
	s_mov_b64 s[22:23], 0
	s_cbranch_vccnz .LBB110_2362
; %bb.2352:
	s_cmp_gt_i32 s34, 14
	s_cbranch_scc0 .LBB110_2355
; %bb.2353:
	s_cmp_eq_u32 s34, 15
	s_cbranch_scc0 .LBB110_2358
; %bb.2354:
	global_load_ushort v6, v[0:1], off
	s_mov_b64 s[0:1], 0
	s_mov_b64 s[24:25], -1
	s_waitcnt vmcnt(0)
	v_lshlrev_b32_e32 v6, 16, v6
	s_branch .LBB110_2359
.LBB110_2355:
	s_mov_b64 s[26:27], -1
                                        ; implicit-def: $vgpr6
	s_branch .LBB110_2360
.LBB110_2356:
	s_or_saveexec_b64 s[24:25], s[24:25]
	v_mov_b32_e32 v6, 0x7f800001
	s_xor_b64 exec, exec, s[24:25]
	s_cbranch_execz .LBB110_2337
.LBB110_2357:
	v_cmp_ne_u16_e32 vcc, 0, v7
	s_andn2_b64 s[22:23], s[22:23], exec
	s_and_b64 s[26:27], vcc, exec
	v_mov_b32_e32 v6, 0
	s_or_b64 s[22:23], s[22:23], s[26:27]
	s_or_b64 exec, exec, s[24:25]
	s_and_saveexec_b64 s[24:25], s[22:23]
	s_cbranch_execnz .LBB110_2338
	s_branch .LBB110_2339
.LBB110_2358:
	s_mov_b64 s[0:1], -1
                                        ; implicit-def: $vgpr6
.LBB110_2359:
	s_mov_b64 s[26:27], 0
.LBB110_2360:
	s_and_b64 vcc, exec, s[26:27]
	s_cbranch_vccz .LBB110_2362
; %bb.2361:
	s_cmp_lg_u32 s34, 11
	s_mov_b64 s[22:23], -1
	s_cselect_b64 s[0:1], -1, 0
.LBB110_2362:
	s_and_b64 vcc, exec, s[0:1]
	s_cbranch_vccnz .LBB110_2444
; %bb.2363:
	s_andn2_b64 vcc, exec, s[22:23]
	s_cbranch_vccnz .LBB110_2365
.LBB110_2364:
	global_load_ubyte v6, v[0:1], off
	s_mov_b64 s[24:25], -1
	s_waitcnt vmcnt(0)
	v_cmp_ne_u16_e32 vcc, 0, v6
	v_cndmask_b32_e64 v6, 0, 1.0, vcc
.LBB110_2365:
	s_mov_b64 s[0:1], 0
.LBB110_2366:
	s_and_b64 vcc, exec, s[0:1]
	s_cbranch_vccz .LBB110_2415
; %bb.2367:
	s_and_b32 s22, 0xffff, s31
	s_cmp_lt_i32 s22, 5
	s_cbranch_scc1 .LBB110_2372
; %bb.2368:
	s_cmp_lt_i32 s22, 8
	s_cbranch_scc1 .LBB110_2373
; %bb.2369:
	;; [unrolled: 3-line block ×3, first 2 shown]
	s_cmp_gt_i32 s22, 9
	s_cbranch_scc0 .LBB110_2375
; %bb.2371:
	global_load_dwordx2 v[6:7], v[0:1], off
	s_mov_b64 s[0:1], 0
	s_waitcnt vmcnt(0)
	v_cvt_f32_f64_e32 v6, v[6:7]
	s_branch .LBB110_2376
.LBB110_2372:
	s_mov_b64 s[0:1], -1
                                        ; implicit-def: $vgpr6
	s_branch .LBB110_2394
.LBB110_2373:
	s_mov_b64 s[0:1], -1
                                        ; implicit-def: $vgpr6
	s_branch .LBB110_2382
.LBB110_2374:
	s_mov_b64 s[0:1], -1
                                        ; implicit-def: $vgpr6
	s_branch .LBB110_2379
.LBB110_2375:
	s_mov_b64 s[0:1], -1
                                        ; implicit-def: $vgpr6
.LBB110_2376:
	s_andn2_b64 vcc, exec, s[0:1]
	s_cbranch_vccnz .LBB110_2378
; %bb.2377:
	global_load_dword v6, v[0:1], off
.LBB110_2378:
	s_mov_b64 s[0:1], 0
.LBB110_2379:
	s_andn2_b64 vcc, exec, s[0:1]
	s_cbranch_vccnz .LBB110_2381
; %bb.2380:
	global_load_dword v6, v[0:1], off
	s_waitcnt vmcnt(0)
	v_cvt_f32_f16_e32 v6, v6
.LBB110_2381:
	s_mov_b64 s[0:1], 0
.LBB110_2382:
	s_andn2_b64 vcc, exec, s[0:1]
	s_cbranch_vccnz .LBB110_2393
; %bb.2383:
	s_cmp_lt_i32 s22, 6
	s_cbranch_scc1 .LBB110_2386
; %bb.2384:
	s_cmp_gt_i32 s22, 6
	s_cbranch_scc0 .LBB110_2387
; %bb.2385:
	global_load_dwordx2 v[6:7], v[0:1], off
	s_mov_b64 s[0:1], 0
	s_waitcnt vmcnt(0)
	v_cvt_f32_f64_e32 v6, v[6:7]
	s_branch .LBB110_2388
.LBB110_2386:
	s_mov_b64 s[0:1], -1
                                        ; implicit-def: $vgpr6
	s_branch .LBB110_2391
.LBB110_2387:
	s_mov_b64 s[0:1], -1
                                        ; implicit-def: $vgpr6
.LBB110_2388:
	s_andn2_b64 vcc, exec, s[0:1]
	s_cbranch_vccnz .LBB110_2390
; %bb.2389:
	global_load_dword v6, v[0:1], off
.LBB110_2390:
	s_mov_b64 s[0:1], 0
.LBB110_2391:
	s_andn2_b64 vcc, exec, s[0:1]
	s_cbranch_vccnz .LBB110_2393
; %bb.2392:
	global_load_ushort v6, v[0:1], off
	s_waitcnt vmcnt(0)
	v_cvt_f32_f16_e32 v6, v6
.LBB110_2393:
	s_mov_b64 s[0:1], 0
.LBB110_2394:
	s_andn2_b64 vcc, exec, s[0:1]
	s_cbranch_vccnz .LBB110_2414
; %bb.2395:
	s_cmp_lt_i32 s22, 2
	s_cbranch_scc1 .LBB110_2399
; %bb.2396:
	s_cmp_lt_i32 s22, 3
	s_cbranch_scc1 .LBB110_2400
; %bb.2397:
	s_cmp_gt_i32 s22, 3
	s_cbranch_scc0 .LBB110_2401
; %bb.2398:
	global_load_dwordx2 v[6:7], v[0:1], off
	s_mov_b64 s[0:1], 0
	s_waitcnt vmcnt(0)
	v_xor_b32_e32 v9, v6, v7
	v_ffbh_i32_e32 v8, v7
	v_ashrrev_i32_e32 v9, 31, v9
	v_add_u32_e32 v8, -1, v8
	v_add_u32_e32 v9, 32, v9
	v_min_u32_e32 v8, v8, v9
	v_lshlrev_b64 v[6:7], v8, v[6:7]
	v_min_u32_e32 v6, 1, v6
	v_or_b32_e32 v6, v7, v6
	v_cvt_f32_i32_e32 v6, v6
	v_sub_u32_e32 v7, 32, v8
	v_ldexp_f32 v6, v6, v7
	s_branch .LBB110_2402
.LBB110_2399:
	s_mov_b64 s[0:1], -1
                                        ; implicit-def: $vgpr6
	s_branch .LBB110_2408
.LBB110_2400:
	s_mov_b64 s[0:1], -1
                                        ; implicit-def: $vgpr6
	s_branch .LBB110_2405
.LBB110_2401:
	s_mov_b64 s[0:1], -1
                                        ; implicit-def: $vgpr6
.LBB110_2402:
	s_andn2_b64 vcc, exec, s[0:1]
	s_cbranch_vccnz .LBB110_2404
; %bb.2403:
	global_load_dword v6, v[0:1], off
	s_waitcnt vmcnt(0)
	v_cvt_f32_i32_e32 v6, v6
.LBB110_2404:
	s_mov_b64 s[0:1], 0
.LBB110_2405:
	s_andn2_b64 vcc, exec, s[0:1]
	s_cbranch_vccnz .LBB110_2407
; %bb.2406:
	global_load_sshort v6, v[0:1], off
	s_waitcnt vmcnt(0)
	v_cvt_f32_i32_e32 v6, v6
.LBB110_2407:
	s_mov_b64 s[0:1], 0
.LBB110_2408:
	s_andn2_b64 vcc, exec, s[0:1]
	s_cbranch_vccnz .LBB110_2414
; %bb.2409:
	s_cmp_gt_i32 s22, 0
	s_cbranch_scc0 .LBB110_2411
; %bb.2410:
	global_load_sbyte v6, v[0:1], off
	s_mov_b64 s[0:1], 0
	s_waitcnt vmcnt(0)
	v_cvt_f32_i32_e32 v6, v6
	s_branch .LBB110_2412
.LBB110_2411:
	s_mov_b64 s[0:1], -1
                                        ; implicit-def: $vgpr6
.LBB110_2412:
	s_andn2_b64 vcc, exec, s[0:1]
	s_cbranch_vccnz .LBB110_2414
; %bb.2413:
	global_load_ubyte v0, v[0:1], off
	s_waitcnt vmcnt(0)
	v_cvt_f32_ubyte0_e32 v6, v0
.LBB110_2414:
	s_mov_b64 s[24:25], -1
.LBB110_2415:
	s_andn2_b64 vcc, exec, s[24:25]
	s_cbranch_vccnz .LBB110_2697
; %bb.2416:
	s_cmp_lt_i32 s15, 1
	s_mov_b64 s[0:1], 0
	s_cbranch_scc1 .LBB110_2420
; %bb.2417:
	s_cmp_gt_i32 s15, 1
	s_cbranch_scc0 .LBB110_2421
; %bb.2418:
	s_cmp_eq_u32 s15, 2
	s_cbranch_scc0 .LBB110_2422
; %bb.2419:
	s_waitcnt vmcnt(0)
	v_cmp_le_f32_e64 s[22:23], v5, v6
	s_mov_b64 s[24:25], 0
	s_branch .LBB110_2423
.LBB110_2420:
	s_mov_b64 s[26:27], -1
                                        ; implicit-def: $sgpr22_sgpr23
	s_mov_b64 s[24:25], 0
	s_branch .LBB110_2427
.LBB110_2421:
	s_mov_b64 s[26:27], -1
	s_mov_b64 s[24:25], 0
                                        ; implicit-def: $sgpr22_sgpr23
	s_branch .LBB110_2424
.LBB110_2422:
	s_mov_b64 s[24:25], -1
                                        ; implicit-def: $sgpr22_sgpr23
.LBB110_2423:
	s_mov_b64 s[26:27], 0
.LBB110_2424:
	s_and_b64 vcc, exec, s[26:27]
	s_cbranch_vccz .LBB110_2426
; %bb.2425:
	s_waitcnt vmcnt(0)
	v_cmp_gt_f32_e32 vcc, v5, v6
	s_andn2_b64 s[22:23], s[22:23], exec
	s_and_b64 s[26:27], vcc, exec
	s_or_b64 s[22:23], s[22:23], s[26:27]
.LBB110_2426:
	s_mov_b64 s[26:27], 0
.LBB110_2427:
	s_and_b64 vcc, exec, s[26:27]
	s_cbranch_vccz .LBB110_2438
; %bb.2428:
	s_cmp_lg_u32 s15, 0
	s_mov_b64 s[0:1], -1
	s_cselect_b64 s[24:25], -1, 0
	s_andn2_b64 vcc, exec, s[24:25]
	s_cbranch_vccz .LBB110_2439
.LBB110_2429:
	s_andn2_b64 vcc, exec, s[0:1]
	s_cbranch_vccnz .LBB110_2431
.LBB110_2430:
	s_waitcnt vmcnt(0)
	v_cmp_ge_f32_e32 vcc, v5, v6
	s_andn2_b64 s[0:1], s[22:23], exec
	s_and_b64 s[22:23], vcc, exec
	s_or_b64 s[22:23], s[0:1], s[22:23]
.LBB110_2431:
	v_add_u32_e32 v0, s13, v3
	v_ashrrev_i32_e32 v1, 31, v0
	v_mov_b32_e32 v3, s11
	v_add_co_u32_e32 v0, vcc, s10, v0
	s_cmp_lt_i32 s30, 11
	v_addc_co_u32_e32 v1, vcc, v3, v1, vcc
	s_cbranch_scc1 .LBB110_2440
; %bb.2432:
	s_and_b32 s13, 0xffff, s30
	s_cmp_gt_i32 s13, 25
	s_mov_b64 s[10:11], 0
	s_cbranch_scc0 .LBB110_2441
; %bb.2433:
	s_cmp_gt_i32 s13, 28
	s_cbranch_scc0 .LBB110_2442
; %bb.2434:
	s_cmp_gt_i32 s13, 43
	;; [unrolled: 3-line block ×3, first 2 shown]
	s_cbranch_scc0 .LBB110_2445
; %bb.2436:
	s_cmp_eq_u32 s13, 46
	s_mov_b64 s[26:27], 0
	s_cbranch_scc0 .LBB110_2446
; %bb.2437:
	global_load_dword v3, v[0:1], off
	s_mov_b64 s[0:1], 0
	s_mov_b64 s[24:25], -1
	s_waitcnt vmcnt(0)
	v_lshlrev_b32_e32 v3, 16, v3
	s_branch .LBB110_2447
.LBB110_2438:
	s_andn2_b64 vcc, exec, s[24:25]
	s_cbranch_vccnz .LBB110_2429
.LBB110_2439:
	s_waitcnt vmcnt(0)
	v_cmp_lt_f32_e32 vcc, v5, v6
	s_andn2_b64 s[22:23], s[22:23], exec
	s_and_b64 s[24:25], vcc, exec
	s_or_b64 s[22:23], s[22:23], s[24:25]
	s_cbranch_execz .LBB110_2430
	s_branch .LBB110_2431
.LBB110_2440:
	s_mov_b64 s[0:1], -1
	s_mov_b64 s[24:25], 0
                                        ; implicit-def: $vgpr3
	s_branch .LBB110_2513
.LBB110_2441:
	s_mov_b64 s[26:27], -1
	s_mov_b64 s[24:25], 0
	s_mov_b64 s[0:1], 0
                                        ; implicit-def: $vgpr3
	s_branch .LBB110_2476
.LBB110_2442:
	s_mov_b64 s[26:27], -1
	s_mov_b64 s[24:25], 0
	s_mov_b64 s[0:1], 0
                                        ; implicit-def: $vgpr3
	s_branch .LBB110_2457
.LBB110_2443:
	s_mov_b64 s[26:27], -1
	s_mov_b64 s[24:25], 0
	s_mov_b64 s[0:1], 0
                                        ; implicit-def: $vgpr3
	s_branch .LBB110_2452
.LBB110_2444:
	s_trap 2
	s_or_b64 s[18:19], s[18:19], exec
	s_cbranch_execz .LBB110_2364
	s_branch .LBB110_2365
.LBB110_2445:
	s_mov_b64 s[26:27], -1
	s_mov_b64 s[24:25], 0
	s_mov_b64 s[0:1], 0
                                        ; implicit-def: $vgpr3
	s_branch .LBB110_2447
.LBB110_2446:
	s_mov_b64 s[0:1], -1
                                        ; implicit-def: $vgpr3
	s_mov_b64 s[24:25], 0
.LBB110_2447:
	s_and_b64 vcc, exec, s[26:27]
	s_cbranch_vccz .LBB110_2451
; %bb.2448:
	s_cmp_eq_u32 s13, 44
	s_cbranch_scc0 .LBB110_2450
; %bb.2449:
	global_load_ubyte v3, v[0:1], off
	s_movk_i32 s24, 0xff
	s_waitcnt vmcnt(1)
	v_mov_b32_e32 v5, 0x7f800001
	v_mov_b32_e32 v6, 0x400000
	s_mov_b64 s[0:1], 0
	s_waitcnt vmcnt(0)
	v_lshlrev_b32_e32 v7, 23, v3
	v_cmp_ne_u32_e32 vcc, s24, v3
	v_cndmask_b32_e32 v5, v5, v7, vcc
	v_cmp_ne_u32_e32 vcc, 0, v3
	v_cndmask_b32_e32 v3, v6, v5, vcc
	s_mov_b64 s[24:25], -1
	s_branch .LBB110_2451
.LBB110_2450:
	s_mov_b64 s[0:1], -1
                                        ; implicit-def: $vgpr3
.LBB110_2451:
	s_mov_b64 s[26:27], 0
.LBB110_2452:
	s_and_b64 vcc, exec, s[26:27]
	s_cbranch_vccz .LBB110_2456
; %bb.2453:
	s_cmp_eq_u32 s13, 29
	s_cbranch_scc0 .LBB110_2455
; %bb.2454:
	global_load_dwordx2 v[5:6], v[0:1], off
	s_mov_b64 s[0:1], 0
	s_mov_b64 s[24:25], -1
	s_mov_b64 s[26:27], 0
	s_waitcnt vmcnt(0)
	v_ffbh_u32_e32 v3, v6
	v_min_u32_e32 v3, 32, v3
	v_lshlrev_b64 v[5:6], v3, v[5:6]
	v_sub_u32_e32 v3, 32, v3
	v_min_u32_e32 v5, 1, v5
	v_or_b32_e32 v5, v6, v5
	v_cvt_f32_u32_e32 v5, v5
	v_ldexp_f32 v3, v5, v3
	s_branch .LBB110_2457
.LBB110_2455:
	s_mov_b64 s[0:1], -1
                                        ; implicit-def: $vgpr3
.LBB110_2456:
	s_mov_b64 s[26:27], 0
.LBB110_2457:
	s_and_b64 vcc, exec, s[26:27]
	s_cbranch_vccz .LBB110_2475
; %bb.2458:
	s_cmp_lt_i32 s13, 27
	s_cbranch_scc1 .LBB110_2461
; %bb.2459:
	s_cmp_gt_i32 s13, 27
	s_cbranch_scc0 .LBB110_2462
; %bb.2460:
	global_load_dword v3, v[0:1], off
	s_mov_b64 s[24:25], 0
	s_waitcnt vmcnt(0)
	v_cvt_f32_u32_e32 v3, v3
	s_branch .LBB110_2463
.LBB110_2461:
	s_mov_b64 s[24:25], -1
                                        ; implicit-def: $vgpr3
	s_branch .LBB110_2466
.LBB110_2462:
	s_mov_b64 s[24:25], -1
                                        ; implicit-def: $vgpr3
.LBB110_2463:
	s_andn2_b64 vcc, exec, s[24:25]
	s_cbranch_vccnz .LBB110_2465
; %bb.2464:
	global_load_ushort v3, v[0:1], off
	s_waitcnt vmcnt(0)
	v_cvt_f32_u32_e32 v3, v3
.LBB110_2465:
	s_mov_b64 s[24:25], 0
.LBB110_2466:
	s_andn2_b64 vcc, exec, s[24:25]
	s_cbranch_vccnz .LBB110_2474
; %bb.2467:
	global_load_ubyte v5, v[0:1], off
	s_movk_i32 s24, 0x7f
	s_waitcnt vmcnt(0)
	v_cmp_lt_i16_e32 vcc, s24, v5
	s_mov_b64 s[24:25], 0
	s_and_saveexec_b64 s[26:27], vcc
	s_xor_b64 s[26:27], exec, s[26:27]
	s_cbranch_execz .LBB110_2488
; %bb.2468:
	s_movk_i32 s24, 0x80
	v_cmp_eq_u16_e32 vcc, s24, v5
	s_mov_b64 s[24:25], -1
	s_and_saveexec_b64 s[28:29], vcc
; %bb.2469:
	s_xor_b64 s[24:25], exec, -1
; %bb.2470:
	s_or_b64 exec, exec, s[28:29]
	s_and_b64 s[24:25], s[24:25], exec
	s_or_saveexec_b64 s[26:27], s[26:27]
	v_mov_b32_e32 v3, 0x7f800001
	s_xor_b64 exec, exec, s[26:27]
	s_cbranch_execnz .LBB110_2489
.LBB110_2471:
	s_or_b64 exec, exec, s[26:27]
	s_and_saveexec_b64 s[26:27], s[24:25]
	s_cbranch_execz .LBB110_2473
.LBB110_2472:
	v_lshlrev_b32_e32 v3, 24, v5
	v_and_b32_e32 v5, 0xffff, v5
	v_and_b32_e32 v6, 7, v5
	v_ffbh_u32_e32 v8, v6
	v_min_u32_e32 v8, 32, v8
	v_subrev_u32_e32 v9, 28, v8
	v_bfe_u32 v7, v5, 3, 4
	v_lshlrev_b32_e32 v5, v9, v5
	v_sub_u32_e32 v8, 29, v8
	v_and_b32_e32 v5, 7, v5
	v_cmp_eq_u32_e32 vcc, 0, v7
	v_cndmask_b32_e32 v7, v7, v8, vcc
	v_cndmask_b32_e32 v5, v6, v5, vcc
	v_mov_b32_e32 v6, 0x3b800000
	v_lshlrev_b32_e32 v5, 20, v5
	v_and_b32_e32 v3, 0x80000000, v3
	v_lshl_add_u32 v6, v7, 23, v6
	v_or3_b32 v3, v3, v6, v5
.LBB110_2473:
	s_or_b64 exec, exec, s[26:27]
.LBB110_2474:
	s_mov_b64 s[24:25], -1
.LBB110_2475:
	s_mov_b64 s[26:27], 0
.LBB110_2476:
	s_and_b64 vcc, exec, s[26:27]
	s_cbranch_vccz .LBB110_2509
; %bb.2477:
	s_cmp_gt_i32 s13, 22
	s_cbranch_scc0 .LBB110_2487
; %bb.2478:
	s_cmp_lt_i32 s13, 24
	s_cbranch_scc1 .LBB110_2490
; %bb.2479:
	s_cmp_gt_i32 s13, 24
	s_cbranch_scc0 .LBB110_2491
; %bb.2480:
	global_load_ubyte v5, v[0:1], off
	s_movk_i32 s10, 0x7f
	s_waitcnt vmcnt(0)
	v_cmp_lt_i16_e32 vcc, s10, v5
	s_mov_b64 s[10:11], 0
	s_and_saveexec_b64 s[24:25], vcc
	s_xor_b64 s[24:25], exec, s[24:25]
	s_cbranch_execz .LBB110_2503
; %bb.2481:
	s_movk_i32 s10, 0x80
	v_cmp_eq_u16_e32 vcc, s10, v5
	s_mov_b64 s[10:11], -1
	s_and_saveexec_b64 s[26:27], vcc
; %bb.2482:
	s_xor_b64 s[10:11], exec, -1
; %bb.2483:
	s_or_b64 exec, exec, s[26:27]
	s_and_b64 s[10:11], s[10:11], exec
	s_or_saveexec_b64 s[24:25], s[24:25]
	v_mov_b32_e32 v3, 0x7f800001
	s_xor_b64 exec, exec, s[24:25]
	s_cbranch_execnz .LBB110_2504
.LBB110_2484:
	s_or_b64 exec, exec, s[24:25]
	s_and_saveexec_b64 s[24:25], s[10:11]
	s_cbranch_execz .LBB110_2486
.LBB110_2485:
	v_lshlrev_b32_e32 v3, 24, v5
	v_and_b32_e32 v5, 0xffff, v5
	v_and_b32_e32 v6, 3, v5
	v_ffbh_u32_e32 v8, v6
	v_min_u32_e32 v8, 32, v8
	v_subrev_u32_e32 v9, 29, v8
	v_bfe_u32 v7, v5, 2, 5
	v_lshlrev_b32_e32 v5, v9, v5
	v_sub_u32_e32 v8, 30, v8
	v_and_b32_e32 v5, 3, v5
	v_cmp_eq_u32_e32 vcc, 0, v7
	v_cndmask_b32_e32 v7, v7, v8, vcc
	v_cndmask_b32_e32 v5, v6, v5, vcc
	v_mov_b32_e32 v6, 0x37800000
	v_lshlrev_b32_e32 v5, 21, v5
	v_and_b32_e32 v3, 0x80000000, v3
	v_lshl_add_u32 v6, v7, 23, v6
	v_or3_b32 v3, v3, v6, v5
.LBB110_2486:
	s_or_b64 exec, exec, s[24:25]
	s_mov_b64 s[10:11], 0
	s_branch .LBB110_2492
.LBB110_2487:
	s_mov_b64 s[10:11], -1
                                        ; implicit-def: $vgpr3
	s_branch .LBB110_2498
.LBB110_2488:
	s_or_saveexec_b64 s[26:27], s[26:27]
	v_mov_b32_e32 v3, 0x7f800001
	s_xor_b64 exec, exec, s[26:27]
	s_cbranch_execz .LBB110_2471
.LBB110_2489:
	v_cmp_ne_u16_e32 vcc, 0, v5
	s_andn2_b64 s[24:25], s[24:25], exec
	s_and_b64 s[28:29], vcc, exec
	v_mov_b32_e32 v3, 0
	s_or_b64 s[24:25], s[24:25], s[28:29]
	s_or_b64 exec, exec, s[26:27]
	s_and_saveexec_b64 s[26:27], s[24:25]
	s_cbranch_execnz .LBB110_2472
	s_branch .LBB110_2473
.LBB110_2490:
	s_mov_b64 s[10:11], -1
                                        ; implicit-def: $vgpr3
	s_branch .LBB110_2495
.LBB110_2491:
	s_mov_b64 s[10:11], -1
                                        ; implicit-def: $vgpr3
.LBB110_2492:
	s_and_b64 vcc, exec, s[10:11]
	s_cbranch_vccz .LBB110_2494
; %bb.2493:
	global_load_ubyte v3, v[0:1], off
	s_mov_b32 s10, 0x7f800000
	s_waitcnt vmcnt(0)
	v_lshlrev_b32_e32 v3, 24, v3
	v_and_b32_e32 v5, 0x7f000000, v3
	v_ffbh_u32_e32 v6, v5
	v_min_u32_e32 v6, 32, v6
	v_sub_u32_e64 v6, v6, 4 clamp
	v_lshlrev_b32_e32 v8, v6, v5
	v_lshlrev_b32_e32 v6, 23, v6
	v_lshrrev_b32_e32 v8, 4, v8
	v_add_u32_e32 v7, 0x1000000, v5
	v_sub_u32_e32 v6, v8, v6
	v_ashrrev_i32_e32 v7, 8, v7
	v_add_u32_e32 v6, 0x3c000000, v6
	v_and_or_b32 v6, v7, s10, v6
	v_cmp_ne_u32_e32 vcc, 0, v5
	v_cndmask_b32_e32 v5, 0, v6, vcc
	s_brev_b32 s10, 1
	v_and_or_b32 v3, v3, s10, v5
.LBB110_2494:
	s_mov_b64 s[10:11], 0
.LBB110_2495:
	s_andn2_b64 vcc, exec, s[10:11]
	s_cbranch_vccnz .LBB110_2497
; %bb.2496:
	global_load_ubyte v3, v[0:1], off
	s_movk_i32 s10, 0x7f00
	s_brev_b32 s11, 16
	s_waitcnt vmcnt(0)
	v_lshlrev_b16_e32 v5, 8, v3
	v_lshlrev_b32_e32 v3, 25, v3
	v_lshrrev_b32_e32 v6, 4, v3
	v_and_or_b32 v7, v5, s10, 0.5
	v_or_b32_e32 v6, 0x70000000, v6
	v_add_f32_e32 v7, -0.5, v7
	v_mul_f32_e32 v6, 0x7800000, v6
	v_cmp_gt_u32_e32 vcc, s11, v3
	v_bfe_i32 v5, v5, 0, 16
	v_cndmask_b32_e32 v3, v6, v7, vcc
	s_brev_b32 s10, 1
	v_and_or_b32 v3, v5, s10, v3
.LBB110_2497:
	s_mov_b64 s[10:11], 0
	s_mov_b64 s[24:25], -1
.LBB110_2498:
	s_andn2_b64 vcc, exec, s[10:11]
	s_mov_b64 s[10:11], 0
	s_cbranch_vccnz .LBB110_2509
; %bb.2499:
	s_cmp_gt_i32 s13, 14
	s_cbranch_scc0 .LBB110_2502
; %bb.2500:
	s_cmp_eq_u32 s13, 15
	s_cbranch_scc0 .LBB110_2505
; %bb.2501:
	global_load_ushort v3, v[0:1], off
	s_mov_b64 s[0:1], 0
	s_mov_b64 s[24:25], -1
	s_waitcnt vmcnt(0)
	v_lshlrev_b32_e32 v3, 16, v3
	s_branch .LBB110_2506
.LBB110_2502:
	s_mov_b64 s[26:27], -1
                                        ; implicit-def: $vgpr3
	s_branch .LBB110_2507
.LBB110_2503:
	s_or_saveexec_b64 s[24:25], s[24:25]
	v_mov_b32_e32 v3, 0x7f800001
	s_xor_b64 exec, exec, s[24:25]
	s_cbranch_execz .LBB110_2484
.LBB110_2504:
	v_cmp_ne_u16_e32 vcc, 0, v5
	s_andn2_b64 s[10:11], s[10:11], exec
	s_and_b64 s[26:27], vcc, exec
	v_mov_b32_e32 v3, 0
	s_or_b64 s[10:11], s[10:11], s[26:27]
	s_or_b64 exec, exec, s[24:25]
	s_and_saveexec_b64 s[24:25], s[10:11]
	s_cbranch_execnz .LBB110_2485
	s_branch .LBB110_2486
.LBB110_2505:
	s_mov_b64 s[0:1], -1
                                        ; implicit-def: $vgpr3
.LBB110_2506:
	s_mov_b64 s[26:27], 0
.LBB110_2507:
	s_and_b64 vcc, exec, s[26:27]
	s_cbranch_vccz .LBB110_2509
; %bb.2508:
	s_cmp_lg_u32 s13, 11
	s_mov_b64 s[10:11], -1
	s_cselect_b64 s[0:1], -1, 0
.LBB110_2509:
	s_and_b64 vcc, exec, s[0:1]
	s_cbranch_vccnz .LBB110_2574
; %bb.2510:
	s_andn2_b64 vcc, exec, s[10:11]
	s_cbranch_vccnz .LBB110_2512
.LBB110_2511:
	global_load_ubyte v3, v[0:1], off
	s_mov_b64 s[24:25], -1
	s_waitcnt vmcnt(0)
	v_cmp_ne_u16_e32 vcc, 0, v3
	v_cndmask_b32_e64 v3, 0, 1.0, vcc
.LBB110_2512:
	s_mov_b64 s[0:1], 0
.LBB110_2513:
	s_and_b64 vcc, exec, s[0:1]
	s_cbranch_vccz .LBB110_2562
; %bb.2514:
	s_and_b32 s10, 0xffff, s30
	s_cmp_lt_i32 s10, 5
	s_cbranch_scc1 .LBB110_2519
; %bb.2515:
	s_cmp_lt_i32 s10, 8
	s_cbranch_scc1 .LBB110_2520
; %bb.2516:
	;; [unrolled: 3-line block ×3, first 2 shown]
	s_cmp_gt_i32 s10, 9
	s_cbranch_scc0 .LBB110_2522
; %bb.2518:
	global_load_dwordx2 v[5:6], v[0:1], off
	s_mov_b64 s[0:1], 0
	s_waitcnt vmcnt(0)
	v_cvt_f32_f64_e32 v3, v[5:6]
	s_branch .LBB110_2523
.LBB110_2519:
	s_mov_b64 s[0:1], -1
                                        ; implicit-def: $vgpr3
	s_branch .LBB110_2541
.LBB110_2520:
	s_mov_b64 s[0:1], -1
                                        ; implicit-def: $vgpr3
	s_branch .LBB110_2529
.LBB110_2521:
	s_mov_b64 s[0:1], -1
                                        ; implicit-def: $vgpr3
	s_branch .LBB110_2526
.LBB110_2522:
	s_mov_b64 s[0:1], -1
                                        ; implicit-def: $vgpr3
.LBB110_2523:
	s_andn2_b64 vcc, exec, s[0:1]
	s_cbranch_vccnz .LBB110_2525
; %bb.2524:
	global_load_dword v3, v[0:1], off
.LBB110_2525:
	s_mov_b64 s[0:1], 0
.LBB110_2526:
	s_andn2_b64 vcc, exec, s[0:1]
	s_cbranch_vccnz .LBB110_2528
; %bb.2527:
	global_load_dword v3, v[0:1], off
	s_waitcnt vmcnt(0)
	v_cvt_f32_f16_e32 v3, v3
.LBB110_2528:
	s_mov_b64 s[0:1], 0
.LBB110_2529:
	s_andn2_b64 vcc, exec, s[0:1]
	s_cbranch_vccnz .LBB110_2540
; %bb.2530:
	s_cmp_lt_i32 s10, 6
	s_cbranch_scc1 .LBB110_2533
; %bb.2531:
	s_cmp_gt_i32 s10, 6
	s_cbranch_scc0 .LBB110_2534
; %bb.2532:
	global_load_dwordx2 v[5:6], v[0:1], off
	s_mov_b64 s[0:1], 0
	s_waitcnt vmcnt(0)
	v_cvt_f32_f64_e32 v3, v[5:6]
	s_branch .LBB110_2535
.LBB110_2533:
	s_mov_b64 s[0:1], -1
                                        ; implicit-def: $vgpr3
	s_branch .LBB110_2538
.LBB110_2534:
	s_mov_b64 s[0:1], -1
                                        ; implicit-def: $vgpr3
.LBB110_2535:
	s_andn2_b64 vcc, exec, s[0:1]
	s_cbranch_vccnz .LBB110_2537
; %bb.2536:
	global_load_dword v3, v[0:1], off
.LBB110_2537:
	s_mov_b64 s[0:1], 0
.LBB110_2538:
	s_andn2_b64 vcc, exec, s[0:1]
	s_cbranch_vccnz .LBB110_2540
; %bb.2539:
	global_load_ushort v3, v[0:1], off
	s_waitcnt vmcnt(0)
	v_cvt_f32_f16_e32 v3, v3
.LBB110_2540:
	s_mov_b64 s[0:1], 0
.LBB110_2541:
	s_andn2_b64 vcc, exec, s[0:1]
	s_cbranch_vccnz .LBB110_2561
; %bb.2542:
	s_cmp_lt_i32 s10, 2
	s_cbranch_scc1 .LBB110_2546
; %bb.2543:
	s_cmp_lt_i32 s10, 3
	s_cbranch_scc1 .LBB110_2547
; %bb.2544:
	s_cmp_gt_i32 s10, 3
	s_cbranch_scc0 .LBB110_2548
; %bb.2545:
	global_load_dwordx2 v[5:6], v[0:1], off
	s_mov_b64 s[0:1], 0
	s_waitcnt vmcnt(0)
	v_xor_b32_e32 v7, v5, v6
	v_ffbh_i32_e32 v3, v6
	v_ashrrev_i32_e32 v7, 31, v7
	v_add_u32_e32 v3, -1, v3
	v_add_u32_e32 v7, 32, v7
	v_min_u32_e32 v3, v3, v7
	v_lshlrev_b64 v[5:6], v3, v[5:6]
	v_sub_u32_e32 v3, 32, v3
	v_min_u32_e32 v5, 1, v5
	v_or_b32_e32 v5, v6, v5
	v_cvt_f32_i32_e32 v5, v5
	v_ldexp_f32 v3, v5, v3
	s_branch .LBB110_2549
.LBB110_2546:
	s_mov_b64 s[0:1], -1
                                        ; implicit-def: $vgpr3
	s_branch .LBB110_2555
.LBB110_2547:
	s_mov_b64 s[0:1], -1
                                        ; implicit-def: $vgpr3
	s_branch .LBB110_2552
.LBB110_2548:
	s_mov_b64 s[0:1], -1
                                        ; implicit-def: $vgpr3
.LBB110_2549:
	s_andn2_b64 vcc, exec, s[0:1]
	s_cbranch_vccnz .LBB110_2551
; %bb.2550:
	global_load_dword v3, v[0:1], off
	s_waitcnt vmcnt(0)
	v_cvt_f32_i32_e32 v3, v3
.LBB110_2551:
	s_mov_b64 s[0:1], 0
.LBB110_2552:
	s_andn2_b64 vcc, exec, s[0:1]
	s_cbranch_vccnz .LBB110_2554
; %bb.2553:
	global_load_sshort v3, v[0:1], off
	s_waitcnt vmcnt(0)
	v_cvt_f32_i32_e32 v3, v3
.LBB110_2554:
	s_mov_b64 s[0:1], 0
.LBB110_2555:
	s_andn2_b64 vcc, exec, s[0:1]
	s_cbranch_vccnz .LBB110_2561
; %bb.2556:
	s_cmp_gt_i32 s10, 0
	s_cbranch_scc0 .LBB110_2558
; %bb.2557:
	global_load_sbyte v3, v[0:1], off
	s_mov_b64 s[0:1], 0
	s_waitcnt vmcnt(0)
	v_cvt_f32_i32_e32 v3, v3
	s_branch .LBB110_2559
.LBB110_2558:
	s_mov_b64 s[0:1], -1
                                        ; implicit-def: $vgpr3
.LBB110_2559:
	s_andn2_b64 vcc, exec, s[0:1]
	s_cbranch_vccnz .LBB110_2561
; %bb.2560:
	global_load_ubyte v0, v[0:1], off
	s_waitcnt vmcnt(0)
	v_cvt_f32_ubyte0_e32 v3, v0
.LBB110_2561:
	s_mov_b64 s[24:25], -1
.LBB110_2562:
	s_andn2_b64 vcc, exec, s[24:25]
	s_cbranch_vccnz .LBB110_2697
; %bb.2563:
	v_add_u32_e32 v0, s14, v4
	v_ashrrev_i32_e32 v1, 31, v0
	v_mov_b32_e32 v4, s3
	v_add_co_u32_e32 v0, vcc, s2, v0
	s_cmp_lt_i32 s31, 11
	v_addc_co_u32_e32 v1, vcc, v4, v1, vcc
	s_cbranch_scc1 .LBB110_2570
; %bb.2564:
	s_and_b32 s13, 0xffff, s31
	s_cmp_gt_i32 s13, 25
	s_mov_b64 s[2:3], 0
	s_cbranch_scc0 .LBB110_2571
; %bb.2565:
	s_cmp_gt_i32 s13, 28
	s_cbranch_scc0 .LBB110_2572
; %bb.2566:
	s_cmp_gt_i32 s13, 43
	;; [unrolled: 3-line block ×3, first 2 shown]
	s_cbranch_scc0 .LBB110_2575
; %bb.2568:
	s_cmp_eq_u32 s13, 46
	s_mov_b64 s[24:25], 0
	s_cbranch_scc0 .LBB110_2576
; %bb.2569:
	global_load_dword v4, v[0:1], off
	s_mov_b64 s[0:1], 0
	s_mov_b64 s[10:11], -1
	s_waitcnt vmcnt(0)
	v_lshlrev_b32_e32 v4, 16, v4
	s_branch .LBB110_2577
.LBB110_2570:
	s_mov_b64 s[0:1], -1
	s_mov_b64 s[10:11], 0
                                        ; implicit-def: $vgpr4
	s_branch .LBB110_2643
.LBB110_2571:
	s_mov_b64 s[24:25], -1
	s_mov_b64 s[10:11], 0
	s_mov_b64 s[0:1], 0
                                        ; implicit-def: $vgpr4
	s_branch .LBB110_2606
.LBB110_2572:
	s_mov_b64 s[24:25], -1
	s_mov_b64 s[10:11], 0
	s_mov_b64 s[0:1], 0
                                        ; implicit-def: $vgpr4
	s_branch .LBB110_2587
.LBB110_2573:
	s_mov_b64 s[24:25], -1
	s_mov_b64 s[10:11], 0
	s_mov_b64 s[0:1], 0
                                        ; implicit-def: $vgpr4
	s_branch .LBB110_2582
.LBB110_2574:
	s_trap 2
	s_or_b64 s[18:19], s[18:19], exec
	s_cbranch_execz .LBB110_2511
	s_branch .LBB110_2512
.LBB110_2575:
	s_mov_b64 s[24:25], -1
	s_mov_b64 s[10:11], 0
	s_mov_b64 s[0:1], 0
                                        ; implicit-def: $vgpr4
	s_branch .LBB110_2577
.LBB110_2576:
	s_mov_b64 s[0:1], -1
                                        ; implicit-def: $vgpr4
	s_mov_b64 s[10:11], 0
.LBB110_2577:
	s_and_b64 vcc, exec, s[24:25]
	s_cbranch_vccz .LBB110_2581
; %bb.2578:
	s_cmp_eq_u32 s13, 44
	s_cbranch_scc0 .LBB110_2580
; %bb.2579:
	global_load_ubyte v4, v[0:1], off
	s_movk_i32 s10, 0xff
	s_waitcnt vmcnt(1)
	v_mov_b32_e32 v5, 0x7f800001
	v_mov_b32_e32 v6, 0x400000
	s_mov_b64 s[0:1], 0
	s_waitcnt vmcnt(0)
	v_lshlrev_b32_e32 v7, 23, v4
	v_cmp_ne_u32_e32 vcc, s10, v4
	v_cndmask_b32_e32 v5, v5, v7, vcc
	v_cmp_ne_u32_e32 vcc, 0, v4
	v_cndmask_b32_e32 v4, v6, v5, vcc
	s_mov_b64 s[10:11], -1
	s_branch .LBB110_2581
.LBB110_2580:
	s_mov_b64 s[0:1], -1
                                        ; implicit-def: $vgpr4
.LBB110_2581:
	s_mov_b64 s[24:25], 0
.LBB110_2582:
	s_and_b64 vcc, exec, s[24:25]
	s_cbranch_vccz .LBB110_2586
; %bb.2583:
	s_cmp_eq_u32 s13, 29
	s_cbranch_scc0 .LBB110_2585
; %bb.2584:
	global_load_dwordx2 v[4:5], v[0:1], off
	s_mov_b64 s[0:1], 0
	s_mov_b64 s[10:11], -1
	s_mov_b64 s[24:25], 0
	s_waitcnt vmcnt(0)
	v_ffbh_u32_e32 v6, v5
	v_min_u32_e32 v6, 32, v6
	v_lshlrev_b64 v[4:5], v6, v[4:5]
	v_min_u32_e32 v4, 1, v4
	v_or_b32_e32 v4, v5, v4
	v_cvt_f32_u32_e32 v4, v4
	v_sub_u32_e32 v5, 32, v6
	v_ldexp_f32 v4, v4, v5
	s_branch .LBB110_2587
.LBB110_2585:
	s_mov_b64 s[0:1], -1
                                        ; implicit-def: $vgpr4
.LBB110_2586:
	s_mov_b64 s[24:25], 0
.LBB110_2587:
	s_and_b64 vcc, exec, s[24:25]
	s_cbranch_vccz .LBB110_2605
; %bb.2588:
	s_cmp_lt_i32 s13, 27
	s_cbranch_scc1 .LBB110_2591
; %bb.2589:
	s_cmp_gt_i32 s13, 27
	s_cbranch_scc0 .LBB110_2592
; %bb.2590:
	global_load_dword v4, v[0:1], off
	s_mov_b64 s[10:11], 0
	s_waitcnt vmcnt(0)
	v_cvt_f32_u32_e32 v4, v4
	s_branch .LBB110_2593
.LBB110_2591:
	s_mov_b64 s[10:11], -1
                                        ; implicit-def: $vgpr4
	s_branch .LBB110_2596
.LBB110_2592:
	s_mov_b64 s[10:11], -1
                                        ; implicit-def: $vgpr4
.LBB110_2593:
	s_andn2_b64 vcc, exec, s[10:11]
	s_cbranch_vccnz .LBB110_2595
; %bb.2594:
	global_load_ushort v4, v[0:1], off
	s_waitcnt vmcnt(0)
	v_cvt_f32_u32_e32 v4, v4
.LBB110_2595:
	s_mov_b64 s[10:11], 0
.LBB110_2596:
	s_andn2_b64 vcc, exec, s[10:11]
	s_cbranch_vccnz .LBB110_2604
; %bb.2597:
	global_load_ubyte v5, v[0:1], off
	s_movk_i32 s10, 0x7f
	s_waitcnt vmcnt(0)
	v_cmp_lt_i16_e32 vcc, s10, v5
	s_mov_b64 s[10:11], 0
	s_and_saveexec_b64 s[24:25], vcc
	s_xor_b64 s[24:25], exec, s[24:25]
	s_cbranch_execz .LBB110_2618
; %bb.2598:
	s_movk_i32 s10, 0x80
	v_cmp_eq_u16_e32 vcc, s10, v5
	s_mov_b64 s[10:11], -1
	s_and_saveexec_b64 s[26:27], vcc
; %bb.2599:
	s_xor_b64 s[10:11], exec, -1
; %bb.2600:
	s_or_b64 exec, exec, s[26:27]
	s_and_b64 s[10:11], s[10:11], exec
	s_or_saveexec_b64 s[24:25], s[24:25]
	v_mov_b32_e32 v4, 0x7f800001
	s_xor_b64 exec, exec, s[24:25]
	s_cbranch_execnz .LBB110_2619
.LBB110_2601:
	s_or_b64 exec, exec, s[24:25]
	s_and_saveexec_b64 s[24:25], s[10:11]
	s_cbranch_execz .LBB110_2603
.LBB110_2602:
	v_lshlrev_b32_e32 v4, 24, v5
	v_and_b32_e32 v5, 0xffff, v5
	v_and_b32_e32 v6, 7, v5
	v_ffbh_u32_e32 v8, v6
	v_min_u32_e32 v8, 32, v8
	v_subrev_u32_e32 v9, 28, v8
	v_bfe_u32 v7, v5, 3, 4
	v_lshlrev_b32_e32 v5, v9, v5
	v_sub_u32_e32 v8, 29, v8
	v_and_b32_e32 v5, 7, v5
	v_cmp_eq_u32_e32 vcc, 0, v7
	v_cndmask_b32_e32 v7, v7, v8, vcc
	v_cndmask_b32_e32 v5, v6, v5, vcc
	v_mov_b32_e32 v6, 0x3b800000
	v_lshlrev_b32_e32 v5, 20, v5
	v_and_b32_e32 v4, 0x80000000, v4
	v_lshl_add_u32 v6, v7, 23, v6
	v_or3_b32 v4, v4, v6, v5
.LBB110_2603:
	s_or_b64 exec, exec, s[24:25]
.LBB110_2604:
	s_mov_b64 s[10:11], -1
.LBB110_2605:
	s_mov_b64 s[24:25], 0
.LBB110_2606:
	s_and_b64 vcc, exec, s[24:25]
	s_cbranch_vccz .LBB110_2639
; %bb.2607:
	s_cmp_gt_i32 s13, 22
	s_cbranch_scc0 .LBB110_2617
; %bb.2608:
	s_cmp_lt_i32 s13, 24
	s_cbranch_scc1 .LBB110_2620
; %bb.2609:
	s_cmp_gt_i32 s13, 24
	s_cbranch_scc0 .LBB110_2621
; %bb.2610:
	global_load_ubyte v5, v[0:1], off
	s_movk_i32 s2, 0x7f
	s_waitcnt vmcnt(0)
	v_cmp_lt_i16_e32 vcc, s2, v5
	s_mov_b64 s[2:3], 0
	s_and_saveexec_b64 s[10:11], vcc
	s_xor_b64 s[10:11], exec, s[10:11]
	s_cbranch_execz .LBB110_2633
; %bb.2611:
	s_movk_i32 s2, 0x80
	v_cmp_eq_u16_e32 vcc, s2, v5
	s_mov_b64 s[2:3], -1
	s_and_saveexec_b64 s[24:25], vcc
; %bb.2612:
	s_xor_b64 s[2:3], exec, -1
; %bb.2613:
	s_or_b64 exec, exec, s[24:25]
	s_and_b64 s[2:3], s[2:3], exec
	s_or_saveexec_b64 s[10:11], s[10:11]
	v_mov_b32_e32 v4, 0x7f800001
	s_xor_b64 exec, exec, s[10:11]
	s_cbranch_execnz .LBB110_2634
.LBB110_2614:
	s_or_b64 exec, exec, s[10:11]
	s_and_saveexec_b64 s[10:11], s[2:3]
	s_cbranch_execz .LBB110_2616
.LBB110_2615:
	v_lshlrev_b32_e32 v4, 24, v5
	v_and_b32_e32 v5, 0xffff, v5
	v_and_b32_e32 v6, 3, v5
	v_ffbh_u32_e32 v8, v6
	v_min_u32_e32 v8, 32, v8
	v_subrev_u32_e32 v9, 29, v8
	v_bfe_u32 v7, v5, 2, 5
	v_lshlrev_b32_e32 v5, v9, v5
	v_sub_u32_e32 v8, 30, v8
	v_and_b32_e32 v5, 3, v5
	v_cmp_eq_u32_e32 vcc, 0, v7
	v_cndmask_b32_e32 v7, v7, v8, vcc
	v_cndmask_b32_e32 v5, v6, v5, vcc
	v_mov_b32_e32 v6, 0x37800000
	v_lshlrev_b32_e32 v5, 21, v5
	v_and_b32_e32 v4, 0x80000000, v4
	v_lshl_add_u32 v6, v7, 23, v6
	v_or3_b32 v4, v4, v6, v5
.LBB110_2616:
	s_or_b64 exec, exec, s[10:11]
	s_mov_b64 s[2:3], 0
	s_branch .LBB110_2622
.LBB110_2617:
	s_mov_b64 s[2:3], -1
                                        ; implicit-def: $vgpr4
	s_branch .LBB110_2628
.LBB110_2618:
	s_or_saveexec_b64 s[24:25], s[24:25]
	v_mov_b32_e32 v4, 0x7f800001
	s_xor_b64 exec, exec, s[24:25]
	s_cbranch_execz .LBB110_2601
.LBB110_2619:
	v_cmp_ne_u16_e32 vcc, 0, v5
	s_andn2_b64 s[10:11], s[10:11], exec
	s_and_b64 s[26:27], vcc, exec
	v_mov_b32_e32 v4, 0
	s_or_b64 s[10:11], s[10:11], s[26:27]
	s_or_b64 exec, exec, s[24:25]
	s_and_saveexec_b64 s[24:25], s[10:11]
	s_cbranch_execnz .LBB110_2602
	s_branch .LBB110_2603
.LBB110_2620:
	s_mov_b64 s[2:3], -1
                                        ; implicit-def: $vgpr4
	s_branch .LBB110_2625
.LBB110_2621:
	s_mov_b64 s[2:3], -1
                                        ; implicit-def: $vgpr4
.LBB110_2622:
	s_and_b64 vcc, exec, s[2:3]
	s_cbranch_vccz .LBB110_2624
; %bb.2623:
	global_load_ubyte v4, v[0:1], off
	s_mov_b32 s2, 0x7f800000
	s_waitcnt vmcnt(0)
	v_lshlrev_b32_e32 v4, 24, v4
	v_and_b32_e32 v5, 0x7f000000, v4
	v_ffbh_u32_e32 v6, v5
	v_min_u32_e32 v6, 32, v6
	v_sub_u32_e64 v6, v6, 4 clamp
	v_lshlrev_b32_e32 v8, v6, v5
	v_lshlrev_b32_e32 v6, 23, v6
	v_lshrrev_b32_e32 v8, 4, v8
	v_add_u32_e32 v7, 0x1000000, v5
	v_sub_u32_e32 v6, v8, v6
	v_ashrrev_i32_e32 v7, 8, v7
	v_add_u32_e32 v6, 0x3c000000, v6
	v_and_or_b32 v6, v7, s2, v6
	v_cmp_ne_u32_e32 vcc, 0, v5
	v_cndmask_b32_e32 v5, 0, v6, vcc
	s_brev_b32 s2, 1
	v_and_or_b32 v4, v4, s2, v5
.LBB110_2624:
	s_mov_b64 s[2:3], 0
.LBB110_2625:
	s_andn2_b64 vcc, exec, s[2:3]
	s_cbranch_vccnz .LBB110_2627
; %bb.2626:
	global_load_ubyte v4, v[0:1], off
	s_movk_i32 s2, 0x7f00
	s_brev_b32 s3, 16
	s_waitcnt vmcnt(0)
	v_lshlrev_b16_e32 v5, 8, v4
	v_lshlrev_b32_e32 v4, 25, v4
	v_lshrrev_b32_e32 v6, 4, v4
	v_and_or_b32 v7, v5, s2, 0.5
	v_or_b32_e32 v6, 0x70000000, v6
	v_add_f32_e32 v7, -0.5, v7
	v_mul_f32_e32 v6, 0x7800000, v6
	v_cmp_gt_u32_e32 vcc, s3, v4
	v_bfe_i32 v5, v5, 0, 16
	v_cndmask_b32_e32 v4, v6, v7, vcc
	s_brev_b32 s2, 1
	v_and_or_b32 v4, v5, s2, v4
.LBB110_2627:
	s_mov_b64 s[2:3], 0
	s_mov_b64 s[10:11], -1
.LBB110_2628:
	s_andn2_b64 vcc, exec, s[2:3]
	s_mov_b64 s[2:3], 0
	s_cbranch_vccnz .LBB110_2639
; %bb.2629:
	s_cmp_gt_i32 s13, 14
	s_cbranch_scc0 .LBB110_2632
; %bb.2630:
	s_cmp_eq_u32 s13, 15
	s_cbranch_scc0 .LBB110_2635
; %bb.2631:
	global_load_ushort v4, v[0:1], off
	s_mov_b64 s[0:1], 0
	s_mov_b64 s[10:11], -1
	s_waitcnt vmcnt(0)
	v_lshlrev_b32_e32 v4, 16, v4
	s_branch .LBB110_2636
.LBB110_2632:
	s_mov_b64 s[24:25], -1
                                        ; implicit-def: $vgpr4
	s_branch .LBB110_2637
.LBB110_2633:
	s_or_saveexec_b64 s[10:11], s[10:11]
	v_mov_b32_e32 v4, 0x7f800001
	s_xor_b64 exec, exec, s[10:11]
	s_cbranch_execz .LBB110_2614
.LBB110_2634:
	v_cmp_ne_u16_e32 vcc, 0, v5
	s_andn2_b64 s[2:3], s[2:3], exec
	s_and_b64 s[24:25], vcc, exec
	v_mov_b32_e32 v4, 0
	s_or_b64 s[2:3], s[2:3], s[24:25]
	s_or_b64 exec, exec, s[10:11]
	s_and_saveexec_b64 s[10:11], s[2:3]
	s_cbranch_execnz .LBB110_2615
	s_branch .LBB110_2616
.LBB110_2635:
	s_mov_b64 s[0:1], -1
                                        ; implicit-def: $vgpr4
.LBB110_2636:
	s_mov_b64 s[24:25], 0
.LBB110_2637:
	s_and_b64 vcc, exec, s[24:25]
	s_cbranch_vccz .LBB110_2639
; %bb.2638:
	s_cmp_lg_u32 s13, 11
	s_mov_b64 s[2:3], -1
	s_cselect_b64 s[0:1], -1, 0
.LBB110_2639:
	s_and_b64 vcc, exec, s[0:1]
	s_cbranch_vccnz .LBB110_3191
; %bb.2640:
	s_andn2_b64 vcc, exec, s[2:3]
	s_cbranch_vccnz .LBB110_2642
.LBB110_2641:
	global_load_ubyte v4, v[0:1], off
	s_mov_b64 s[10:11], -1
	s_waitcnt vmcnt(0)
	v_cmp_ne_u16_e32 vcc, 0, v4
	v_cndmask_b32_e64 v4, 0, 1.0, vcc
.LBB110_2642:
	s_mov_b64 s[0:1], 0
.LBB110_2643:
	s_and_b64 vcc, exec, s[0:1]
	s_cbranch_vccz .LBB110_2692
; %bb.2644:
	s_and_b32 s2, 0xffff, s31
	s_cmp_lt_i32 s2, 5
	s_cbranch_scc1 .LBB110_2649
; %bb.2645:
	s_cmp_lt_i32 s2, 8
	s_cbranch_scc1 .LBB110_2650
; %bb.2646:
	s_cmp_lt_i32 s2, 9
	s_cbranch_scc1 .LBB110_2651
; %bb.2647:
	s_cmp_gt_i32 s2, 9
	s_cbranch_scc0 .LBB110_2652
; %bb.2648:
	global_load_dwordx2 v[4:5], v[0:1], off
	s_mov_b64 s[0:1], 0
	s_waitcnt vmcnt(0)
	v_cvt_f32_f64_e32 v4, v[4:5]
	s_branch .LBB110_2653
.LBB110_2649:
	s_mov_b64 s[0:1], -1
                                        ; implicit-def: $vgpr4
	s_branch .LBB110_2671
.LBB110_2650:
	s_mov_b64 s[0:1], -1
                                        ; implicit-def: $vgpr4
	s_branch .LBB110_2659
.LBB110_2651:
	s_mov_b64 s[0:1], -1
                                        ; implicit-def: $vgpr4
	s_branch .LBB110_2656
.LBB110_2652:
	s_mov_b64 s[0:1], -1
                                        ; implicit-def: $vgpr4
.LBB110_2653:
	s_andn2_b64 vcc, exec, s[0:1]
	s_cbranch_vccnz .LBB110_2655
; %bb.2654:
	global_load_dword v4, v[0:1], off
.LBB110_2655:
	s_mov_b64 s[0:1], 0
.LBB110_2656:
	s_andn2_b64 vcc, exec, s[0:1]
	s_cbranch_vccnz .LBB110_2658
; %bb.2657:
	global_load_dword v4, v[0:1], off
	s_waitcnt vmcnt(0)
	v_cvt_f32_f16_e32 v4, v4
.LBB110_2658:
	s_mov_b64 s[0:1], 0
.LBB110_2659:
	s_andn2_b64 vcc, exec, s[0:1]
	s_cbranch_vccnz .LBB110_2670
; %bb.2660:
	s_cmp_lt_i32 s2, 6
	s_cbranch_scc1 .LBB110_2663
; %bb.2661:
	s_cmp_gt_i32 s2, 6
	s_cbranch_scc0 .LBB110_2664
; %bb.2662:
	global_load_dwordx2 v[4:5], v[0:1], off
	s_mov_b64 s[0:1], 0
	s_waitcnt vmcnt(0)
	v_cvt_f32_f64_e32 v4, v[4:5]
	s_branch .LBB110_2665
.LBB110_2663:
	s_mov_b64 s[0:1], -1
                                        ; implicit-def: $vgpr4
	s_branch .LBB110_2668
.LBB110_2664:
	s_mov_b64 s[0:1], -1
                                        ; implicit-def: $vgpr4
.LBB110_2665:
	s_andn2_b64 vcc, exec, s[0:1]
	s_cbranch_vccnz .LBB110_2667
; %bb.2666:
	global_load_dword v4, v[0:1], off
.LBB110_2667:
	s_mov_b64 s[0:1], 0
.LBB110_2668:
	s_andn2_b64 vcc, exec, s[0:1]
	s_cbranch_vccnz .LBB110_2670
; %bb.2669:
	global_load_ushort v4, v[0:1], off
	s_waitcnt vmcnt(0)
	v_cvt_f32_f16_e32 v4, v4
.LBB110_2670:
	s_mov_b64 s[0:1], 0
.LBB110_2671:
	s_andn2_b64 vcc, exec, s[0:1]
	s_cbranch_vccnz .LBB110_2691
; %bb.2672:
	s_cmp_lt_i32 s2, 2
	s_cbranch_scc1 .LBB110_2676
; %bb.2673:
	s_cmp_lt_i32 s2, 3
	s_cbranch_scc1 .LBB110_2677
; %bb.2674:
	s_cmp_gt_i32 s2, 3
	s_cbranch_scc0 .LBB110_2678
; %bb.2675:
	global_load_dwordx2 v[4:5], v[0:1], off
	s_mov_b64 s[0:1], 0
	s_waitcnt vmcnt(0)
	v_xor_b32_e32 v7, v4, v5
	v_ffbh_i32_e32 v6, v5
	v_ashrrev_i32_e32 v7, 31, v7
	v_add_u32_e32 v6, -1, v6
	v_add_u32_e32 v7, 32, v7
	v_min_u32_e32 v6, v6, v7
	v_lshlrev_b64 v[4:5], v6, v[4:5]
	v_min_u32_e32 v4, 1, v4
	v_or_b32_e32 v4, v5, v4
	v_cvt_f32_i32_e32 v4, v4
	v_sub_u32_e32 v5, 32, v6
	v_ldexp_f32 v4, v4, v5
	s_branch .LBB110_2679
.LBB110_2676:
	s_mov_b64 s[0:1], -1
                                        ; implicit-def: $vgpr4
	s_branch .LBB110_2685
.LBB110_2677:
	s_mov_b64 s[0:1], -1
                                        ; implicit-def: $vgpr4
	s_branch .LBB110_2682
.LBB110_2678:
	s_mov_b64 s[0:1], -1
                                        ; implicit-def: $vgpr4
.LBB110_2679:
	s_andn2_b64 vcc, exec, s[0:1]
	s_cbranch_vccnz .LBB110_2681
; %bb.2680:
	global_load_dword v4, v[0:1], off
	s_waitcnt vmcnt(0)
	v_cvt_f32_i32_e32 v4, v4
.LBB110_2681:
	s_mov_b64 s[0:1], 0
.LBB110_2682:
	s_andn2_b64 vcc, exec, s[0:1]
	s_cbranch_vccnz .LBB110_2684
; %bb.2683:
	global_load_sshort v4, v[0:1], off
	s_waitcnt vmcnt(0)
	v_cvt_f32_i32_e32 v4, v4
.LBB110_2684:
	s_mov_b64 s[0:1], 0
.LBB110_2685:
	s_andn2_b64 vcc, exec, s[0:1]
	s_cbranch_vccnz .LBB110_2691
; %bb.2686:
	s_cmp_gt_i32 s2, 0
	s_cbranch_scc0 .LBB110_2688
; %bb.2687:
	global_load_sbyte v4, v[0:1], off
	s_mov_b64 s[0:1], 0
	s_waitcnt vmcnt(0)
	v_cvt_f32_i32_e32 v4, v4
	s_branch .LBB110_2689
.LBB110_2688:
	s_mov_b64 s[0:1], -1
                                        ; implicit-def: $vgpr4
.LBB110_2689:
	s_andn2_b64 vcc, exec, s[0:1]
	s_cbranch_vccnz .LBB110_2691
; %bb.2690:
	global_load_ubyte v0, v[0:1], off
	s_waitcnt vmcnt(0)
	v_cvt_f32_ubyte0_e32 v4, v0
.LBB110_2691:
	s_mov_b64 s[10:11], -1
.LBB110_2692:
	s_andn2_b64 vcc, exec, s[10:11]
	s_cbranch_vccnz .LBB110_2697
; %bb.2693:
	s_cmp_lt_i32 s15, 1
	s_mov_b64 s[0:1], 0
	s_cbranch_scc1 .LBB110_2743
; %bb.2694:
	s_cmp_gt_i32 s15, 1
	s_cbranch_scc0 .LBB110_2744
; %bb.2695:
	s_cmp_eq_u32 s15, 2
	s_cbranch_scc0 .LBB110_2745
; %bb.2696:
	s_waitcnt vmcnt(0)
	v_cmp_le_f32_e64 s[24:25], v3, v4
	s_mov_b64 s[2:3], 0
	s_branch .LBB110_2746
.LBB110_2697:
	s_mov_b64 s[0:1], 0
                                        ; implicit-def: $sgpr24_sgpr25
.LBB110_2698:
	s_mov_b64 s[2:3], 0
                                        ; implicit-def: $sgpr28
                                        ; implicit-def: $vgpr0_vgpr1
.LBB110_2699:
	s_and_b64 s[4:5], s[2:3], exec
	s_andn2_b64 s[2:3], s[16:17], exec
	s_and_b64 s[8:9], s[18:19], exec
	s_and_b64 s[0:1], s[0:1], exec
	s_or_b64 s[16:17], s[2:3], s[8:9]
.LBB110_2700:
	s_or_b64 exec, exec, s[6:7]
	s_and_saveexec_b64 s[2:3], s[16:17]
	s_cbranch_execz .LBB110_2703
; %bb.2701:
	; divergent unreachable
	s_or_b64 exec, exec, s[2:3]
	s_and_saveexec_b64 s[2:3], s[4:5]
	s_xor_b64 s[2:3], exec, s[2:3]
	s_cbranch_execnz .LBB110_2704
.LBB110_2702:
	s_or_b64 exec, exec, s[2:3]
	s_and_saveexec_b64 s[2:3], s[0:1]
	s_cbranch_execnz .LBB110_2705
	s_branch .LBB110_2742
.LBB110_2703:
	s_or_b64 exec, exec, s[2:3]
	s_and_saveexec_b64 s[2:3], s[4:5]
	s_xor_b64 s[2:3], exec, s[2:3]
	s_cbranch_execz .LBB110_2702
.LBB110_2704:
	v_cndmask_b32_e64 v2, 0, 1, s[24:25]
	global_store_byte v[0:1], v2, off
	s_or_b64 exec, exec, s[2:3]
	s_and_saveexec_b64 s[2:3], s[0:1]
	s_cbranch_execz .LBB110_2742
.LBB110_2705:
	s_sext_i32_i16 s2, s28
	s_cmp_lt_i32 s2, 5
	s_mov_b64 s[0:1], -1
	s_cbranch_scc1 .LBB110_2726
; %bb.2706:
	s_cmp_lt_i32 s2, 8
	s_cbranch_scc1 .LBB110_2716
; %bb.2707:
	s_cmp_lt_i32 s2, 9
	s_cbranch_scc1 .LBB110_2713
; %bb.2708:
	s_cmp_gt_i32 s2, 9
	s_cbranch_scc0 .LBB110_2710
; %bb.2709:
	v_cndmask_b32_e64 v2, 0, 1, s[24:25]
	s_waitcnt vmcnt(0)
	v_cvt_f64_u32_e32 v[2:3], v2
	v_mov_b32_e32 v4, 0
	v_mov_b32_e32 v5, v4
	s_mov_b64 s[0:1], 0
	global_store_dwordx4 v[0:1], v[2:5], off
.LBB110_2710:
	s_andn2_b64 vcc, exec, s[0:1]
	s_cbranch_vccnz .LBB110_2712
; %bb.2711:
	v_cndmask_b32_e64 v2, 0, 1.0, s[24:25]
	s_waitcnt vmcnt(0)
	v_mov_b32_e32 v3, 0
	global_store_dwordx2 v[0:1], v[2:3], off
.LBB110_2712:
	s_mov_b64 s[0:1], 0
.LBB110_2713:
	s_andn2_b64 vcc, exec, s[0:1]
	s_cbranch_vccnz .LBB110_2715
; %bb.2714:
	v_cndmask_b32_e64 v2, 0, 1.0, s[24:25]
	v_cvt_f16_f32_e32 v2, v2
	global_store_dword v[0:1], v2, off
.LBB110_2715:
	s_mov_b64 s[0:1], 0
.LBB110_2716:
	s_andn2_b64 vcc, exec, s[0:1]
	s_cbranch_vccnz .LBB110_2725
; %bb.2717:
	s_sext_i32_i16 s2, s28
	s_cmp_lt_i32 s2, 6
	s_mov_b64 s[0:1], -1
	s_cbranch_scc1 .LBB110_2723
; %bb.2718:
	s_cmp_gt_i32 s2, 6
	s_cbranch_scc0 .LBB110_2720
; %bb.2719:
	v_cndmask_b32_e64 v2, 0, 1, s[24:25]
	s_waitcnt vmcnt(0)
	v_cvt_f64_u32_e32 v[2:3], v2
	s_mov_b64 s[0:1], 0
	global_store_dwordx2 v[0:1], v[2:3], off
.LBB110_2720:
	s_andn2_b64 vcc, exec, s[0:1]
	s_cbranch_vccnz .LBB110_2722
; %bb.2721:
	v_cndmask_b32_e64 v2, 0, 1.0, s[24:25]
	global_store_dword v[0:1], v2, off
.LBB110_2722:
	s_mov_b64 s[0:1], 0
.LBB110_2723:
	s_andn2_b64 vcc, exec, s[0:1]
	s_cbranch_vccnz .LBB110_2725
; %bb.2724:
	v_cndmask_b32_e64 v2, 0, 1.0, s[24:25]
	v_cvt_f16_f32_e32 v2, v2
	global_store_short v[0:1], v2, off
.LBB110_2725:
	s_mov_b64 s[0:1], 0
.LBB110_2726:
	s_andn2_b64 vcc, exec, s[0:1]
	s_cbranch_vccnz .LBB110_2742
; %bb.2727:
	s_sext_i32_i16 s2, s28
	s_cmp_lt_i32 s2, 2
	s_mov_b64 s[0:1], -1
	s_cbranch_scc1 .LBB110_2737
; %bb.2728:
	s_cmp_lt_i32 s2, 3
	s_cbranch_scc1 .LBB110_2734
; %bb.2729:
	s_cmp_gt_i32 s2, 3
	s_cbranch_scc0 .LBB110_2731
; %bb.2730:
	s_mov_b32 s0, 0
	v_cndmask_b32_e64 v2, 0, 1, s[24:25]
	s_waitcnt vmcnt(0)
	v_mov_b32_e32 v3, s0
	global_store_dwordx2 v[0:1], v[2:3], off
	s_mov_b64 s[0:1], 0
.LBB110_2731:
	s_andn2_b64 vcc, exec, s[0:1]
	s_cbranch_vccnz .LBB110_2733
; %bb.2732:
	v_cndmask_b32_e64 v2, 0, 1, s[24:25]
	global_store_dword v[0:1], v2, off
.LBB110_2733:
	s_mov_b64 s[0:1], 0
.LBB110_2734:
	s_andn2_b64 vcc, exec, s[0:1]
	s_cbranch_vccnz .LBB110_2736
; %bb.2735:
	v_cndmask_b32_e64 v2, 0, 1, s[24:25]
	global_store_short v[0:1], v2, off
.LBB110_2736:
	s_mov_b64 s[0:1], 0
.LBB110_2737:
	s_andn2_b64 vcc, exec, s[0:1]
	s_cbranch_vccnz .LBB110_2742
; %bb.2738:
	s_sext_i32_i16 s2, s28
	s_mov_b64 s[0:1], -1
	s_cmp_gt_i32 s2, 0
	v_cndmask_b32_e64 v2, 0, 1, s[24:25]
	s_cbranch_scc0 .LBB110_2740
; %bb.2739:
	global_store_byte v[0:1], v2, off
	s_mov_b64 s[0:1], 0
.LBB110_2740:
	s_andn2_b64 vcc, exec, s[0:1]
	s_cbranch_vccnz .LBB110_2742
; %bb.2741:
	global_store_byte v[0:1], v2, off
	s_endpgm
.LBB110_2742:
	s_endpgm
.LBB110_2743:
	s_mov_b64 s[10:11], -1
                                        ; implicit-def: $sgpr24_sgpr25
	s_mov_b64 s[2:3], 0
	s_branch .LBB110_2750
.LBB110_2744:
	s_mov_b64 s[10:11], -1
	s_mov_b64 s[2:3], 0
                                        ; implicit-def: $sgpr24_sgpr25
	s_branch .LBB110_2747
.LBB110_2745:
	s_mov_b64 s[2:3], -1
                                        ; implicit-def: $sgpr24_sgpr25
.LBB110_2746:
	s_mov_b64 s[10:11], 0
.LBB110_2747:
	s_and_b64 vcc, exec, s[10:11]
	s_cbranch_vccz .LBB110_2749
; %bb.2748:
	s_waitcnt vmcnt(0)
	v_cmp_gt_f32_e32 vcc, v3, v4
	s_andn2_b64 s[10:11], s[24:25], exec
	s_and_b64 s[24:25], vcc, exec
	s_or_b64 s[24:25], s[10:11], s[24:25]
.LBB110_2749:
	s_mov_b64 s[10:11], 0
.LBB110_2750:
	s_and_b64 vcc, exec, s[10:11]
	s_cbranch_vccz .LBB110_2832
; %bb.2751:
	s_cmp_lg_u32 s15, 0
	s_mov_b64 s[0:1], -1
	s_cselect_b64 s[2:3], -1, 0
	s_andn2_b64 vcc, exec, s[2:3]
	s_cbranch_vccz .LBB110_2833
.LBB110_2752:
	s_andn2_b64 vcc, exec, s[0:1]
	s_cbranch_vccnz .LBB110_2754
.LBB110_2753:
	s_waitcnt vmcnt(0)
	v_cmp_ge_f32_e32 vcc, v3, v4
	s_andn2_b64 s[0:1], s[24:25], exec
	s_and_b64 s[2:3], vcc, exec
	s_or_b64 s[24:25], s[0:1], s[2:3]
.LBB110_2754:
	v_mul_lo_u32 v2, s12, v2
	v_mov_b32_e32 v1, s9
	s_and_b32 s28, s33, 0xff
	s_cmp_lt_i32 s28, 11
	s_waitcnt vmcnt(0)
	v_ashrrev_i32_e32 v3, 31, v2
	v_add_co_u32_e32 v0, vcc, s8, v2
	v_addc_co_u32_e32 v1, vcc, v1, v3, vcc
	s_cbranch_scc1 .LBB110_2834
; %bb.2755:
	s_and_b32 s13, 0xffff, s28
	s_mov_b64 s[14:15], -1
	s_mov_b64 s[2:3], 0
	s_cmp_gt_i32 s13, 25
	s_mov_b64 s[10:11], 0
	s_mov_b64 s[0:1], 0
	s_cbranch_scc0 .LBB110_2788
; %bb.2756:
	s_cmp_gt_i32 s13, 28
	s_cbranch_scc0 .LBB110_2771
; %bb.2757:
	s_cmp_gt_i32 s13, 43
	;; [unrolled: 3-line block ×3, first 2 shown]
	s_cbranch_scc0 .LBB110_2761
; %bb.2759:
	s_mov_b64 s[0:1], -1
	s_mov_b64 s[14:15], 0
	s_cmp_eq_u32 s13, 46
	s_cbranch_scc0 .LBB110_2761
; %bb.2760:
	v_cndmask_b32_e64 v3, 0, 1.0, s[4:5]
	v_bfe_u32 v4, v3, 16, 1
	s_movk_i32 s0, 0x7fff
	v_add3_u32 v3, v3, v4, s0
	v_lshrrev_b32_e32 v3, 16, v3
	global_store_dword v[0:1], v3, off
	s_mov_b64 s[0:1], 0
	s_mov_b64 s[10:11], -1
.LBB110_2761:
	s_and_b64 vcc, exec, s[14:15]
	s_cbranch_vccz .LBB110_2766
; %bb.2762:
	s_cmp_eq_u32 s13, 44
	s_mov_b64 s[0:1], -1
	s_cbranch_scc0 .LBB110_2766
; %bb.2763:
	v_cndmask_b32_e64 v4, 0, 1.0, s[4:5]
	v_lshrrev_b32_e32 v3, 23, v4
	s_movk_i32 s0, 0xff
	v_cmp_ne_u32_e32 vcc, s0, v3
	v_mov_b32_e32 v5, 0xff
	s_and_saveexec_b64 s[10:11], vcc
; %bb.2764:
	s_mov_b32 s0, 0x3fffff
	v_and_b32_e32 v5, 0x400000, v4
	v_and_or_b32 v4, v4, s0, v3
	v_cmp_ne_u32_e32 vcc, 0, v5
	v_cmp_ne_u32_e64 s[0:1], 0, v4
	s_and_b64 s[0:1], vcc, s[0:1]
	v_cndmask_b32_e64 v4, 0, 1, s[0:1]
	v_add_u32_e32 v5, v3, v4
; %bb.2765:
	s_or_b64 exec, exec, s[10:11]
	s_mov_b64 s[0:1], 0
	s_mov_b64 s[10:11], -1
	global_store_byte v[0:1], v5, off
.LBB110_2766:
	s_mov_b64 s[14:15], 0
.LBB110_2767:
	s_and_b64 vcc, exec, s[14:15]
	s_cbranch_vccz .LBB110_2770
; %bb.2768:
	s_cmp_eq_u32 s13, 29
	s_mov_b64 s[0:1], -1
	s_cbranch_scc0 .LBB110_2770
; %bb.2769:
	s_mov_b32 s0, 0
	v_cndmask_b32_e64 v3, 0, 1, s[4:5]
	v_mov_b32_e32 v4, s0
	global_store_dwordx2 v[0:1], v[3:4], off
	s_mov_b64 s[0:1], 0
	s_mov_b64 s[10:11], -1
.LBB110_2770:
	s_mov_b64 s[14:15], 0
.LBB110_2771:
	s_and_b64 vcc, exec, s[14:15]
	s_cbranch_vccz .LBB110_2787
; %bb.2772:
	s_cmp_lt_i32 s13, 27
	s_mov_b64 s[10:11], -1
	s_cbranch_scc1 .LBB110_2778
; %bb.2773:
	s_cmp_gt_i32 s13, 27
	s_cbranch_scc0 .LBB110_2775
; %bb.2774:
	v_cndmask_b32_e64 v3, 0, 1, s[4:5]
	s_mov_b64 s[10:11], 0
	global_store_dword v[0:1], v3, off
.LBB110_2775:
	s_andn2_b64 vcc, exec, s[10:11]
	s_cbranch_vccnz .LBB110_2777
; %bb.2776:
	v_cndmask_b32_e64 v3, 0, 1, s[4:5]
	global_store_short v[0:1], v3, off
.LBB110_2777:
	s_mov_b64 s[10:11], 0
.LBB110_2778:
	s_andn2_b64 vcc, exec, s[10:11]
	s_cbranch_vccnz .LBB110_2786
; %bb.2779:
	v_cndmask_b32_e64 v4, 0, 1.0, s[4:5]
	s_mov_b32 s10, 0x43800000
	v_cmp_gt_u32_e32 vcc, s10, v4
	v_mov_b32_e32 v5, 0x80
	s_and_saveexec_b64 s[10:11], vcc
	s_cbranch_execz .LBB110_2785
; %bb.2780:
	s_mov_b32 s14, 0x3bffffff
	v_cmp_lt_u32_e32 vcc, s14, v4
	s_mov_b64 s[14:15], 0
                                        ; implicit-def: $vgpr3
	s_and_saveexec_b64 s[26:27], vcc
	s_xor_b64 s[26:27], exec, s[26:27]
	s_cbranch_execz .LBB110_3192
; %bb.2781:
	v_bfe_u32 v3, v4, 20, 1
	s_mov_b32 s29, 0x487ffff
	v_add3_u32 v3, v4, v3, s29
	s_mov_b64 s[14:15], exec
	v_lshrrev_b32_e32 v3, 20, v3
                                        ; implicit-def: $vgpr4
	s_andn2_saveexec_b64 s[26:27], s[26:27]
	s_cbranch_execnz .LBB110_3193
.LBB110_2782:
	s_or_b64 exec, exec, s[26:27]
	v_mov_b32_e32 v5, 0
	s_and_saveexec_b64 s[26:27], s[14:15]
.LBB110_2783:
	v_mov_b32_e32 v5, v3
.LBB110_2784:
	s_or_b64 exec, exec, s[26:27]
.LBB110_2785:
	s_or_b64 exec, exec, s[10:11]
	global_store_byte v[0:1], v5, off
.LBB110_2786:
	s_mov_b64 s[10:11], -1
.LBB110_2787:
	s_mov_b64 s[14:15], 0
.LBB110_2788:
	s_and_b64 vcc, exec, s[14:15]
	s_cbranch_vccz .LBB110_2828
; %bb.2789:
	s_cmp_gt_i32 s13, 22
	s_mov_b64 s[2:3], -1
	s_cbranch_scc0 .LBB110_2821
; %bb.2790:
	s_cmp_lt_i32 s13, 24
	s_cbranch_scc1 .LBB110_2810
; %bb.2791:
	s_cmp_gt_i32 s13, 24
	s_cbranch_scc0 .LBB110_2799
; %bb.2792:
	v_cndmask_b32_e64 v4, 0, 1.0, s[4:5]
	s_mov_b32 s2, 0x47800000
	v_cmp_gt_u32_e32 vcc, s2, v4
	v_mov_b32_e32 v5, 0x80
	s_and_saveexec_b64 s[2:3], vcc
	s_cbranch_execz .LBB110_2798
; %bb.2793:
	s_mov_b32 s10, 0x37ffffff
	v_cmp_lt_u32_e32 vcc, s10, v4
	s_mov_b64 s[10:11], 0
                                        ; implicit-def: $vgpr3
	s_and_saveexec_b64 s[14:15], vcc
	s_xor_b64 s[14:15], exec, s[14:15]
	s_cbranch_execz .LBB110_3195
; %bb.2794:
	v_bfe_u32 v3, v4, 21, 1
	s_mov_b32 s26, 0x88fffff
	v_add3_u32 v3, v4, v3, s26
	s_mov_b64 s[10:11], exec
	v_lshrrev_b32_e32 v3, 21, v3
                                        ; implicit-def: $vgpr4
	s_andn2_saveexec_b64 s[14:15], s[14:15]
	s_cbranch_execnz .LBB110_3196
.LBB110_2795:
	s_or_b64 exec, exec, s[14:15]
	v_mov_b32_e32 v5, 0
	s_and_saveexec_b64 s[14:15], s[10:11]
.LBB110_2796:
	v_mov_b32_e32 v5, v3
.LBB110_2797:
	s_or_b64 exec, exec, s[14:15]
.LBB110_2798:
	s_or_b64 exec, exec, s[2:3]
	s_mov_b64 s[2:3], 0
	global_store_byte v[0:1], v5, off
.LBB110_2799:
	s_and_b64 vcc, exec, s[2:3]
	s_cbranch_vccz .LBB110_2809
; %bb.2800:
	v_cndmask_b32_e64 v3, 0, 1.0, s[4:5]
	s_mov_b32 s2, 0x43f00000
	v_cmp_gt_u32_e32 vcc, s2, v3
                                        ; implicit-def: $vgpr4
	s_and_saveexec_b64 s[2:3], vcc
	s_xor_b64 s[2:3], exec, s[2:3]
	s_cbranch_execz .LBB110_2806
; %bb.2801:
	s_mov_b32 s10, 0x3c7fffff
	v_cmp_lt_u32_e32 vcc, s10, v3
                                        ; implicit-def: $vgpr4
	s_and_saveexec_b64 s[10:11], vcc
	s_xor_b64 s[10:11], exec, s[10:11]
; %bb.2802:
	v_bfe_u32 v4, v3, 20, 1
	s_mov_b32 s14, 0x407ffff
	v_add3_u32 v3, v3, v4, s14
	v_lshrrev_b32_e32 v4, 20, v3
	v_and_b32_e32 v3, 0xff00000, v3
	s_mov_b32 s14, 0x7f00000
	v_mov_b32_e32 v5, 0x7e
	v_cmp_ne_u32_e32 vcc, s14, v3
	v_cndmask_b32_e32 v4, v5, v4, vcc
                                        ; implicit-def: $vgpr3
; %bb.2803:
	s_andn2_saveexec_b64 s[10:11], s[10:11]
; %bb.2804:
	v_add_f32_e32 v4, 0x46800000, v3
; %bb.2805:
	s_or_b64 exec, exec, s[10:11]
                                        ; implicit-def: $vgpr3
.LBB110_2806:
	s_andn2_saveexec_b64 s[2:3], s[2:3]
; %bb.2807:
	s_mov_b32 s10, 0x7f800000
	v_mov_b32_e32 v4, 0x7e
	v_mov_b32_e32 v5, 0x7f
	v_cmp_lt_u32_e32 vcc, s10, v3
	v_cndmask_b32_e32 v4, v4, v5, vcc
; %bb.2808:
	s_or_b64 exec, exec, s[2:3]
	global_store_byte v[0:1], v4, off
.LBB110_2809:
	s_mov_b64 s[2:3], 0
.LBB110_2810:
	s_andn2_b64 vcc, exec, s[2:3]
	s_cbranch_vccnz .LBB110_2820
; %bb.2811:
	v_cndmask_b32_e64 v3, 0, 1.0, s[4:5]
	s_mov_b32 s2, 0x47800000
	v_cmp_gt_u32_e32 vcc, s2, v3
                                        ; implicit-def: $vgpr4
	s_and_saveexec_b64 s[2:3], vcc
	s_xor_b64 s[2:3], exec, s[2:3]
	s_cbranch_execz .LBB110_2817
; %bb.2812:
	s_mov_b32 s10, 0x387fffff
	v_cmp_lt_u32_e32 vcc, s10, v3
                                        ; implicit-def: $vgpr4
	s_and_saveexec_b64 s[10:11], vcc
	s_xor_b64 s[10:11], exec, s[10:11]
; %bb.2813:
	v_bfe_u32 v4, v3, 21, 1
	s_mov_b32 s14, 0x80fffff
	v_add3_u32 v3, v3, v4, s14
	v_lshrrev_b32_e32 v4, 21, v3
                                        ; implicit-def: $vgpr3
; %bb.2814:
	s_andn2_saveexec_b64 s[10:11], s[10:11]
; %bb.2815:
	v_add_f32_e32 v4, 0x43000000, v3
; %bb.2816:
	s_or_b64 exec, exec, s[10:11]
                                        ; implicit-def: $vgpr3
.LBB110_2817:
	s_andn2_saveexec_b64 s[2:3], s[2:3]
; %bb.2818:
	s_mov_b32 s10, 0x7f800000
	v_mov_b32_e32 v4, 0x7c
	v_mov_b32_e32 v5, 0x7f
	v_cmp_lt_u32_e32 vcc, s10, v3
	v_cndmask_b32_e32 v4, v4, v5, vcc
; %bb.2819:
	s_or_b64 exec, exec, s[2:3]
	global_store_byte v[0:1], v4, off
.LBB110_2820:
	s_mov_b64 s[2:3], 0
	s_mov_b64 s[10:11], -1
.LBB110_2821:
	s_andn2_b64 vcc, exec, s[2:3]
	s_mov_b64 s[2:3], 0
	s_cbranch_vccnz .LBB110_2828
; %bb.2822:
	s_cmp_gt_i32 s13, 14
	s_mov_b64 s[14:15], -1
	s_cbranch_scc0 .LBB110_2826
; %bb.2823:
	s_cmp_eq_u32 s13, 15
	s_mov_b64 s[0:1], -1
	s_cbranch_scc0 .LBB110_2825
; %bb.2824:
	v_cndmask_b32_e64 v3, 0, 1.0, s[4:5]
	v_bfe_u32 v4, v3, 16, 1
	s_movk_i32 s0, 0x7fff
	v_add3_u32 v3, v3, v4, s0
	global_store_short_d16_hi v[0:1], v3, off
	s_mov_b64 s[0:1], 0
	s_mov_b64 s[10:11], -1
.LBB110_2825:
	s_mov_b64 s[14:15], 0
.LBB110_2826:
	s_and_b64 vcc, exec, s[14:15]
	s_cbranch_vccz .LBB110_2828
; %bb.2827:
	s_cmp_lg_u32 s13, 11
	s_mov_b64 s[2:3], -1
	s_cselect_b64 s[0:1], -1, 0
.LBB110_2828:
	s_and_b64 vcc, exec, s[0:1]
	s_cbranch_vccnz .LBB110_3194
; %bb.2829:
	s_andn2_b64 vcc, exec, s[2:3]
	s_cbranch_vccnz .LBB110_2831
.LBB110_2830:
	v_cndmask_b32_e64 v3, 0, 1, s[4:5]
	s_mov_b64 s[10:11], -1
	global_store_byte v[0:1], v3, off
.LBB110_2831:
	s_mov_b64 s[0:1], 0
	s_branch .LBB110_2835
.LBB110_2832:
	s_andn2_b64 vcc, exec, s[2:3]
	s_cbranch_vccnz .LBB110_2752
.LBB110_2833:
	s_waitcnt vmcnt(0)
	v_cmp_lt_f32_e32 vcc, v3, v4
	s_andn2_b64 s[2:3], s[24:25], exec
	s_and_b64 s[10:11], vcc, exec
	s_or_b64 s[24:25], s[2:3], s[10:11]
	s_cbranch_execz .LBB110_2753
	s_branch .LBB110_2754
.LBB110_2834:
	s_mov_b64 s[0:1], -1
	s_mov_b64 s[10:11], 0
.LBB110_2835:
	s_and_b64 vcc, exec, s[0:1]
	s_cbranch_vccz .LBB110_2874
; %bb.2836:
	s_and_b32 s2, 0xffff, s28
	s_cmp_lt_i32 s2, 5
	s_mov_b64 s[0:1], -1
	s_cbranch_scc1 .LBB110_2857
; %bb.2837:
	s_cmp_lt_i32 s2, 8
	s_cbranch_scc1 .LBB110_2847
; %bb.2838:
	s_cmp_lt_i32 s2, 9
	s_cbranch_scc1 .LBB110_2844
; %bb.2839:
	s_cmp_gt_i32 s2, 9
	s_cbranch_scc0 .LBB110_2841
; %bb.2840:
	v_cndmask_b32_e64 v3, 0, 1, s[4:5]
	v_cvt_f64_u32_e32 v[3:4], v3
	v_mov_b32_e32 v5, 0
	v_mov_b32_e32 v6, v5
	s_mov_b64 s[0:1], 0
	global_store_dwordx4 v[0:1], v[3:6], off
.LBB110_2841:
	s_andn2_b64 vcc, exec, s[0:1]
	s_cbranch_vccnz .LBB110_2843
; %bb.2842:
	v_cndmask_b32_e64 v3, 0, 1.0, s[4:5]
	v_mov_b32_e32 v4, 0
	global_store_dwordx2 v[0:1], v[3:4], off
.LBB110_2843:
	s_mov_b64 s[0:1], 0
.LBB110_2844:
	s_andn2_b64 vcc, exec, s[0:1]
	s_cbranch_vccnz .LBB110_2846
; %bb.2845:
	v_cndmask_b32_e64 v3, 0, 1.0, s[4:5]
	v_cvt_f16_f32_e32 v3, v3
	global_store_dword v[0:1], v3, off
.LBB110_2846:
	s_mov_b64 s[0:1], 0
.LBB110_2847:
	s_andn2_b64 vcc, exec, s[0:1]
	s_cbranch_vccnz .LBB110_2856
; %bb.2848:
	s_cmp_lt_i32 s2, 6
	s_mov_b64 s[0:1], -1
	s_cbranch_scc1 .LBB110_2854
; %bb.2849:
	s_cmp_gt_i32 s2, 6
	s_cbranch_scc0 .LBB110_2851
; %bb.2850:
	v_cndmask_b32_e64 v3, 0, 1, s[4:5]
	v_cvt_f64_u32_e32 v[3:4], v3
	s_mov_b64 s[0:1], 0
	global_store_dwordx2 v[0:1], v[3:4], off
.LBB110_2851:
	s_andn2_b64 vcc, exec, s[0:1]
	s_cbranch_vccnz .LBB110_2853
; %bb.2852:
	v_cndmask_b32_e64 v3, 0, 1.0, s[4:5]
	global_store_dword v[0:1], v3, off
.LBB110_2853:
	s_mov_b64 s[0:1], 0
.LBB110_2854:
	s_andn2_b64 vcc, exec, s[0:1]
	s_cbranch_vccnz .LBB110_2856
; %bb.2855:
	v_cndmask_b32_e64 v3, 0, 1.0, s[4:5]
	v_cvt_f16_f32_e32 v3, v3
	global_store_short v[0:1], v3, off
.LBB110_2856:
	s_mov_b64 s[0:1], 0
.LBB110_2857:
	s_andn2_b64 vcc, exec, s[0:1]
	s_cbranch_vccnz .LBB110_2873
; %bb.2858:
	s_cmp_lt_i32 s2, 2
	s_mov_b64 s[0:1], -1
	s_cbranch_scc1 .LBB110_2868
; %bb.2859:
	s_cmp_lt_i32 s2, 3
	s_cbranch_scc1 .LBB110_2865
; %bb.2860:
	s_cmp_gt_i32 s2, 3
	s_cbranch_scc0 .LBB110_2862
; %bb.2861:
	s_mov_b32 s0, 0
	v_cndmask_b32_e64 v3, 0, 1, s[4:5]
	v_mov_b32_e32 v4, s0
	global_store_dwordx2 v[0:1], v[3:4], off
	s_mov_b64 s[0:1], 0
.LBB110_2862:
	s_andn2_b64 vcc, exec, s[0:1]
	s_cbranch_vccnz .LBB110_2864
; %bb.2863:
	v_cndmask_b32_e64 v3, 0, 1, s[4:5]
	global_store_dword v[0:1], v3, off
.LBB110_2864:
	s_mov_b64 s[0:1], 0
.LBB110_2865:
	s_andn2_b64 vcc, exec, s[0:1]
	s_cbranch_vccnz .LBB110_2867
; %bb.2866:
	v_cndmask_b32_e64 v3, 0, 1, s[4:5]
	global_store_short v[0:1], v3, off
.LBB110_2867:
	s_mov_b64 s[0:1], 0
.LBB110_2868:
	s_andn2_b64 vcc, exec, s[0:1]
	s_cbranch_vccnz .LBB110_2873
; %bb.2869:
	s_mov_b64 s[0:1], -1
	s_cmp_gt_i32 s2, 0
	v_cndmask_b32_e64 v3, 0, 1, s[4:5]
	s_cbranch_scc0 .LBB110_2871
; %bb.2870:
	global_store_byte v[0:1], v3, off
	s_mov_b64 s[0:1], 0
.LBB110_2871:
	s_andn2_b64 vcc, exec, s[0:1]
	s_cbranch_vccnz .LBB110_2873
; %bb.2872:
	global_store_byte v[0:1], v3, off
.LBB110_2873:
	s_mov_b64 s[10:11], -1
.LBB110_2874:
	s_andn2_b64 vcc, exec, s[10:11]
	s_cbranch_vccnz .LBB110_3189
; %bb.2875:
	s_lshl_b32 s14, s12, 7
	v_add_u32_e32 v2, s14, v2
	v_ashrrev_i32_e32 v1, 31, v2
	v_mov_b32_e32 v3, s9
	v_add_co_u32_e32 v0, vcc, s8, v2
	s_cmp_lt_i32 s28, 11
	v_addc_co_u32_e32 v1, vcc, v3, v1, vcc
	s_cbranch_scc1 .LBB110_2953
; %bb.2876:
	s_and_b32 s15, 0xffff, s28
	s_mov_b64 s[10:11], -1
	s_mov_b64 s[2:3], 0
	s_cmp_gt_i32 s15, 25
	s_mov_b64 s[4:5], 0
	s_mov_b64 s[0:1], 0
	s_cbranch_scc0 .LBB110_2909
; %bb.2877:
	s_cmp_gt_i32 s15, 28
	s_cbranch_scc0 .LBB110_2892
; %bb.2878:
	s_cmp_gt_i32 s15, 43
	;; [unrolled: 3-line block ×3, first 2 shown]
	s_cbranch_scc0 .LBB110_2882
; %bb.2880:
	s_mov_b64 s[0:1], -1
	s_mov_b64 s[10:11], 0
	s_cmp_eq_u32 s15, 46
	s_cbranch_scc0 .LBB110_2882
; %bb.2881:
	v_cndmask_b32_e64 v3, 0, 1.0, s[20:21]
	v_bfe_u32 v4, v3, 16, 1
	s_movk_i32 s0, 0x7fff
	v_add3_u32 v3, v3, v4, s0
	v_lshrrev_b32_e32 v3, 16, v3
	global_store_dword v[0:1], v3, off
	s_mov_b64 s[0:1], 0
	s_mov_b64 s[4:5], -1
.LBB110_2882:
	s_and_b64 vcc, exec, s[10:11]
	s_cbranch_vccz .LBB110_2887
; %bb.2883:
	s_cmp_eq_u32 s15, 44
	s_mov_b64 s[0:1], -1
	s_cbranch_scc0 .LBB110_2887
; %bb.2884:
	v_cndmask_b32_e64 v4, 0, 1.0, s[20:21]
	v_lshrrev_b32_e32 v3, 23, v4
	s_movk_i32 s0, 0xff
	v_cmp_ne_u32_e32 vcc, s0, v3
	v_mov_b32_e32 v5, 0xff
	s_and_saveexec_b64 s[4:5], vcc
; %bb.2885:
	s_mov_b32 s0, 0x3fffff
	v_and_b32_e32 v5, 0x400000, v4
	v_and_or_b32 v4, v4, s0, v3
	v_cmp_ne_u32_e32 vcc, 0, v5
	v_cmp_ne_u32_e64 s[0:1], 0, v4
	s_and_b64 s[0:1], vcc, s[0:1]
	v_cndmask_b32_e64 v4, 0, 1, s[0:1]
	v_add_u32_e32 v5, v3, v4
; %bb.2886:
	s_or_b64 exec, exec, s[4:5]
	s_mov_b64 s[0:1], 0
	s_mov_b64 s[4:5], -1
	global_store_byte v[0:1], v5, off
.LBB110_2887:
	s_mov_b64 s[10:11], 0
.LBB110_2888:
	s_and_b64 vcc, exec, s[10:11]
	s_cbranch_vccz .LBB110_2891
; %bb.2889:
	s_cmp_eq_u32 s15, 29
	s_mov_b64 s[0:1], -1
	s_cbranch_scc0 .LBB110_2891
; %bb.2890:
	s_mov_b32 s0, 0
	v_cndmask_b32_e64 v3, 0, 1, s[20:21]
	v_mov_b32_e32 v4, s0
	global_store_dwordx2 v[0:1], v[3:4], off
	s_mov_b64 s[0:1], 0
	s_mov_b64 s[4:5], -1
.LBB110_2891:
	s_mov_b64 s[10:11], 0
.LBB110_2892:
	s_and_b64 vcc, exec, s[10:11]
	s_cbranch_vccz .LBB110_2908
; %bb.2893:
	s_cmp_lt_i32 s15, 27
	s_mov_b64 s[4:5], -1
	s_cbranch_scc1 .LBB110_2899
; %bb.2894:
	s_cmp_gt_i32 s15, 27
	s_cbranch_scc0 .LBB110_2896
; %bb.2895:
	v_cndmask_b32_e64 v3, 0, 1, s[20:21]
	s_mov_b64 s[4:5], 0
	global_store_dword v[0:1], v3, off
.LBB110_2896:
	s_andn2_b64 vcc, exec, s[4:5]
	s_cbranch_vccnz .LBB110_2898
; %bb.2897:
	v_cndmask_b32_e64 v3, 0, 1, s[20:21]
	global_store_short v[0:1], v3, off
.LBB110_2898:
	s_mov_b64 s[4:5], 0
.LBB110_2899:
	s_andn2_b64 vcc, exec, s[4:5]
	s_cbranch_vccnz .LBB110_2907
; %bb.2900:
	v_cndmask_b32_e64 v4, 0, 1.0, s[20:21]
	s_mov_b32 s4, 0x43800000
	v_cmp_gt_u32_e32 vcc, s4, v4
	v_mov_b32_e32 v5, 0x80
	s_and_saveexec_b64 s[4:5], vcc
	s_cbranch_execz .LBB110_2906
; %bb.2901:
	s_mov_b32 s10, 0x3bffffff
	v_cmp_lt_u32_e32 vcc, s10, v4
	s_mov_b64 s[10:11], 0
                                        ; implicit-def: $vgpr3
	s_and_saveexec_b64 s[12:13], vcc
	s_xor_b64 s[12:13], exec, s[12:13]
	s_cbranch_execz .LBB110_3197
; %bb.2902:
	v_bfe_u32 v3, v4, 20, 1
	s_mov_b32 s26, 0x487ffff
	v_add3_u32 v3, v4, v3, s26
	s_mov_b64 s[10:11], exec
	v_lshrrev_b32_e32 v3, 20, v3
                                        ; implicit-def: $vgpr4
	s_andn2_saveexec_b64 s[12:13], s[12:13]
	s_cbranch_execnz .LBB110_3198
.LBB110_2903:
	s_or_b64 exec, exec, s[12:13]
	v_mov_b32_e32 v5, 0
	s_and_saveexec_b64 s[12:13], s[10:11]
.LBB110_2904:
	v_mov_b32_e32 v5, v3
.LBB110_2905:
	s_or_b64 exec, exec, s[12:13]
.LBB110_2906:
	s_or_b64 exec, exec, s[4:5]
	global_store_byte v[0:1], v5, off
.LBB110_2907:
	s_mov_b64 s[4:5], -1
.LBB110_2908:
	s_mov_b64 s[10:11], 0
.LBB110_2909:
	s_and_b64 vcc, exec, s[10:11]
	s_cbranch_vccz .LBB110_2949
; %bb.2910:
	s_cmp_gt_i32 s15, 22
	s_mov_b64 s[2:3], -1
	s_cbranch_scc0 .LBB110_2942
; %bb.2911:
	s_cmp_lt_i32 s15, 24
	s_cbranch_scc1 .LBB110_2931
; %bb.2912:
	s_cmp_gt_i32 s15, 24
	s_cbranch_scc0 .LBB110_2920
; %bb.2913:
	v_cndmask_b32_e64 v4, 0, 1.0, s[20:21]
	s_mov_b32 s2, 0x47800000
	v_cmp_gt_u32_e32 vcc, s2, v4
	v_mov_b32_e32 v5, 0x80
	s_and_saveexec_b64 s[2:3], vcc
	s_cbranch_execz .LBB110_2919
; %bb.2914:
	s_mov_b32 s4, 0x37ffffff
	v_cmp_lt_u32_e32 vcc, s4, v4
	s_mov_b64 s[4:5], 0
                                        ; implicit-def: $vgpr3
	s_and_saveexec_b64 s[10:11], vcc
	s_xor_b64 s[10:11], exec, s[10:11]
	s_cbranch_execz .LBB110_3200
; %bb.2915:
	v_bfe_u32 v3, v4, 21, 1
	s_mov_b32 s12, 0x88fffff
	v_add3_u32 v3, v4, v3, s12
	s_mov_b64 s[4:5], exec
	v_lshrrev_b32_e32 v3, 21, v3
                                        ; implicit-def: $vgpr4
	s_andn2_saveexec_b64 s[10:11], s[10:11]
	s_cbranch_execnz .LBB110_3201
.LBB110_2916:
	s_or_b64 exec, exec, s[10:11]
	v_mov_b32_e32 v5, 0
	s_and_saveexec_b64 s[10:11], s[4:5]
.LBB110_2917:
	v_mov_b32_e32 v5, v3
.LBB110_2918:
	s_or_b64 exec, exec, s[10:11]
.LBB110_2919:
	s_or_b64 exec, exec, s[2:3]
	s_mov_b64 s[2:3], 0
	global_store_byte v[0:1], v5, off
.LBB110_2920:
	s_and_b64 vcc, exec, s[2:3]
	s_cbranch_vccz .LBB110_2930
; %bb.2921:
	v_cndmask_b32_e64 v3, 0, 1.0, s[20:21]
	s_mov_b32 s2, 0x43f00000
	v_cmp_gt_u32_e32 vcc, s2, v3
                                        ; implicit-def: $vgpr4
	s_and_saveexec_b64 s[2:3], vcc
	s_xor_b64 s[2:3], exec, s[2:3]
	s_cbranch_execz .LBB110_2927
; %bb.2922:
	s_mov_b32 s4, 0x3c7fffff
	v_cmp_lt_u32_e32 vcc, s4, v3
                                        ; implicit-def: $vgpr4
	s_and_saveexec_b64 s[4:5], vcc
	s_xor_b64 s[4:5], exec, s[4:5]
; %bb.2923:
	v_bfe_u32 v4, v3, 20, 1
	s_mov_b32 s10, 0x407ffff
	v_add3_u32 v3, v3, v4, s10
	v_lshrrev_b32_e32 v4, 20, v3
	v_and_b32_e32 v3, 0xff00000, v3
	s_mov_b32 s10, 0x7f00000
	v_mov_b32_e32 v5, 0x7e
	v_cmp_ne_u32_e32 vcc, s10, v3
	v_cndmask_b32_e32 v4, v5, v4, vcc
                                        ; implicit-def: $vgpr3
; %bb.2924:
	s_andn2_saveexec_b64 s[4:5], s[4:5]
; %bb.2925:
	v_add_f32_e32 v4, 0x46800000, v3
; %bb.2926:
	s_or_b64 exec, exec, s[4:5]
                                        ; implicit-def: $vgpr3
.LBB110_2927:
	s_andn2_saveexec_b64 s[2:3], s[2:3]
; %bb.2928:
	s_mov_b32 s4, 0x7f800000
	v_mov_b32_e32 v4, 0x7e
	v_mov_b32_e32 v5, 0x7f
	v_cmp_lt_u32_e32 vcc, s4, v3
	v_cndmask_b32_e32 v4, v4, v5, vcc
; %bb.2929:
	s_or_b64 exec, exec, s[2:3]
	global_store_byte v[0:1], v4, off
.LBB110_2930:
	s_mov_b64 s[2:3], 0
.LBB110_2931:
	s_andn2_b64 vcc, exec, s[2:3]
	s_cbranch_vccnz .LBB110_2941
; %bb.2932:
	v_cndmask_b32_e64 v3, 0, 1.0, s[20:21]
	s_mov_b32 s2, 0x47800000
	v_cmp_gt_u32_e32 vcc, s2, v3
                                        ; implicit-def: $vgpr4
	s_and_saveexec_b64 s[2:3], vcc
	s_xor_b64 s[2:3], exec, s[2:3]
	s_cbranch_execz .LBB110_2938
; %bb.2933:
	s_mov_b32 s4, 0x387fffff
	v_cmp_lt_u32_e32 vcc, s4, v3
                                        ; implicit-def: $vgpr4
	s_and_saveexec_b64 s[4:5], vcc
	s_xor_b64 s[4:5], exec, s[4:5]
; %bb.2934:
	v_bfe_u32 v4, v3, 21, 1
	s_mov_b32 s10, 0x80fffff
	v_add3_u32 v3, v3, v4, s10
	v_lshrrev_b32_e32 v4, 21, v3
                                        ; implicit-def: $vgpr3
; %bb.2935:
	s_andn2_saveexec_b64 s[4:5], s[4:5]
; %bb.2936:
	v_add_f32_e32 v4, 0x43000000, v3
; %bb.2937:
	s_or_b64 exec, exec, s[4:5]
                                        ; implicit-def: $vgpr3
.LBB110_2938:
	s_andn2_saveexec_b64 s[2:3], s[2:3]
; %bb.2939:
	s_mov_b32 s4, 0x7f800000
	v_mov_b32_e32 v4, 0x7c
	v_mov_b32_e32 v5, 0x7f
	v_cmp_lt_u32_e32 vcc, s4, v3
	v_cndmask_b32_e32 v4, v4, v5, vcc
; %bb.2940:
	s_or_b64 exec, exec, s[2:3]
	global_store_byte v[0:1], v4, off
.LBB110_2941:
	s_mov_b64 s[2:3], 0
	s_mov_b64 s[4:5], -1
.LBB110_2942:
	s_andn2_b64 vcc, exec, s[2:3]
	s_mov_b64 s[2:3], 0
	s_cbranch_vccnz .LBB110_2949
; %bb.2943:
	s_cmp_gt_i32 s15, 14
	s_mov_b64 s[10:11], -1
	s_cbranch_scc0 .LBB110_2947
; %bb.2944:
	s_cmp_eq_u32 s15, 15
	s_mov_b64 s[0:1], -1
	s_cbranch_scc0 .LBB110_2946
; %bb.2945:
	v_cndmask_b32_e64 v3, 0, 1.0, s[20:21]
	v_bfe_u32 v4, v3, 16, 1
	s_movk_i32 s0, 0x7fff
	v_add3_u32 v3, v3, v4, s0
	global_store_short_d16_hi v[0:1], v3, off
	s_mov_b64 s[0:1], 0
	s_mov_b64 s[4:5], -1
.LBB110_2946:
	s_mov_b64 s[10:11], 0
.LBB110_2947:
	s_and_b64 vcc, exec, s[10:11]
	s_cbranch_vccz .LBB110_2949
; %bb.2948:
	s_cmp_lg_u32 s15, 11
	s_mov_b64 s[2:3], -1
	s_cselect_b64 s[0:1], -1, 0
.LBB110_2949:
	s_and_b64 vcc, exec, s[0:1]
	s_cbranch_vccnz .LBB110_3199
; %bb.2950:
	s_andn2_b64 vcc, exec, s[2:3]
	s_cbranch_vccnz .LBB110_2952
.LBB110_2951:
	v_cndmask_b32_e64 v3, 0, 1, s[20:21]
	s_mov_b64 s[4:5], -1
	global_store_byte v[0:1], v3, off
.LBB110_2952:
	s_mov_b64 s[0:1], 0
	s_branch .LBB110_2954
.LBB110_2953:
	s_mov_b64 s[0:1], -1
	s_mov_b64 s[4:5], 0
.LBB110_2954:
	s_and_b64 vcc, exec, s[0:1]
	s_cbranch_vccz .LBB110_2993
; %bb.2955:
	s_and_b32 s2, 0xffff, s28
	s_cmp_lt_i32 s2, 5
	s_mov_b64 s[0:1], -1
	s_cbranch_scc1 .LBB110_2976
; %bb.2956:
	s_cmp_lt_i32 s2, 8
	s_cbranch_scc1 .LBB110_2966
; %bb.2957:
	s_cmp_lt_i32 s2, 9
	s_cbranch_scc1 .LBB110_2963
; %bb.2958:
	s_cmp_gt_i32 s2, 9
	s_cbranch_scc0 .LBB110_2960
; %bb.2959:
	v_cndmask_b32_e64 v3, 0, 1, s[20:21]
	v_cvt_f64_u32_e32 v[3:4], v3
	v_mov_b32_e32 v5, 0
	v_mov_b32_e32 v6, v5
	s_mov_b64 s[0:1], 0
	global_store_dwordx4 v[0:1], v[3:6], off
.LBB110_2960:
	s_andn2_b64 vcc, exec, s[0:1]
	s_cbranch_vccnz .LBB110_2962
; %bb.2961:
	v_cndmask_b32_e64 v3, 0, 1.0, s[20:21]
	v_mov_b32_e32 v4, 0
	global_store_dwordx2 v[0:1], v[3:4], off
.LBB110_2962:
	s_mov_b64 s[0:1], 0
.LBB110_2963:
	s_andn2_b64 vcc, exec, s[0:1]
	s_cbranch_vccnz .LBB110_2965
; %bb.2964:
	v_cndmask_b32_e64 v3, 0, 1.0, s[20:21]
	v_cvt_f16_f32_e32 v3, v3
	global_store_dword v[0:1], v3, off
.LBB110_2965:
	s_mov_b64 s[0:1], 0
.LBB110_2966:
	s_andn2_b64 vcc, exec, s[0:1]
	s_cbranch_vccnz .LBB110_2975
; %bb.2967:
	s_cmp_lt_i32 s2, 6
	s_mov_b64 s[0:1], -1
	s_cbranch_scc1 .LBB110_2973
; %bb.2968:
	s_cmp_gt_i32 s2, 6
	s_cbranch_scc0 .LBB110_2970
; %bb.2969:
	v_cndmask_b32_e64 v3, 0, 1, s[20:21]
	v_cvt_f64_u32_e32 v[3:4], v3
	s_mov_b64 s[0:1], 0
	global_store_dwordx2 v[0:1], v[3:4], off
.LBB110_2970:
	s_andn2_b64 vcc, exec, s[0:1]
	s_cbranch_vccnz .LBB110_2972
; %bb.2971:
	v_cndmask_b32_e64 v3, 0, 1.0, s[20:21]
	global_store_dword v[0:1], v3, off
.LBB110_2972:
	s_mov_b64 s[0:1], 0
.LBB110_2973:
	s_andn2_b64 vcc, exec, s[0:1]
	s_cbranch_vccnz .LBB110_2975
; %bb.2974:
	v_cndmask_b32_e64 v3, 0, 1.0, s[20:21]
	v_cvt_f16_f32_e32 v3, v3
	global_store_short v[0:1], v3, off
.LBB110_2975:
	s_mov_b64 s[0:1], 0
.LBB110_2976:
	s_andn2_b64 vcc, exec, s[0:1]
	s_cbranch_vccnz .LBB110_2992
; %bb.2977:
	s_cmp_lt_i32 s2, 2
	s_mov_b64 s[0:1], -1
	s_cbranch_scc1 .LBB110_2987
; %bb.2978:
	s_cmp_lt_i32 s2, 3
	s_cbranch_scc1 .LBB110_2984
; %bb.2979:
	s_cmp_gt_i32 s2, 3
	s_cbranch_scc0 .LBB110_2981
; %bb.2980:
	s_mov_b32 s0, 0
	v_cndmask_b32_e64 v3, 0, 1, s[20:21]
	v_mov_b32_e32 v4, s0
	global_store_dwordx2 v[0:1], v[3:4], off
	s_mov_b64 s[0:1], 0
.LBB110_2981:
	s_andn2_b64 vcc, exec, s[0:1]
	s_cbranch_vccnz .LBB110_2983
; %bb.2982:
	v_cndmask_b32_e64 v3, 0, 1, s[20:21]
	global_store_dword v[0:1], v3, off
.LBB110_2983:
	s_mov_b64 s[0:1], 0
.LBB110_2984:
	s_andn2_b64 vcc, exec, s[0:1]
	s_cbranch_vccnz .LBB110_2986
; %bb.2985:
	v_cndmask_b32_e64 v3, 0, 1, s[20:21]
	global_store_short v[0:1], v3, off
.LBB110_2986:
	s_mov_b64 s[0:1], 0
.LBB110_2987:
	s_andn2_b64 vcc, exec, s[0:1]
	s_cbranch_vccnz .LBB110_2992
; %bb.2988:
	s_mov_b64 s[0:1], -1
	s_cmp_gt_i32 s2, 0
	v_cndmask_b32_e64 v3, 0, 1, s[20:21]
	s_cbranch_scc0 .LBB110_2990
; %bb.2989:
	global_store_byte v[0:1], v3, off
	s_mov_b64 s[0:1], 0
.LBB110_2990:
	s_andn2_b64 vcc, exec, s[0:1]
	s_cbranch_vccnz .LBB110_2992
; %bb.2991:
	global_store_byte v[0:1], v3, off
.LBB110_2992:
	s_mov_b64 s[4:5], -1
.LBB110_2993:
	s_andn2_b64 vcc, exec, s[4:5]
	s_cbranch_vccnz .LBB110_3189
; %bb.2994:
	v_add_u32_e32 v2, s14, v2
	v_ashrrev_i32_e32 v1, 31, v2
	v_mov_b32_e32 v3, s9
	v_add_co_u32_e32 v0, vcc, s8, v2
	s_cmp_lt_i32 s28, 11
	v_addc_co_u32_e32 v1, vcc, v3, v1, vcc
	s_cbranch_scc1 .LBB110_3072
; %bb.2995:
	s_and_b32 s15, 0xffff, s28
	s_mov_b64 s[10:11], -1
	s_mov_b64 s[2:3], 0
	s_cmp_gt_i32 s15, 25
	s_mov_b64 s[4:5], 0
	s_mov_b64 s[0:1], 0
	s_cbranch_scc0 .LBB110_3028
; %bb.2996:
	s_cmp_gt_i32 s15, 28
	s_cbranch_scc0 .LBB110_3011
; %bb.2997:
	s_cmp_gt_i32 s15, 43
	;; [unrolled: 3-line block ×3, first 2 shown]
	s_cbranch_scc0 .LBB110_3001
; %bb.2999:
	s_mov_b64 s[0:1], -1
	s_mov_b64 s[10:11], 0
	s_cmp_eq_u32 s15, 46
	s_cbranch_scc0 .LBB110_3001
; %bb.3000:
	v_cndmask_b32_e64 v3, 0, 1.0, s[22:23]
	v_bfe_u32 v4, v3, 16, 1
	s_movk_i32 s0, 0x7fff
	v_add3_u32 v3, v3, v4, s0
	v_lshrrev_b32_e32 v3, 16, v3
	global_store_dword v[0:1], v3, off
	s_mov_b64 s[0:1], 0
	s_mov_b64 s[4:5], -1
.LBB110_3001:
	s_and_b64 vcc, exec, s[10:11]
	s_cbranch_vccz .LBB110_3006
; %bb.3002:
	s_cmp_eq_u32 s15, 44
	s_mov_b64 s[0:1], -1
	s_cbranch_scc0 .LBB110_3006
; %bb.3003:
	v_cndmask_b32_e64 v4, 0, 1.0, s[22:23]
	v_lshrrev_b32_e32 v3, 23, v4
	s_movk_i32 s0, 0xff
	v_cmp_ne_u32_e32 vcc, s0, v3
	v_mov_b32_e32 v5, 0xff
	s_and_saveexec_b64 s[4:5], vcc
; %bb.3004:
	s_mov_b32 s0, 0x3fffff
	v_and_b32_e32 v5, 0x400000, v4
	v_and_or_b32 v4, v4, s0, v3
	v_cmp_ne_u32_e32 vcc, 0, v5
	v_cmp_ne_u32_e64 s[0:1], 0, v4
	s_and_b64 s[0:1], vcc, s[0:1]
	v_cndmask_b32_e64 v4, 0, 1, s[0:1]
	v_add_u32_e32 v5, v3, v4
; %bb.3005:
	s_or_b64 exec, exec, s[4:5]
	s_mov_b64 s[0:1], 0
	s_mov_b64 s[4:5], -1
	global_store_byte v[0:1], v5, off
.LBB110_3006:
	s_mov_b64 s[10:11], 0
.LBB110_3007:
	s_and_b64 vcc, exec, s[10:11]
	s_cbranch_vccz .LBB110_3010
; %bb.3008:
	s_cmp_eq_u32 s15, 29
	s_mov_b64 s[0:1], -1
	s_cbranch_scc0 .LBB110_3010
; %bb.3009:
	s_mov_b32 s0, 0
	v_cndmask_b32_e64 v3, 0, 1, s[22:23]
	v_mov_b32_e32 v4, s0
	global_store_dwordx2 v[0:1], v[3:4], off
	s_mov_b64 s[0:1], 0
	s_mov_b64 s[4:5], -1
.LBB110_3010:
	s_mov_b64 s[10:11], 0
.LBB110_3011:
	s_and_b64 vcc, exec, s[10:11]
	s_cbranch_vccz .LBB110_3027
; %bb.3012:
	s_cmp_lt_i32 s15, 27
	s_mov_b64 s[4:5], -1
	s_cbranch_scc1 .LBB110_3018
; %bb.3013:
	s_cmp_gt_i32 s15, 27
	s_cbranch_scc0 .LBB110_3015
; %bb.3014:
	v_cndmask_b32_e64 v3, 0, 1, s[22:23]
	s_mov_b64 s[4:5], 0
	global_store_dword v[0:1], v3, off
.LBB110_3015:
	s_andn2_b64 vcc, exec, s[4:5]
	s_cbranch_vccnz .LBB110_3017
; %bb.3016:
	v_cndmask_b32_e64 v3, 0, 1, s[22:23]
	global_store_short v[0:1], v3, off
.LBB110_3017:
	s_mov_b64 s[4:5], 0
.LBB110_3018:
	s_andn2_b64 vcc, exec, s[4:5]
	s_cbranch_vccnz .LBB110_3026
; %bb.3019:
	v_cndmask_b32_e64 v4, 0, 1.0, s[22:23]
	s_mov_b32 s4, 0x43800000
	v_cmp_gt_u32_e32 vcc, s4, v4
	v_mov_b32_e32 v5, 0x80
	s_and_saveexec_b64 s[4:5], vcc
	s_cbranch_execz .LBB110_3025
; %bb.3020:
	s_mov_b32 s10, 0x3bffffff
	v_cmp_lt_u32_e32 vcc, s10, v4
	s_mov_b64 s[10:11], 0
                                        ; implicit-def: $vgpr3
	s_and_saveexec_b64 s[12:13], vcc
	s_xor_b64 s[12:13], exec, s[12:13]
	s_cbranch_execz .LBB110_3202
; %bb.3021:
	v_bfe_u32 v3, v4, 20, 1
	s_mov_b32 s20, 0x487ffff
	v_add3_u32 v3, v4, v3, s20
	s_mov_b64 s[10:11], exec
	v_lshrrev_b32_e32 v3, 20, v3
                                        ; implicit-def: $vgpr4
	s_andn2_saveexec_b64 s[12:13], s[12:13]
	s_cbranch_execnz .LBB110_3203
.LBB110_3022:
	s_or_b64 exec, exec, s[12:13]
	v_mov_b32_e32 v5, 0
	s_and_saveexec_b64 s[12:13], s[10:11]
.LBB110_3023:
	v_mov_b32_e32 v5, v3
.LBB110_3024:
	s_or_b64 exec, exec, s[12:13]
.LBB110_3025:
	s_or_b64 exec, exec, s[4:5]
	global_store_byte v[0:1], v5, off
.LBB110_3026:
	s_mov_b64 s[4:5], -1
.LBB110_3027:
	s_mov_b64 s[10:11], 0
.LBB110_3028:
	s_and_b64 vcc, exec, s[10:11]
	s_cbranch_vccz .LBB110_3068
; %bb.3029:
	s_cmp_gt_i32 s15, 22
	s_mov_b64 s[2:3], -1
	s_cbranch_scc0 .LBB110_3061
; %bb.3030:
	s_cmp_lt_i32 s15, 24
	s_cbranch_scc1 .LBB110_3050
; %bb.3031:
	s_cmp_gt_i32 s15, 24
	s_cbranch_scc0 .LBB110_3039
; %bb.3032:
	v_cndmask_b32_e64 v4, 0, 1.0, s[22:23]
	s_mov_b32 s2, 0x47800000
	v_cmp_gt_u32_e32 vcc, s2, v4
	v_mov_b32_e32 v5, 0x80
	s_and_saveexec_b64 s[2:3], vcc
	s_cbranch_execz .LBB110_3038
; %bb.3033:
	s_mov_b32 s4, 0x37ffffff
	v_cmp_lt_u32_e32 vcc, s4, v4
	s_mov_b64 s[4:5], 0
                                        ; implicit-def: $vgpr3
	s_and_saveexec_b64 s[10:11], vcc
	s_xor_b64 s[10:11], exec, s[10:11]
	s_cbranch_execz .LBB110_3205
; %bb.3034:
	v_bfe_u32 v3, v4, 21, 1
	s_mov_b32 s12, 0x88fffff
	v_add3_u32 v3, v4, v3, s12
	s_mov_b64 s[4:5], exec
	v_lshrrev_b32_e32 v3, 21, v3
                                        ; implicit-def: $vgpr4
	s_andn2_saveexec_b64 s[10:11], s[10:11]
	s_cbranch_execnz .LBB110_3206
.LBB110_3035:
	s_or_b64 exec, exec, s[10:11]
	v_mov_b32_e32 v5, 0
	s_and_saveexec_b64 s[10:11], s[4:5]
.LBB110_3036:
	v_mov_b32_e32 v5, v3
.LBB110_3037:
	s_or_b64 exec, exec, s[10:11]
.LBB110_3038:
	s_or_b64 exec, exec, s[2:3]
	s_mov_b64 s[2:3], 0
	global_store_byte v[0:1], v5, off
.LBB110_3039:
	s_and_b64 vcc, exec, s[2:3]
	s_cbranch_vccz .LBB110_3049
; %bb.3040:
	v_cndmask_b32_e64 v3, 0, 1.0, s[22:23]
	s_mov_b32 s2, 0x43f00000
	v_cmp_gt_u32_e32 vcc, s2, v3
                                        ; implicit-def: $vgpr4
	s_and_saveexec_b64 s[2:3], vcc
	s_xor_b64 s[2:3], exec, s[2:3]
	s_cbranch_execz .LBB110_3046
; %bb.3041:
	s_mov_b32 s4, 0x3c7fffff
	v_cmp_lt_u32_e32 vcc, s4, v3
                                        ; implicit-def: $vgpr4
	s_and_saveexec_b64 s[4:5], vcc
	s_xor_b64 s[4:5], exec, s[4:5]
; %bb.3042:
	v_bfe_u32 v4, v3, 20, 1
	s_mov_b32 s10, 0x407ffff
	v_add3_u32 v3, v3, v4, s10
	v_lshrrev_b32_e32 v4, 20, v3
	v_and_b32_e32 v3, 0xff00000, v3
	s_mov_b32 s10, 0x7f00000
	v_mov_b32_e32 v5, 0x7e
	v_cmp_ne_u32_e32 vcc, s10, v3
	v_cndmask_b32_e32 v4, v5, v4, vcc
                                        ; implicit-def: $vgpr3
; %bb.3043:
	s_andn2_saveexec_b64 s[4:5], s[4:5]
; %bb.3044:
	v_add_f32_e32 v4, 0x46800000, v3
; %bb.3045:
	s_or_b64 exec, exec, s[4:5]
                                        ; implicit-def: $vgpr3
.LBB110_3046:
	s_andn2_saveexec_b64 s[2:3], s[2:3]
; %bb.3047:
	s_mov_b32 s4, 0x7f800000
	v_mov_b32_e32 v4, 0x7e
	v_mov_b32_e32 v5, 0x7f
	v_cmp_lt_u32_e32 vcc, s4, v3
	v_cndmask_b32_e32 v4, v4, v5, vcc
; %bb.3048:
	s_or_b64 exec, exec, s[2:3]
	global_store_byte v[0:1], v4, off
.LBB110_3049:
	s_mov_b64 s[2:3], 0
.LBB110_3050:
	s_andn2_b64 vcc, exec, s[2:3]
	s_cbranch_vccnz .LBB110_3060
; %bb.3051:
	v_cndmask_b32_e64 v3, 0, 1.0, s[22:23]
	s_mov_b32 s2, 0x47800000
	v_cmp_gt_u32_e32 vcc, s2, v3
                                        ; implicit-def: $vgpr4
	s_and_saveexec_b64 s[2:3], vcc
	s_xor_b64 s[2:3], exec, s[2:3]
	s_cbranch_execz .LBB110_3057
; %bb.3052:
	s_mov_b32 s4, 0x387fffff
	v_cmp_lt_u32_e32 vcc, s4, v3
                                        ; implicit-def: $vgpr4
	s_and_saveexec_b64 s[4:5], vcc
	s_xor_b64 s[4:5], exec, s[4:5]
; %bb.3053:
	v_bfe_u32 v4, v3, 21, 1
	s_mov_b32 s10, 0x80fffff
	v_add3_u32 v3, v3, v4, s10
	v_lshrrev_b32_e32 v4, 21, v3
                                        ; implicit-def: $vgpr3
; %bb.3054:
	s_andn2_saveexec_b64 s[4:5], s[4:5]
; %bb.3055:
	v_add_f32_e32 v4, 0x43000000, v3
; %bb.3056:
	s_or_b64 exec, exec, s[4:5]
                                        ; implicit-def: $vgpr3
.LBB110_3057:
	s_andn2_saveexec_b64 s[2:3], s[2:3]
; %bb.3058:
	s_mov_b32 s4, 0x7f800000
	v_mov_b32_e32 v4, 0x7c
	v_mov_b32_e32 v5, 0x7f
	v_cmp_lt_u32_e32 vcc, s4, v3
	v_cndmask_b32_e32 v4, v4, v5, vcc
; %bb.3059:
	s_or_b64 exec, exec, s[2:3]
	global_store_byte v[0:1], v4, off
.LBB110_3060:
	s_mov_b64 s[2:3], 0
	s_mov_b64 s[4:5], -1
.LBB110_3061:
	s_andn2_b64 vcc, exec, s[2:3]
	s_mov_b64 s[2:3], 0
	s_cbranch_vccnz .LBB110_3068
; %bb.3062:
	s_cmp_gt_i32 s15, 14
	s_mov_b64 s[10:11], -1
	s_cbranch_scc0 .LBB110_3066
; %bb.3063:
	s_cmp_eq_u32 s15, 15
	s_mov_b64 s[0:1], -1
	s_cbranch_scc0 .LBB110_3065
; %bb.3064:
	v_cndmask_b32_e64 v3, 0, 1.0, s[22:23]
	v_bfe_u32 v4, v3, 16, 1
	s_movk_i32 s0, 0x7fff
	v_add3_u32 v3, v3, v4, s0
	global_store_short_d16_hi v[0:1], v3, off
	s_mov_b64 s[0:1], 0
	s_mov_b64 s[4:5], -1
.LBB110_3065:
	s_mov_b64 s[10:11], 0
.LBB110_3066:
	s_and_b64 vcc, exec, s[10:11]
	s_cbranch_vccz .LBB110_3068
; %bb.3067:
	s_cmp_lg_u32 s15, 11
	s_mov_b64 s[2:3], -1
	s_cselect_b64 s[0:1], -1, 0
.LBB110_3068:
	s_and_b64 vcc, exec, s[0:1]
	s_cbranch_vccnz .LBB110_3204
; %bb.3069:
	s_andn2_b64 vcc, exec, s[2:3]
	s_cbranch_vccnz .LBB110_3071
.LBB110_3070:
	v_cndmask_b32_e64 v3, 0, 1, s[22:23]
	s_mov_b64 s[4:5], -1
	global_store_byte v[0:1], v3, off
.LBB110_3071:
	s_mov_b64 s[0:1], 0
	s_branch .LBB110_3073
.LBB110_3072:
	s_mov_b64 s[0:1], -1
	s_mov_b64 s[4:5], 0
.LBB110_3073:
	s_and_b64 vcc, exec, s[0:1]
	s_cbranch_vccz .LBB110_3112
; %bb.3074:
	s_and_b32 s2, 0xffff, s28
	s_cmp_lt_i32 s2, 5
	s_mov_b64 s[0:1], -1
	s_cbranch_scc1 .LBB110_3095
; %bb.3075:
	s_cmp_lt_i32 s2, 8
	s_cbranch_scc1 .LBB110_3085
; %bb.3076:
	s_cmp_lt_i32 s2, 9
	s_cbranch_scc1 .LBB110_3082
; %bb.3077:
	s_cmp_gt_i32 s2, 9
	s_cbranch_scc0 .LBB110_3079
; %bb.3078:
	v_cndmask_b32_e64 v3, 0, 1, s[22:23]
	v_cvt_f64_u32_e32 v[3:4], v3
	v_mov_b32_e32 v5, 0
	v_mov_b32_e32 v6, v5
	s_mov_b64 s[0:1], 0
	global_store_dwordx4 v[0:1], v[3:6], off
.LBB110_3079:
	s_andn2_b64 vcc, exec, s[0:1]
	s_cbranch_vccnz .LBB110_3081
; %bb.3080:
	v_cndmask_b32_e64 v3, 0, 1.0, s[22:23]
	v_mov_b32_e32 v4, 0
	global_store_dwordx2 v[0:1], v[3:4], off
.LBB110_3081:
	s_mov_b64 s[0:1], 0
.LBB110_3082:
	s_andn2_b64 vcc, exec, s[0:1]
	s_cbranch_vccnz .LBB110_3084
; %bb.3083:
	v_cndmask_b32_e64 v3, 0, 1.0, s[22:23]
	v_cvt_f16_f32_e32 v3, v3
	global_store_dword v[0:1], v3, off
.LBB110_3084:
	s_mov_b64 s[0:1], 0
.LBB110_3085:
	s_andn2_b64 vcc, exec, s[0:1]
	s_cbranch_vccnz .LBB110_3094
; %bb.3086:
	s_cmp_lt_i32 s2, 6
	s_mov_b64 s[0:1], -1
	s_cbranch_scc1 .LBB110_3092
; %bb.3087:
	s_cmp_gt_i32 s2, 6
	s_cbranch_scc0 .LBB110_3089
; %bb.3088:
	v_cndmask_b32_e64 v3, 0, 1, s[22:23]
	v_cvt_f64_u32_e32 v[3:4], v3
	s_mov_b64 s[0:1], 0
	global_store_dwordx2 v[0:1], v[3:4], off
.LBB110_3089:
	s_andn2_b64 vcc, exec, s[0:1]
	s_cbranch_vccnz .LBB110_3091
; %bb.3090:
	v_cndmask_b32_e64 v3, 0, 1.0, s[22:23]
	global_store_dword v[0:1], v3, off
.LBB110_3091:
	s_mov_b64 s[0:1], 0
.LBB110_3092:
	s_andn2_b64 vcc, exec, s[0:1]
	s_cbranch_vccnz .LBB110_3094
; %bb.3093:
	v_cndmask_b32_e64 v3, 0, 1.0, s[22:23]
	v_cvt_f16_f32_e32 v3, v3
	global_store_short v[0:1], v3, off
.LBB110_3094:
	s_mov_b64 s[0:1], 0
.LBB110_3095:
	s_andn2_b64 vcc, exec, s[0:1]
	s_cbranch_vccnz .LBB110_3111
; %bb.3096:
	s_cmp_lt_i32 s2, 2
	s_mov_b64 s[0:1], -1
	s_cbranch_scc1 .LBB110_3106
; %bb.3097:
	s_cmp_lt_i32 s2, 3
	s_cbranch_scc1 .LBB110_3103
; %bb.3098:
	s_cmp_gt_i32 s2, 3
	s_cbranch_scc0 .LBB110_3100
; %bb.3099:
	s_mov_b32 s0, 0
	v_cndmask_b32_e64 v3, 0, 1, s[22:23]
	v_mov_b32_e32 v4, s0
	global_store_dwordx2 v[0:1], v[3:4], off
	s_mov_b64 s[0:1], 0
.LBB110_3100:
	s_andn2_b64 vcc, exec, s[0:1]
	s_cbranch_vccnz .LBB110_3102
; %bb.3101:
	v_cndmask_b32_e64 v3, 0, 1, s[22:23]
	global_store_dword v[0:1], v3, off
.LBB110_3102:
	s_mov_b64 s[0:1], 0
.LBB110_3103:
	s_andn2_b64 vcc, exec, s[0:1]
	s_cbranch_vccnz .LBB110_3105
; %bb.3104:
	v_cndmask_b32_e64 v3, 0, 1, s[22:23]
	global_store_short v[0:1], v3, off
.LBB110_3105:
	s_mov_b64 s[0:1], 0
.LBB110_3106:
	s_andn2_b64 vcc, exec, s[0:1]
	s_cbranch_vccnz .LBB110_3111
; %bb.3107:
	s_mov_b64 s[0:1], -1
	s_cmp_gt_i32 s2, 0
	v_cndmask_b32_e64 v3, 0, 1, s[22:23]
	s_cbranch_scc0 .LBB110_3109
; %bb.3108:
	global_store_byte v[0:1], v3, off
	s_mov_b64 s[0:1], 0
.LBB110_3109:
	s_andn2_b64 vcc, exec, s[0:1]
	s_cbranch_vccnz .LBB110_3111
; %bb.3110:
	global_store_byte v[0:1], v3, off
.LBB110_3111:
	s_mov_b64 s[4:5], -1
.LBB110_3112:
	s_andn2_b64 vcc, exec, s[4:5]
	s_cbranch_vccnz .LBB110_3189
; %bb.3113:
	v_add_u32_e32 v0, s14, v2
	v_ashrrev_i32_e32 v1, 31, v0
	v_mov_b32_e32 v2, s9
	v_add_co_u32_e32 v0, vcc, s8, v0
	s_cmp_lt_i32 s28, 11
	v_addc_co_u32_e32 v1, vcc, v2, v1, vcc
	s_cbranch_scc1 .LBB110_3190
; %bb.3114:
	s_and_b32 s12, 0xffff, s28
	s_mov_b64 s[4:5], -1
	s_mov_b64 s[2:3], 0
	s_cmp_gt_i32 s12, 25
	s_mov_b64 s[0:1], 0
	s_cbranch_scc0 .LBB110_3147
; %bb.3115:
	s_cmp_gt_i32 s12, 28
	s_cbranch_scc0 .LBB110_3131
; %bb.3116:
	s_cmp_gt_i32 s12, 43
	s_cbranch_scc0 .LBB110_3127
; %bb.3117:
	s_cmp_gt_i32 s12, 45
	s_cbranch_scc0 .LBB110_3121
; %bb.3118:
	s_cmp_eq_u32 s12, 46
	s_mov_b64 s[0:1], -1
	s_cbranch_scc0 .LBB110_3120
; %bb.3119:
	v_cndmask_b32_e64 v2, 0, 1.0, s[24:25]
	v_bfe_u32 v3, v2, 16, 1
	s_movk_i32 s0, 0x7fff
	v_add3_u32 v2, v2, v3, s0
	v_lshrrev_b32_e32 v2, 16, v2
	global_store_dword v[0:1], v2, off
	s_mov_b64 s[0:1], 0
.LBB110_3120:
	s_mov_b64 s[4:5], 0
.LBB110_3121:
	s_and_b64 vcc, exec, s[4:5]
	s_cbranch_vccz .LBB110_3126
; %bb.3122:
	s_cmp_eq_u32 s12, 44
	s_mov_b64 s[0:1], -1
	s_cbranch_scc0 .LBB110_3126
; %bb.3123:
	v_cndmask_b32_e64 v3, 0, 1.0, s[24:25]
	v_lshrrev_b32_e32 v2, 23, v3
	s_movk_i32 s0, 0xff
	v_cmp_ne_u32_e32 vcc, s0, v2
	v_mov_b32_e32 v4, 0xff
	s_and_saveexec_b64 s[4:5], vcc
; %bb.3124:
	s_mov_b32 s0, 0x3fffff
	v_and_b32_e32 v4, 0x400000, v3
	v_and_or_b32 v3, v3, s0, v2
	v_cmp_ne_u32_e32 vcc, 0, v4
	v_cmp_ne_u32_e64 s[0:1], 0, v3
	s_and_b64 s[0:1], vcc, s[0:1]
	v_cndmask_b32_e64 v3, 0, 1, s[0:1]
	v_add_u32_e32 v4, v2, v3
; %bb.3125:
	s_or_b64 exec, exec, s[4:5]
	s_mov_b64 s[0:1], 0
	global_store_byte v[0:1], v4, off
.LBB110_3126:
	s_mov_b64 s[4:5], 0
.LBB110_3127:
	s_and_b64 vcc, exec, s[4:5]
	s_cbranch_vccz .LBB110_3130
; %bb.3128:
	s_cmp_eq_u32 s12, 29
	s_mov_b64 s[0:1], -1
	s_cbranch_scc0 .LBB110_3130
; %bb.3129:
	s_mov_b32 s0, 0
	v_cndmask_b32_e64 v2, 0, 1, s[24:25]
	v_mov_b32_e32 v3, s0
	global_store_dwordx2 v[0:1], v[2:3], off
	s_mov_b64 s[0:1], 0
.LBB110_3130:
	s_mov_b64 s[4:5], 0
.LBB110_3131:
	s_and_b64 vcc, exec, s[4:5]
	s_cbranch_vccz .LBB110_3146
; %bb.3132:
	s_cmp_lt_i32 s12, 27
	s_mov_b64 s[4:5], -1
	s_cbranch_scc1 .LBB110_3138
; %bb.3133:
	s_cmp_gt_i32 s12, 27
	v_cndmask_b32_e64 v2, 0, 1, s[24:25]
	s_cbranch_scc0 .LBB110_3135
; %bb.3134:
	global_store_dword v[0:1], v2, off
	s_mov_b64 s[4:5], 0
.LBB110_3135:
	s_andn2_b64 vcc, exec, s[4:5]
	s_cbranch_vccnz .LBB110_3137
; %bb.3136:
	global_store_short v[0:1], v2, off
.LBB110_3137:
	s_mov_b64 s[4:5], 0
.LBB110_3138:
	s_andn2_b64 vcc, exec, s[4:5]
	s_cbranch_vccnz .LBB110_3146
; %bb.3139:
	v_cndmask_b32_e64 v3, 0, 1.0, s[24:25]
	s_mov_b32 s4, 0x43800000
	v_cmp_gt_u32_e32 vcc, s4, v3
	v_mov_b32_e32 v4, 0x80
	s_and_saveexec_b64 s[4:5], vcc
	s_cbranch_execz .LBB110_3145
; %bb.3140:
	s_mov_b32 s8, 0x3bffffff
	v_cmp_lt_u32_e32 vcc, s8, v3
	s_mov_b64 s[8:9], 0
                                        ; implicit-def: $vgpr2
	s_and_saveexec_b64 s[10:11], vcc
	s_xor_b64 s[10:11], exec, s[10:11]
	s_cbranch_execz .LBB110_3207
; %bb.3141:
	v_bfe_u32 v2, v3, 20, 1
	s_mov_b32 s13, 0x487ffff
	v_add3_u32 v2, v3, v2, s13
	s_mov_b64 s[8:9], exec
	v_lshrrev_b32_e32 v2, 20, v2
                                        ; implicit-def: $vgpr3
	s_andn2_saveexec_b64 s[10:11], s[10:11]
	s_cbranch_execnz .LBB110_3208
.LBB110_3142:
	s_or_b64 exec, exec, s[10:11]
	v_mov_b32_e32 v4, 0
	s_and_saveexec_b64 s[10:11], s[8:9]
.LBB110_3143:
	v_mov_b32_e32 v4, v2
.LBB110_3144:
	s_or_b64 exec, exec, s[10:11]
.LBB110_3145:
	s_or_b64 exec, exec, s[4:5]
	global_store_byte v[0:1], v4, off
.LBB110_3146:
	s_mov_b64 s[4:5], 0
.LBB110_3147:
	s_and_b64 vcc, exec, s[4:5]
	s_cbranch_vccz .LBB110_3187
; %bb.3148:
	s_cmp_gt_i32 s12, 22
	s_mov_b64 s[2:3], -1
	s_cbranch_scc0 .LBB110_3180
; %bb.3149:
	s_cmp_lt_i32 s12, 24
	s_cbranch_scc1 .LBB110_3169
; %bb.3150:
	s_cmp_gt_i32 s12, 24
	s_cbranch_scc0 .LBB110_3158
; %bb.3151:
	v_cndmask_b32_e64 v3, 0, 1.0, s[24:25]
	s_mov_b32 s2, 0x47800000
	v_cmp_gt_u32_e32 vcc, s2, v3
	v_mov_b32_e32 v4, 0x80
	s_and_saveexec_b64 s[2:3], vcc
	s_cbranch_execz .LBB110_3157
; %bb.3152:
	s_mov_b32 s4, 0x37ffffff
	v_cmp_lt_u32_e32 vcc, s4, v3
	s_mov_b64 s[4:5], 0
                                        ; implicit-def: $vgpr2
	s_and_saveexec_b64 s[8:9], vcc
	s_xor_b64 s[8:9], exec, s[8:9]
	s_cbranch_execz .LBB110_3210
; %bb.3153:
	v_bfe_u32 v2, v3, 21, 1
	s_mov_b32 s10, 0x88fffff
	v_add3_u32 v2, v3, v2, s10
	s_mov_b64 s[4:5], exec
	v_lshrrev_b32_e32 v2, 21, v2
                                        ; implicit-def: $vgpr3
	s_andn2_saveexec_b64 s[8:9], s[8:9]
	s_cbranch_execnz .LBB110_3211
.LBB110_3154:
	s_or_b64 exec, exec, s[8:9]
	v_mov_b32_e32 v4, 0
	s_and_saveexec_b64 s[8:9], s[4:5]
.LBB110_3155:
	v_mov_b32_e32 v4, v2
.LBB110_3156:
	s_or_b64 exec, exec, s[8:9]
.LBB110_3157:
	s_or_b64 exec, exec, s[2:3]
	s_mov_b64 s[2:3], 0
	global_store_byte v[0:1], v4, off
.LBB110_3158:
	s_and_b64 vcc, exec, s[2:3]
	s_cbranch_vccz .LBB110_3168
; %bb.3159:
	v_cndmask_b32_e64 v2, 0, 1.0, s[24:25]
	s_mov_b32 s2, 0x43f00000
	v_cmp_gt_u32_e32 vcc, s2, v2
                                        ; implicit-def: $vgpr3
	s_and_saveexec_b64 s[2:3], vcc
	s_xor_b64 s[2:3], exec, s[2:3]
	s_cbranch_execz .LBB110_3165
; %bb.3160:
	s_mov_b32 s4, 0x3c7fffff
	v_cmp_lt_u32_e32 vcc, s4, v2
                                        ; implicit-def: $vgpr3
	s_and_saveexec_b64 s[4:5], vcc
	s_xor_b64 s[4:5], exec, s[4:5]
; %bb.3161:
	v_bfe_u32 v3, v2, 20, 1
	s_mov_b32 s8, 0x407ffff
	v_add3_u32 v2, v2, v3, s8
	v_lshrrev_b32_e32 v3, 20, v2
	v_and_b32_e32 v2, 0xff00000, v2
	s_mov_b32 s8, 0x7f00000
	v_mov_b32_e32 v4, 0x7e
	v_cmp_ne_u32_e32 vcc, s8, v2
	v_cndmask_b32_e32 v3, v4, v3, vcc
                                        ; implicit-def: $vgpr2
; %bb.3162:
	s_andn2_saveexec_b64 s[4:5], s[4:5]
; %bb.3163:
	v_add_f32_e32 v3, 0x46800000, v2
; %bb.3164:
	s_or_b64 exec, exec, s[4:5]
                                        ; implicit-def: $vgpr2
.LBB110_3165:
	s_andn2_saveexec_b64 s[2:3], s[2:3]
; %bb.3166:
	s_mov_b32 s4, 0x7f800000
	v_mov_b32_e32 v3, 0x7e
	v_mov_b32_e32 v4, 0x7f
	v_cmp_lt_u32_e32 vcc, s4, v2
	v_cndmask_b32_e32 v3, v3, v4, vcc
; %bb.3167:
	s_or_b64 exec, exec, s[2:3]
	global_store_byte v[0:1], v3, off
.LBB110_3168:
	s_mov_b64 s[2:3], 0
.LBB110_3169:
	s_andn2_b64 vcc, exec, s[2:3]
	s_cbranch_vccnz .LBB110_3179
; %bb.3170:
	v_cndmask_b32_e64 v2, 0, 1.0, s[24:25]
	s_mov_b32 s2, 0x47800000
	v_cmp_gt_u32_e32 vcc, s2, v2
                                        ; implicit-def: $vgpr3
	s_and_saveexec_b64 s[2:3], vcc
	s_xor_b64 s[2:3], exec, s[2:3]
	s_cbranch_execz .LBB110_3176
; %bb.3171:
	s_mov_b32 s4, 0x387fffff
	v_cmp_lt_u32_e32 vcc, s4, v2
                                        ; implicit-def: $vgpr3
	s_and_saveexec_b64 s[4:5], vcc
	s_xor_b64 s[4:5], exec, s[4:5]
; %bb.3172:
	v_bfe_u32 v3, v2, 21, 1
	s_mov_b32 s8, 0x80fffff
	v_add3_u32 v2, v2, v3, s8
	v_lshrrev_b32_e32 v3, 21, v2
                                        ; implicit-def: $vgpr2
; %bb.3173:
	s_andn2_saveexec_b64 s[4:5], s[4:5]
; %bb.3174:
	v_add_f32_e32 v3, 0x43000000, v2
; %bb.3175:
	s_or_b64 exec, exec, s[4:5]
                                        ; implicit-def: $vgpr2
.LBB110_3176:
	s_andn2_saveexec_b64 s[2:3], s[2:3]
; %bb.3177:
	s_mov_b32 s4, 0x7f800000
	v_mov_b32_e32 v3, 0x7c
	v_mov_b32_e32 v4, 0x7f
	v_cmp_lt_u32_e32 vcc, s4, v2
	v_cndmask_b32_e32 v3, v3, v4, vcc
; %bb.3178:
	s_or_b64 exec, exec, s[2:3]
	global_store_byte v[0:1], v3, off
.LBB110_3179:
	s_mov_b64 s[2:3], 0
.LBB110_3180:
	s_andn2_b64 vcc, exec, s[2:3]
	s_mov_b64 s[2:3], 0
	s_cbranch_vccnz .LBB110_3187
; %bb.3181:
	s_cmp_gt_i32 s12, 14
	s_mov_b64 s[4:5], -1
	s_cbranch_scc0 .LBB110_3185
; %bb.3182:
	s_cmp_eq_u32 s12, 15
	s_mov_b64 s[0:1], -1
	s_cbranch_scc0 .LBB110_3184
; %bb.3183:
	v_cndmask_b32_e64 v2, 0, 1.0, s[24:25]
	v_bfe_u32 v3, v2, 16, 1
	s_movk_i32 s0, 0x7fff
	v_add3_u32 v2, v2, v3, s0
	global_store_short_d16_hi v[0:1], v2, off
	s_mov_b64 s[0:1], 0
.LBB110_3184:
	s_mov_b64 s[4:5], 0
.LBB110_3185:
	s_and_b64 vcc, exec, s[4:5]
	s_cbranch_vccz .LBB110_3187
; %bb.3186:
	s_cmp_lg_u32 s12, 11
	s_mov_b64 s[2:3], -1
	s_cselect_b64 s[0:1], -1, 0
.LBB110_3187:
	s_and_b64 vcc, exec, s[0:1]
	s_cbranch_vccnz .LBB110_3209
.LBB110_3188:
	s_mov_b64 s[0:1], 0
	s_branch .LBB110_2699
.LBB110_3189:
	s_mov_b64 s[0:1], 0
	s_branch .LBB110_2698
.LBB110_3190:
	s_mov_b64 s[2:3], 0
	s_mov_b64 s[0:1], -1
	s_branch .LBB110_2699
.LBB110_3191:
	s_trap 2
	s_or_b64 s[18:19], s[18:19], exec
	s_cbranch_execz .LBB110_2641
	s_branch .LBB110_2642
.LBB110_3192:
	s_andn2_saveexec_b64 s[26:27], s[26:27]
	s_cbranch_execz .LBB110_2782
.LBB110_3193:
	v_add_f32_e32 v3, 0x46000000, v4
	v_and_b32_e32 v3, 0xff, v3
	v_cmp_ne_u32_e32 vcc, 0, v3
	s_andn2_b64 s[14:15], s[14:15], exec
	s_and_b64 s[30:31], vcc, exec
	s_or_b64 s[14:15], s[14:15], s[30:31]
	s_or_b64 exec, exec, s[26:27]
	v_mov_b32_e32 v5, 0
	s_and_saveexec_b64 s[26:27], s[14:15]
	s_cbranch_execnz .LBB110_2783
	s_branch .LBB110_2784
.LBB110_3194:
	s_trap 2
	s_or_b64 s[18:19], s[18:19], exec
	s_cbranch_execz .LBB110_2830
	s_branch .LBB110_2831
.LBB110_3195:
	s_andn2_saveexec_b64 s[14:15], s[14:15]
	s_cbranch_execz .LBB110_2795
.LBB110_3196:
	v_add_f32_e32 v3, 0x42800000, v4
	v_and_b32_e32 v3, 0xff, v3
	v_cmp_ne_u32_e32 vcc, 0, v3
	s_andn2_b64 s[10:11], s[10:11], exec
	s_and_b64 s[26:27], vcc, exec
	s_or_b64 s[10:11], s[10:11], s[26:27]
	s_or_b64 exec, exec, s[14:15]
	v_mov_b32_e32 v5, 0
	s_and_saveexec_b64 s[14:15], s[10:11]
	s_cbranch_execnz .LBB110_2796
	s_branch .LBB110_2797
.LBB110_3197:
	s_andn2_saveexec_b64 s[12:13], s[12:13]
	s_cbranch_execz .LBB110_2903
.LBB110_3198:
	v_add_f32_e32 v3, 0x46000000, v4
	v_and_b32_e32 v3, 0xff, v3
	v_cmp_ne_u32_e32 vcc, 0, v3
	s_andn2_b64 s[10:11], s[10:11], exec
	s_and_b64 s[26:27], vcc, exec
	s_or_b64 s[10:11], s[10:11], s[26:27]
	s_or_b64 exec, exec, s[12:13]
	v_mov_b32_e32 v5, 0
	s_and_saveexec_b64 s[12:13], s[10:11]
	s_cbranch_execnz .LBB110_2904
	s_branch .LBB110_2905
.LBB110_3199:
	s_trap 2
	s_or_b64 s[18:19], s[18:19], exec
	s_cbranch_execz .LBB110_2951
	s_branch .LBB110_2952
.LBB110_3200:
	s_andn2_saveexec_b64 s[10:11], s[10:11]
	s_cbranch_execz .LBB110_2916
.LBB110_3201:
	v_add_f32_e32 v3, 0x42800000, v4
	v_and_b32_e32 v3, 0xff, v3
	v_cmp_ne_u32_e32 vcc, 0, v3
	s_andn2_b64 s[4:5], s[4:5], exec
	s_and_b64 s[12:13], vcc, exec
	s_or_b64 s[4:5], s[4:5], s[12:13]
	s_or_b64 exec, exec, s[10:11]
	v_mov_b32_e32 v5, 0
	s_and_saveexec_b64 s[10:11], s[4:5]
	s_cbranch_execnz .LBB110_2917
	s_branch .LBB110_2918
.LBB110_3202:
	s_andn2_saveexec_b64 s[12:13], s[12:13]
	s_cbranch_execz .LBB110_3022
.LBB110_3203:
	v_add_f32_e32 v3, 0x46000000, v4
	v_and_b32_e32 v3, 0xff, v3
	v_cmp_ne_u32_e32 vcc, 0, v3
	s_andn2_b64 s[10:11], s[10:11], exec
	s_and_b64 s[20:21], vcc, exec
	s_or_b64 s[10:11], s[10:11], s[20:21]
	s_or_b64 exec, exec, s[12:13]
	v_mov_b32_e32 v5, 0
	s_and_saveexec_b64 s[12:13], s[10:11]
	s_cbranch_execnz .LBB110_3023
	s_branch .LBB110_3024
.LBB110_3204:
	s_trap 2
	s_or_b64 s[18:19], s[18:19], exec
	s_cbranch_execz .LBB110_3070
	s_branch .LBB110_3071
.LBB110_3205:
	s_andn2_saveexec_b64 s[10:11], s[10:11]
	s_cbranch_execz .LBB110_3035
.LBB110_3206:
	v_add_f32_e32 v3, 0x42800000, v4
	v_and_b32_e32 v3, 0xff, v3
	v_cmp_ne_u32_e32 vcc, 0, v3
	s_andn2_b64 s[4:5], s[4:5], exec
	s_and_b64 s[12:13], vcc, exec
	s_or_b64 s[4:5], s[4:5], s[12:13]
	s_or_b64 exec, exec, s[10:11]
	v_mov_b32_e32 v5, 0
	s_and_saveexec_b64 s[10:11], s[4:5]
	s_cbranch_execnz .LBB110_3036
	s_branch .LBB110_3037
.LBB110_3207:
	s_andn2_saveexec_b64 s[10:11], s[10:11]
	s_cbranch_execz .LBB110_3142
.LBB110_3208:
	v_add_f32_e32 v2, 0x46000000, v3
	v_and_b32_e32 v2, 0xff, v2
	v_cmp_ne_u32_e32 vcc, 0, v2
	s_andn2_b64 s[8:9], s[8:9], exec
	s_and_b64 s[14:15], vcc, exec
	s_or_b64 s[8:9], s[8:9], s[14:15]
	s_or_b64 exec, exec, s[10:11]
	v_mov_b32_e32 v4, 0
	s_and_saveexec_b64 s[10:11], s[8:9]
	s_cbranch_execnz .LBB110_3143
	s_branch .LBB110_3144
.LBB110_3209:
	s_mov_b64 s[2:3], 0
	s_or_b64 s[18:19], s[18:19], exec
	s_trap 2
	s_branch .LBB110_3188
.LBB110_3210:
	s_andn2_saveexec_b64 s[8:9], s[8:9]
	s_cbranch_execz .LBB110_3154
.LBB110_3211:
	v_add_f32_e32 v2, 0x42800000, v3
	v_and_b32_e32 v2, 0xff, v2
	v_cmp_ne_u32_e32 vcc, 0, v2
	s_andn2_b64 s[4:5], s[4:5], exec
	s_and_b64 s[10:11], vcc, exec
	s_or_b64 s[4:5], s[4:5], s[10:11]
	s_or_b64 exec, exec, s[8:9]
	v_mov_b32_e32 v4, 0
	s_and_saveexec_b64 s[8:9], s[4:5]
	s_cbranch_execnz .LBB110_3155
	s_branch .LBB110_3156
	.section	.rodata,"a",@progbits
	.p2align	6, 0x0
	.amdhsa_kernel _ZN2at6native32elementwise_kernel_manual_unrollILi128ELi4EZNS0_15gpu_kernel_implINS0_12_GLOBAL__N_114CompareFunctorIfEEEEvRNS_18TensorIteratorBaseERKT_EUlibE_EEviT1_
		.amdhsa_group_segment_fixed_size 0
		.amdhsa_private_segment_fixed_size 0
		.amdhsa_kernarg_size 56
		.amdhsa_user_sgpr_count 6
		.amdhsa_user_sgpr_private_segment_buffer 1
		.amdhsa_user_sgpr_dispatch_ptr 0
		.amdhsa_user_sgpr_queue_ptr 0
		.amdhsa_user_sgpr_kernarg_segment_ptr 1
		.amdhsa_user_sgpr_dispatch_id 0
		.amdhsa_user_sgpr_flat_scratch_init 0
		.amdhsa_user_sgpr_private_segment_size 0
		.amdhsa_uses_dynamic_stack 0
		.amdhsa_system_sgpr_private_segment_wavefront_offset 0
		.amdhsa_system_sgpr_workgroup_id_x 1
		.amdhsa_system_sgpr_workgroup_id_y 0
		.amdhsa_system_sgpr_workgroup_id_z 0
		.amdhsa_system_sgpr_workgroup_info 0
		.amdhsa_system_vgpr_workitem_id 0
		.amdhsa_next_free_vgpr 12
		.amdhsa_next_free_sgpr 57
		.amdhsa_reserve_vcc 1
		.amdhsa_reserve_flat_scratch 0
		.amdhsa_float_round_mode_32 0
		.amdhsa_float_round_mode_16_64 0
		.amdhsa_float_denorm_mode_32 3
		.amdhsa_float_denorm_mode_16_64 3
		.amdhsa_dx10_clamp 1
		.amdhsa_ieee_mode 1
		.amdhsa_fp16_overflow 0
		.amdhsa_exception_fp_ieee_invalid_op 0
		.amdhsa_exception_fp_denorm_src 0
		.amdhsa_exception_fp_ieee_div_zero 0
		.amdhsa_exception_fp_ieee_overflow 0
		.amdhsa_exception_fp_ieee_underflow 0
		.amdhsa_exception_fp_ieee_inexact 0
		.amdhsa_exception_int_div_zero 0
	.end_amdhsa_kernel
	.section	.text._ZN2at6native32elementwise_kernel_manual_unrollILi128ELi4EZNS0_15gpu_kernel_implINS0_12_GLOBAL__N_114CompareFunctorIfEEEEvRNS_18TensorIteratorBaseERKT_EUlibE_EEviT1_,"axG",@progbits,_ZN2at6native32elementwise_kernel_manual_unrollILi128ELi4EZNS0_15gpu_kernel_implINS0_12_GLOBAL__N_114CompareFunctorIfEEEEvRNS_18TensorIteratorBaseERKT_EUlibE_EEviT1_,comdat
.Lfunc_end110:
	.size	_ZN2at6native32elementwise_kernel_manual_unrollILi128ELi4EZNS0_15gpu_kernel_implINS0_12_GLOBAL__N_114CompareFunctorIfEEEEvRNS_18TensorIteratorBaseERKT_EUlibE_EEviT1_, .Lfunc_end110-_ZN2at6native32elementwise_kernel_manual_unrollILi128ELi4EZNS0_15gpu_kernel_implINS0_12_GLOBAL__N_114CompareFunctorIfEEEEvRNS_18TensorIteratorBaseERKT_EUlibE_EEviT1_
                                        ; -- End function
	.set _ZN2at6native32elementwise_kernel_manual_unrollILi128ELi4EZNS0_15gpu_kernel_implINS0_12_GLOBAL__N_114CompareFunctorIfEEEEvRNS_18TensorIteratorBaseERKT_EUlibE_EEviT1_.num_vgpr, 12
	.set _ZN2at6native32elementwise_kernel_manual_unrollILi128ELi4EZNS0_15gpu_kernel_implINS0_12_GLOBAL__N_114CompareFunctorIfEEEEvRNS_18TensorIteratorBaseERKT_EUlibE_EEviT1_.num_agpr, 0
	.set _ZN2at6native32elementwise_kernel_manual_unrollILi128ELi4EZNS0_15gpu_kernel_implINS0_12_GLOBAL__N_114CompareFunctorIfEEEEvRNS_18TensorIteratorBaseERKT_EUlibE_EEviT1_.numbered_sgpr, 57
	.set _ZN2at6native32elementwise_kernel_manual_unrollILi128ELi4EZNS0_15gpu_kernel_implINS0_12_GLOBAL__N_114CompareFunctorIfEEEEvRNS_18TensorIteratorBaseERKT_EUlibE_EEviT1_.num_named_barrier, 0
	.set _ZN2at6native32elementwise_kernel_manual_unrollILi128ELi4EZNS0_15gpu_kernel_implINS0_12_GLOBAL__N_114CompareFunctorIfEEEEvRNS_18TensorIteratorBaseERKT_EUlibE_EEviT1_.private_seg_size, 0
	.set _ZN2at6native32elementwise_kernel_manual_unrollILi128ELi4EZNS0_15gpu_kernel_implINS0_12_GLOBAL__N_114CompareFunctorIfEEEEvRNS_18TensorIteratorBaseERKT_EUlibE_EEviT1_.uses_vcc, 1
	.set _ZN2at6native32elementwise_kernel_manual_unrollILi128ELi4EZNS0_15gpu_kernel_implINS0_12_GLOBAL__N_114CompareFunctorIfEEEEvRNS_18TensorIteratorBaseERKT_EUlibE_EEviT1_.uses_flat_scratch, 0
	.set _ZN2at6native32elementwise_kernel_manual_unrollILi128ELi4EZNS0_15gpu_kernel_implINS0_12_GLOBAL__N_114CompareFunctorIfEEEEvRNS_18TensorIteratorBaseERKT_EUlibE_EEviT1_.has_dyn_sized_stack, 0
	.set _ZN2at6native32elementwise_kernel_manual_unrollILi128ELi4EZNS0_15gpu_kernel_implINS0_12_GLOBAL__N_114CompareFunctorIfEEEEvRNS_18TensorIteratorBaseERKT_EUlibE_EEviT1_.has_recursion, 0
	.set _ZN2at6native32elementwise_kernel_manual_unrollILi128ELi4EZNS0_15gpu_kernel_implINS0_12_GLOBAL__N_114CompareFunctorIfEEEEvRNS_18TensorIteratorBaseERKT_EUlibE_EEviT1_.has_indirect_call, 0
	.section	.AMDGPU.csdata,"",@progbits
; Kernel info:
; codeLenInByte = 48264
; TotalNumSgprs: 61
; NumVgprs: 12
; ScratchSize: 0
; MemoryBound: 1
; FloatMode: 240
; IeeeMode: 1
; LDSByteSize: 0 bytes/workgroup (compile time only)
; SGPRBlocks: 7
; VGPRBlocks: 2
; NumSGPRsForWavesPerEU: 61
; NumVGPRsForWavesPerEU: 12
; Occupancy: 10
; WaveLimiterHint : 0
; COMPUTE_PGM_RSRC2:SCRATCH_EN: 0
; COMPUTE_PGM_RSRC2:USER_SGPR: 6
; COMPUTE_PGM_RSRC2:TRAP_HANDLER: 0
; COMPUTE_PGM_RSRC2:TGID_X_EN: 1
; COMPUTE_PGM_RSRC2:TGID_Y_EN: 0
; COMPUTE_PGM_RSRC2:TGID_Z_EN: 0
; COMPUTE_PGM_RSRC2:TIDIG_COMP_CNT: 0
	.section	.text._ZN2at6native32elementwise_kernel_manual_unrollILi128ELi4EZNS0_15gpu_kernel_implINS0_12_GLOBAL__N_114CompareFunctorIfEEEEvRNS_18TensorIteratorBaseERKT_EUlibE0_EEviT1_,"axG",@progbits,_ZN2at6native32elementwise_kernel_manual_unrollILi128ELi4EZNS0_15gpu_kernel_implINS0_12_GLOBAL__N_114CompareFunctorIfEEEEvRNS_18TensorIteratorBaseERKT_EUlibE0_EEviT1_,comdat
	.globl	_ZN2at6native32elementwise_kernel_manual_unrollILi128ELi4EZNS0_15gpu_kernel_implINS0_12_GLOBAL__N_114CompareFunctorIfEEEEvRNS_18TensorIteratorBaseERKT_EUlibE0_EEviT1_ ; -- Begin function _ZN2at6native32elementwise_kernel_manual_unrollILi128ELi4EZNS0_15gpu_kernel_implINS0_12_GLOBAL__N_114CompareFunctorIfEEEEvRNS_18TensorIteratorBaseERKT_EUlibE0_EEviT1_
	.p2align	8
	.type	_ZN2at6native32elementwise_kernel_manual_unrollILi128ELi4EZNS0_15gpu_kernel_implINS0_12_GLOBAL__N_114CompareFunctorIfEEEEvRNS_18TensorIteratorBaseERKT_EUlibE0_EEviT1_,@function
_ZN2at6native32elementwise_kernel_manual_unrollILi128ELi4EZNS0_15gpu_kernel_implINS0_12_GLOBAL__N_114CompareFunctorIfEEEEvRNS_18TensorIteratorBaseERKT_EUlibE0_EEviT1_: ; @_ZN2at6native32elementwise_kernel_manual_unrollILi128ELi4EZNS0_15gpu_kernel_implINS0_12_GLOBAL__N_114CompareFunctorIfEEEEvRNS_18TensorIteratorBaseERKT_EUlibE0_EEviT1_
; %bb.0:
	s_load_dword s68, s[4:5], 0x0
	s_load_dword s33, s[4:5], 0x8
	s_add_u32 s2, s4, 8
	s_addc_u32 s3, s5, 0
	v_lshl_or_b32 v8, s6, 9, v0
	v_or_b32_e32 v23, 0x180, v8
	s_waitcnt lgkmcnt(0)
	s_add_i32 s70, s33, -1
	s_cmp_gt_u32 s70, 1
	v_cmp_le_i32_e32 vcc, s68, v23
	s_cselect_b64 s[24:25], -1, 0
	s_mov_b64 s[6:7], 0
	s_mov_b64 s[12:13], 0
	s_and_saveexec_b64 s[0:1], vcc
	s_xor_b64 s[26:27], exec, s[0:1]
	s_cbranch_execz .LBB111_1655
; %bb.1:
	s_cmp_lg_u32 s33, 0
	s_load_dwordx4 s[16:19], s[2:3], 0x4
	s_load_dwordx2 s[30:31], s[2:3], 0x14
	s_load_dwordx8 s[8:15], s[2:3], 0x188
	s_load_dwordx4 s[20:23], s[2:3], 0xc4
	s_load_dwordx2 s[28:29], s[2:3], 0xd4
	s_cselect_b64 s[36:37], -1, 0
	s_min_u32 s73, s70, 15
	s_cmp_gt_u32 s33, 1
	s_cselect_b64 s[34:35], -1, 0
	s_waitcnt lgkmcnt(0)
	s_lshr_b32 s72, s15, 8
	s_lshr_b32 s71, s15, 16
	v_cmp_gt_i32_e32 vcc, s68, v8
	s_mov_b64 s[0:1], -1
	s_mov_b64 s[48:49], 0
	s_mov_b64 s[42:43], 0
	;; [unrolled: 1-line block ×4, first 2 shown]
	s_and_saveexec_b64 s[44:45], vcc
	s_cbranch_execz .LBB111_410
; %bb.2:
	s_andn2_b64 vcc, exec, s[24:25]
	s_cbranch_vccnz .LBB111_8
; %bb.3:
	s_andn2_b64 vcc, exec, s[36:37]
	s_cbranch_vccnz .LBB111_9
; %bb.4:
	s_add_i32 s0, s73, 1
	s_and_b32 s38, s0, 30
	s_add_u32 s0, s2, 0xffffffe8
	s_addc_u32 s1, s3, -1
	v_mov_b32_e32 v2, 0
	v_mov_b32_e32 v4, 0
	;; [unrolled: 1-line block ×4, first 2 shown]
.LBB111_5:                              ; =>This Inner Loop Header: Depth=1
	s_load_dwordx4 s[40:43], s[0:1], 0x1c
	s_load_dwordx2 s[46:47], s[0:1], 0x2c
	s_load_dwordx2 s[50:51], s[0:1], 0xec
	s_load_dwordx4 s[52:55], s[0:1], 0xdc
	s_add_u32 s0, s0, 24
	s_waitcnt lgkmcnt(0)
	v_mul_hi_u32 v3, s41, v1
	s_addc_u32 s1, s1, 0
	s_add_i32 s38, s38, -2
	s_cmp_lg_u32 s38, 0
	v_add_u32_e32 v3, v1, v3
	v_lshrrev_b32_e32 v3, s42, v3
	v_mul_lo_u32 v5, v3, s40
	v_mul_hi_u32 v6, s46, v3
	v_sub_u32_e32 v5, v1, v5
	v_add_u32_e32 v1, v3, v6
	v_lshrrev_b32_e32 v1, s47, v1
	v_mul_lo_u32 v9, v1, s43
	v_mul_lo_u32 v6, v5, s52
	v_mul_lo_u32 v7, v5, s53
	v_mul_lo_u32 v5, v5, s54
	v_sub_u32_e32 v3, v3, v9
	v_mul_lo_u32 v9, v3, s55
	v_mul_lo_u32 v10, v3, s50
	;; [unrolled: 1-line block ×3, first 2 shown]
	v_add3_u32 v0, v6, v0, v9
	v_add3_u32 v4, v7, v4, v10
	;; [unrolled: 1-line block ×3, first 2 shown]
	s_cbranch_scc1 .LBB111_5
; %bb.6:
	s_bitcmp1_b32 s73, 0
	s_cselect_b64 s[38:39], -1, 0
	s_and_b64 vcc, exec, s[38:39]
	s_cbranch_vccnz .LBB111_10
; %bb.7:
	s_load_dwordx2 s[38:39], s[0:1], 0x1c
	s_load_dword s42, s[0:1], 0x24
	s_load_dwordx2 s[40:41], s[0:1], 0xdc
	s_waitcnt lgkmcnt(0)
	v_mul_hi_u32 v3, s39, v1
	v_add_u32_e32 v3, v1, v3
	v_lshrrev_b32_e32 v3, s42, v3
	v_mul_lo_u32 v3, v3, s38
	s_load_dword s38, s[0:1], 0xe4
	v_sub_u32_e32 v3, v1, v3
	v_mad_u64_u32 v[0:1], s[0:1], v3, s40, v[0:1]
	v_mad_u64_u32 v[4:5], s[0:1], v3, s41, v[4:5]
	s_waitcnt lgkmcnt(0)
	v_mad_u64_u32 v[2:3], s[0:1], v3, s38, v[2:3]
	s_cbranch_execz .LBB111_11
	s_branch .LBB111_13
.LBB111_8:
                                        ; implicit-def: $vgpr0
                                        ; implicit-def: $vgpr4
                                        ; implicit-def: $vgpr2
	s_andn2_b64 vcc, exec, s[0:1]
	s_cbranch_vccz .LBB111_11
	s_branch .LBB111_13
.LBB111_9:
	v_mov_b32_e32 v0, 0
	v_mov_b32_e32 v4, 0
	v_mov_b32_e32 v2, 0
.LBB111_10:
	s_cbranch_execnz .LBB111_13
.LBB111_11:
	v_mul_hi_u32 v0, s17, v8
	s_andn2_b64 vcc, exec, s[34:35]
	v_add_u32_e32 v0, v8, v0
	v_lshrrev_b32_e32 v1, s18, v0
	v_mul_lo_u32 v0, v1, s16
	v_sub_u32_e32 v2, v8, v0
	v_mul_lo_u32 v0, v2, s20
	v_mul_lo_u32 v4, v2, s21
	;; [unrolled: 1-line block ×3, first 2 shown]
	s_cbranch_vccnz .LBB111_13
; %bb.12:
	v_mul_hi_u32 v3, s30, v1
	v_add_u32_e32 v3, v1, v3
	v_lshrrev_b32_e32 v3, s31, v3
	v_mul_lo_u32 v3, v3, s19
	v_sub_u32_e32 v3, v1, v3
	v_mad_u64_u32 v[0:1], s[0:1], v3, s23, v[0:1]
	v_mad_u64_u32 v[4:5], s[0:1], v3, s28, v[4:5]
	;; [unrolled: 1-line block ×3, first 2 shown]
.LBB111_13:
	v_mov_b32_e32 v1, s11
	s_and_b32 s46, s72, 0xff
	v_add_co_u32_e32 v3, vcc, s10, v4
	s_cmp_lt_i32 s46, 11
	v_addc_co_u32_e32 v4, vcc, 0, v1, vcc
	s_cbranch_scc1 .LBB111_20
; %bb.14:
	s_and_b32 s47, 0xffff, s46
	s_cmp_gt_i32 s47, 25
	s_cbranch_scc0 .LBB111_29
; %bb.15:
	s_cmp_gt_i32 s47, 28
	s_cbranch_scc0 .LBB111_36
; %bb.16:
	;; [unrolled: 3-line block ×4, first 2 shown]
	s_cmp_eq_u32 s47, 46
	s_mov_b64 s[38:39], 0
	s_cbranch_scc0 .LBB111_64
; %bb.19:
	global_load_dword v1, v[3:4], off
	s_mov_b64 s[0:1], -1
	s_mov_b64 s[42:43], 0
	s_waitcnt vmcnt(0)
	v_lshlrev_b32_e32 v5, 16, v1
	s_branch .LBB111_66
.LBB111_20:
	s_mov_b64 s[42:43], 0
                                        ; implicit-def: $vgpr5
	s_mov_b64 s[0:1], 0
	s_cbranch_execnz .LBB111_132
.LBB111_21:
	s_andn2_b64 vcc, exec, s[0:1]
	s_cbranch_vccnz .LBB111_179
.LBB111_22:
	v_mov_b32_e32 v3, s13
	s_and_b32 s50, s71, 0xff
	v_add_co_u32_e32 v1, vcc, s12, v2
	s_cmp_lt_i32 s50, 11
	v_addc_co_u32_e32 v2, vcc, 0, v3, vcc
	s_cbranch_scc1 .LBB111_30
; %bb.23:
	s_and_b32 s51, 0xffff, s50
	s_cmp_gt_i32 s51, 25
	s_cbranch_scc0 .LBB111_37
; %bb.24:
	s_cmp_gt_i32 s51, 28
	s_cbranch_scc0 .LBB111_42
; %bb.25:
	;; [unrolled: 3-line block ×4, first 2 shown]
	s_cmp_eq_u32 s51, 46
	s_mov_b64 s[38:39], 0
	s_cbranch_scc0 .LBB111_180
; %bb.28:
	global_load_dword v3, v[1:2], off
	s_mov_b64 s[0:1], -1
	s_mov_b64 s[40:41], 0
	s_waitcnt vmcnt(0)
	v_lshlrev_b32_e32 v3, 16, v3
	s_branch .LBB111_182
.LBB111_29:
	s_mov_b64 s[42:43], 0
	s_mov_b64 s[0:1], 0
                                        ; implicit-def: $vgpr5
	s_cbranch_execnz .LBB111_97
	s_branch .LBB111_131
.LBB111_30:
	s_mov_b64 s[40:41], 0
                                        ; implicit-def: $vgpr3
	s_mov_b64 s[0:1], 0
	s_cbranch_execnz .LBB111_359
.LBB111_31:
	s_andn2_b64 vcc, exec, s[0:1]
	s_cbranch_vccnz .LBB111_407
.LBB111_32:
	s_cmp_lt_i32 s14, 1
	s_mov_b64 s[0:1], 0
	s_cbranch_scc1 .LBB111_38
; %bb.33:
	s_cmp_gt_i32 s14, 1
	s_cbranch_scc0 .LBB111_43
; %bb.34:
	s_cmp_eq_u32 s14, 2
	s_cbranch_scc0 .LBB111_46
; %bb.35:
	s_waitcnt vmcnt(0)
	v_cmp_le_f32_e64 s[38:39], v5, v3
	s_mov_b64 s[46:47], 0
	s_branch .LBB111_47
.LBB111_36:
	s_mov_b64 s[38:39], -1
	s_mov_b64 s[42:43], 0
	s_mov_b64 s[0:1], 0
                                        ; implicit-def: $vgpr5
	s_branch .LBB111_78
.LBB111_37:
	s_mov_b64 s[38:39], -1
	s_mov_b64 s[40:41], 0
	s_mov_b64 s[0:1], 0
                                        ; implicit-def: $vgpr3
	s_branch .LBB111_323
.LBB111_38:
                                        ; implicit-def: $sgpr38_sgpr39
	s_mov_b64 s[46:47], 0
	s_cbranch_execnz .LBB111_51
.LBB111_39:
	s_andn2_b64 vcc, exec, s[46:47]
	s_cbranch_vccnz .LBB111_52
.LBB111_40:
	s_waitcnt vmcnt(0)
	v_cmp_lt_f32_e32 vcc, v5, v3
	s_andn2_b64 s[38:39], s[38:39], exec
	s_and_b64 s[46:47], vcc, exec
	s_or_b64 s[38:39], s[38:39], s[46:47]
	s_cbranch_execz .LBB111_53
	s_branch .LBB111_54
.LBB111_41:
	s_mov_b64 s[38:39], -1
	s_mov_b64 s[42:43], 0
	s_mov_b64 s[0:1], 0
                                        ; implicit-def: $vgpr5
	s_branch .LBB111_73
.LBB111_42:
	s_mov_b64 s[38:39], -1
	s_mov_b64 s[40:41], 0
	s_mov_b64 s[0:1], 0
                                        ; implicit-def: $vgpr3
	s_branch .LBB111_304
.LBB111_43:
	s_mov_b64 s[50:51], -1
	s_mov_b64 s[46:47], 0
                                        ; implicit-def: $sgpr38_sgpr39
	s_branch .LBB111_48
.LBB111_44:
	s_mov_b64 s[38:39], -1
	s_mov_b64 s[42:43], 0
	s_branch .LBB111_65
.LBB111_45:
	s_mov_b64 s[38:39], -1
	s_mov_b64 s[40:41], 0
	s_mov_b64 s[0:1], 0
                                        ; implicit-def: $vgpr3
	s_branch .LBB111_299
.LBB111_46:
	s_mov_b64 s[46:47], -1
                                        ; implicit-def: $sgpr38_sgpr39
.LBB111_47:
	s_mov_b64 s[50:51], 0
.LBB111_48:
	s_and_b64 vcc, exec, s[50:51]
	s_cbranch_vccz .LBB111_50
; %bb.49:
	s_waitcnt vmcnt(0)
	v_cmp_gt_f32_e32 vcc, v5, v3
	s_andn2_b64 s[38:39], s[38:39], exec
	s_and_b64 s[50:51], vcc, exec
	s_or_b64 s[38:39], s[38:39], s[50:51]
.LBB111_50:
	s_branch .LBB111_39
.LBB111_51:
	s_cmp_lg_u32 s14, 0
	s_mov_b64 s[0:1], -1
	s_cselect_b64 s[46:47], -1, 0
	s_andn2_b64 vcc, exec, s[46:47]
	s_cbranch_vccz .LBB111_40
.LBB111_52:
	s_andn2_b64 vcc, exec, s[0:1]
	s_cbranch_vccnz .LBB111_54
.LBB111_53:
	s_waitcnt vmcnt(0)
	v_cmp_ge_f32_e32 vcc, v5, v3
	s_andn2_b64 s[0:1], s[38:39], exec
	s_and_b64 s[38:39], vcc, exec
	s_or_b64 s[38:39], s[0:1], s[38:39]
.LBB111_54:
	v_mov_b32_e32 v1, s9
	s_and_b32 s54, s15, 0xff
	v_add_co_u32_e32 v0, vcc, s8, v0
	s_cmp_lt_i32 s54, 11
	v_addc_co_u32_e32 v1, vcc, 0, v1, vcc
	s_cbranch_scc1 .LBB111_61
; %bb.55:
	s_and_b32 s55, 0xffff, s54
	s_cmp_gt_i32 s55, 25
	s_cbranch_scc0 .LBB111_62
; %bb.56:
	s_cmp_gt_i32 s55, 28
	s_cbranch_scc0 .LBB111_63
; %bb.57:
	;; [unrolled: 3-line block ×4, first 2 shown]
	s_mov_b64 s[50:51], 0
	s_mov_b64 s[0:1], -1
	s_cmp_eq_u32 s55, 46
	s_mov_b64 s[46:47], 0
	s_cbranch_scc0 .LBB111_186
; %bb.60:
	v_cndmask_b32_e64 v2, 0, 1.0, s[38:39]
	s_waitcnt vmcnt(0)
	v_bfe_u32 v3, v2, 16, 1
	s_movk_i32 s0, 0x7fff
	v_add3_u32 v2, v2, v3, s0
	v_lshrrev_b32_e32 v2, 16, v2
	global_store_dword v[0:1], v2, off
	s_mov_b64 s[46:47], -1
	s_mov_b64 s[0:1], 0
	s_branch .LBB111_186
.LBB111_61:
	s_mov_b64 s[50:51], -1
	s_mov_b64 s[0:1], 0
	s_mov_b64 s[46:47], 0
	s_branch .LBB111_255
.LBB111_62:
	s_mov_b64 s[50:51], -1
	s_mov_b64 s[0:1], 0
	s_mov_b64 s[46:47], 0
	s_branch .LBB111_213
.LBB111_63:
	s_mov_b64 s[50:51], -1
	s_mov_b64 s[0:1], 0
	s_mov_b64 s[46:47], 0
	s_branch .LBB111_196
.LBB111_64:
	s_mov_b64 s[42:43], -1
.LBB111_65:
	s_mov_b64 s[0:1], 0
                                        ; implicit-def: $vgpr5
.LBB111_66:
	s_and_b64 vcc, exec, s[38:39]
	s_cbranch_vccz .LBB111_72
; %bb.67:
	s_cmp_eq_u32 s47, 44
	s_cbranch_scc0 .LBB111_71
; %bb.68:
	global_load_ubyte v1, v[3:4], off
	s_movk_i32 s38, 0xff
	v_mov_b32_e32 v5, 0x7f800001
	v_mov_b32_e32 v6, 0x400000
	s_mov_b64 s[0:1], -1
	s_mov_b64 s[42:43], 0
	s_waitcnt vmcnt(0)
	v_lshlrev_b32_e32 v7, 23, v1
	v_cmp_ne_u32_e32 vcc, s38, v1
	v_cndmask_b32_e32 v5, v5, v7, vcc
	v_cmp_ne_u32_e32 vcc, 0, v1
	v_cndmask_b32_e32 v5, v6, v5, vcc
	s_branch .LBB111_72
.LBB111_69:
	s_mov_b64 s[38:39], -1
	s_mov_b64 s[40:41], 0
	s_branch .LBB111_181
.LBB111_70:
	s_mov_b64 s[50:51], -1
	s_mov_b64 s[0:1], 0
	s_mov_b64 s[46:47], 0
	s_branch .LBB111_192
.LBB111_71:
	s_mov_b64 s[42:43], -1
                                        ; implicit-def: $vgpr5
.LBB111_72:
	s_mov_b64 s[38:39], 0
.LBB111_73:
	s_and_b64 vcc, exec, s[38:39]
	s_cbranch_vccz .LBB111_77
; %bb.74:
	s_cmp_eq_u32 s47, 29
	s_cbranch_scc0 .LBB111_76
; %bb.75:
	global_load_dwordx2 v[5:6], v[3:4], off
	s_mov_b64 s[0:1], -1
	s_mov_b64 s[42:43], 0
	s_mov_b64 s[38:39], 0
	s_waitcnt vmcnt(0)
	v_ffbh_u32_e32 v1, v6
	v_min_u32_e32 v1, 32, v1
	v_lshlrev_b64 v[5:6], v1, v[5:6]
	v_sub_u32_e32 v1, 32, v1
	v_min_u32_e32 v5, 1, v5
	v_or_b32_e32 v5, v6, v5
	v_cvt_f32_u32_e32 v5, v5
	v_ldexp_f32 v5, v5, v1
	s_branch .LBB111_78
.LBB111_76:
	s_mov_b64 s[42:43], -1
                                        ; implicit-def: $vgpr5
.LBB111_77:
	s_mov_b64 s[38:39], 0
.LBB111_78:
	s_and_b64 vcc, exec, s[38:39]
	s_cbranch_vccz .LBB111_96
; %bb.79:
	s_cmp_lt_i32 s47, 27
	s_cbranch_scc1 .LBB111_82
; %bb.80:
	s_cmp_gt_i32 s47, 27
	s_cbranch_scc0 .LBB111_83
; %bb.81:
	global_load_dword v1, v[3:4], off
	s_mov_b64 s[0:1], 0
	s_waitcnt vmcnt(0)
	v_cvt_f32_u32_e32 v5, v1
	s_branch .LBB111_84
.LBB111_82:
	s_mov_b64 s[0:1], -1
                                        ; implicit-def: $vgpr5
	s_branch .LBB111_87
.LBB111_83:
	s_mov_b64 s[0:1], -1
                                        ; implicit-def: $vgpr5
.LBB111_84:
	s_andn2_b64 vcc, exec, s[0:1]
	s_cbranch_vccnz .LBB111_86
; %bb.85:
	global_load_ushort v1, v[3:4], off
	s_waitcnt vmcnt(0)
	v_cvt_f32_u32_e32 v5, v1
.LBB111_86:
	s_mov_b64 s[0:1], 0
.LBB111_87:
	s_andn2_b64 vcc, exec, s[0:1]
	s_cbranch_vccnz .LBB111_95
; %bb.88:
	global_load_ubyte v1, v[3:4], off
	s_movk_i32 s0, 0x7f
	s_waitcnt vmcnt(0)
	v_cmp_lt_i16_e32 vcc, s0, v1
	s_mov_b64 s[0:1], 0
	s_and_saveexec_b64 s[38:39], vcc
	s_xor_b64 s[38:39], exec, s[38:39]
	s_cbranch_execz .LBB111_108
; %bb.89:
	s_movk_i32 s0, 0x80
	v_cmp_eq_u16_e32 vcc, s0, v1
	s_mov_b64 s[0:1], -1
	s_and_saveexec_b64 s[40:41], vcc
; %bb.90:
	s_xor_b64 s[0:1], exec, -1
; %bb.91:
	s_or_b64 exec, exec, s[40:41]
	s_and_b64 s[0:1], s[0:1], exec
	s_or_saveexec_b64 s[38:39], s[38:39]
	v_mov_b32_e32 v5, 0x7f800001
	s_xor_b64 exec, exec, s[38:39]
	s_cbranch_execnz .LBB111_109
.LBB111_92:
	s_or_b64 exec, exec, s[38:39]
	s_and_saveexec_b64 s[38:39], s[0:1]
	s_cbranch_execz .LBB111_94
.LBB111_93:
	v_lshlrev_b32_e32 v5, 24, v1
	v_and_b32_e32 v1, 0xffff, v1
	v_and_b32_e32 v6, 7, v1
	v_ffbh_u32_e32 v9, v6
	v_min_u32_e32 v9, 32, v9
	v_subrev_u32_e32 v10, 28, v9
	v_bfe_u32 v7, v1, 3, 4
	v_lshlrev_b32_e32 v1, v10, v1
	v_sub_u32_e32 v9, 29, v9
	v_and_b32_e32 v1, 7, v1
	v_cmp_eq_u32_e32 vcc, 0, v7
	v_cndmask_b32_e32 v7, v7, v9, vcc
	v_cndmask_b32_e32 v1, v6, v1, vcc
	v_mov_b32_e32 v6, 0x3b800000
	v_lshlrev_b32_e32 v1, 20, v1
	v_and_b32_e32 v5, 0x80000000, v5
	v_lshl_add_u32 v6, v7, 23, v6
	v_or3_b32 v5, v5, v6, v1
.LBB111_94:
	s_or_b64 exec, exec, s[38:39]
.LBB111_95:
	s_mov_b64 s[0:1], -1
.LBB111_96:
	s_branch .LBB111_131
.LBB111_97:
	s_cmp_gt_i32 s47, 22
	s_cbranch_scc0 .LBB111_107
; %bb.98:
	s_cmp_lt_i32 s47, 24
	s_cbranch_scc1 .LBB111_110
; %bb.99:
	s_cmp_gt_i32 s47, 24
	s_cbranch_scc0 .LBB111_111
; %bb.100:
	global_load_ubyte v1, v[3:4], off
	s_movk_i32 s0, 0x7f
	s_waitcnt vmcnt(0)
	v_cmp_lt_i16_e32 vcc, s0, v1
	s_mov_b64 s[0:1], 0
	s_and_saveexec_b64 s[38:39], vcc
	s_xor_b64 s[38:39], exec, s[38:39]
	s_cbranch_execz .LBB111_123
; %bb.101:
	s_movk_i32 s0, 0x80
	v_cmp_eq_u16_e32 vcc, s0, v1
	s_mov_b64 s[0:1], -1
	s_and_saveexec_b64 s[40:41], vcc
; %bb.102:
	s_xor_b64 s[0:1], exec, -1
; %bb.103:
	s_or_b64 exec, exec, s[40:41]
	s_and_b64 s[0:1], s[0:1], exec
	s_or_saveexec_b64 s[38:39], s[38:39]
	v_mov_b32_e32 v5, 0x7f800001
	s_xor_b64 exec, exec, s[38:39]
	s_cbranch_execnz .LBB111_124
.LBB111_104:
	s_or_b64 exec, exec, s[38:39]
	s_and_saveexec_b64 s[38:39], s[0:1]
	s_cbranch_execz .LBB111_106
.LBB111_105:
	v_lshlrev_b32_e32 v5, 24, v1
	v_and_b32_e32 v1, 0xffff, v1
	v_and_b32_e32 v6, 3, v1
	v_ffbh_u32_e32 v9, v6
	v_min_u32_e32 v9, 32, v9
	v_subrev_u32_e32 v10, 29, v9
	v_bfe_u32 v7, v1, 2, 5
	v_lshlrev_b32_e32 v1, v10, v1
	v_sub_u32_e32 v9, 30, v9
	v_and_b32_e32 v1, 3, v1
	v_cmp_eq_u32_e32 vcc, 0, v7
	v_cndmask_b32_e32 v7, v7, v9, vcc
	v_cndmask_b32_e32 v1, v6, v1, vcc
	v_mov_b32_e32 v6, 0x37800000
	v_lshlrev_b32_e32 v1, 21, v1
	v_and_b32_e32 v5, 0x80000000, v5
	v_lshl_add_u32 v6, v7, 23, v6
	v_or3_b32 v5, v5, v6, v1
.LBB111_106:
	s_or_b64 exec, exec, s[38:39]
	s_mov_b64 s[0:1], 0
	s_branch .LBB111_112
.LBB111_107:
	s_mov_b64 s[38:39], -1
                                        ; implicit-def: $vgpr5
	s_branch .LBB111_118
.LBB111_108:
	s_or_saveexec_b64 s[38:39], s[38:39]
	v_mov_b32_e32 v5, 0x7f800001
	s_xor_b64 exec, exec, s[38:39]
	s_cbranch_execz .LBB111_92
.LBB111_109:
	v_cmp_ne_u16_e32 vcc, 0, v1
	s_andn2_b64 s[0:1], s[0:1], exec
	s_and_b64 s[40:41], vcc, exec
	v_mov_b32_e32 v5, 0
	s_or_b64 s[0:1], s[0:1], s[40:41]
	s_or_b64 exec, exec, s[38:39]
	s_and_saveexec_b64 s[38:39], s[0:1]
	s_cbranch_execnz .LBB111_93
	s_branch .LBB111_94
.LBB111_110:
	s_mov_b64 s[0:1], -1
                                        ; implicit-def: $vgpr5
	s_branch .LBB111_115
.LBB111_111:
	s_mov_b64 s[0:1], -1
                                        ; implicit-def: $vgpr5
.LBB111_112:
	s_and_b64 vcc, exec, s[0:1]
	s_cbranch_vccz .LBB111_114
; %bb.113:
	global_load_ubyte v1, v[3:4], off
	s_mov_b32 s0, 0x7f800000
	s_waitcnt vmcnt(0)
	v_lshlrev_b32_e32 v1, 24, v1
	v_and_b32_e32 v5, 0x7f000000, v1
	v_ffbh_u32_e32 v6, v5
	v_min_u32_e32 v6, 32, v6
	v_sub_u32_e64 v6, v6, 4 clamp
	v_lshlrev_b32_e32 v9, v6, v5
	v_lshlrev_b32_e32 v6, 23, v6
	v_lshrrev_b32_e32 v9, 4, v9
	v_add_u32_e32 v7, 0x1000000, v5
	v_sub_u32_e32 v6, v9, v6
	v_ashrrev_i32_e32 v7, 8, v7
	v_add_u32_e32 v6, 0x3c000000, v6
	v_and_or_b32 v6, v7, s0, v6
	v_cmp_ne_u32_e32 vcc, 0, v5
	v_cndmask_b32_e32 v5, 0, v6, vcc
	s_brev_b32 s0, 1
	v_and_or_b32 v5, v1, s0, v5
.LBB111_114:
	s_mov_b64 s[0:1], 0
.LBB111_115:
	s_andn2_b64 vcc, exec, s[0:1]
	s_cbranch_vccnz .LBB111_117
; %bb.116:
	global_load_ubyte v1, v[3:4], off
	s_movk_i32 s0, 0x7f00
	s_brev_b32 s1, 16
	s_waitcnt vmcnt(0)
	v_lshlrev_b16_e32 v5, 8, v1
	v_lshlrev_b32_e32 v1, 25, v1
	v_lshrrev_b32_e32 v6, 4, v1
	v_and_or_b32 v7, v5, s0, 0.5
	v_or_b32_e32 v6, 0x70000000, v6
	v_add_f32_e32 v7, -0.5, v7
	v_mul_f32_e32 v6, 0x7800000, v6
	v_cmp_gt_u32_e32 vcc, s1, v1
	v_bfe_i32 v5, v5, 0, 16
	v_cndmask_b32_e32 v1, v6, v7, vcc
	s_brev_b32 s0, 1
	v_and_or_b32 v5, v5, s0, v1
.LBB111_117:
	s_mov_b64 s[38:39], 0
	s_mov_b64 s[0:1], -1
.LBB111_118:
	s_andn2_b64 vcc, exec, s[38:39]
	s_cbranch_vccnz .LBB111_131
; %bb.119:
	s_cmp_gt_i32 s47, 14
	s_cbranch_scc0 .LBB111_122
; %bb.120:
	s_cmp_eq_u32 s47, 15
	s_cbranch_scc0 .LBB111_125
; %bb.121:
	global_load_ushort v1, v[3:4], off
	s_mov_b64 s[0:1], -1
	s_mov_b64 s[42:43], 0
	s_waitcnt vmcnt(0)
	v_lshlrev_b32_e32 v5, 16, v1
	s_branch .LBB111_126
.LBB111_122:
	s_mov_b64 s[38:39], -1
                                        ; implicit-def: $vgpr5
	s_branch .LBB111_127
.LBB111_123:
	s_or_saveexec_b64 s[38:39], s[38:39]
	v_mov_b32_e32 v5, 0x7f800001
	s_xor_b64 exec, exec, s[38:39]
	s_cbranch_execz .LBB111_104
.LBB111_124:
	v_cmp_ne_u16_e32 vcc, 0, v1
	s_andn2_b64 s[0:1], s[0:1], exec
	s_and_b64 s[40:41], vcc, exec
	v_mov_b32_e32 v5, 0
	s_or_b64 s[0:1], s[0:1], s[40:41]
	s_or_b64 exec, exec, s[38:39]
	s_and_saveexec_b64 s[38:39], s[0:1]
	s_cbranch_execnz .LBB111_105
	s_branch .LBB111_106
.LBB111_125:
	s_mov_b64 s[42:43], -1
                                        ; implicit-def: $vgpr5
.LBB111_126:
	s_mov_b64 s[38:39], 0
.LBB111_127:
	s_and_b64 vcc, exec, s[38:39]
	s_cbranch_vccz .LBB111_131
; %bb.128:
	s_cmp_eq_u32 s47, 11
	s_cbranch_scc0 .LBB111_130
; %bb.129:
	global_load_ubyte v1, v[3:4], off
	s_mov_b64 s[0:1], -1
	s_mov_b64 s[42:43], 0
	s_waitcnt vmcnt(0)
	v_cmp_ne_u16_e32 vcc, 0, v1
	v_cndmask_b32_e64 v5, 0, 1.0, vcc
	s_branch .LBB111_131
.LBB111_130:
	s_mov_b64 s[42:43], -1
                                        ; implicit-def: $vgpr5
.LBB111_131:
	s_branch .LBB111_21
.LBB111_132:
	s_and_b32 s38, 0xffff, s46
	s_cmp_lt_i32 s38, 5
	s_cbranch_scc1 .LBB111_137
; %bb.133:
	s_cmp_lt_i32 s38, 8
	s_cbranch_scc1 .LBB111_138
; %bb.134:
	;; [unrolled: 3-line block ×3, first 2 shown]
	s_cmp_gt_i32 s38, 9
	s_cbranch_scc0 .LBB111_140
; %bb.136:
	global_load_dwordx2 v[5:6], v[3:4], off
	s_mov_b64 s[0:1], 0
	s_waitcnt vmcnt(0)
	v_cvt_f32_f64_e32 v5, v[5:6]
	s_branch .LBB111_141
.LBB111_137:
                                        ; implicit-def: $vgpr5
	s_branch .LBB111_159
.LBB111_138:
	s_mov_b64 s[0:1], -1
                                        ; implicit-def: $vgpr5
	s_branch .LBB111_147
.LBB111_139:
	s_mov_b64 s[0:1], -1
                                        ; implicit-def: $vgpr5
	s_branch .LBB111_144
.LBB111_140:
	s_mov_b64 s[0:1], -1
                                        ; implicit-def: $vgpr5
.LBB111_141:
	s_andn2_b64 vcc, exec, s[0:1]
	s_cbranch_vccnz .LBB111_143
; %bb.142:
	global_load_dword v5, v[3:4], off
.LBB111_143:
	s_mov_b64 s[0:1], 0
.LBB111_144:
	s_andn2_b64 vcc, exec, s[0:1]
	s_cbranch_vccnz .LBB111_146
; %bb.145:
	global_load_dword v1, v[3:4], off
	s_waitcnt vmcnt(0)
	v_cvt_f32_f16_e32 v5, v1
.LBB111_146:
	s_mov_b64 s[0:1], 0
.LBB111_147:
	s_andn2_b64 vcc, exec, s[0:1]
	s_cbranch_vccnz .LBB111_158
; %bb.148:
	s_cmp_lt_i32 s38, 6
	s_cbranch_scc1 .LBB111_151
; %bb.149:
	s_cmp_gt_i32 s38, 6
	s_cbranch_scc0 .LBB111_152
; %bb.150:
	global_load_dwordx2 v[5:6], v[3:4], off
	s_mov_b64 s[0:1], 0
	s_waitcnt vmcnt(0)
	v_cvt_f32_f64_e32 v5, v[5:6]
	s_branch .LBB111_153
.LBB111_151:
	s_mov_b64 s[0:1], -1
                                        ; implicit-def: $vgpr5
	s_branch .LBB111_156
.LBB111_152:
	s_mov_b64 s[0:1], -1
                                        ; implicit-def: $vgpr5
.LBB111_153:
	s_andn2_b64 vcc, exec, s[0:1]
	s_cbranch_vccnz .LBB111_155
; %bb.154:
	global_load_dword v5, v[3:4], off
.LBB111_155:
	s_mov_b64 s[0:1], 0
.LBB111_156:
	s_andn2_b64 vcc, exec, s[0:1]
	s_cbranch_vccnz .LBB111_158
; %bb.157:
	global_load_ushort v1, v[3:4], off
	s_waitcnt vmcnt(0)
	v_cvt_f32_f16_e32 v5, v1
.LBB111_158:
	s_cbranch_execnz .LBB111_178
.LBB111_159:
	s_cmp_lt_i32 s38, 2
	s_cbranch_scc1 .LBB111_163
; %bb.160:
	s_cmp_lt_i32 s38, 3
	s_cbranch_scc1 .LBB111_164
; %bb.161:
	s_cmp_gt_i32 s38, 3
	s_cbranch_scc0 .LBB111_165
; %bb.162:
	global_load_dwordx2 v[5:6], v[3:4], off
	s_mov_b64 s[0:1], 0
	s_waitcnt vmcnt(0)
	v_xor_b32_e32 v7, v5, v6
	v_ffbh_i32_e32 v1, v6
	v_ashrrev_i32_e32 v7, 31, v7
	v_add_u32_e32 v1, -1, v1
	v_add_u32_e32 v7, 32, v7
	v_min_u32_e32 v1, v1, v7
	v_lshlrev_b64 v[5:6], v1, v[5:6]
	v_sub_u32_e32 v1, 32, v1
	v_min_u32_e32 v5, 1, v5
	v_or_b32_e32 v5, v6, v5
	v_cvt_f32_i32_e32 v5, v5
	v_ldexp_f32 v5, v5, v1
	s_branch .LBB111_166
.LBB111_163:
	s_mov_b64 s[0:1], -1
                                        ; implicit-def: $vgpr5
	s_branch .LBB111_172
.LBB111_164:
	s_mov_b64 s[0:1], -1
                                        ; implicit-def: $vgpr5
	s_branch .LBB111_169
.LBB111_165:
	s_mov_b64 s[0:1], -1
                                        ; implicit-def: $vgpr5
.LBB111_166:
	s_andn2_b64 vcc, exec, s[0:1]
	s_cbranch_vccnz .LBB111_168
; %bb.167:
	global_load_dword v1, v[3:4], off
	s_waitcnt vmcnt(0)
	v_cvt_f32_i32_e32 v5, v1
.LBB111_168:
	s_mov_b64 s[0:1], 0
.LBB111_169:
	s_andn2_b64 vcc, exec, s[0:1]
	s_cbranch_vccnz .LBB111_171
; %bb.170:
	global_load_sshort v1, v[3:4], off
	s_waitcnt vmcnt(0)
	v_cvt_f32_i32_e32 v5, v1
.LBB111_171:
	s_mov_b64 s[0:1], 0
.LBB111_172:
	s_andn2_b64 vcc, exec, s[0:1]
	s_cbranch_vccnz .LBB111_178
; %bb.173:
	s_cmp_gt_i32 s38, 0
	s_cbranch_scc0 .LBB111_175
; %bb.174:
	global_load_sbyte v1, v[3:4], off
	s_mov_b64 s[0:1], 0
	s_waitcnt vmcnt(0)
	v_cvt_f32_i32_e32 v5, v1
	s_branch .LBB111_176
.LBB111_175:
	s_mov_b64 s[0:1], -1
                                        ; implicit-def: $vgpr5
.LBB111_176:
	s_andn2_b64 vcc, exec, s[0:1]
	s_cbranch_vccnz .LBB111_178
; %bb.177:
	global_load_ubyte v1, v[3:4], off
	s_waitcnt vmcnt(0)
	v_cvt_f32_ubyte0_e32 v5, v1
.LBB111_178:
	s_branch .LBB111_22
.LBB111_179:
	s_mov_b64 s[0:1], 0
	s_mov_b64 s[40:41], 0
	s_branch .LBB111_408
.LBB111_180:
	s_mov_b64 s[40:41], -1
.LBB111_181:
	s_mov_b64 s[0:1], 0
                                        ; implicit-def: $vgpr3
.LBB111_182:
	s_and_b64 vcc, exec, s[38:39]
	s_cbranch_vccz .LBB111_298
; %bb.183:
	s_cmp_eq_u32 s51, 44
	s_cbranch_scc0 .LBB111_297
; %bb.184:
	global_load_ubyte v3, v[1:2], off
	s_movk_i32 s38, 0xff
	v_mov_b32_e32 v4, 0x7f800001
	v_mov_b32_e32 v6, 0x400000
	s_mov_b64 s[0:1], -1
	s_mov_b64 s[40:41], 0
	s_waitcnt vmcnt(0)
	v_lshlrev_b32_e32 v7, 23, v3
	v_cmp_ne_u32_e32 vcc, s38, v3
	v_cndmask_b32_e32 v4, v4, v7, vcc
	v_cmp_ne_u32_e32 vcc, 0, v3
	v_cndmask_b32_e32 v3, v6, v4, vcc
	s_branch .LBB111_298
.LBB111_185:
	s_mov_b64 s[50:51], -1
	s_mov_b64 s[0:1], 0
	s_mov_b64 s[46:47], 0
.LBB111_186:
	s_and_b64 vcc, exec, s[50:51]
	s_cbranch_vccz .LBB111_191
; %bb.187:
	s_cmp_eq_u32 s55, 44
	s_mov_b64 s[0:1], -1
	s_cbranch_scc0 .LBB111_191
; %bb.188:
	s_waitcnt vmcnt(0)
	v_cndmask_b32_e64 v3, 0, 1.0, s[38:39]
	v_lshrrev_b32_e32 v2, 23, v3
	s_movk_i32 s0, 0xff
	v_cmp_ne_u32_e32 vcc, s0, v2
	v_mov_b32_e32 v4, 0xff
	s_and_saveexec_b64 s[46:47], vcc
; %bb.189:
	s_mov_b32 s0, 0x3fffff
	v_and_b32_e32 v4, 0x400000, v3
	v_and_or_b32 v3, v3, s0, v2
	v_cmp_ne_u32_e32 vcc, 0, v4
	v_cmp_ne_u32_e64 s[0:1], 0, v3
	s_and_b64 s[0:1], vcc, s[0:1]
	v_cndmask_b32_e64 v3, 0, 1, s[0:1]
	v_add_u32_e32 v4, v2, v3
; %bb.190:
	s_or_b64 exec, exec, s[46:47]
	s_mov_b64 s[46:47], -1
	s_mov_b64 s[0:1], 0
	global_store_byte v[0:1], v4, off
.LBB111_191:
	s_mov_b64 s[50:51], 0
.LBB111_192:
	s_and_b64 vcc, exec, s[50:51]
	s_cbranch_vccz .LBB111_195
; %bb.193:
	s_cmp_eq_u32 s55, 29
	s_mov_b64 s[0:1], -1
	s_cbranch_scc0 .LBB111_195
; %bb.194:
	s_mov_b32 s0, 0
	v_cndmask_b32_e64 v2, 0, 1, s[38:39]
	s_waitcnt vmcnt(0)
	v_mov_b32_e32 v3, s0
	global_store_dwordx2 v[0:1], v[2:3], off
	s_mov_b64 s[46:47], -1
	s_mov_b64 s[0:1], 0
.LBB111_195:
	s_mov_b64 s[50:51], 0
.LBB111_196:
	s_and_b64 vcc, exec, s[50:51]
	s_cbranch_vccz .LBB111_212
; %bb.197:
	s_cmp_lt_i32 s55, 27
	s_mov_b64 s[46:47], -1
	s_cbranch_scc1 .LBB111_203
; %bb.198:
	s_cmp_gt_i32 s55, 27
	s_cbranch_scc0 .LBB111_200
; %bb.199:
	v_cndmask_b32_e64 v2, 0, 1, s[38:39]
	s_mov_b64 s[46:47], 0
	global_store_dword v[0:1], v2, off
.LBB111_200:
	s_andn2_b64 vcc, exec, s[46:47]
	s_cbranch_vccnz .LBB111_202
; %bb.201:
	v_cndmask_b32_e64 v2, 0, 1, s[38:39]
	global_store_short v[0:1], v2, off
.LBB111_202:
	s_mov_b64 s[46:47], 0
.LBB111_203:
	s_andn2_b64 vcc, exec, s[46:47]
	s_cbranch_vccnz .LBB111_211
; %bb.204:
	s_waitcnt vmcnt(0)
	v_cndmask_b32_e64 v3, 0, 1.0, s[38:39]
	s_mov_b32 s46, 0x43800000
	v_cmp_gt_u32_e32 vcc, s46, v3
	v_mov_b32_e32 v4, 0x80
	s_and_saveexec_b64 s[46:47], vcc
	s_cbranch_execz .LBB111_210
; %bb.205:
	s_mov_b32 s50, 0x3bffffff
	v_cmp_lt_u32_e32 vcc, s50, v3
	s_mov_b64 s[50:51], 0
                                        ; implicit-def: $vgpr2
	s_and_saveexec_b64 s[52:53], vcc
	s_xor_b64 s[52:53], exec, s[52:53]
	s_cbranch_execz .LBB111_450
; %bb.206:
	v_bfe_u32 v2, v3, 20, 1
	s_mov_b32 s56, 0x487ffff
	v_add3_u32 v2, v3, v2, s56
	s_mov_b64 s[50:51], exec
	v_lshrrev_b32_e32 v2, 20, v2
                                        ; implicit-def: $vgpr3
	s_andn2_saveexec_b64 s[52:53], s[52:53]
	s_cbranch_execnz .LBB111_451
.LBB111_207:
	s_or_b64 exec, exec, s[52:53]
	v_mov_b32_e32 v4, 0
	s_and_saveexec_b64 s[52:53], s[50:51]
.LBB111_208:
	v_mov_b32_e32 v4, v2
.LBB111_209:
	s_or_b64 exec, exec, s[52:53]
.LBB111_210:
	s_or_b64 exec, exec, s[46:47]
	global_store_byte v[0:1], v4, off
.LBB111_211:
	s_mov_b64 s[46:47], -1
.LBB111_212:
	s_mov_b64 s[50:51], 0
.LBB111_213:
	s_and_b64 vcc, exec, s[50:51]
	s_cbranch_vccz .LBB111_254
; %bb.214:
	s_cmp_gt_i32 s55, 22
	s_mov_b64 s[50:51], -1
	s_cbranch_scc0 .LBB111_246
; %bb.215:
	s_cmp_lt_i32 s55, 24
	s_mov_b64 s[46:47], -1
	s_cbranch_scc1 .LBB111_235
; %bb.216:
	s_cmp_gt_i32 s55, 24
	s_cbranch_scc0 .LBB111_224
; %bb.217:
	s_waitcnt vmcnt(0)
	v_cndmask_b32_e64 v3, 0, 1.0, s[38:39]
	s_mov_b32 s46, 0x47800000
	v_cmp_gt_u32_e32 vcc, s46, v3
	v_mov_b32_e32 v4, 0x80
	s_and_saveexec_b64 s[46:47], vcc
	s_cbranch_execz .LBB111_223
; %bb.218:
	s_mov_b32 s50, 0x37ffffff
	v_cmp_lt_u32_e32 vcc, s50, v3
	s_mov_b64 s[50:51], 0
                                        ; implicit-def: $vgpr2
	s_and_saveexec_b64 s[52:53], vcc
	s_xor_b64 s[52:53], exec, s[52:53]
	s_cbranch_execz .LBB111_569
; %bb.219:
	v_bfe_u32 v2, v3, 21, 1
	s_mov_b32 s56, 0x88fffff
	v_add3_u32 v2, v3, v2, s56
	s_mov_b64 s[50:51], exec
	v_lshrrev_b32_e32 v2, 21, v2
                                        ; implicit-def: $vgpr3
	s_andn2_saveexec_b64 s[52:53], s[52:53]
	s_cbranch_execnz .LBB111_570
.LBB111_220:
	s_or_b64 exec, exec, s[52:53]
	v_mov_b32_e32 v4, 0
	s_and_saveexec_b64 s[52:53], s[50:51]
.LBB111_221:
	v_mov_b32_e32 v4, v2
.LBB111_222:
	s_or_b64 exec, exec, s[52:53]
.LBB111_223:
	s_or_b64 exec, exec, s[46:47]
	s_mov_b64 s[46:47], 0
	global_store_byte v[0:1], v4, off
.LBB111_224:
	s_and_b64 vcc, exec, s[46:47]
	s_cbranch_vccz .LBB111_234
; %bb.225:
	v_cndmask_b32_e64 v2, 0, 1.0, s[38:39]
	s_mov_b32 s46, 0x43f00000
	v_cmp_gt_u32_e32 vcc, s46, v2
                                        ; implicit-def: $vgpr3
	s_and_saveexec_b64 s[46:47], vcc
	s_xor_b64 s[46:47], exec, s[46:47]
	s_cbranch_execz .LBB111_231
; %bb.226:
	s_mov_b32 s50, 0x3c7fffff
	v_cmp_lt_u32_e32 vcc, s50, v2
                                        ; implicit-def: $vgpr3
	s_and_saveexec_b64 s[50:51], vcc
	s_xor_b64 s[50:51], exec, s[50:51]
	s_cbranch_execz .LBB111_228
; %bb.227:
	s_waitcnt vmcnt(0)
	v_bfe_u32 v3, v2, 20, 1
	s_mov_b32 s52, 0x407ffff
	v_add3_u32 v2, v2, v3, s52
	v_lshrrev_b32_e32 v3, 20, v2
	v_and_b32_e32 v2, 0xff00000, v2
	s_mov_b32 s52, 0x7f00000
	v_mov_b32_e32 v4, 0x7e
	v_cmp_ne_u32_e32 vcc, s52, v2
	v_cndmask_b32_e32 v3, v4, v3, vcc
                                        ; implicit-def: $vgpr2
.LBB111_228:
	s_andn2_saveexec_b64 s[50:51], s[50:51]
	s_cbranch_execz .LBB111_230
; %bb.229:
	s_waitcnt vmcnt(0)
	v_add_f32_e32 v3, 0x46800000, v2
.LBB111_230:
	s_or_b64 exec, exec, s[50:51]
                                        ; implicit-def: $vgpr2
.LBB111_231:
	s_andn2_saveexec_b64 s[46:47], s[46:47]
	s_cbranch_execz .LBB111_233
; %bb.232:
	s_mov_b32 s50, 0x7f800000
	s_waitcnt vmcnt(0)
	v_mov_b32_e32 v3, 0x7e
	v_mov_b32_e32 v4, 0x7f
	v_cmp_lt_u32_e32 vcc, s50, v2
	v_cndmask_b32_e32 v3, v3, v4, vcc
.LBB111_233:
	s_or_b64 exec, exec, s[46:47]
	s_waitcnt vmcnt(0)
	global_store_byte v[0:1], v3, off
.LBB111_234:
	s_mov_b64 s[46:47], 0
.LBB111_235:
	s_andn2_b64 vcc, exec, s[46:47]
	s_cbranch_vccnz .LBB111_245
; %bb.236:
	v_cndmask_b32_e64 v2, 0, 1.0, s[38:39]
	s_mov_b32 s46, 0x47800000
	v_cmp_gt_u32_e32 vcc, s46, v2
                                        ; implicit-def: $vgpr3
	s_and_saveexec_b64 s[46:47], vcc
	s_xor_b64 s[46:47], exec, s[46:47]
	s_cbranch_execz .LBB111_242
; %bb.237:
	s_mov_b32 s50, 0x387fffff
	v_cmp_lt_u32_e32 vcc, s50, v2
                                        ; implicit-def: $vgpr3
	s_and_saveexec_b64 s[50:51], vcc
	s_xor_b64 s[50:51], exec, s[50:51]
	s_cbranch_execz .LBB111_239
; %bb.238:
	s_waitcnt vmcnt(0)
	v_bfe_u32 v3, v2, 21, 1
	s_mov_b32 s52, 0x80fffff
	v_add3_u32 v2, v2, v3, s52
	v_lshrrev_b32_e32 v3, 21, v2
                                        ; implicit-def: $vgpr2
.LBB111_239:
	s_andn2_saveexec_b64 s[50:51], s[50:51]
	s_cbranch_execz .LBB111_241
; %bb.240:
	s_waitcnt vmcnt(0)
	v_add_f32_e32 v3, 0x43000000, v2
.LBB111_241:
	s_or_b64 exec, exec, s[50:51]
                                        ; implicit-def: $vgpr2
.LBB111_242:
	s_andn2_saveexec_b64 s[46:47], s[46:47]
	s_cbranch_execz .LBB111_244
; %bb.243:
	s_mov_b32 s50, 0x7f800000
	s_waitcnt vmcnt(0)
	v_mov_b32_e32 v3, 0x7c
	v_mov_b32_e32 v4, 0x7f
	v_cmp_lt_u32_e32 vcc, s50, v2
	v_cndmask_b32_e32 v3, v3, v4, vcc
.LBB111_244:
	s_or_b64 exec, exec, s[46:47]
	s_waitcnt vmcnt(0)
	global_store_byte v[0:1], v3, off
.LBB111_245:
	s_mov_b64 s[50:51], 0
	s_mov_b64 s[46:47], -1
.LBB111_246:
	s_andn2_b64 vcc, exec, s[50:51]
	s_cbranch_vccnz .LBB111_254
; %bb.247:
	s_cmp_gt_i32 s55, 14
	s_mov_b64 s[50:51], -1
	s_cbranch_scc0 .LBB111_251
; %bb.248:
	s_cmp_eq_u32 s55, 15
	s_mov_b64 s[0:1], -1
	s_cbranch_scc0 .LBB111_250
; %bb.249:
	v_cndmask_b32_e64 v2, 0, 1.0, s[38:39]
	s_waitcnt vmcnt(0)
	v_bfe_u32 v3, v2, 16, 1
	s_movk_i32 s0, 0x7fff
	v_add3_u32 v2, v2, v3, s0
	global_store_short_d16_hi v[0:1], v2, off
	s_mov_b64 s[46:47], -1
	s_mov_b64 s[0:1], 0
.LBB111_250:
	s_mov_b64 s[50:51], 0
.LBB111_251:
	s_and_b64 vcc, exec, s[50:51]
	s_cbranch_vccz .LBB111_254
; %bb.252:
	s_cmp_eq_u32 s55, 11
	s_mov_b64 s[0:1], -1
	s_cbranch_scc0 .LBB111_254
; %bb.253:
	v_cndmask_b32_e64 v2, 0, 1, s[38:39]
	s_mov_b64 s[46:47], -1
	s_mov_b64 s[0:1], 0
	global_store_byte v[0:1], v2, off
.LBB111_254:
	s_mov_b64 s[50:51], 0
.LBB111_255:
	s_and_b64 vcc, exec, s[50:51]
	s_cbranch_vccz .LBB111_294
; %bb.256:
	s_and_b32 s50, 0xffff, s54
	s_cmp_lt_i32 s50, 5
	s_mov_b64 s[46:47], -1
	s_cbranch_scc1 .LBB111_277
; %bb.257:
	s_cmp_lt_i32 s50, 8
	s_cbranch_scc1 .LBB111_267
; %bb.258:
	s_cmp_lt_i32 s50, 9
	s_cbranch_scc1 .LBB111_264
; %bb.259:
	s_cmp_gt_i32 s50, 9
	s_cbranch_scc0 .LBB111_261
; %bb.260:
	v_cndmask_b32_e64 v2, 0, 1, s[38:39]
	s_waitcnt vmcnt(0)
	v_cvt_f64_u32_e32 v[2:3], v2
	v_mov_b32_e32 v4, 0
	v_mov_b32_e32 v5, v4
	s_mov_b64 s[46:47], 0
	global_store_dwordx4 v[0:1], v[2:5], off
.LBB111_261:
	s_andn2_b64 vcc, exec, s[46:47]
	s_cbranch_vccnz .LBB111_263
; %bb.262:
	v_cndmask_b32_e64 v2, 0, 1.0, s[38:39]
	s_waitcnt vmcnt(0)
	v_mov_b32_e32 v3, 0
	global_store_dwordx2 v[0:1], v[2:3], off
.LBB111_263:
	s_mov_b64 s[46:47], 0
.LBB111_264:
	s_andn2_b64 vcc, exec, s[46:47]
	s_cbranch_vccnz .LBB111_266
; %bb.265:
	v_cndmask_b32_e64 v2, 0, 1.0, s[38:39]
	v_cvt_f16_f32_e32 v2, v2
	global_store_dword v[0:1], v2, off
.LBB111_266:
	s_mov_b64 s[46:47], 0
.LBB111_267:
	s_andn2_b64 vcc, exec, s[46:47]
	s_cbranch_vccnz .LBB111_276
; %bb.268:
	s_cmp_lt_i32 s50, 6
	s_mov_b64 s[46:47], -1
	s_cbranch_scc1 .LBB111_274
; %bb.269:
	s_cmp_gt_i32 s50, 6
	s_cbranch_scc0 .LBB111_271
; %bb.270:
	v_cndmask_b32_e64 v2, 0, 1, s[38:39]
	s_waitcnt vmcnt(0)
	v_cvt_f64_u32_e32 v[2:3], v2
	s_mov_b64 s[46:47], 0
	global_store_dwordx2 v[0:1], v[2:3], off
.LBB111_271:
	s_andn2_b64 vcc, exec, s[46:47]
	s_cbranch_vccnz .LBB111_273
; %bb.272:
	v_cndmask_b32_e64 v2, 0, 1.0, s[38:39]
	global_store_dword v[0:1], v2, off
.LBB111_273:
	s_mov_b64 s[46:47], 0
.LBB111_274:
	s_andn2_b64 vcc, exec, s[46:47]
	s_cbranch_vccnz .LBB111_276
; %bb.275:
	v_cndmask_b32_e64 v2, 0, 1.0, s[38:39]
	v_cvt_f16_f32_e32 v2, v2
	global_store_short v[0:1], v2, off
.LBB111_276:
	s_mov_b64 s[46:47], 0
.LBB111_277:
	s_andn2_b64 vcc, exec, s[46:47]
	s_cbranch_vccnz .LBB111_293
; %bb.278:
	s_cmp_lt_i32 s50, 2
	s_mov_b64 s[46:47], -1
	s_cbranch_scc1 .LBB111_288
; %bb.279:
	s_cmp_lt_i32 s50, 3
	s_cbranch_scc1 .LBB111_285
; %bb.280:
	s_cmp_gt_i32 s50, 3
	s_cbranch_scc0 .LBB111_282
; %bb.281:
	s_mov_b32 s46, 0
	v_cndmask_b32_e64 v2, 0, 1, s[38:39]
	s_waitcnt vmcnt(0)
	v_mov_b32_e32 v3, s46
	global_store_dwordx2 v[0:1], v[2:3], off
	s_mov_b64 s[46:47], 0
.LBB111_282:
	s_andn2_b64 vcc, exec, s[46:47]
	s_cbranch_vccnz .LBB111_284
; %bb.283:
	v_cndmask_b32_e64 v2, 0, 1, s[38:39]
	global_store_dword v[0:1], v2, off
.LBB111_284:
	s_mov_b64 s[46:47], 0
.LBB111_285:
	s_andn2_b64 vcc, exec, s[46:47]
	s_cbranch_vccnz .LBB111_287
; %bb.286:
	v_cndmask_b32_e64 v2, 0, 1, s[38:39]
	global_store_short v[0:1], v2, off
.LBB111_287:
	s_mov_b64 s[46:47], 0
.LBB111_288:
	s_andn2_b64 vcc, exec, s[46:47]
	s_cbranch_vccnz .LBB111_293
; %bb.289:
	s_cmp_gt_i32 s50, 0
	s_mov_b64 s[46:47], -1
	s_cbranch_scc0 .LBB111_291
; %bb.290:
	v_cndmask_b32_e64 v2, 0, 1, s[38:39]
	global_store_byte v[0:1], v2, off
	s_mov_b64 s[46:47], 0
.LBB111_291:
	s_andn2_b64 vcc, exec, s[46:47]
	s_cbranch_vccnz .LBB111_293
; %bb.292:
	v_cndmask_b32_e64 v2, 0, 1, s[38:39]
	global_store_byte v[0:1], v2, off
.LBB111_293:
	s_mov_b64 s[46:47], -1
.LBB111_294:
	s_andn2_b64 vcc, exec, s[46:47]
	s_cbranch_vccnz .LBB111_296
; %bb.295:
	v_add_u32_e32 v8, 0x80, v8
	s_mov_b64 s[46:47], -1
	s_branch .LBB111_409
.LBB111_296:
	s_mov_b64 s[46:47], 0
                                        ; implicit-def: $vgpr8
	s_branch .LBB111_409
.LBB111_297:
	s_mov_b64 s[40:41], -1
                                        ; implicit-def: $vgpr3
.LBB111_298:
	s_mov_b64 s[38:39], 0
.LBB111_299:
	s_and_b64 vcc, exec, s[38:39]
	s_cbranch_vccz .LBB111_303
; %bb.300:
	s_cmp_eq_u32 s51, 29
	s_cbranch_scc0 .LBB111_302
; %bb.301:
	global_load_dwordx2 v[3:4], v[1:2], off
	s_mov_b64 s[0:1], -1
	s_mov_b64 s[40:41], 0
	s_mov_b64 s[38:39], 0
	s_waitcnt vmcnt(0)
	v_ffbh_u32_e32 v6, v4
	v_min_u32_e32 v6, 32, v6
	v_lshlrev_b64 v[3:4], v6, v[3:4]
	v_min_u32_e32 v3, 1, v3
	v_or_b32_e32 v3, v4, v3
	v_cvt_f32_u32_e32 v3, v3
	v_sub_u32_e32 v4, 32, v6
	v_ldexp_f32 v3, v3, v4
	s_branch .LBB111_304
.LBB111_302:
	s_mov_b64 s[40:41], -1
                                        ; implicit-def: $vgpr3
.LBB111_303:
	s_mov_b64 s[38:39], 0
.LBB111_304:
	s_and_b64 vcc, exec, s[38:39]
	s_cbranch_vccz .LBB111_322
; %bb.305:
	s_cmp_lt_i32 s51, 27
	s_cbranch_scc1 .LBB111_308
; %bb.306:
	s_cmp_gt_i32 s51, 27
	s_cbranch_scc0 .LBB111_309
; %bb.307:
	global_load_dword v3, v[1:2], off
	s_mov_b64 s[0:1], 0
	s_waitcnt vmcnt(0)
	v_cvt_f32_u32_e32 v3, v3
	s_branch .LBB111_310
.LBB111_308:
	s_mov_b64 s[0:1], -1
                                        ; implicit-def: $vgpr3
	s_branch .LBB111_313
.LBB111_309:
	s_mov_b64 s[0:1], -1
                                        ; implicit-def: $vgpr3
.LBB111_310:
	s_andn2_b64 vcc, exec, s[0:1]
	s_cbranch_vccnz .LBB111_312
; %bb.311:
	global_load_ushort v3, v[1:2], off
	s_waitcnt vmcnt(0)
	v_cvt_f32_u32_e32 v3, v3
.LBB111_312:
	s_mov_b64 s[0:1], 0
.LBB111_313:
	s_andn2_b64 vcc, exec, s[0:1]
	s_cbranch_vccnz .LBB111_321
; %bb.314:
	global_load_ubyte v4, v[1:2], off
	s_movk_i32 s0, 0x7f
	s_waitcnt vmcnt(0)
	v_cmp_lt_i16_e32 vcc, s0, v4
	s_mov_b64 s[0:1], 0
	s_and_saveexec_b64 s[38:39], vcc
	s_xor_b64 s[38:39], exec, s[38:39]
	s_cbranch_execz .LBB111_335
; %bb.315:
	s_movk_i32 s0, 0x80
	v_cmp_eq_u16_e32 vcc, s0, v4
	s_mov_b64 s[0:1], -1
	s_and_saveexec_b64 s[46:47], vcc
; %bb.316:
	s_xor_b64 s[0:1], exec, -1
; %bb.317:
	s_or_b64 exec, exec, s[46:47]
	s_and_b64 s[0:1], s[0:1], exec
	s_or_saveexec_b64 s[38:39], s[38:39]
	v_mov_b32_e32 v3, 0x7f800001
	s_xor_b64 exec, exec, s[38:39]
	s_cbranch_execnz .LBB111_336
.LBB111_318:
	s_or_b64 exec, exec, s[38:39]
	s_and_saveexec_b64 s[38:39], s[0:1]
	s_cbranch_execz .LBB111_320
.LBB111_319:
	v_lshlrev_b32_e32 v3, 24, v4
	v_and_b32_e32 v4, 0xffff, v4
	v_and_b32_e32 v6, 7, v4
	v_ffbh_u32_e32 v9, v6
	v_min_u32_e32 v9, 32, v9
	v_subrev_u32_e32 v10, 28, v9
	v_bfe_u32 v7, v4, 3, 4
	v_lshlrev_b32_e32 v4, v10, v4
	v_sub_u32_e32 v9, 29, v9
	v_and_b32_e32 v4, 7, v4
	v_cmp_eq_u32_e32 vcc, 0, v7
	v_cndmask_b32_e32 v7, v7, v9, vcc
	v_cndmask_b32_e32 v4, v6, v4, vcc
	v_mov_b32_e32 v6, 0x3b800000
	v_lshlrev_b32_e32 v4, 20, v4
	v_and_b32_e32 v3, 0x80000000, v3
	v_lshl_add_u32 v6, v7, 23, v6
	v_or3_b32 v3, v3, v6, v4
.LBB111_320:
	s_or_b64 exec, exec, s[38:39]
.LBB111_321:
	s_mov_b64 s[0:1], -1
.LBB111_322:
	s_mov_b64 s[38:39], 0
.LBB111_323:
	s_and_b64 vcc, exec, s[38:39]
	s_cbranch_vccz .LBB111_358
; %bb.324:
	s_cmp_gt_i32 s51, 22
	s_cbranch_scc0 .LBB111_334
; %bb.325:
	s_cmp_lt_i32 s51, 24
	s_cbranch_scc1 .LBB111_337
; %bb.326:
	s_cmp_gt_i32 s51, 24
	s_cbranch_scc0 .LBB111_338
; %bb.327:
	global_load_ubyte v4, v[1:2], off
	s_movk_i32 s0, 0x7f
	s_waitcnt vmcnt(0)
	v_cmp_lt_i16_e32 vcc, s0, v4
	s_mov_b64 s[0:1], 0
	s_and_saveexec_b64 s[38:39], vcc
	s_xor_b64 s[38:39], exec, s[38:39]
	s_cbranch_execz .LBB111_350
; %bb.328:
	s_movk_i32 s0, 0x80
	v_cmp_eq_u16_e32 vcc, s0, v4
	s_mov_b64 s[0:1], -1
	s_and_saveexec_b64 s[46:47], vcc
; %bb.329:
	s_xor_b64 s[0:1], exec, -1
; %bb.330:
	s_or_b64 exec, exec, s[46:47]
	s_and_b64 s[0:1], s[0:1], exec
	s_or_saveexec_b64 s[38:39], s[38:39]
	v_mov_b32_e32 v3, 0x7f800001
	s_xor_b64 exec, exec, s[38:39]
	s_cbranch_execnz .LBB111_351
.LBB111_331:
	s_or_b64 exec, exec, s[38:39]
	s_and_saveexec_b64 s[38:39], s[0:1]
	s_cbranch_execz .LBB111_333
.LBB111_332:
	v_lshlrev_b32_e32 v3, 24, v4
	v_and_b32_e32 v4, 0xffff, v4
	v_and_b32_e32 v6, 3, v4
	v_ffbh_u32_e32 v9, v6
	v_min_u32_e32 v9, 32, v9
	v_subrev_u32_e32 v10, 29, v9
	v_bfe_u32 v7, v4, 2, 5
	v_lshlrev_b32_e32 v4, v10, v4
	v_sub_u32_e32 v9, 30, v9
	v_and_b32_e32 v4, 3, v4
	v_cmp_eq_u32_e32 vcc, 0, v7
	v_cndmask_b32_e32 v7, v7, v9, vcc
	v_cndmask_b32_e32 v4, v6, v4, vcc
	v_mov_b32_e32 v6, 0x37800000
	v_lshlrev_b32_e32 v4, 21, v4
	v_and_b32_e32 v3, 0x80000000, v3
	v_lshl_add_u32 v6, v7, 23, v6
	v_or3_b32 v3, v3, v6, v4
.LBB111_333:
	s_or_b64 exec, exec, s[38:39]
	s_mov_b64 s[0:1], 0
	s_branch .LBB111_339
.LBB111_334:
	s_mov_b64 s[38:39], -1
                                        ; implicit-def: $vgpr3
	s_branch .LBB111_345
.LBB111_335:
	s_or_saveexec_b64 s[38:39], s[38:39]
	v_mov_b32_e32 v3, 0x7f800001
	s_xor_b64 exec, exec, s[38:39]
	s_cbranch_execz .LBB111_318
.LBB111_336:
	v_cmp_ne_u16_e32 vcc, 0, v4
	s_andn2_b64 s[0:1], s[0:1], exec
	s_and_b64 s[46:47], vcc, exec
	v_mov_b32_e32 v3, 0
	s_or_b64 s[0:1], s[0:1], s[46:47]
	s_or_b64 exec, exec, s[38:39]
	s_and_saveexec_b64 s[38:39], s[0:1]
	s_cbranch_execnz .LBB111_319
	s_branch .LBB111_320
.LBB111_337:
	s_mov_b64 s[0:1], -1
                                        ; implicit-def: $vgpr3
	s_branch .LBB111_342
.LBB111_338:
	s_mov_b64 s[0:1], -1
                                        ; implicit-def: $vgpr3
.LBB111_339:
	s_and_b64 vcc, exec, s[0:1]
	s_cbranch_vccz .LBB111_341
; %bb.340:
	global_load_ubyte v3, v[1:2], off
	s_mov_b32 s0, 0x7f800000
	s_waitcnt vmcnt(0)
	v_lshlrev_b32_e32 v3, 24, v3
	v_and_b32_e32 v4, 0x7f000000, v3
	v_ffbh_u32_e32 v6, v4
	v_min_u32_e32 v6, 32, v6
	v_sub_u32_e64 v6, v6, 4 clamp
	v_lshlrev_b32_e32 v9, v6, v4
	v_lshlrev_b32_e32 v6, 23, v6
	v_lshrrev_b32_e32 v9, 4, v9
	v_add_u32_e32 v7, 0x1000000, v4
	v_sub_u32_e32 v6, v9, v6
	v_ashrrev_i32_e32 v7, 8, v7
	v_add_u32_e32 v6, 0x3c000000, v6
	v_and_or_b32 v6, v7, s0, v6
	v_cmp_ne_u32_e32 vcc, 0, v4
	v_cndmask_b32_e32 v4, 0, v6, vcc
	s_brev_b32 s0, 1
	v_and_or_b32 v3, v3, s0, v4
.LBB111_341:
	s_mov_b64 s[0:1], 0
.LBB111_342:
	s_andn2_b64 vcc, exec, s[0:1]
	s_cbranch_vccnz .LBB111_344
; %bb.343:
	global_load_ubyte v3, v[1:2], off
	s_movk_i32 s0, 0x7f00
	s_brev_b32 s1, 16
	s_waitcnt vmcnt(0)
	v_lshlrev_b16_e32 v4, 8, v3
	v_lshlrev_b32_e32 v3, 25, v3
	v_lshrrev_b32_e32 v6, 4, v3
	v_and_or_b32 v7, v4, s0, 0.5
	v_or_b32_e32 v6, 0x70000000, v6
	v_add_f32_e32 v7, -0.5, v7
	v_mul_f32_e32 v6, 0x7800000, v6
	v_cmp_gt_u32_e32 vcc, s1, v3
	v_bfe_i32 v4, v4, 0, 16
	v_cndmask_b32_e32 v3, v6, v7, vcc
	s_brev_b32 s0, 1
	v_and_or_b32 v3, v4, s0, v3
.LBB111_344:
	s_mov_b64 s[38:39], 0
	s_mov_b64 s[0:1], -1
.LBB111_345:
	s_andn2_b64 vcc, exec, s[38:39]
	s_cbranch_vccnz .LBB111_358
; %bb.346:
	s_cmp_gt_i32 s51, 14
	s_cbranch_scc0 .LBB111_349
; %bb.347:
	s_cmp_eq_u32 s51, 15
	s_cbranch_scc0 .LBB111_352
; %bb.348:
	global_load_ushort v3, v[1:2], off
	s_mov_b64 s[0:1], -1
	s_mov_b64 s[40:41], 0
	s_waitcnt vmcnt(0)
	v_lshlrev_b32_e32 v3, 16, v3
	s_branch .LBB111_353
.LBB111_349:
	s_mov_b64 s[38:39], -1
                                        ; implicit-def: $vgpr3
	s_branch .LBB111_354
.LBB111_350:
	s_or_saveexec_b64 s[38:39], s[38:39]
	v_mov_b32_e32 v3, 0x7f800001
	s_xor_b64 exec, exec, s[38:39]
	s_cbranch_execz .LBB111_331
.LBB111_351:
	v_cmp_ne_u16_e32 vcc, 0, v4
	s_andn2_b64 s[0:1], s[0:1], exec
	s_and_b64 s[46:47], vcc, exec
	v_mov_b32_e32 v3, 0
	s_or_b64 s[0:1], s[0:1], s[46:47]
	s_or_b64 exec, exec, s[38:39]
	s_and_saveexec_b64 s[38:39], s[0:1]
	s_cbranch_execnz .LBB111_332
	s_branch .LBB111_333
.LBB111_352:
	s_mov_b64 s[40:41], -1
                                        ; implicit-def: $vgpr3
.LBB111_353:
	s_mov_b64 s[38:39], 0
.LBB111_354:
	s_and_b64 vcc, exec, s[38:39]
	s_cbranch_vccz .LBB111_358
; %bb.355:
	s_cmp_eq_u32 s51, 11
	s_cbranch_scc0 .LBB111_357
; %bb.356:
	global_load_ubyte v3, v[1:2], off
	s_mov_b64 s[0:1], -1
	s_mov_b64 s[40:41], 0
	s_waitcnt vmcnt(0)
	v_cmp_ne_u16_e32 vcc, 0, v3
	v_cndmask_b32_e64 v3, 0, 1.0, vcc
	s_branch .LBB111_358
.LBB111_357:
	s_mov_b64 s[40:41], -1
                                        ; implicit-def: $vgpr3
.LBB111_358:
	s_branch .LBB111_31
.LBB111_359:
	s_and_b32 s38, 0xffff, s50
	s_cmp_lt_i32 s38, 5
	s_cbranch_scc1 .LBB111_364
; %bb.360:
	s_cmp_lt_i32 s38, 8
	s_cbranch_scc1 .LBB111_365
; %bb.361:
	;; [unrolled: 3-line block ×3, first 2 shown]
	s_cmp_gt_i32 s38, 9
	s_cbranch_scc0 .LBB111_367
; %bb.363:
	global_load_dwordx2 v[3:4], v[1:2], off
	s_mov_b64 s[0:1], 0
	s_waitcnt vmcnt(0)
	v_cvt_f32_f64_e32 v3, v[3:4]
	s_branch .LBB111_368
.LBB111_364:
	s_mov_b64 s[0:1], -1
                                        ; implicit-def: $vgpr3
	s_branch .LBB111_386
.LBB111_365:
	s_mov_b64 s[0:1], -1
                                        ; implicit-def: $vgpr3
	s_branch .LBB111_374
.LBB111_366:
	s_mov_b64 s[0:1], -1
                                        ; implicit-def: $vgpr3
	s_branch .LBB111_371
.LBB111_367:
	s_mov_b64 s[0:1], -1
                                        ; implicit-def: $vgpr3
.LBB111_368:
	s_andn2_b64 vcc, exec, s[0:1]
	s_cbranch_vccnz .LBB111_370
; %bb.369:
	global_load_dword v3, v[1:2], off
.LBB111_370:
	s_mov_b64 s[0:1], 0
.LBB111_371:
	s_andn2_b64 vcc, exec, s[0:1]
	s_cbranch_vccnz .LBB111_373
; %bb.372:
	global_load_dword v3, v[1:2], off
	s_waitcnt vmcnt(0)
	v_cvt_f32_f16_e32 v3, v3
.LBB111_373:
	s_mov_b64 s[0:1], 0
.LBB111_374:
	s_andn2_b64 vcc, exec, s[0:1]
	s_cbranch_vccnz .LBB111_385
; %bb.375:
	s_cmp_lt_i32 s38, 6
	s_cbranch_scc1 .LBB111_378
; %bb.376:
	s_cmp_gt_i32 s38, 6
	s_cbranch_scc0 .LBB111_379
; %bb.377:
	global_load_dwordx2 v[3:4], v[1:2], off
	s_mov_b64 s[0:1], 0
	s_waitcnt vmcnt(0)
	v_cvt_f32_f64_e32 v3, v[3:4]
	s_branch .LBB111_380
.LBB111_378:
	s_mov_b64 s[0:1], -1
                                        ; implicit-def: $vgpr3
	s_branch .LBB111_383
.LBB111_379:
	s_mov_b64 s[0:1], -1
                                        ; implicit-def: $vgpr3
.LBB111_380:
	s_andn2_b64 vcc, exec, s[0:1]
	s_cbranch_vccnz .LBB111_382
; %bb.381:
	global_load_dword v3, v[1:2], off
.LBB111_382:
	s_mov_b64 s[0:1], 0
.LBB111_383:
	s_andn2_b64 vcc, exec, s[0:1]
	s_cbranch_vccnz .LBB111_385
; %bb.384:
	global_load_ushort v3, v[1:2], off
	s_waitcnt vmcnt(0)
	v_cvt_f32_f16_e32 v3, v3
.LBB111_385:
	s_mov_b64 s[0:1], 0
.LBB111_386:
	s_andn2_b64 vcc, exec, s[0:1]
	s_cbranch_vccnz .LBB111_406
; %bb.387:
	s_cmp_lt_i32 s38, 2
	s_cbranch_scc1 .LBB111_391
; %bb.388:
	s_cmp_lt_i32 s38, 3
	s_cbranch_scc1 .LBB111_392
; %bb.389:
	s_cmp_gt_i32 s38, 3
	s_cbranch_scc0 .LBB111_393
; %bb.390:
	global_load_dwordx2 v[3:4], v[1:2], off
	s_mov_b64 s[0:1], 0
	s_waitcnt vmcnt(0)
	v_xor_b32_e32 v7, v3, v4
	v_ffbh_i32_e32 v6, v4
	v_ashrrev_i32_e32 v7, 31, v7
	v_add_u32_e32 v6, -1, v6
	v_add_u32_e32 v7, 32, v7
	v_min_u32_e32 v6, v6, v7
	v_lshlrev_b64 v[3:4], v6, v[3:4]
	v_min_u32_e32 v3, 1, v3
	v_or_b32_e32 v3, v4, v3
	v_cvt_f32_i32_e32 v3, v3
	v_sub_u32_e32 v4, 32, v6
	v_ldexp_f32 v3, v3, v4
	s_branch .LBB111_394
.LBB111_391:
	s_mov_b64 s[0:1], -1
                                        ; implicit-def: $vgpr3
	s_branch .LBB111_400
.LBB111_392:
	s_mov_b64 s[0:1], -1
                                        ; implicit-def: $vgpr3
	s_branch .LBB111_397
.LBB111_393:
	s_mov_b64 s[0:1], -1
                                        ; implicit-def: $vgpr3
.LBB111_394:
	s_andn2_b64 vcc, exec, s[0:1]
	s_cbranch_vccnz .LBB111_396
; %bb.395:
	global_load_dword v3, v[1:2], off
	s_waitcnt vmcnt(0)
	v_cvt_f32_i32_e32 v3, v3
.LBB111_396:
	s_mov_b64 s[0:1], 0
.LBB111_397:
	s_andn2_b64 vcc, exec, s[0:1]
	s_cbranch_vccnz .LBB111_399
; %bb.398:
	global_load_sshort v3, v[1:2], off
	s_waitcnt vmcnt(0)
	v_cvt_f32_i32_e32 v3, v3
.LBB111_399:
	s_mov_b64 s[0:1], 0
.LBB111_400:
	s_andn2_b64 vcc, exec, s[0:1]
	s_cbranch_vccnz .LBB111_406
; %bb.401:
	s_cmp_gt_i32 s38, 0
	s_cbranch_scc0 .LBB111_403
; %bb.402:
	global_load_sbyte v3, v[1:2], off
	s_mov_b64 s[0:1], 0
	s_waitcnt vmcnt(0)
	v_cvt_f32_i32_e32 v3, v3
	s_branch .LBB111_404
.LBB111_403:
	s_mov_b64 s[0:1], -1
                                        ; implicit-def: $vgpr3
.LBB111_404:
	s_andn2_b64 vcc, exec, s[0:1]
	s_cbranch_vccnz .LBB111_406
; %bb.405:
	global_load_ubyte v1, v[1:2], off
	s_waitcnt vmcnt(0)
	v_cvt_f32_ubyte0_e32 v3, v1
.LBB111_406:
	s_branch .LBB111_32
.LBB111_407:
	s_mov_b64 s[0:1], 0
.LBB111_408:
                                        ; implicit-def: $vgpr8
	s_mov_b64 s[46:47], 0
.LBB111_409:
	s_and_b64 s[38:39], s[0:1], exec
	s_and_b64 s[40:41], s[40:41], exec
	;; [unrolled: 1-line block ×3, first 2 shown]
	s_orn2_b64 s[0:1], s[46:47], exec
.LBB111_410:
	s_or_b64 exec, exec, s[44:45]
	s_mov_b64 s[52:53], 0
	s_mov_b64 s[50:51], 0
                                        ; implicit-def: $sgpr74
                                        ; implicit-def: $vgpr3_vgpr4
                                        ; implicit-def: $vgpr0
                                        ; implicit-def: $vgpr2
                                        ; implicit-def: $vgpr5
	s_and_saveexec_b64 s[44:45], s[0:1]
	s_cbranch_execz .LBB111_418
; %bb.411:
	v_cmp_gt_i32_e32 vcc, s68, v8
	s_mov_b64 s[0:1], -1
	s_mov_b64 s[46:47], s[42:43]
	s_mov_b64 s[48:49], s[40:41]
	;; [unrolled: 1-line block ×3, first 2 shown]
	s_and_saveexec_b64 s[52:53], vcc
	s_cbranch_execz .LBB111_828
; %bb.412:
	s_andn2_b64 vcc, exec, s[24:25]
	s_cbranch_vccnz .LBB111_421
; %bb.413:
	s_andn2_b64 vcc, exec, s[36:37]
	s_cbranch_vccnz .LBB111_422
; %bb.414:
	s_add_i32 s0, s73, 1
	s_and_b32 s46, s0, 30
	s_add_u32 s0, s2, 0xffffffe8
	s_addc_u32 s1, s3, -1
	v_mov_b32_e32 v2, 0
	v_mov_b32_e32 v4, 0
	;; [unrolled: 1-line block ×4, first 2 shown]
.LBB111_415:                            ; =>This Inner Loop Header: Depth=1
	s_load_dwordx4 s[48:51], s[0:1], 0x1c
	s_load_dwordx2 s[54:55], s[0:1], 0x2c
	s_load_dwordx2 s[60:61], s[0:1], 0xec
	s_load_dwordx4 s[56:59], s[0:1], 0xdc
	s_add_u32 s0, s0, 24
	s_waitcnt vmcnt(0) lgkmcnt(0)
	v_mul_hi_u32 v3, s49, v1
	s_addc_u32 s1, s1, 0
	s_add_i32 s46, s46, -2
	s_cmp_eq_u32 s46, 0
	v_add_u32_e32 v3, v1, v3
	v_lshrrev_b32_e32 v3, s50, v3
	v_mul_lo_u32 v5, v3, s48
	v_mul_hi_u32 v6, s54, v3
	v_sub_u32_e32 v5, v1, v5
	v_add_u32_e32 v1, v3, v6
	v_lshrrev_b32_e32 v1, s55, v1
	v_mul_lo_u32 v9, v1, s51
	v_mul_lo_u32 v6, v5, s56
	;; [unrolled: 1-line block ×4, first 2 shown]
	v_sub_u32_e32 v3, v3, v9
	v_mul_lo_u32 v9, v3, s59
	v_mul_lo_u32 v10, v3, s60
	;; [unrolled: 1-line block ×3, first 2 shown]
	v_add3_u32 v0, v6, v0, v9
	v_add3_u32 v4, v7, v4, v10
	;; [unrolled: 1-line block ×3, first 2 shown]
	s_cbranch_scc0 .LBB111_415
; %bb.416:
	s_bitcmp1_b32 s73, 0
	s_cselect_b64 s[46:47], -1, 0
	s_and_b64 vcc, exec, s[46:47]
	s_cbranch_vccnz .LBB111_423
; %bb.417:
	s_load_dwordx2 s[46:47], s[0:1], 0x1c
	s_load_dword s50, s[0:1], 0x24
	s_load_dwordx2 s[48:49], s[0:1], 0xdc
	s_waitcnt lgkmcnt(0)
	v_mul_hi_u32 v3, s47, v1
	v_add_u32_e32 v3, v1, v3
	v_lshrrev_b32_e32 v3, s50, v3
	v_mul_lo_u32 v3, v3, s46
	s_load_dword s46, s[0:1], 0xe4
	v_sub_u32_e32 v3, v1, v3
	v_mad_u64_u32 v[0:1], s[0:1], v3, s48, v[0:1]
	v_mad_u64_u32 v[4:5], s[0:1], v3, s49, v[4:5]
	s_waitcnt lgkmcnt(0)
	v_mad_u64_u32 v[2:3], s[0:1], v3, s46, v[2:3]
	s_branch .LBB111_423
.LBB111_418:
	s_or_b64 exec, exec, s[44:45]
	s_mov_b64 s[10:11], 0
	s_and_saveexec_b64 s[0:1], s[42:43]
	s_cbranch_execnz .LBB111_1343
.LBB111_419:
	s_or_b64 exec, exec, s[0:1]
	s_and_saveexec_b64 s[0:1], s[48:49]
	s_xor_b64 s[0:1], exec, s[0:1]
	s_cbranch_execz .LBB111_1344
.LBB111_420:
	s_waitcnt vmcnt(0)
	global_load_ubyte v1, v[3:4], off
	s_or_b64 s[50:51], s[50:51], exec
	s_waitcnt vmcnt(0)
	v_cmp_ne_u16_e32 vcc, 0, v1
	v_cndmask_b32_e64 v5, 0, 1.0, vcc
	s_or_b64 exec, exec, s[0:1]
	s_and_saveexec_b64 s[0:1], s[52:53]
	s_cbranch_execz .LBB111_1390
	s_branch .LBB111_1345
.LBB111_421:
                                        ; implicit-def: $vgpr0
                                        ; implicit-def: $vgpr4
                                        ; implicit-def: $vgpr2
	s_andn2_b64 vcc, exec, s[0:1]
	s_cbranch_vccz .LBB111_424
	s_branch .LBB111_426
.LBB111_422:
	v_mov_b32_e32 v0, 0
	v_mov_b32_e32 v4, 0
	;; [unrolled: 1-line block ×3, first 2 shown]
.LBB111_423:
	s_cbranch_execnz .LBB111_426
.LBB111_424:
	v_mul_hi_u32 v0, s17, v8
	s_andn2_b64 vcc, exec, s[34:35]
	v_add_u32_e32 v0, v8, v0
	v_lshrrev_b32_e32 v1, s18, v0
	v_mul_lo_u32 v0, v1, s16
	v_sub_u32_e32 v2, v8, v0
	v_mul_lo_u32 v0, v2, s20
	v_mul_lo_u32 v4, v2, s21
	;; [unrolled: 1-line block ×3, first 2 shown]
	s_cbranch_vccnz .LBB111_426
; %bb.425:
	s_waitcnt vmcnt(0)
	v_mul_hi_u32 v3, s30, v1
	v_add_u32_e32 v3, v1, v3
	v_lshrrev_b32_e32 v3, s31, v3
	v_mul_lo_u32 v3, v3, s19
	v_sub_u32_e32 v3, v1, v3
	v_mad_u64_u32 v[0:1], s[0:1], v3, s23, v[0:1]
	v_mad_u64_u32 v[4:5], s[0:1], v3, s28, v[4:5]
	;; [unrolled: 1-line block ×3, first 2 shown]
.LBB111_426:
	v_mov_b32_e32 v1, s11
	s_and_b32 s54, s72, 0xff
	s_waitcnt vmcnt(0)
	v_add_co_u32_e32 v3, vcc, s10, v4
	s_cmp_lt_i32 s54, 11
	v_addc_co_u32_e32 v4, vcc, 0, v1, vcc
	s_cbranch_scc1 .LBB111_433
; %bb.427:
	s_and_b32 s55, 0xffff, s54
	s_cmp_gt_i32 s55, 25
	s_cbranch_scc0 .LBB111_442
; %bb.428:
	s_cmp_gt_i32 s55, 28
	s_cbranch_scc0 .LBB111_444
; %bb.429:
	;; [unrolled: 3-line block ×4, first 2 shown]
	s_cmp_eq_u32 s55, 46
	s_mov_b64 s[48:49], 0
	s_cbranch_scc0 .LBB111_452
; %bb.432:
	global_load_dword v1, v[3:4], off
	s_mov_b64 s[0:1], -1
	s_mov_b64 s[46:47], 0
	s_waitcnt vmcnt(0)
	v_lshlrev_b32_e32 v5, 16, v1
	s_branch .LBB111_453
.LBB111_433:
	s_mov_b64 s[0:1], 0
                                        ; implicit-def: $vgpr5
	s_mov_b64 s[46:47], s[42:43]
	s_cbranch_execnz .LBB111_519
.LBB111_434:
	s_andn2_b64 vcc, exec, s[0:1]
	s_cbranch_vccnz .LBB111_567
.LBB111_435:
	v_mov_b32_e32 v3, s13
	s_and_b32 s56, s71, 0xff
	v_add_co_u32_e32 v1, vcc, s12, v2
	s_cmp_lt_i32 s56, 11
	v_addc_co_u32_e32 v2, vcc, 0, v3, vcc
	s_cbranch_scc1 .LBB111_443
; %bb.436:
	s_and_b32 s57, 0xffff, s56
	s_cmp_gt_i32 s57, 25
	s_cbranch_scc0 .LBB111_445
; %bb.437:
	s_cmp_gt_i32 s57, 28
	s_cbranch_scc0 .LBB111_447
; %bb.438:
	;; [unrolled: 3-line block ×4, first 2 shown]
	s_cmp_eq_u32 s57, 46
	s_mov_b64 s[50:51], 0
	s_cbranch_scc0 .LBB111_571
; %bb.441:
	global_load_dword v3, v[1:2], off
	s_mov_b64 s[0:1], -1
	s_mov_b64 s[48:49], 0
	s_waitcnt vmcnt(0)
	v_lshlrev_b32_e32 v3, 16, v3
	s_branch .LBB111_572
.LBB111_442:
	s_mov_b64 s[48:49], -1
	s_mov_b64 s[0:1], 0
	s_mov_b64 s[46:47], s[42:43]
                                        ; implicit-def: $vgpr5
	s_branch .LBB111_483
.LBB111_443:
	s_mov_b64 s[50:51], -1
	s_mov_b64 s[0:1], 0
                                        ; implicit-def: $vgpr3
	s_mov_b64 s[48:49], s[40:41]
	s_branch .LBB111_637
.LBB111_444:
	s_mov_b64 s[48:49], -1
	s_mov_b64 s[0:1], 0
	s_mov_b64 s[46:47], s[42:43]
                                        ; implicit-def: $vgpr5
	s_branch .LBB111_464
.LBB111_445:
	s_mov_b64 s[50:51], -1
	s_mov_b64 s[0:1], 0
	s_mov_b64 s[48:49], s[40:41]
                                        ; implicit-def: $vgpr3
	s_branch .LBB111_601
.LBB111_446:
	s_mov_b64 s[48:49], -1
	s_mov_b64 s[0:1], 0
	s_mov_b64 s[46:47], s[42:43]
                                        ; implicit-def: $vgpr5
	s_branch .LBB111_459
.LBB111_447:
	s_mov_b64 s[50:51], -1
	s_mov_b64 s[0:1], 0
	s_mov_b64 s[48:49], s[40:41]
                                        ; implicit-def: $vgpr3
	s_branch .LBB111_582
.LBB111_448:
	s_mov_b64 s[48:49], -1
	s_mov_b64 s[0:1], 0
	s_mov_b64 s[46:47], s[42:43]
                                        ; implicit-def: $vgpr5
	s_branch .LBB111_453
.LBB111_449:
	s_mov_b64 s[50:51], -1
	s_mov_b64 s[0:1], 0
	s_mov_b64 s[48:49], s[40:41]
                                        ; implicit-def: $vgpr3
	s_branch .LBB111_577
.LBB111_450:
	s_andn2_saveexec_b64 s[52:53], s[52:53]
	s_cbranch_execz .LBB111_207
.LBB111_451:
	v_add_f32_e32 v2, 0x46000000, v3
	v_and_b32_e32 v2, 0xff, v2
	v_cmp_ne_u32_e32 vcc, 0, v2
	s_andn2_b64 s[50:51], s[50:51], exec
	s_and_b64 s[56:57], vcc, exec
	s_or_b64 s[50:51], s[50:51], s[56:57]
	s_or_b64 exec, exec, s[52:53]
	v_mov_b32_e32 v4, 0
	s_and_saveexec_b64 s[52:53], s[50:51]
	s_cbranch_execnz .LBB111_208
	s_branch .LBB111_209
.LBB111_452:
	s_mov_b64 s[46:47], -1
                                        ; implicit-def: $vgpr5
	s_mov_b64 s[0:1], 0
.LBB111_453:
	s_and_b64 vcc, exec, s[48:49]
	s_cbranch_vccz .LBB111_458
; %bb.454:
	s_cmp_eq_u32 s55, 44
	s_cbranch_scc0 .LBB111_457
; %bb.455:
	global_load_ubyte v1, v[3:4], off
	s_movk_i32 s46, 0xff
	v_mov_b32_e32 v5, 0x7f800001
	v_mov_b32_e32 v6, 0x400000
	s_mov_b64 s[0:1], -1
	s_waitcnt vmcnt(0)
	v_lshlrev_b32_e32 v7, 23, v1
	v_cmp_ne_u32_e32 vcc, s46, v1
	v_cndmask_b32_e32 v5, v5, v7, vcc
	v_cmp_ne_u32_e32 vcc, 0, v1
	v_cndmask_b32_e32 v5, v6, v5, vcc
	s_mov_b64 s[46:47], 0
	s_branch .LBB111_458
.LBB111_456:
	s_mov_b64 s[50:51], -1
	s_mov_b64 s[0:1], 0
	s_mov_b64 s[48:49], s[40:41]
                                        ; implicit-def: $vgpr3
	s_branch .LBB111_572
.LBB111_457:
	s_mov_b64 s[46:47], -1
                                        ; implicit-def: $vgpr5
.LBB111_458:
	s_mov_b64 s[48:49], 0
.LBB111_459:
	s_and_b64 vcc, exec, s[48:49]
	s_cbranch_vccz .LBB111_463
; %bb.460:
	s_cmp_eq_u32 s55, 29
	s_cbranch_scc0 .LBB111_462
; %bb.461:
	global_load_dwordx2 v[5:6], v[3:4], off
	s_mov_b64 s[0:1], -1
	s_mov_b64 s[46:47], 0
	s_mov_b64 s[48:49], 0
	s_waitcnt vmcnt(0)
	v_ffbh_u32_e32 v1, v6
	v_min_u32_e32 v1, 32, v1
	v_lshlrev_b64 v[5:6], v1, v[5:6]
	v_sub_u32_e32 v1, 32, v1
	v_min_u32_e32 v5, 1, v5
	v_or_b32_e32 v5, v6, v5
	v_cvt_f32_u32_e32 v5, v5
	v_ldexp_f32 v5, v5, v1
	s_branch .LBB111_464
.LBB111_462:
	s_mov_b64 s[46:47], -1
                                        ; implicit-def: $vgpr5
.LBB111_463:
	s_mov_b64 s[48:49], 0
.LBB111_464:
	s_and_b64 vcc, exec, s[48:49]
	s_cbranch_vccz .LBB111_482
; %bb.465:
	s_cmp_lt_i32 s55, 27
	s_cbranch_scc1 .LBB111_468
; %bb.466:
	s_cmp_gt_i32 s55, 27
	s_cbranch_scc0 .LBB111_469
; %bb.467:
	global_load_dword v1, v[3:4], off
	s_mov_b64 s[0:1], 0
	s_waitcnt vmcnt(0)
	v_cvt_f32_u32_e32 v5, v1
	s_branch .LBB111_470
.LBB111_468:
	s_mov_b64 s[0:1], -1
                                        ; implicit-def: $vgpr5
	s_branch .LBB111_473
.LBB111_469:
	s_mov_b64 s[0:1], -1
                                        ; implicit-def: $vgpr5
.LBB111_470:
	s_andn2_b64 vcc, exec, s[0:1]
	s_cbranch_vccnz .LBB111_472
; %bb.471:
	global_load_ushort v1, v[3:4], off
	s_waitcnt vmcnt(0)
	v_cvt_f32_u32_e32 v5, v1
.LBB111_472:
	s_mov_b64 s[0:1], 0
.LBB111_473:
	s_andn2_b64 vcc, exec, s[0:1]
	s_cbranch_vccnz .LBB111_481
; %bb.474:
	global_load_ubyte v1, v[3:4], off
	s_movk_i32 s0, 0x7f
	s_waitcnt vmcnt(0)
	v_cmp_lt_i16_e32 vcc, s0, v1
	s_mov_b64 s[0:1], 0
	s_and_saveexec_b64 s[48:49], vcc
	s_xor_b64 s[48:49], exec, s[48:49]
	s_cbranch_execz .LBB111_495
; %bb.475:
	s_movk_i32 s0, 0x80
	v_cmp_eq_u16_e32 vcc, s0, v1
	s_mov_b64 s[0:1], -1
	s_and_saveexec_b64 s[50:51], vcc
; %bb.476:
	s_xor_b64 s[0:1], exec, -1
; %bb.477:
	s_or_b64 exec, exec, s[50:51]
	s_and_b64 s[0:1], s[0:1], exec
	s_or_saveexec_b64 s[48:49], s[48:49]
	v_mov_b32_e32 v5, 0x7f800001
	s_xor_b64 exec, exec, s[48:49]
	s_cbranch_execnz .LBB111_496
.LBB111_478:
	s_or_b64 exec, exec, s[48:49]
	s_and_saveexec_b64 s[48:49], s[0:1]
	s_cbranch_execz .LBB111_480
.LBB111_479:
	v_lshlrev_b32_e32 v5, 24, v1
	v_and_b32_e32 v1, 0xffff, v1
	v_and_b32_e32 v6, 7, v1
	v_ffbh_u32_e32 v9, v6
	v_min_u32_e32 v9, 32, v9
	v_subrev_u32_e32 v10, 28, v9
	v_bfe_u32 v7, v1, 3, 4
	v_lshlrev_b32_e32 v1, v10, v1
	v_sub_u32_e32 v9, 29, v9
	v_and_b32_e32 v1, 7, v1
	v_cmp_eq_u32_e32 vcc, 0, v7
	v_cndmask_b32_e32 v7, v7, v9, vcc
	v_cndmask_b32_e32 v1, v6, v1, vcc
	v_mov_b32_e32 v6, 0x3b800000
	v_lshlrev_b32_e32 v1, 20, v1
	v_and_b32_e32 v5, 0x80000000, v5
	v_lshl_add_u32 v6, v7, 23, v6
	v_or3_b32 v5, v5, v6, v1
.LBB111_480:
	s_or_b64 exec, exec, s[48:49]
.LBB111_481:
	s_mov_b64 s[0:1], -1
.LBB111_482:
	s_mov_b64 s[48:49], 0
.LBB111_483:
	s_and_b64 vcc, exec, s[48:49]
	s_cbranch_vccz .LBB111_518
; %bb.484:
	s_cmp_gt_i32 s55, 22
	s_cbranch_scc0 .LBB111_494
; %bb.485:
	s_cmp_lt_i32 s55, 24
	s_cbranch_scc1 .LBB111_497
; %bb.486:
	s_cmp_gt_i32 s55, 24
	s_cbranch_scc0 .LBB111_498
; %bb.487:
	global_load_ubyte v1, v[3:4], off
	s_movk_i32 s0, 0x7f
	s_waitcnt vmcnt(0)
	v_cmp_lt_i16_e32 vcc, s0, v1
	s_mov_b64 s[0:1], 0
	s_and_saveexec_b64 s[48:49], vcc
	s_xor_b64 s[48:49], exec, s[48:49]
	s_cbranch_execz .LBB111_510
; %bb.488:
	s_movk_i32 s0, 0x80
	v_cmp_eq_u16_e32 vcc, s0, v1
	s_mov_b64 s[0:1], -1
	s_and_saveexec_b64 s[50:51], vcc
; %bb.489:
	s_xor_b64 s[0:1], exec, -1
; %bb.490:
	s_or_b64 exec, exec, s[50:51]
	s_and_b64 s[0:1], s[0:1], exec
	s_or_saveexec_b64 s[48:49], s[48:49]
	v_mov_b32_e32 v5, 0x7f800001
	s_xor_b64 exec, exec, s[48:49]
	s_cbranch_execnz .LBB111_511
.LBB111_491:
	s_or_b64 exec, exec, s[48:49]
	s_and_saveexec_b64 s[48:49], s[0:1]
	s_cbranch_execz .LBB111_493
.LBB111_492:
	v_lshlrev_b32_e32 v5, 24, v1
	v_and_b32_e32 v1, 0xffff, v1
	v_and_b32_e32 v6, 3, v1
	v_ffbh_u32_e32 v9, v6
	v_min_u32_e32 v9, 32, v9
	v_subrev_u32_e32 v10, 29, v9
	v_bfe_u32 v7, v1, 2, 5
	v_lshlrev_b32_e32 v1, v10, v1
	v_sub_u32_e32 v9, 30, v9
	v_and_b32_e32 v1, 3, v1
	v_cmp_eq_u32_e32 vcc, 0, v7
	v_cndmask_b32_e32 v7, v7, v9, vcc
	v_cndmask_b32_e32 v1, v6, v1, vcc
	v_mov_b32_e32 v6, 0x37800000
	v_lshlrev_b32_e32 v1, 21, v1
	v_and_b32_e32 v5, 0x80000000, v5
	v_lshl_add_u32 v6, v7, 23, v6
	v_or3_b32 v5, v5, v6, v1
.LBB111_493:
	s_or_b64 exec, exec, s[48:49]
	s_mov_b64 s[0:1], 0
	s_branch .LBB111_499
.LBB111_494:
	s_mov_b64 s[48:49], -1
                                        ; implicit-def: $vgpr5
	s_branch .LBB111_505
.LBB111_495:
	s_or_saveexec_b64 s[48:49], s[48:49]
	v_mov_b32_e32 v5, 0x7f800001
	s_xor_b64 exec, exec, s[48:49]
	s_cbranch_execz .LBB111_478
.LBB111_496:
	v_cmp_ne_u16_e32 vcc, 0, v1
	s_andn2_b64 s[0:1], s[0:1], exec
	s_and_b64 s[50:51], vcc, exec
	v_mov_b32_e32 v5, 0
	s_or_b64 s[0:1], s[0:1], s[50:51]
	s_or_b64 exec, exec, s[48:49]
	s_and_saveexec_b64 s[48:49], s[0:1]
	s_cbranch_execnz .LBB111_479
	s_branch .LBB111_480
.LBB111_497:
	s_mov_b64 s[0:1], -1
                                        ; implicit-def: $vgpr5
	s_branch .LBB111_502
.LBB111_498:
	s_mov_b64 s[0:1], -1
                                        ; implicit-def: $vgpr5
.LBB111_499:
	s_and_b64 vcc, exec, s[0:1]
	s_cbranch_vccz .LBB111_501
; %bb.500:
	global_load_ubyte v1, v[3:4], off
	s_mov_b32 s0, 0x7f800000
	s_waitcnt vmcnt(0)
	v_lshlrev_b32_e32 v1, 24, v1
	v_and_b32_e32 v5, 0x7f000000, v1
	v_ffbh_u32_e32 v6, v5
	v_min_u32_e32 v6, 32, v6
	v_sub_u32_e64 v6, v6, 4 clamp
	v_lshlrev_b32_e32 v9, v6, v5
	v_lshlrev_b32_e32 v6, 23, v6
	v_lshrrev_b32_e32 v9, 4, v9
	v_add_u32_e32 v7, 0x1000000, v5
	v_sub_u32_e32 v6, v9, v6
	v_ashrrev_i32_e32 v7, 8, v7
	v_add_u32_e32 v6, 0x3c000000, v6
	v_and_or_b32 v6, v7, s0, v6
	v_cmp_ne_u32_e32 vcc, 0, v5
	v_cndmask_b32_e32 v5, 0, v6, vcc
	s_brev_b32 s0, 1
	v_and_or_b32 v5, v1, s0, v5
.LBB111_501:
	s_mov_b64 s[0:1], 0
.LBB111_502:
	s_andn2_b64 vcc, exec, s[0:1]
	s_cbranch_vccnz .LBB111_504
; %bb.503:
	global_load_ubyte v1, v[3:4], off
	s_movk_i32 s0, 0x7f00
	s_brev_b32 s1, 16
	s_waitcnt vmcnt(0)
	v_lshlrev_b16_e32 v5, 8, v1
	v_lshlrev_b32_e32 v1, 25, v1
	v_lshrrev_b32_e32 v6, 4, v1
	v_and_or_b32 v7, v5, s0, 0.5
	v_or_b32_e32 v6, 0x70000000, v6
	v_add_f32_e32 v7, -0.5, v7
	v_mul_f32_e32 v6, 0x7800000, v6
	v_cmp_gt_u32_e32 vcc, s1, v1
	v_bfe_i32 v5, v5, 0, 16
	v_cndmask_b32_e32 v1, v6, v7, vcc
	s_brev_b32 s0, 1
	v_and_or_b32 v5, v5, s0, v1
.LBB111_504:
	s_mov_b64 s[48:49], 0
	s_mov_b64 s[0:1], -1
.LBB111_505:
	s_andn2_b64 vcc, exec, s[48:49]
	s_cbranch_vccnz .LBB111_518
; %bb.506:
	s_cmp_gt_i32 s55, 14
	s_cbranch_scc0 .LBB111_509
; %bb.507:
	s_cmp_eq_u32 s55, 15
	s_cbranch_scc0 .LBB111_512
; %bb.508:
	global_load_ushort v1, v[3:4], off
	s_mov_b64 s[0:1], -1
	s_mov_b64 s[46:47], 0
	s_waitcnt vmcnt(0)
	v_lshlrev_b32_e32 v5, 16, v1
	s_branch .LBB111_513
.LBB111_509:
	s_mov_b64 s[48:49], -1
                                        ; implicit-def: $vgpr5
	s_branch .LBB111_514
.LBB111_510:
	s_or_saveexec_b64 s[48:49], s[48:49]
	v_mov_b32_e32 v5, 0x7f800001
	s_xor_b64 exec, exec, s[48:49]
	s_cbranch_execz .LBB111_491
.LBB111_511:
	v_cmp_ne_u16_e32 vcc, 0, v1
	s_andn2_b64 s[0:1], s[0:1], exec
	s_and_b64 s[50:51], vcc, exec
	v_mov_b32_e32 v5, 0
	s_or_b64 s[0:1], s[0:1], s[50:51]
	s_or_b64 exec, exec, s[48:49]
	s_and_saveexec_b64 s[48:49], s[0:1]
	s_cbranch_execnz .LBB111_492
	s_branch .LBB111_493
.LBB111_512:
	s_mov_b64 s[46:47], -1
                                        ; implicit-def: $vgpr5
.LBB111_513:
	s_mov_b64 s[48:49], 0
.LBB111_514:
	s_and_b64 vcc, exec, s[48:49]
	s_cbranch_vccz .LBB111_518
; %bb.515:
	s_cmp_eq_u32 s55, 11
	s_cbranch_scc0 .LBB111_517
; %bb.516:
	global_load_ubyte v1, v[3:4], off
	s_mov_b64 s[0:1], -1
	s_mov_b64 s[46:47], 0
	s_waitcnt vmcnt(0)
	v_cmp_ne_u16_e32 vcc, 0, v1
	v_cndmask_b32_e64 v5, 0, 1.0, vcc
	s_branch .LBB111_518
.LBB111_517:
	s_mov_b64 s[46:47], -1
                                        ; implicit-def: $vgpr5
.LBB111_518:
	s_branch .LBB111_434
.LBB111_519:
	s_and_b32 s48, 0xffff, s54
	s_cmp_lt_i32 s48, 5
	s_cbranch_scc1 .LBB111_524
; %bb.520:
	s_cmp_lt_i32 s48, 8
	s_cbranch_scc1 .LBB111_525
; %bb.521:
	;; [unrolled: 3-line block ×3, first 2 shown]
	s_cmp_gt_i32 s48, 9
	s_cbranch_scc0 .LBB111_527
; %bb.523:
	global_load_dwordx2 v[5:6], v[3:4], off
	s_mov_b64 s[0:1], 0
	s_waitcnt vmcnt(0)
	v_cvt_f32_f64_e32 v5, v[5:6]
	s_branch .LBB111_528
.LBB111_524:
	s_mov_b64 s[0:1], -1
                                        ; implicit-def: $vgpr5
	s_branch .LBB111_546
.LBB111_525:
	s_mov_b64 s[0:1], -1
                                        ; implicit-def: $vgpr5
	s_branch .LBB111_534
.LBB111_526:
	s_mov_b64 s[0:1], -1
                                        ; implicit-def: $vgpr5
	s_branch .LBB111_531
.LBB111_527:
	s_mov_b64 s[0:1], -1
                                        ; implicit-def: $vgpr5
.LBB111_528:
	s_andn2_b64 vcc, exec, s[0:1]
	s_cbranch_vccnz .LBB111_530
; %bb.529:
	global_load_dword v5, v[3:4], off
.LBB111_530:
	s_mov_b64 s[0:1], 0
.LBB111_531:
	s_andn2_b64 vcc, exec, s[0:1]
	s_cbranch_vccnz .LBB111_533
; %bb.532:
	global_load_dword v1, v[3:4], off
	s_waitcnt vmcnt(0)
	v_cvt_f32_f16_e32 v5, v1
.LBB111_533:
	s_mov_b64 s[0:1], 0
.LBB111_534:
	s_andn2_b64 vcc, exec, s[0:1]
	s_cbranch_vccnz .LBB111_545
; %bb.535:
	s_cmp_lt_i32 s48, 6
	s_cbranch_scc1 .LBB111_538
; %bb.536:
	s_cmp_gt_i32 s48, 6
	s_cbranch_scc0 .LBB111_539
; %bb.537:
	global_load_dwordx2 v[5:6], v[3:4], off
	s_mov_b64 s[0:1], 0
	s_waitcnt vmcnt(0)
	v_cvt_f32_f64_e32 v5, v[5:6]
	s_branch .LBB111_540
.LBB111_538:
	s_mov_b64 s[0:1], -1
                                        ; implicit-def: $vgpr5
	s_branch .LBB111_543
.LBB111_539:
	s_mov_b64 s[0:1], -1
                                        ; implicit-def: $vgpr5
.LBB111_540:
	s_andn2_b64 vcc, exec, s[0:1]
	s_cbranch_vccnz .LBB111_542
; %bb.541:
	global_load_dword v5, v[3:4], off
.LBB111_542:
	s_mov_b64 s[0:1], 0
.LBB111_543:
	s_andn2_b64 vcc, exec, s[0:1]
	s_cbranch_vccnz .LBB111_545
; %bb.544:
	global_load_ushort v1, v[3:4], off
	s_waitcnt vmcnt(0)
	v_cvt_f32_f16_e32 v5, v1
.LBB111_545:
	s_mov_b64 s[0:1], 0
.LBB111_546:
	s_andn2_b64 vcc, exec, s[0:1]
	s_cbranch_vccnz .LBB111_566
; %bb.547:
	s_cmp_lt_i32 s48, 2
	s_cbranch_scc1 .LBB111_551
; %bb.548:
	s_cmp_lt_i32 s48, 3
	s_cbranch_scc1 .LBB111_552
; %bb.549:
	s_cmp_gt_i32 s48, 3
	s_cbranch_scc0 .LBB111_553
; %bb.550:
	global_load_dwordx2 v[5:6], v[3:4], off
	s_mov_b64 s[0:1], 0
	s_waitcnt vmcnt(0)
	v_xor_b32_e32 v7, v5, v6
	v_ffbh_i32_e32 v1, v6
	v_ashrrev_i32_e32 v7, 31, v7
	v_add_u32_e32 v1, -1, v1
	v_add_u32_e32 v7, 32, v7
	v_min_u32_e32 v1, v1, v7
	v_lshlrev_b64 v[5:6], v1, v[5:6]
	v_sub_u32_e32 v1, 32, v1
	v_min_u32_e32 v5, 1, v5
	v_or_b32_e32 v5, v6, v5
	v_cvt_f32_i32_e32 v5, v5
	v_ldexp_f32 v5, v5, v1
	s_branch .LBB111_554
.LBB111_551:
	s_mov_b64 s[0:1], -1
                                        ; implicit-def: $vgpr5
	s_branch .LBB111_560
.LBB111_552:
	s_mov_b64 s[0:1], -1
                                        ; implicit-def: $vgpr5
	s_branch .LBB111_557
.LBB111_553:
	s_mov_b64 s[0:1], -1
                                        ; implicit-def: $vgpr5
.LBB111_554:
	s_andn2_b64 vcc, exec, s[0:1]
	s_cbranch_vccnz .LBB111_556
; %bb.555:
	global_load_dword v1, v[3:4], off
	s_waitcnt vmcnt(0)
	v_cvt_f32_i32_e32 v5, v1
.LBB111_556:
	s_mov_b64 s[0:1], 0
.LBB111_557:
	s_andn2_b64 vcc, exec, s[0:1]
	s_cbranch_vccnz .LBB111_559
; %bb.558:
	global_load_sshort v1, v[3:4], off
	s_waitcnt vmcnt(0)
	v_cvt_f32_i32_e32 v5, v1
.LBB111_559:
	s_mov_b64 s[0:1], 0
.LBB111_560:
	s_andn2_b64 vcc, exec, s[0:1]
	s_cbranch_vccnz .LBB111_566
; %bb.561:
	s_cmp_gt_i32 s48, 0
	s_cbranch_scc0 .LBB111_563
; %bb.562:
	global_load_sbyte v1, v[3:4], off
	s_mov_b64 s[0:1], 0
	s_waitcnt vmcnt(0)
	v_cvt_f32_i32_e32 v5, v1
	s_branch .LBB111_564
.LBB111_563:
	s_mov_b64 s[0:1], -1
                                        ; implicit-def: $vgpr5
.LBB111_564:
	s_andn2_b64 vcc, exec, s[0:1]
	s_cbranch_vccnz .LBB111_566
; %bb.565:
	global_load_ubyte v1, v[3:4], off
	s_waitcnt vmcnt(0)
	v_cvt_f32_ubyte0_e32 v5, v1
.LBB111_566:
	s_branch .LBB111_435
.LBB111_567:
	s_mov_b64 s[54:55], 0
	s_mov_b64 s[0:1], s[38:39]
	;; [unrolled: 1-line block ×3, first 2 shown]
.LBB111_568:
                                        ; implicit-def: $vgpr8
	s_branch .LBB111_827
.LBB111_569:
	s_andn2_saveexec_b64 s[52:53], s[52:53]
	s_cbranch_execz .LBB111_220
.LBB111_570:
	v_add_f32_e32 v2, 0x42800000, v3
	v_and_b32_e32 v2, 0xff, v2
	v_cmp_ne_u32_e32 vcc, 0, v2
	s_andn2_b64 s[50:51], s[50:51], exec
	s_and_b64 s[56:57], vcc, exec
	s_or_b64 s[50:51], s[50:51], s[56:57]
	s_or_b64 exec, exec, s[52:53]
	v_mov_b32_e32 v4, 0
	s_and_saveexec_b64 s[52:53], s[50:51]
	s_cbranch_execnz .LBB111_221
	s_branch .LBB111_222
.LBB111_571:
	s_mov_b64 s[48:49], -1
                                        ; implicit-def: $vgpr3
	s_mov_b64 s[0:1], 0
.LBB111_572:
	s_and_b64 vcc, exec, s[50:51]
	s_cbranch_vccz .LBB111_576
; %bb.573:
	s_cmp_eq_u32 s57, 44
	s_cbranch_scc0 .LBB111_575
; %bb.574:
	global_load_ubyte v3, v[1:2], off
	s_movk_i32 s48, 0xff
	v_mov_b32_e32 v4, 0x7f800001
	v_mov_b32_e32 v6, 0x400000
	s_mov_b64 s[0:1], -1
	s_waitcnt vmcnt(0)
	v_lshlrev_b32_e32 v7, 23, v3
	v_cmp_ne_u32_e32 vcc, s48, v3
	v_cndmask_b32_e32 v4, v4, v7, vcc
	v_cmp_ne_u32_e32 vcc, 0, v3
	v_cndmask_b32_e32 v3, v6, v4, vcc
	s_mov_b64 s[48:49], 0
	s_branch .LBB111_576
.LBB111_575:
	s_mov_b64 s[48:49], -1
                                        ; implicit-def: $vgpr3
.LBB111_576:
	s_mov_b64 s[50:51], 0
.LBB111_577:
	s_and_b64 vcc, exec, s[50:51]
	s_cbranch_vccz .LBB111_581
; %bb.578:
	s_cmp_eq_u32 s57, 29
	s_cbranch_scc0 .LBB111_580
; %bb.579:
	global_load_dwordx2 v[3:4], v[1:2], off
	s_mov_b64 s[0:1], -1
	s_mov_b64 s[48:49], 0
	s_mov_b64 s[50:51], 0
	s_waitcnt vmcnt(0)
	v_ffbh_u32_e32 v6, v4
	v_min_u32_e32 v6, 32, v6
	v_lshlrev_b64 v[3:4], v6, v[3:4]
	v_min_u32_e32 v3, 1, v3
	v_or_b32_e32 v3, v4, v3
	v_cvt_f32_u32_e32 v3, v3
	v_sub_u32_e32 v4, 32, v6
	v_ldexp_f32 v3, v3, v4
	s_branch .LBB111_582
.LBB111_580:
	s_mov_b64 s[48:49], -1
                                        ; implicit-def: $vgpr3
.LBB111_581:
	s_mov_b64 s[50:51], 0
.LBB111_582:
	s_and_b64 vcc, exec, s[50:51]
	s_cbranch_vccz .LBB111_600
; %bb.583:
	s_cmp_lt_i32 s57, 27
	s_cbranch_scc1 .LBB111_586
; %bb.584:
	s_cmp_gt_i32 s57, 27
	s_cbranch_scc0 .LBB111_587
; %bb.585:
	global_load_dword v3, v[1:2], off
	s_mov_b64 s[0:1], 0
	s_waitcnt vmcnt(0)
	v_cvt_f32_u32_e32 v3, v3
	s_branch .LBB111_588
.LBB111_586:
	s_mov_b64 s[0:1], -1
                                        ; implicit-def: $vgpr3
	s_branch .LBB111_591
.LBB111_587:
	s_mov_b64 s[0:1], -1
                                        ; implicit-def: $vgpr3
.LBB111_588:
	s_andn2_b64 vcc, exec, s[0:1]
	s_cbranch_vccnz .LBB111_590
; %bb.589:
	global_load_ushort v3, v[1:2], off
	s_waitcnt vmcnt(0)
	v_cvt_f32_u32_e32 v3, v3
.LBB111_590:
	s_mov_b64 s[0:1], 0
.LBB111_591:
	s_andn2_b64 vcc, exec, s[0:1]
	s_cbranch_vccnz .LBB111_599
; %bb.592:
	global_load_ubyte v4, v[1:2], off
	s_movk_i32 s0, 0x7f
	s_waitcnt vmcnt(0)
	v_cmp_lt_i16_e32 vcc, s0, v4
	s_mov_b64 s[0:1], 0
	s_and_saveexec_b64 s[50:51], vcc
	s_xor_b64 s[50:51], exec, s[50:51]
	s_cbranch_execz .LBB111_613
; %bb.593:
	s_movk_i32 s0, 0x80
	v_cmp_eq_u16_e32 vcc, s0, v4
	s_mov_b64 s[0:1], -1
	s_and_saveexec_b64 s[54:55], vcc
; %bb.594:
	s_xor_b64 s[0:1], exec, -1
; %bb.595:
	s_or_b64 exec, exec, s[54:55]
	s_and_b64 s[0:1], s[0:1], exec
	s_or_saveexec_b64 s[50:51], s[50:51]
	v_mov_b32_e32 v3, 0x7f800001
	s_xor_b64 exec, exec, s[50:51]
	s_cbranch_execnz .LBB111_614
.LBB111_596:
	s_or_b64 exec, exec, s[50:51]
	s_and_saveexec_b64 s[50:51], s[0:1]
	s_cbranch_execz .LBB111_598
.LBB111_597:
	v_lshlrev_b32_e32 v3, 24, v4
	v_and_b32_e32 v4, 0xffff, v4
	v_and_b32_e32 v6, 7, v4
	v_ffbh_u32_e32 v9, v6
	v_min_u32_e32 v9, 32, v9
	v_subrev_u32_e32 v10, 28, v9
	v_bfe_u32 v7, v4, 3, 4
	v_lshlrev_b32_e32 v4, v10, v4
	v_sub_u32_e32 v9, 29, v9
	v_and_b32_e32 v4, 7, v4
	v_cmp_eq_u32_e32 vcc, 0, v7
	v_cndmask_b32_e32 v7, v7, v9, vcc
	v_cndmask_b32_e32 v4, v6, v4, vcc
	v_mov_b32_e32 v6, 0x3b800000
	v_lshlrev_b32_e32 v4, 20, v4
	v_and_b32_e32 v3, 0x80000000, v3
	v_lshl_add_u32 v6, v7, 23, v6
	v_or3_b32 v3, v3, v6, v4
.LBB111_598:
	s_or_b64 exec, exec, s[50:51]
.LBB111_599:
	s_mov_b64 s[0:1], -1
.LBB111_600:
	s_mov_b64 s[50:51], 0
.LBB111_601:
	s_and_b64 vcc, exec, s[50:51]
	s_cbranch_vccz .LBB111_636
; %bb.602:
	s_cmp_gt_i32 s57, 22
	s_cbranch_scc0 .LBB111_612
; %bb.603:
	s_cmp_lt_i32 s57, 24
	s_cbranch_scc1 .LBB111_615
; %bb.604:
	s_cmp_gt_i32 s57, 24
	s_cbranch_scc0 .LBB111_616
; %bb.605:
	global_load_ubyte v4, v[1:2], off
	s_movk_i32 s0, 0x7f
	s_waitcnt vmcnt(0)
	v_cmp_lt_i16_e32 vcc, s0, v4
	s_mov_b64 s[0:1], 0
	s_and_saveexec_b64 s[50:51], vcc
	s_xor_b64 s[50:51], exec, s[50:51]
	s_cbranch_execz .LBB111_628
; %bb.606:
	s_movk_i32 s0, 0x80
	v_cmp_eq_u16_e32 vcc, s0, v4
	s_mov_b64 s[0:1], -1
	s_and_saveexec_b64 s[54:55], vcc
; %bb.607:
	s_xor_b64 s[0:1], exec, -1
; %bb.608:
	s_or_b64 exec, exec, s[54:55]
	s_and_b64 s[0:1], s[0:1], exec
	s_or_saveexec_b64 s[50:51], s[50:51]
	v_mov_b32_e32 v3, 0x7f800001
	s_xor_b64 exec, exec, s[50:51]
	s_cbranch_execnz .LBB111_629
.LBB111_609:
	s_or_b64 exec, exec, s[50:51]
	s_and_saveexec_b64 s[50:51], s[0:1]
	s_cbranch_execz .LBB111_611
.LBB111_610:
	v_lshlrev_b32_e32 v3, 24, v4
	v_and_b32_e32 v4, 0xffff, v4
	v_and_b32_e32 v6, 3, v4
	v_ffbh_u32_e32 v9, v6
	v_min_u32_e32 v9, 32, v9
	v_subrev_u32_e32 v10, 29, v9
	v_bfe_u32 v7, v4, 2, 5
	v_lshlrev_b32_e32 v4, v10, v4
	v_sub_u32_e32 v9, 30, v9
	v_and_b32_e32 v4, 3, v4
	v_cmp_eq_u32_e32 vcc, 0, v7
	v_cndmask_b32_e32 v7, v7, v9, vcc
	v_cndmask_b32_e32 v4, v6, v4, vcc
	v_mov_b32_e32 v6, 0x37800000
	v_lshlrev_b32_e32 v4, 21, v4
	v_and_b32_e32 v3, 0x80000000, v3
	v_lshl_add_u32 v6, v7, 23, v6
	v_or3_b32 v3, v3, v6, v4
.LBB111_611:
	s_or_b64 exec, exec, s[50:51]
	s_mov_b64 s[0:1], 0
	s_branch .LBB111_617
.LBB111_612:
	s_mov_b64 s[50:51], -1
                                        ; implicit-def: $vgpr3
	s_branch .LBB111_623
.LBB111_613:
	s_or_saveexec_b64 s[50:51], s[50:51]
	v_mov_b32_e32 v3, 0x7f800001
	s_xor_b64 exec, exec, s[50:51]
	s_cbranch_execz .LBB111_596
.LBB111_614:
	v_cmp_ne_u16_e32 vcc, 0, v4
	s_andn2_b64 s[0:1], s[0:1], exec
	s_and_b64 s[54:55], vcc, exec
	v_mov_b32_e32 v3, 0
	s_or_b64 s[0:1], s[0:1], s[54:55]
	s_or_b64 exec, exec, s[50:51]
	s_and_saveexec_b64 s[50:51], s[0:1]
	s_cbranch_execnz .LBB111_597
	s_branch .LBB111_598
.LBB111_615:
	s_mov_b64 s[0:1], -1
                                        ; implicit-def: $vgpr3
	s_branch .LBB111_620
.LBB111_616:
	s_mov_b64 s[0:1], -1
                                        ; implicit-def: $vgpr3
.LBB111_617:
	s_and_b64 vcc, exec, s[0:1]
	s_cbranch_vccz .LBB111_619
; %bb.618:
	global_load_ubyte v3, v[1:2], off
	s_mov_b32 s0, 0x7f800000
	s_waitcnt vmcnt(0)
	v_lshlrev_b32_e32 v3, 24, v3
	v_and_b32_e32 v4, 0x7f000000, v3
	v_ffbh_u32_e32 v6, v4
	v_min_u32_e32 v6, 32, v6
	v_sub_u32_e64 v6, v6, 4 clamp
	v_lshlrev_b32_e32 v9, v6, v4
	v_lshlrev_b32_e32 v6, 23, v6
	v_lshrrev_b32_e32 v9, 4, v9
	v_add_u32_e32 v7, 0x1000000, v4
	v_sub_u32_e32 v6, v9, v6
	v_ashrrev_i32_e32 v7, 8, v7
	v_add_u32_e32 v6, 0x3c000000, v6
	v_and_or_b32 v6, v7, s0, v6
	v_cmp_ne_u32_e32 vcc, 0, v4
	v_cndmask_b32_e32 v4, 0, v6, vcc
	s_brev_b32 s0, 1
	v_and_or_b32 v3, v3, s0, v4
.LBB111_619:
	s_mov_b64 s[0:1], 0
.LBB111_620:
	s_andn2_b64 vcc, exec, s[0:1]
	s_cbranch_vccnz .LBB111_622
; %bb.621:
	global_load_ubyte v3, v[1:2], off
	s_movk_i32 s0, 0x7f00
	s_brev_b32 s1, 16
	s_waitcnt vmcnt(0)
	v_lshlrev_b16_e32 v4, 8, v3
	v_lshlrev_b32_e32 v3, 25, v3
	v_lshrrev_b32_e32 v6, 4, v3
	v_and_or_b32 v7, v4, s0, 0.5
	v_or_b32_e32 v6, 0x70000000, v6
	v_add_f32_e32 v7, -0.5, v7
	v_mul_f32_e32 v6, 0x7800000, v6
	v_cmp_gt_u32_e32 vcc, s1, v3
	v_bfe_i32 v4, v4, 0, 16
	v_cndmask_b32_e32 v3, v6, v7, vcc
	s_brev_b32 s0, 1
	v_and_or_b32 v3, v4, s0, v3
.LBB111_622:
	s_mov_b64 s[50:51], 0
	s_mov_b64 s[0:1], -1
.LBB111_623:
	s_andn2_b64 vcc, exec, s[50:51]
	s_cbranch_vccnz .LBB111_636
; %bb.624:
	s_cmp_gt_i32 s57, 14
	s_cbranch_scc0 .LBB111_627
; %bb.625:
	s_cmp_eq_u32 s57, 15
	s_cbranch_scc0 .LBB111_630
; %bb.626:
	global_load_ushort v3, v[1:2], off
	s_mov_b64 s[0:1], -1
	s_mov_b64 s[48:49], 0
	s_waitcnt vmcnt(0)
	v_lshlrev_b32_e32 v3, 16, v3
	s_branch .LBB111_631
.LBB111_627:
	s_mov_b64 s[50:51], -1
                                        ; implicit-def: $vgpr3
	s_branch .LBB111_632
.LBB111_628:
	s_or_saveexec_b64 s[50:51], s[50:51]
	v_mov_b32_e32 v3, 0x7f800001
	s_xor_b64 exec, exec, s[50:51]
	s_cbranch_execz .LBB111_609
.LBB111_629:
	v_cmp_ne_u16_e32 vcc, 0, v4
	s_andn2_b64 s[0:1], s[0:1], exec
	s_and_b64 s[54:55], vcc, exec
	v_mov_b32_e32 v3, 0
	s_or_b64 s[0:1], s[0:1], s[54:55]
	s_or_b64 exec, exec, s[50:51]
	s_and_saveexec_b64 s[50:51], s[0:1]
	s_cbranch_execnz .LBB111_610
	s_branch .LBB111_611
.LBB111_630:
	s_mov_b64 s[48:49], -1
                                        ; implicit-def: $vgpr3
.LBB111_631:
	s_mov_b64 s[50:51], 0
.LBB111_632:
	s_and_b64 vcc, exec, s[50:51]
	s_cbranch_vccz .LBB111_636
; %bb.633:
	s_cmp_eq_u32 s57, 11
	s_cbranch_scc0 .LBB111_635
; %bb.634:
	global_load_ubyte v3, v[1:2], off
	s_mov_b64 s[0:1], -1
	s_mov_b64 s[48:49], 0
	s_waitcnt vmcnt(0)
	v_cmp_ne_u16_e32 vcc, 0, v3
	v_cndmask_b32_e64 v3, 0, 1.0, vcc
	s_branch .LBB111_636
.LBB111_635:
	s_mov_b64 s[48:49], -1
                                        ; implicit-def: $vgpr3
.LBB111_636:
	s_mov_b64 s[50:51], 0
.LBB111_637:
	s_and_b64 vcc, exec, s[50:51]
	s_cbranch_vccz .LBB111_686
; %bb.638:
	s_and_b32 s50, 0xffff, s56
	s_cmp_lt_i32 s50, 5
	s_cbranch_scc1 .LBB111_643
; %bb.639:
	s_cmp_lt_i32 s50, 8
	s_cbranch_scc1 .LBB111_644
; %bb.640:
	;; [unrolled: 3-line block ×3, first 2 shown]
	s_cmp_gt_i32 s50, 9
	s_cbranch_scc0 .LBB111_646
; %bb.642:
	global_load_dwordx2 v[3:4], v[1:2], off
	s_mov_b64 s[0:1], 0
	s_waitcnt vmcnt(0)
	v_cvt_f32_f64_e32 v3, v[3:4]
	s_branch .LBB111_647
.LBB111_643:
	s_mov_b64 s[0:1], -1
                                        ; implicit-def: $vgpr3
	s_branch .LBB111_665
.LBB111_644:
	s_mov_b64 s[0:1], -1
                                        ; implicit-def: $vgpr3
	s_branch .LBB111_653
.LBB111_645:
	s_mov_b64 s[0:1], -1
                                        ; implicit-def: $vgpr3
	s_branch .LBB111_650
.LBB111_646:
	s_mov_b64 s[0:1], -1
                                        ; implicit-def: $vgpr3
.LBB111_647:
	s_andn2_b64 vcc, exec, s[0:1]
	s_cbranch_vccnz .LBB111_649
; %bb.648:
	global_load_dword v3, v[1:2], off
.LBB111_649:
	s_mov_b64 s[0:1], 0
.LBB111_650:
	s_andn2_b64 vcc, exec, s[0:1]
	s_cbranch_vccnz .LBB111_652
; %bb.651:
	global_load_dword v3, v[1:2], off
	s_waitcnt vmcnt(0)
	v_cvt_f32_f16_e32 v3, v3
.LBB111_652:
	s_mov_b64 s[0:1], 0
.LBB111_653:
	s_andn2_b64 vcc, exec, s[0:1]
	s_cbranch_vccnz .LBB111_664
; %bb.654:
	s_cmp_lt_i32 s50, 6
	s_cbranch_scc1 .LBB111_657
; %bb.655:
	s_cmp_gt_i32 s50, 6
	s_cbranch_scc0 .LBB111_658
; %bb.656:
	global_load_dwordx2 v[3:4], v[1:2], off
	s_mov_b64 s[0:1], 0
	s_waitcnt vmcnt(0)
	v_cvt_f32_f64_e32 v3, v[3:4]
	s_branch .LBB111_659
.LBB111_657:
	s_mov_b64 s[0:1], -1
                                        ; implicit-def: $vgpr3
	s_branch .LBB111_662
.LBB111_658:
	s_mov_b64 s[0:1], -1
                                        ; implicit-def: $vgpr3
.LBB111_659:
	s_andn2_b64 vcc, exec, s[0:1]
	s_cbranch_vccnz .LBB111_661
; %bb.660:
	global_load_dword v3, v[1:2], off
.LBB111_661:
	s_mov_b64 s[0:1], 0
.LBB111_662:
	s_andn2_b64 vcc, exec, s[0:1]
	s_cbranch_vccnz .LBB111_664
; %bb.663:
	global_load_ushort v3, v[1:2], off
	s_waitcnt vmcnt(0)
	v_cvt_f32_f16_e32 v3, v3
.LBB111_664:
	s_mov_b64 s[0:1], 0
.LBB111_665:
	s_andn2_b64 vcc, exec, s[0:1]
	s_cbranch_vccnz .LBB111_685
; %bb.666:
	s_cmp_lt_i32 s50, 2
	s_cbranch_scc1 .LBB111_670
; %bb.667:
	s_cmp_lt_i32 s50, 3
	s_cbranch_scc1 .LBB111_671
; %bb.668:
	s_cmp_gt_i32 s50, 3
	s_cbranch_scc0 .LBB111_672
; %bb.669:
	global_load_dwordx2 v[3:4], v[1:2], off
	s_mov_b64 s[0:1], 0
	s_waitcnt vmcnt(0)
	v_xor_b32_e32 v7, v3, v4
	v_ffbh_i32_e32 v6, v4
	v_ashrrev_i32_e32 v7, 31, v7
	v_add_u32_e32 v6, -1, v6
	v_add_u32_e32 v7, 32, v7
	v_min_u32_e32 v6, v6, v7
	v_lshlrev_b64 v[3:4], v6, v[3:4]
	v_min_u32_e32 v3, 1, v3
	v_or_b32_e32 v3, v4, v3
	v_cvt_f32_i32_e32 v3, v3
	v_sub_u32_e32 v4, 32, v6
	v_ldexp_f32 v3, v3, v4
	s_branch .LBB111_673
.LBB111_670:
	s_mov_b64 s[0:1], -1
                                        ; implicit-def: $vgpr3
	s_branch .LBB111_679
.LBB111_671:
	s_mov_b64 s[0:1], -1
                                        ; implicit-def: $vgpr3
	s_branch .LBB111_676
.LBB111_672:
	s_mov_b64 s[0:1], -1
                                        ; implicit-def: $vgpr3
.LBB111_673:
	s_andn2_b64 vcc, exec, s[0:1]
	s_cbranch_vccnz .LBB111_675
; %bb.674:
	global_load_dword v3, v[1:2], off
	s_waitcnt vmcnt(0)
	v_cvt_f32_i32_e32 v3, v3
.LBB111_675:
	s_mov_b64 s[0:1], 0
.LBB111_676:
	s_andn2_b64 vcc, exec, s[0:1]
	s_cbranch_vccnz .LBB111_678
; %bb.677:
	global_load_sshort v3, v[1:2], off
	s_waitcnt vmcnt(0)
	v_cvt_f32_i32_e32 v3, v3
.LBB111_678:
	s_mov_b64 s[0:1], 0
.LBB111_679:
	s_andn2_b64 vcc, exec, s[0:1]
	s_cbranch_vccnz .LBB111_685
; %bb.680:
	s_cmp_gt_i32 s50, 0
	s_cbranch_scc0 .LBB111_682
; %bb.681:
	global_load_sbyte v3, v[1:2], off
	s_mov_b64 s[0:1], 0
	s_waitcnt vmcnt(0)
	v_cvt_f32_i32_e32 v3, v3
	s_branch .LBB111_683
.LBB111_682:
	s_mov_b64 s[0:1], -1
                                        ; implicit-def: $vgpr3
.LBB111_683:
	s_andn2_b64 vcc, exec, s[0:1]
	s_cbranch_vccnz .LBB111_685
; %bb.684:
	global_load_ubyte v1, v[1:2], off
	s_waitcnt vmcnt(0)
	v_cvt_f32_ubyte0_e32 v3, v1
.LBB111_685:
	s_mov_b64 s[0:1], -1
.LBB111_686:
	s_andn2_b64 vcc, exec, s[0:1]
	s_cbranch_vccnz .LBB111_691
; %bb.687:
	s_cmp_lt_i32 s14, 1
	s_mov_b64 s[0:1], 0
	s_cbranch_scc1 .LBB111_692
; %bb.688:
	s_cmp_gt_i32 s14, 1
	s_cbranch_scc0 .LBB111_693
; %bb.689:
	s_cmp_eq_u32 s14, 2
	s_cbranch_scc0 .LBB111_694
; %bb.690:
	s_waitcnt vmcnt(0)
	v_cmp_le_f32_e64 s[50:51], v5, v3
	s_mov_b64 s[54:55], 0
	s_branch .LBB111_695
.LBB111_691:
	s_mov_b64 s[54:55], 0
                                        ; implicit-def: $vgpr8
	s_mov_b64 s[0:1], s[38:39]
	s_branch .LBB111_827
.LBB111_692:
	s_mov_b64 s[56:57], -1
                                        ; implicit-def: $sgpr50_sgpr51
	s_mov_b64 s[54:55], 0
	s_branch .LBB111_699
.LBB111_693:
	s_mov_b64 s[56:57], -1
	s_mov_b64 s[54:55], 0
                                        ; implicit-def: $sgpr50_sgpr51
	s_branch .LBB111_696
.LBB111_694:
	s_mov_b64 s[54:55], -1
                                        ; implicit-def: $sgpr50_sgpr51
.LBB111_695:
	s_mov_b64 s[56:57], 0
.LBB111_696:
	s_and_b64 vcc, exec, s[56:57]
	s_cbranch_vccz .LBB111_698
; %bb.697:
	s_waitcnt vmcnt(0)
	v_cmp_gt_f32_e32 vcc, v5, v3
	s_andn2_b64 s[50:51], s[50:51], exec
	s_and_b64 s[56:57], vcc, exec
	s_or_b64 s[50:51], s[50:51], s[56:57]
.LBB111_698:
	s_mov_b64 s[56:57], 0
.LBB111_699:
	s_and_b64 vcc, exec, s[56:57]
	s_cbranch_vccz .LBB111_710
; %bb.700:
	s_cmp_lg_u32 s14, 0
	s_mov_b64 s[0:1], -1
	s_cselect_b64 s[54:55], -1, 0
	s_andn2_b64 vcc, exec, s[54:55]
	s_cbranch_vccz .LBB111_711
.LBB111_701:
	s_andn2_b64 vcc, exec, s[0:1]
	s_cbranch_vccnz .LBB111_703
.LBB111_702:
	s_waitcnt vmcnt(0)
	v_cmp_ge_f32_e32 vcc, v5, v3
	s_andn2_b64 s[0:1], s[50:51], exec
	s_and_b64 s[50:51], vcc, exec
	s_or_b64 s[50:51], s[0:1], s[50:51]
.LBB111_703:
	v_mov_b32_e32 v1, s9
	s_and_b32 s60, s15, 0xff
	v_add_co_u32_e32 v0, vcc, s8, v0
	s_cmp_lt_i32 s60, 11
	v_addc_co_u32_e32 v1, vcc, 0, v1, vcc
	s_cbranch_scc1 .LBB111_712
; %bb.704:
	s_and_b32 s61, 0xffff, s60
	s_cmp_gt_i32 s61, 25
	s_cbranch_scc0 .LBB111_713
; %bb.705:
	s_cmp_gt_i32 s61, 28
	s_cbranch_scc0 .LBB111_714
; %bb.706:
	;; [unrolled: 3-line block ×4, first 2 shown]
	s_mov_b64 s[56:57], 0
	s_mov_b64 s[0:1], -1
	s_cmp_eq_u32 s61, 46
	s_mov_b64 s[54:55], 0
	s_cbranch_scc0 .LBB111_717
; %bb.709:
	v_cndmask_b32_e64 v2, 0, 1.0, s[50:51]
	s_waitcnt vmcnt(0)
	v_bfe_u32 v3, v2, 16, 1
	s_movk_i32 s0, 0x7fff
	v_add3_u32 v2, v2, v3, s0
	v_lshrrev_b32_e32 v2, 16, v2
	global_store_dword v[0:1], v2, off
	s_mov_b64 s[54:55], -1
	s_mov_b64 s[0:1], 0
	s_branch .LBB111_717
.LBB111_710:
	s_andn2_b64 vcc, exec, s[54:55]
	s_cbranch_vccnz .LBB111_701
.LBB111_711:
	s_waitcnt vmcnt(0)
	v_cmp_lt_f32_e32 vcc, v5, v3
	s_andn2_b64 s[50:51], s[50:51], exec
	s_and_b64 s[54:55], vcc, exec
	s_or_b64 s[50:51], s[50:51], s[54:55]
	s_cbranch_execz .LBB111_702
	s_branch .LBB111_703
.LBB111_712:
	s_mov_b64 s[56:57], -1
	s_mov_b64 s[54:55], 0
	s_mov_b64 s[0:1], s[38:39]
	s_branch .LBB111_786
.LBB111_713:
	s_mov_b64 s[56:57], -1
	s_mov_b64 s[54:55], 0
	s_mov_b64 s[0:1], s[38:39]
	s_branch .LBB111_744
.LBB111_714:
	s_mov_b64 s[56:57], -1
	s_mov_b64 s[54:55], 0
	s_mov_b64 s[0:1], s[38:39]
	s_branch .LBB111_727
.LBB111_715:
	s_mov_b64 s[56:57], -1
	s_mov_b64 s[54:55], 0
	s_mov_b64 s[0:1], s[38:39]
	s_branch .LBB111_723
.LBB111_716:
	s_mov_b64 s[56:57], -1
	s_mov_b64 s[54:55], 0
	s_mov_b64 s[0:1], s[38:39]
.LBB111_717:
	s_and_b64 vcc, exec, s[56:57]
	s_cbranch_vccz .LBB111_722
; %bb.718:
	s_cmp_eq_u32 s61, 44
	s_mov_b64 s[0:1], -1
	s_cbranch_scc0 .LBB111_722
; %bb.719:
	s_waitcnt vmcnt(0)
	v_cndmask_b32_e64 v3, 0, 1.0, s[50:51]
	v_lshrrev_b32_e32 v2, 23, v3
	s_movk_i32 s0, 0xff
	v_cmp_ne_u32_e32 vcc, s0, v2
	v_mov_b32_e32 v4, 0xff
	s_and_saveexec_b64 s[54:55], vcc
; %bb.720:
	s_mov_b32 s0, 0x3fffff
	v_and_b32_e32 v4, 0x400000, v3
	v_and_or_b32 v3, v3, s0, v2
	v_cmp_ne_u32_e32 vcc, 0, v4
	v_cmp_ne_u32_e64 s[0:1], 0, v3
	s_and_b64 s[0:1], vcc, s[0:1]
	v_cndmask_b32_e64 v3, 0, 1, s[0:1]
	v_add_u32_e32 v4, v2, v3
; %bb.721:
	s_or_b64 exec, exec, s[54:55]
	s_mov_b64 s[54:55], -1
	s_mov_b64 s[0:1], 0
	global_store_byte v[0:1], v4, off
.LBB111_722:
	s_mov_b64 s[56:57], 0
.LBB111_723:
	s_and_b64 vcc, exec, s[56:57]
	s_cbranch_vccz .LBB111_726
; %bb.724:
	s_cmp_eq_u32 s61, 29
	s_mov_b64 s[0:1], -1
	s_cbranch_scc0 .LBB111_726
; %bb.725:
	s_mov_b32 s0, 0
	v_cndmask_b32_e64 v2, 0, 1, s[50:51]
	s_waitcnt vmcnt(0)
	v_mov_b32_e32 v3, s0
	global_store_dwordx2 v[0:1], v[2:3], off
	s_mov_b64 s[54:55], -1
	s_mov_b64 s[0:1], 0
.LBB111_726:
	s_mov_b64 s[56:57], 0
.LBB111_727:
	s_and_b64 vcc, exec, s[56:57]
	s_cbranch_vccz .LBB111_743
; %bb.728:
	s_cmp_lt_i32 s61, 27
	s_mov_b64 s[54:55], -1
	s_cbranch_scc1 .LBB111_734
; %bb.729:
	s_cmp_gt_i32 s61, 27
	s_cbranch_scc0 .LBB111_731
; %bb.730:
	v_cndmask_b32_e64 v2, 0, 1, s[50:51]
	s_mov_b64 s[54:55], 0
	global_store_dword v[0:1], v2, off
.LBB111_731:
	s_andn2_b64 vcc, exec, s[54:55]
	s_cbranch_vccnz .LBB111_733
; %bb.732:
	v_cndmask_b32_e64 v2, 0, 1, s[50:51]
	global_store_short v[0:1], v2, off
.LBB111_733:
	s_mov_b64 s[54:55], 0
.LBB111_734:
	s_andn2_b64 vcc, exec, s[54:55]
	s_cbranch_vccnz .LBB111_742
; %bb.735:
	s_waitcnt vmcnt(0)
	v_cndmask_b32_e64 v3, 0, 1.0, s[50:51]
	s_mov_b32 s54, 0x43800000
	v_cmp_gt_u32_e32 vcc, s54, v3
	v_mov_b32_e32 v4, 0x80
	s_and_saveexec_b64 s[54:55], vcc
	s_cbranch_execz .LBB111_741
; %bb.736:
	s_mov_b32 s56, 0x3bffffff
	v_cmp_lt_u32_e32 vcc, s56, v3
	s_mov_b64 s[56:57], 0
                                        ; implicit-def: $vgpr2
	s_and_saveexec_b64 s[58:59], vcc
	s_xor_b64 s[58:59], exec, s[58:59]
	s_cbranch_execz .LBB111_855
; %bb.737:
	v_bfe_u32 v2, v3, 20, 1
	s_mov_b32 s62, 0x487ffff
	v_add3_u32 v2, v3, v2, s62
	s_mov_b64 s[56:57], exec
	v_lshrrev_b32_e32 v2, 20, v2
                                        ; implicit-def: $vgpr3
	s_andn2_saveexec_b64 s[58:59], s[58:59]
	s_cbranch_execnz .LBB111_856
.LBB111_738:
	s_or_b64 exec, exec, s[58:59]
	v_mov_b32_e32 v4, 0
	s_and_saveexec_b64 s[58:59], s[56:57]
.LBB111_739:
	v_mov_b32_e32 v4, v2
.LBB111_740:
	s_or_b64 exec, exec, s[58:59]
.LBB111_741:
	s_or_b64 exec, exec, s[54:55]
	global_store_byte v[0:1], v4, off
.LBB111_742:
	s_mov_b64 s[54:55], -1
.LBB111_743:
	s_mov_b64 s[56:57], 0
.LBB111_744:
	s_and_b64 vcc, exec, s[56:57]
	s_cbranch_vccz .LBB111_785
; %bb.745:
	s_cmp_gt_i32 s61, 22
	s_mov_b64 s[56:57], -1
	s_cbranch_scc0 .LBB111_777
; %bb.746:
	s_cmp_lt_i32 s61, 24
	s_mov_b64 s[54:55], -1
	s_cbranch_scc1 .LBB111_766
; %bb.747:
	s_cmp_gt_i32 s61, 24
	s_cbranch_scc0 .LBB111_755
; %bb.748:
	s_waitcnt vmcnt(0)
	v_cndmask_b32_e64 v3, 0, 1.0, s[50:51]
	s_mov_b32 s54, 0x47800000
	v_cmp_gt_u32_e32 vcc, s54, v3
	v_mov_b32_e32 v4, 0x80
	s_and_saveexec_b64 s[54:55], vcc
	s_cbranch_execz .LBB111_754
; %bb.749:
	s_mov_b32 s56, 0x37ffffff
	v_cmp_lt_u32_e32 vcc, s56, v3
	s_mov_b64 s[56:57], 0
                                        ; implicit-def: $vgpr2
	s_and_saveexec_b64 s[58:59], vcc
	s_xor_b64 s[58:59], exec, s[58:59]
	s_cbranch_execz .LBB111_987
; %bb.750:
	v_bfe_u32 v2, v3, 21, 1
	s_mov_b32 s62, 0x88fffff
	v_add3_u32 v2, v3, v2, s62
	s_mov_b64 s[56:57], exec
	v_lshrrev_b32_e32 v2, 21, v2
                                        ; implicit-def: $vgpr3
	s_andn2_saveexec_b64 s[58:59], s[58:59]
	s_cbranch_execnz .LBB111_988
.LBB111_751:
	s_or_b64 exec, exec, s[58:59]
	v_mov_b32_e32 v4, 0
	s_and_saveexec_b64 s[58:59], s[56:57]
.LBB111_752:
	v_mov_b32_e32 v4, v2
.LBB111_753:
	s_or_b64 exec, exec, s[58:59]
.LBB111_754:
	s_or_b64 exec, exec, s[54:55]
	s_mov_b64 s[54:55], 0
	global_store_byte v[0:1], v4, off
.LBB111_755:
	s_and_b64 vcc, exec, s[54:55]
	s_cbranch_vccz .LBB111_765
; %bb.756:
	v_cndmask_b32_e64 v2, 0, 1.0, s[50:51]
	s_mov_b32 s54, 0x43f00000
	v_cmp_gt_u32_e32 vcc, s54, v2
                                        ; implicit-def: $vgpr3
	s_and_saveexec_b64 s[54:55], vcc
	s_xor_b64 s[54:55], exec, s[54:55]
	s_cbranch_execz .LBB111_762
; %bb.757:
	s_mov_b32 s56, 0x3c7fffff
	v_cmp_lt_u32_e32 vcc, s56, v2
                                        ; implicit-def: $vgpr3
	s_and_saveexec_b64 s[56:57], vcc
	s_xor_b64 s[56:57], exec, s[56:57]
	s_cbranch_execz .LBB111_759
; %bb.758:
	s_waitcnt vmcnt(0)
	v_bfe_u32 v3, v2, 20, 1
	s_mov_b32 s58, 0x407ffff
	v_add3_u32 v2, v2, v3, s58
	v_lshrrev_b32_e32 v3, 20, v2
	v_and_b32_e32 v2, 0xff00000, v2
	s_mov_b32 s58, 0x7f00000
	v_mov_b32_e32 v4, 0x7e
	v_cmp_ne_u32_e32 vcc, s58, v2
	v_cndmask_b32_e32 v3, v4, v3, vcc
                                        ; implicit-def: $vgpr2
.LBB111_759:
	s_andn2_saveexec_b64 s[56:57], s[56:57]
	s_cbranch_execz .LBB111_761
; %bb.760:
	s_waitcnt vmcnt(0)
	v_add_f32_e32 v3, 0x46800000, v2
.LBB111_761:
	s_or_b64 exec, exec, s[56:57]
                                        ; implicit-def: $vgpr2
.LBB111_762:
	s_andn2_saveexec_b64 s[54:55], s[54:55]
	s_cbranch_execz .LBB111_764
; %bb.763:
	s_mov_b32 s56, 0x7f800000
	s_waitcnt vmcnt(0)
	v_mov_b32_e32 v3, 0x7e
	v_mov_b32_e32 v4, 0x7f
	v_cmp_lt_u32_e32 vcc, s56, v2
	v_cndmask_b32_e32 v3, v3, v4, vcc
.LBB111_764:
	s_or_b64 exec, exec, s[54:55]
	s_waitcnt vmcnt(0)
	global_store_byte v[0:1], v3, off
.LBB111_765:
	s_mov_b64 s[54:55], 0
.LBB111_766:
	s_andn2_b64 vcc, exec, s[54:55]
	s_cbranch_vccnz .LBB111_776
; %bb.767:
	v_cndmask_b32_e64 v2, 0, 1.0, s[50:51]
	s_mov_b32 s54, 0x47800000
	v_cmp_gt_u32_e32 vcc, s54, v2
                                        ; implicit-def: $vgpr3
	s_and_saveexec_b64 s[54:55], vcc
	s_xor_b64 s[54:55], exec, s[54:55]
	s_cbranch_execz .LBB111_773
; %bb.768:
	s_mov_b32 s56, 0x387fffff
	v_cmp_lt_u32_e32 vcc, s56, v2
                                        ; implicit-def: $vgpr3
	s_and_saveexec_b64 s[56:57], vcc
	s_xor_b64 s[56:57], exec, s[56:57]
	s_cbranch_execz .LBB111_770
; %bb.769:
	s_waitcnt vmcnt(0)
	v_bfe_u32 v3, v2, 21, 1
	s_mov_b32 s58, 0x80fffff
	v_add3_u32 v2, v2, v3, s58
	v_lshrrev_b32_e32 v3, 21, v2
                                        ; implicit-def: $vgpr2
.LBB111_770:
	s_andn2_saveexec_b64 s[56:57], s[56:57]
	s_cbranch_execz .LBB111_772
; %bb.771:
	s_waitcnt vmcnt(0)
	v_add_f32_e32 v3, 0x43000000, v2
.LBB111_772:
	s_or_b64 exec, exec, s[56:57]
                                        ; implicit-def: $vgpr2
.LBB111_773:
	s_andn2_saveexec_b64 s[54:55], s[54:55]
	s_cbranch_execz .LBB111_775
; %bb.774:
	s_mov_b32 s56, 0x7f800000
	s_waitcnt vmcnt(0)
	v_mov_b32_e32 v3, 0x7c
	v_mov_b32_e32 v4, 0x7f
	v_cmp_lt_u32_e32 vcc, s56, v2
	v_cndmask_b32_e32 v3, v3, v4, vcc
.LBB111_775:
	s_or_b64 exec, exec, s[54:55]
	s_waitcnt vmcnt(0)
	global_store_byte v[0:1], v3, off
.LBB111_776:
	s_mov_b64 s[56:57], 0
	s_mov_b64 s[54:55], -1
.LBB111_777:
	s_andn2_b64 vcc, exec, s[56:57]
	s_cbranch_vccnz .LBB111_785
; %bb.778:
	s_cmp_gt_i32 s61, 14
	s_mov_b64 s[56:57], -1
	s_cbranch_scc0 .LBB111_782
; %bb.779:
	s_cmp_eq_u32 s61, 15
	s_mov_b64 s[0:1], -1
	s_cbranch_scc0 .LBB111_781
; %bb.780:
	v_cndmask_b32_e64 v2, 0, 1.0, s[50:51]
	s_waitcnt vmcnt(0)
	v_bfe_u32 v3, v2, 16, 1
	s_movk_i32 s0, 0x7fff
	v_add3_u32 v2, v2, v3, s0
	global_store_short_d16_hi v[0:1], v2, off
	s_mov_b64 s[54:55], -1
	s_mov_b64 s[0:1], 0
.LBB111_781:
	s_mov_b64 s[56:57], 0
.LBB111_782:
	s_and_b64 vcc, exec, s[56:57]
	s_cbranch_vccz .LBB111_785
; %bb.783:
	s_cmp_eq_u32 s61, 11
	s_mov_b64 s[0:1], -1
	s_cbranch_scc0 .LBB111_785
; %bb.784:
	v_cndmask_b32_e64 v2, 0, 1, s[50:51]
	s_mov_b64 s[54:55], -1
	s_mov_b64 s[0:1], 0
	global_store_byte v[0:1], v2, off
.LBB111_785:
	s_mov_b64 s[56:57], 0
.LBB111_786:
	s_and_b64 vcc, exec, s[56:57]
	s_cbranch_vccz .LBB111_825
; %bb.787:
	s_and_b32 s56, 0xffff, s60
	s_cmp_lt_i32 s56, 5
	s_mov_b64 s[54:55], -1
	s_cbranch_scc1 .LBB111_808
; %bb.788:
	s_cmp_lt_i32 s56, 8
	s_cbranch_scc1 .LBB111_798
; %bb.789:
	s_cmp_lt_i32 s56, 9
	s_cbranch_scc1 .LBB111_795
; %bb.790:
	s_cmp_gt_i32 s56, 9
	s_cbranch_scc0 .LBB111_792
; %bb.791:
	v_cndmask_b32_e64 v2, 0, 1, s[50:51]
	s_waitcnt vmcnt(0)
	v_cvt_f64_u32_e32 v[2:3], v2
	v_mov_b32_e32 v4, 0
	v_mov_b32_e32 v5, v4
	s_mov_b64 s[54:55], 0
	global_store_dwordx4 v[0:1], v[2:5], off
.LBB111_792:
	s_andn2_b64 vcc, exec, s[54:55]
	s_cbranch_vccnz .LBB111_794
; %bb.793:
	v_cndmask_b32_e64 v2, 0, 1.0, s[50:51]
	s_waitcnt vmcnt(0)
	v_mov_b32_e32 v3, 0
	global_store_dwordx2 v[0:1], v[2:3], off
.LBB111_794:
	s_mov_b64 s[54:55], 0
.LBB111_795:
	s_andn2_b64 vcc, exec, s[54:55]
	s_cbranch_vccnz .LBB111_797
; %bb.796:
	v_cndmask_b32_e64 v2, 0, 1.0, s[50:51]
	v_cvt_f16_f32_e32 v2, v2
	global_store_dword v[0:1], v2, off
.LBB111_797:
	s_mov_b64 s[54:55], 0
.LBB111_798:
	s_andn2_b64 vcc, exec, s[54:55]
	s_cbranch_vccnz .LBB111_807
; %bb.799:
	s_cmp_lt_i32 s56, 6
	s_mov_b64 s[54:55], -1
	s_cbranch_scc1 .LBB111_805
; %bb.800:
	s_cmp_gt_i32 s56, 6
	s_cbranch_scc0 .LBB111_802
; %bb.801:
	v_cndmask_b32_e64 v2, 0, 1, s[50:51]
	s_waitcnt vmcnt(0)
	v_cvt_f64_u32_e32 v[2:3], v2
	s_mov_b64 s[54:55], 0
	global_store_dwordx2 v[0:1], v[2:3], off
.LBB111_802:
	s_andn2_b64 vcc, exec, s[54:55]
	s_cbranch_vccnz .LBB111_804
; %bb.803:
	v_cndmask_b32_e64 v2, 0, 1.0, s[50:51]
	global_store_dword v[0:1], v2, off
.LBB111_804:
	s_mov_b64 s[54:55], 0
.LBB111_805:
	s_andn2_b64 vcc, exec, s[54:55]
	s_cbranch_vccnz .LBB111_807
; %bb.806:
	v_cndmask_b32_e64 v2, 0, 1.0, s[50:51]
	v_cvt_f16_f32_e32 v2, v2
	global_store_short v[0:1], v2, off
.LBB111_807:
	s_mov_b64 s[54:55], 0
.LBB111_808:
	s_andn2_b64 vcc, exec, s[54:55]
	s_cbranch_vccnz .LBB111_824
; %bb.809:
	s_cmp_lt_i32 s56, 2
	s_mov_b64 s[54:55], -1
	s_cbranch_scc1 .LBB111_819
; %bb.810:
	s_cmp_lt_i32 s56, 3
	s_cbranch_scc1 .LBB111_816
; %bb.811:
	s_cmp_gt_i32 s56, 3
	s_cbranch_scc0 .LBB111_813
; %bb.812:
	s_mov_b32 s54, 0
	v_cndmask_b32_e64 v2, 0, 1, s[50:51]
	s_waitcnt vmcnt(0)
	v_mov_b32_e32 v3, s54
	s_mov_b64 s[54:55], 0
	global_store_dwordx2 v[0:1], v[2:3], off
.LBB111_813:
	s_andn2_b64 vcc, exec, s[54:55]
	s_cbranch_vccnz .LBB111_815
; %bb.814:
	v_cndmask_b32_e64 v2, 0, 1, s[50:51]
	global_store_dword v[0:1], v2, off
.LBB111_815:
	s_mov_b64 s[54:55], 0
.LBB111_816:
	s_andn2_b64 vcc, exec, s[54:55]
	s_cbranch_vccnz .LBB111_818
; %bb.817:
	v_cndmask_b32_e64 v2, 0, 1, s[50:51]
	global_store_short v[0:1], v2, off
.LBB111_818:
	s_mov_b64 s[54:55], 0
.LBB111_819:
	s_andn2_b64 vcc, exec, s[54:55]
	s_cbranch_vccnz .LBB111_824
; %bb.820:
	s_mov_b64 s[54:55], -1
	s_cmp_gt_i32 s56, 0
	v_cndmask_b32_e64 v2, 0, 1, s[50:51]
	s_cbranch_scc0 .LBB111_822
; %bb.821:
	s_mov_b64 s[54:55], 0
	global_store_byte v[0:1], v2, off
.LBB111_822:
	s_andn2_b64 vcc, exec, s[54:55]
	s_cbranch_vccnz .LBB111_824
; %bb.823:
	global_store_byte v[0:1], v2, off
.LBB111_824:
	s_mov_b64 s[54:55], -1
.LBB111_825:
	s_andn2_b64 vcc, exec, s[54:55]
	s_cbranch_vccnz .LBB111_837
; %bb.826:
	v_add_u32_e32 v8, 0x80, v8
	s_mov_b64 s[54:55], -1
.LBB111_827:
	s_andn2_b64 s[50:51], s[38:39], exec
	s_and_b64 s[0:1], s[0:1], exec
	s_or_b64 s[50:51], s[50:51], s[0:1]
	s_andn2_b64 s[0:1], s[40:41], exec
	s_and_b64 s[48:49], s[48:49], exec
	s_or_b64 s[48:49], s[0:1], s[48:49]
	;; [unrolled: 3-line block ×3, first 2 shown]
	s_orn2_b64 s[0:1], s[54:55], exec
.LBB111_828:
	s_or_b64 exec, exec, s[52:53]
	s_mov_b64 s[54:55], 0
	s_mov_b64 s[56:57], 0
	;; [unrolled: 1-line block ×3, first 2 shown]
                                        ; implicit-def: $sgpr74
                                        ; implicit-def: $vgpr3_vgpr4
                                        ; implicit-def: $vgpr0
                                        ; implicit-def: $vgpr2
                                        ; implicit-def: $vgpr5
	s_and_saveexec_b64 s[52:53], s[0:1]
	s_cbranch_execz .LBB111_1342
; %bb.829:
	v_cmp_gt_i32_e32 vcc, s68, v8
	s_mov_b64 s[66:67], -1
	s_mov_b64 s[0:1], s[46:47]
	s_mov_b64 s[58:59], s[48:49]
	;; [unrolled: 1-line block ×3, first 2 shown]
	s_and_saveexec_b64 s[54:55], vcc
	s_cbranch_execz .LBB111_1246
; %bb.830:
	s_andn2_b64 vcc, exec, s[24:25]
	s_cbranch_vccnz .LBB111_836
; %bb.831:
	s_andn2_b64 vcc, exec, s[36:37]
	s_cbranch_vccnz .LBB111_838
; %bb.832:
	s_add_i32 s0, s73, 1
	s_and_b32 s56, s0, 30
	s_add_u32 s0, s2, 0xffffffe8
	s_addc_u32 s1, s3, -1
	v_mov_b32_e32 v2, 0
	v_mov_b32_e32 v4, 0
	;; [unrolled: 1-line block ×4, first 2 shown]
.LBB111_833:                            ; =>This Inner Loop Header: Depth=1
	s_load_dwordx4 s[60:63], s[0:1], 0x1c
	s_load_dwordx2 s[58:59], s[0:1], 0x2c
	s_load_dwordx2 s[74:75], s[0:1], 0xec
	s_load_dwordx4 s[64:67], s[0:1], 0xdc
	s_add_u32 s0, s0, 24
	s_waitcnt vmcnt(0) lgkmcnt(0)
	v_mul_hi_u32 v3, s61, v1
	s_addc_u32 s1, s1, 0
	s_add_i32 s56, s56, -2
	s_cmp_eq_u32 s56, 0
	v_add_u32_e32 v3, v1, v3
	v_lshrrev_b32_e32 v3, s62, v3
	v_mul_lo_u32 v5, v3, s60
	v_mul_hi_u32 v6, s58, v3
	v_sub_u32_e32 v5, v1, v5
	v_add_u32_e32 v1, v3, v6
	v_lshrrev_b32_e32 v1, s59, v1
	v_mul_lo_u32 v9, v1, s63
	v_mul_lo_u32 v6, v5, s64
	;; [unrolled: 1-line block ×4, first 2 shown]
	v_sub_u32_e32 v3, v3, v9
	v_mul_lo_u32 v9, v3, s67
	v_mul_lo_u32 v10, v3, s74
	;; [unrolled: 1-line block ×3, first 2 shown]
	v_add3_u32 v0, v6, v0, v9
	v_add3_u32 v4, v7, v4, v10
	v_add3_u32 v2, v5, v2, v3
	s_cbranch_scc0 .LBB111_833
; %bb.834:
	s_bitcmp1_b32 s73, 0
	s_cselect_b64 s[56:57], -1, 0
	s_and_b64 vcc, exec, s[56:57]
	s_cbranch_vccnz .LBB111_839
; %bb.835:
	s_load_dwordx2 s[56:57], s[0:1], 0x1c
	s_load_dword s60, s[0:1], 0x24
	s_load_dwordx2 s[58:59], s[0:1], 0xdc
	s_waitcnt lgkmcnt(0)
	v_mul_hi_u32 v3, s57, v1
	v_add_u32_e32 v3, v1, v3
	v_lshrrev_b32_e32 v3, s60, v3
	v_mul_lo_u32 v3, v3, s56
	s_load_dword s56, s[0:1], 0xe4
	v_sub_u32_e32 v3, v1, v3
	v_mad_u64_u32 v[0:1], s[0:1], v3, s58, v[0:1]
	v_mad_u64_u32 v[4:5], s[0:1], v3, s59, v[4:5]
	s_waitcnt lgkmcnt(0)
	v_mad_u64_u32 v[2:3], s[0:1], v3, s56, v[2:3]
	s_branch .LBB111_839
.LBB111_836:
	s_mov_b64 s[0:1], -1
                                        ; implicit-def: $vgpr0
                                        ; implicit-def: $vgpr4
                                        ; implicit-def: $vgpr2
	s_branch .LBB111_840
.LBB111_837:
	s_mov_b64 s[54:55], 0
	s_branch .LBB111_568
.LBB111_838:
	v_mov_b32_e32 v0, 0
	v_mov_b32_e32 v4, 0
	;; [unrolled: 1-line block ×3, first 2 shown]
.LBB111_839:
	s_mov_b64 s[0:1], 0
.LBB111_840:
	s_andn2_b64 vcc, exec, s[0:1]
	s_cbranch_vccnz .LBB111_843
; %bb.841:
	v_mul_hi_u32 v0, s17, v8
	s_andn2_b64 vcc, exec, s[34:35]
	v_add_u32_e32 v0, v8, v0
	v_lshrrev_b32_e32 v1, s18, v0
	v_mul_lo_u32 v0, v1, s16
	v_sub_u32_e32 v2, v8, v0
	v_mul_lo_u32 v0, v2, s20
	v_mul_lo_u32 v4, v2, s21
	;; [unrolled: 1-line block ×3, first 2 shown]
	s_cbranch_vccnz .LBB111_843
; %bb.842:
	s_waitcnt vmcnt(0)
	v_mul_hi_u32 v3, s30, v1
	v_add_u32_e32 v3, v1, v3
	v_lshrrev_b32_e32 v3, s31, v3
	v_mul_lo_u32 v3, v3, s19
	v_sub_u32_e32 v3, v1, v3
	v_mad_u64_u32 v[0:1], s[0:1], v3, s23, v[0:1]
	v_mad_u64_u32 v[4:5], s[0:1], v3, s28, v[4:5]
	;; [unrolled: 1-line block ×3, first 2 shown]
.LBB111_843:
	v_mov_b32_e32 v1, s11
	s_and_b32 s62, s72, 0xff
	s_waitcnt vmcnt(0)
	v_add_co_u32_e32 v3, vcc, s10, v4
	s_cmp_lt_i32 s62, 11
	v_addc_co_u32_e32 v4, vcc, 0, v1, vcc
	s_cbranch_scc1 .LBB111_850
; %bb.844:
	s_and_b32 s63, 0xffff, s62
	s_cmp_gt_i32 s63, 25
	s_cbranch_scc0 .LBB111_851
; %bb.845:
	s_cmp_gt_i32 s63, 28
	s_cbranch_scc0 .LBB111_852
; %bb.846:
	;; [unrolled: 3-line block ×4, first 2 shown]
	s_cmp_eq_u32 s63, 46
	s_mov_b64 s[58:59], 0
	s_cbranch_scc0 .LBB111_857
; %bb.849:
	global_load_dword v1, v[3:4], off
	s_mov_b64 s[0:1], -1
	s_mov_b64 s[56:57], 0
	s_waitcnt vmcnt(0)
	v_lshlrev_b32_e32 v5, 16, v1
	s_branch .LBB111_858
.LBB111_850:
	s_mov_b64 s[58:59], -1
	s_mov_b64 s[0:1], 0
                                        ; implicit-def: $vgpr5
	s_mov_b64 s[56:57], s[46:47]
	s_branch .LBB111_923
.LBB111_851:
	s_mov_b64 s[58:59], -1
	s_mov_b64 s[0:1], 0
	s_mov_b64 s[56:57], s[46:47]
                                        ; implicit-def: $vgpr5
	s_branch .LBB111_887
.LBB111_852:
	s_mov_b64 s[58:59], -1
	s_mov_b64 s[0:1], 0
	s_mov_b64 s[56:57], s[46:47]
                                        ; implicit-def: $vgpr5
	s_branch .LBB111_868
.LBB111_853:
	s_mov_b64 s[58:59], -1
	s_mov_b64 s[0:1], 0
	s_mov_b64 s[56:57], s[46:47]
                                        ; implicit-def: $vgpr5
	s_branch .LBB111_863
.LBB111_854:
	s_mov_b64 s[58:59], -1
	s_mov_b64 s[0:1], 0
	s_mov_b64 s[56:57], s[46:47]
                                        ; implicit-def: $vgpr5
	s_branch .LBB111_858
.LBB111_855:
	s_andn2_saveexec_b64 s[58:59], s[58:59]
	s_cbranch_execz .LBB111_738
.LBB111_856:
	v_add_f32_e32 v2, 0x46000000, v3
	v_and_b32_e32 v2, 0xff, v2
	v_cmp_ne_u32_e32 vcc, 0, v2
	s_andn2_b64 s[56:57], s[56:57], exec
	s_and_b64 s[62:63], vcc, exec
	s_or_b64 s[56:57], s[56:57], s[62:63]
	s_or_b64 exec, exec, s[58:59]
	v_mov_b32_e32 v4, 0
	s_and_saveexec_b64 s[58:59], s[56:57]
	s_cbranch_execnz .LBB111_739
	s_branch .LBB111_740
.LBB111_857:
	s_mov_b64 s[56:57], -1
                                        ; implicit-def: $vgpr5
	s_mov_b64 s[0:1], 0
.LBB111_858:
	s_and_b64 vcc, exec, s[58:59]
	s_cbranch_vccz .LBB111_862
; %bb.859:
	s_cmp_eq_u32 s63, 44
	s_cbranch_scc0 .LBB111_861
; %bb.860:
	global_load_ubyte v1, v[3:4], off
	s_movk_i32 s56, 0xff
	v_mov_b32_e32 v5, 0x7f800001
	v_mov_b32_e32 v6, 0x400000
	s_mov_b64 s[0:1], -1
	s_waitcnt vmcnt(0)
	v_lshlrev_b32_e32 v7, 23, v1
	v_cmp_ne_u32_e32 vcc, s56, v1
	v_cndmask_b32_e32 v5, v5, v7, vcc
	v_cmp_ne_u32_e32 vcc, 0, v1
	v_cndmask_b32_e32 v5, v6, v5, vcc
	s_mov_b64 s[56:57], 0
	s_branch .LBB111_862
.LBB111_861:
	s_mov_b64 s[56:57], -1
                                        ; implicit-def: $vgpr5
.LBB111_862:
	s_mov_b64 s[58:59], 0
.LBB111_863:
	s_and_b64 vcc, exec, s[58:59]
	s_cbranch_vccz .LBB111_867
; %bb.864:
	s_cmp_eq_u32 s63, 29
	s_cbranch_scc0 .LBB111_866
; %bb.865:
	global_load_dwordx2 v[5:6], v[3:4], off
	s_mov_b64 s[0:1], -1
	s_mov_b64 s[56:57], 0
	s_mov_b64 s[58:59], 0
	s_waitcnt vmcnt(0)
	v_ffbh_u32_e32 v1, v6
	v_min_u32_e32 v1, 32, v1
	v_lshlrev_b64 v[5:6], v1, v[5:6]
	v_sub_u32_e32 v1, 32, v1
	v_min_u32_e32 v5, 1, v5
	v_or_b32_e32 v5, v6, v5
	v_cvt_f32_u32_e32 v5, v5
	v_ldexp_f32 v5, v5, v1
	s_branch .LBB111_868
.LBB111_866:
	s_mov_b64 s[56:57], -1
                                        ; implicit-def: $vgpr5
.LBB111_867:
	s_mov_b64 s[58:59], 0
.LBB111_868:
	s_and_b64 vcc, exec, s[58:59]
	s_cbranch_vccz .LBB111_886
; %bb.869:
	s_cmp_lt_i32 s63, 27
	s_cbranch_scc1 .LBB111_872
; %bb.870:
	s_cmp_gt_i32 s63, 27
	s_cbranch_scc0 .LBB111_873
; %bb.871:
	global_load_dword v1, v[3:4], off
	s_mov_b64 s[0:1], 0
	s_waitcnt vmcnt(0)
	v_cvt_f32_u32_e32 v5, v1
	s_branch .LBB111_874
.LBB111_872:
	s_mov_b64 s[0:1], -1
                                        ; implicit-def: $vgpr5
	s_branch .LBB111_877
.LBB111_873:
	s_mov_b64 s[0:1], -1
                                        ; implicit-def: $vgpr5
.LBB111_874:
	s_andn2_b64 vcc, exec, s[0:1]
	s_cbranch_vccnz .LBB111_876
; %bb.875:
	global_load_ushort v1, v[3:4], off
	s_waitcnt vmcnt(0)
	v_cvt_f32_u32_e32 v5, v1
.LBB111_876:
	s_mov_b64 s[0:1], 0
.LBB111_877:
	s_andn2_b64 vcc, exec, s[0:1]
	s_cbranch_vccnz .LBB111_885
; %bb.878:
	global_load_ubyte v1, v[3:4], off
	s_movk_i32 s0, 0x7f
	s_waitcnt vmcnt(0)
	v_cmp_lt_i16_e32 vcc, s0, v1
	s_mov_b64 s[0:1], 0
	s_and_saveexec_b64 s[58:59], vcc
	s_xor_b64 s[58:59], exec, s[58:59]
	s_cbranch_execz .LBB111_899
; %bb.879:
	s_movk_i32 s0, 0x80
	v_cmp_eq_u16_e32 vcc, s0, v1
	s_mov_b64 s[0:1], -1
	s_and_saveexec_b64 s[60:61], vcc
; %bb.880:
	s_xor_b64 s[0:1], exec, -1
; %bb.881:
	s_or_b64 exec, exec, s[60:61]
	s_and_b64 s[0:1], s[0:1], exec
	s_or_saveexec_b64 s[58:59], s[58:59]
	v_mov_b32_e32 v5, 0x7f800001
	s_xor_b64 exec, exec, s[58:59]
	s_cbranch_execnz .LBB111_900
.LBB111_882:
	s_or_b64 exec, exec, s[58:59]
	s_and_saveexec_b64 s[58:59], s[0:1]
	s_cbranch_execz .LBB111_884
.LBB111_883:
	v_lshlrev_b32_e32 v5, 24, v1
	v_and_b32_e32 v1, 0xffff, v1
	v_and_b32_e32 v6, 7, v1
	v_ffbh_u32_e32 v9, v6
	v_min_u32_e32 v9, 32, v9
	v_subrev_u32_e32 v10, 28, v9
	v_bfe_u32 v7, v1, 3, 4
	v_lshlrev_b32_e32 v1, v10, v1
	v_sub_u32_e32 v9, 29, v9
	v_and_b32_e32 v1, 7, v1
	v_cmp_eq_u32_e32 vcc, 0, v7
	v_cndmask_b32_e32 v7, v7, v9, vcc
	v_cndmask_b32_e32 v1, v6, v1, vcc
	v_mov_b32_e32 v6, 0x3b800000
	v_lshlrev_b32_e32 v1, 20, v1
	v_and_b32_e32 v5, 0x80000000, v5
	v_lshl_add_u32 v6, v7, 23, v6
	v_or3_b32 v5, v5, v6, v1
.LBB111_884:
	s_or_b64 exec, exec, s[58:59]
.LBB111_885:
	s_mov_b64 s[0:1], -1
.LBB111_886:
	s_mov_b64 s[58:59], 0
.LBB111_887:
	s_and_b64 vcc, exec, s[58:59]
	s_cbranch_vccz .LBB111_922
; %bb.888:
	s_cmp_gt_i32 s63, 22
	s_cbranch_scc0 .LBB111_898
; %bb.889:
	s_cmp_lt_i32 s63, 24
	s_cbranch_scc1 .LBB111_901
; %bb.890:
	s_cmp_gt_i32 s63, 24
	s_cbranch_scc0 .LBB111_902
; %bb.891:
	global_load_ubyte v1, v[3:4], off
	s_movk_i32 s0, 0x7f
	s_waitcnt vmcnt(0)
	v_cmp_lt_i16_e32 vcc, s0, v1
	s_mov_b64 s[0:1], 0
	s_and_saveexec_b64 s[58:59], vcc
	s_xor_b64 s[58:59], exec, s[58:59]
	s_cbranch_execz .LBB111_914
; %bb.892:
	s_movk_i32 s0, 0x80
	v_cmp_eq_u16_e32 vcc, s0, v1
	s_mov_b64 s[0:1], -1
	s_and_saveexec_b64 s[60:61], vcc
; %bb.893:
	s_xor_b64 s[0:1], exec, -1
; %bb.894:
	s_or_b64 exec, exec, s[60:61]
	s_and_b64 s[0:1], s[0:1], exec
	s_or_saveexec_b64 s[58:59], s[58:59]
	v_mov_b32_e32 v5, 0x7f800001
	s_xor_b64 exec, exec, s[58:59]
	s_cbranch_execnz .LBB111_915
.LBB111_895:
	s_or_b64 exec, exec, s[58:59]
	s_and_saveexec_b64 s[58:59], s[0:1]
	s_cbranch_execz .LBB111_897
.LBB111_896:
	v_lshlrev_b32_e32 v5, 24, v1
	v_and_b32_e32 v1, 0xffff, v1
	v_and_b32_e32 v6, 3, v1
	v_ffbh_u32_e32 v9, v6
	v_min_u32_e32 v9, 32, v9
	v_subrev_u32_e32 v10, 29, v9
	v_bfe_u32 v7, v1, 2, 5
	v_lshlrev_b32_e32 v1, v10, v1
	v_sub_u32_e32 v9, 30, v9
	v_and_b32_e32 v1, 3, v1
	v_cmp_eq_u32_e32 vcc, 0, v7
	v_cndmask_b32_e32 v7, v7, v9, vcc
	v_cndmask_b32_e32 v1, v6, v1, vcc
	v_mov_b32_e32 v6, 0x37800000
	v_lshlrev_b32_e32 v1, 21, v1
	v_and_b32_e32 v5, 0x80000000, v5
	v_lshl_add_u32 v6, v7, 23, v6
	v_or3_b32 v5, v5, v6, v1
.LBB111_897:
	s_or_b64 exec, exec, s[58:59]
	s_mov_b64 s[0:1], 0
	s_branch .LBB111_903
.LBB111_898:
	s_mov_b64 s[58:59], -1
                                        ; implicit-def: $vgpr5
	s_branch .LBB111_909
.LBB111_899:
	s_or_saveexec_b64 s[58:59], s[58:59]
	v_mov_b32_e32 v5, 0x7f800001
	s_xor_b64 exec, exec, s[58:59]
	s_cbranch_execz .LBB111_882
.LBB111_900:
	v_cmp_ne_u16_e32 vcc, 0, v1
	s_andn2_b64 s[0:1], s[0:1], exec
	s_and_b64 s[60:61], vcc, exec
	v_mov_b32_e32 v5, 0
	s_or_b64 s[0:1], s[0:1], s[60:61]
	s_or_b64 exec, exec, s[58:59]
	s_and_saveexec_b64 s[58:59], s[0:1]
	s_cbranch_execnz .LBB111_883
	s_branch .LBB111_884
.LBB111_901:
	s_mov_b64 s[0:1], -1
                                        ; implicit-def: $vgpr5
	s_branch .LBB111_906
.LBB111_902:
	s_mov_b64 s[0:1], -1
                                        ; implicit-def: $vgpr5
.LBB111_903:
	s_and_b64 vcc, exec, s[0:1]
	s_cbranch_vccz .LBB111_905
; %bb.904:
	global_load_ubyte v1, v[3:4], off
	s_mov_b32 s0, 0x7f800000
	s_waitcnt vmcnt(0)
	v_lshlrev_b32_e32 v1, 24, v1
	v_and_b32_e32 v5, 0x7f000000, v1
	v_ffbh_u32_e32 v6, v5
	v_min_u32_e32 v6, 32, v6
	v_sub_u32_e64 v6, v6, 4 clamp
	v_lshlrev_b32_e32 v9, v6, v5
	v_lshlrev_b32_e32 v6, 23, v6
	v_lshrrev_b32_e32 v9, 4, v9
	v_add_u32_e32 v7, 0x1000000, v5
	v_sub_u32_e32 v6, v9, v6
	v_ashrrev_i32_e32 v7, 8, v7
	v_add_u32_e32 v6, 0x3c000000, v6
	v_and_or_b32 v6, v7, s0, v6
	v_cmp_ne_u32_e32 vcc, 0, v5
	v_cndmask_b32_e32 v5, 0, v6, vcc
	s_brev_b32 s0, 1
	v_and_or_b32 v5, v1, s0, v5
.LBB111_905:
	s_mov_b64 s[0:1], 0
.LBB111_906:
	s_andn2_b64 vcc, exec, s[0:1]
	s_cbranch_vccnz .LBB111_908
; %bb.907:
	global_load_ubyte v1, v[3:4], off
	s_movk_i32 s0, 0x7f00
	s_brev_b32 s1, 16
	s_waitcnt vmcnt(0)
	v_lshlrev_b16_e32 v5, 8, v1
	v_lshlrev_b32_e32 v1, 25, v1
	v_lshrrev_b32_e32 v6, 4, v1
	v_and_or_b32 v7, v5, s0, 0.5
	v_or_b32_e32 v6, 0x70000000, v6
	v_add_f32_e32 v7, -0.5, v7
	v_mul_f32_e32 v6, 0x7800000, v6
	v_cmp_gt_u32_e32 vcc, s1, v1
	v_bfe_i32 v5, v5, 0, 16
	v_cndmask_b32_e32 v1, v6, v7, vcc
	s_brev_b32 s0, 1
	v_and_or_b32 v5, v5, s0, v1
.LBB111_908:
	s_mov_b64 s[58:59], 0
	s_mov_b64 s[0:1], -1
.LBB111_909:
	s_andn2_b64 vcc, exec, s[58:59]
	s_cbranch_vccnz .LBB111_922
; %bb.910:
	s_cmp_gt_i32 s63, 14
	s_cbranch_scc0 .LBB111_913
; %bb.911:
	s_cmp_eq_u32 s63, 15
	s_cbranch_scc0 .LBB111_916
; %bb.912:
	global_load_ushort v1, v[3:4], off
	s_mov_b64 s[0:1], -1
	s_mov_b64 s[56:57], 0
	s_waitcnt vmcnt(0)
	v_lshlrev_b32_e32 v5, 16, v1
	s_branch .LBB111_917
.LBB111_913:
	s_mov_b64 s[58:59], -1
                                        ; implicit-def: $vgpr5
	s_branch .LBB111_918
.LBB111_914:
	s_or_saveexec_b64 s[58:59], s[58:59]
	v_mov_b32_e32 v5, 0x7f800001
	s_xor_b64 exec, exec, s[58:59]
	s_cbranch_execz .LBB111_895
.LBB111_915:
	v_cmp_ne_u16_e32 vcc, 0, v1
	s_andn2_b64 s[0:1], s[0:1], exec
	s_and_b64 s[60:61], vcc, exec
	v_mov_b32_e32 v5, 0
	s_or_b64 s[0:1], s[0:1], s[60:61]
	s_or_b64 exec, exec, s[58:59]
	s_and_saveexec_b64 s[58:59], s[0:1]
	s_cbranch_execnz .LBB111_896
	s_branch .LBB111_897
.LBB111_916:
	s_mov_b64 s[56:57], -1
                                        ; implicit-def: $vgpr5
.LBB111_917:
	s_mov_b64 s[58:59], 0
.LBB111_918:
	s_and_b64 vcc, exec, s[58:59]
	s_cbranch_vccz .LBB111_922
; %bb.919:
	s_cmp_eq_u32 s63, 11
	s_cbranch_scc0 .LBB111_921
; %bb.920:
	global_load_ubyte v1, v[3:4], off
	s_mov_b64 s[0:1], -1
	s_mov_b64 s[56:57], 0
	s_waitcnt vmcnt(0)
	v_cmp_ne_u16_e32 vcc, 0, v1
	v_cndmask_b32_e64 v5, 0, 1.0, vcc
	s_branch .LBB111_922
.LBB111_921:
	s_mov_b64 s[56:57], -1
                                        ; implicit-def: $vgpr5
.LBB111_922:
	s_mov_b64 s[58:59], 0
.LBB111_923:
	s_and_b64 vcc, exec, s[58:59]
	s_cbranch_vccz .LBB111_972
; %bb.924:
	s_and_b32 s58, 0xffff, s62
	s_cmp_lt_i32 s58, 5
	s_cbranch_scc1 .LBB111_929
; %bb.925:
	s_cmp_lt_i32 s58, 8
	s_cbranch_scc1 .LBB111_930
; %bb.926:
	;; [unrolled: 3-line block ×3, first 2 shown]
	s_cmp_gt_i32 s58, 9
	s_cbranch_scc0 .LBB111_932
; %bb.928:
	global_load_dwordx2 v[5:6], v[3:4], off
	s_mov_b64 s[0:1], 0
	s_waitcnt vmcnt(0)
	v_cvt_f32_f64_e32 v5, v[5:6]
	s_branch .LBB111_933
.LBB111_929:
	s_mov_b64 s[0:1], -1
                                        ; implicit-def: $vgpr5
	s_branch .LBB111_951
.LBB111_930:
	s_mov_b64 s[0:1], -1
                                        ; implicit-def: $vgpr5
	s_branch .LBB111_939
.LBB111_931:
	s_mov_b64 s[0:1], -1
                                        ; implicit-def: $vgpr5
	s_branch .LBB111_936
.LBB111_932:
	s_mov_b64 s[0:1], -1
                                        ; implicit-def: $vgpr5
.LBB111_933:
	s_andn2_b64 vcc, exec, s[0:1]
	s_cbranch_vccnz .LBB111_935
; %bb.934:
	global_load_dword v5, v[3:4], off
.LBB111_935:
	s_mov_b64 s[0:1], 0
.LBB111_936:
	s_andn2_b64 vcc, exec, s[0:1]
	s_cbranch_vccnz .LBB111_938
; %bb.937:
	global_load_dword v1, v[3:4], off
	s_waitcnt vmcnt(0)
	v_cvt_f32_f16_e32 v5, v1
.LBB111_938:
	s_mov_b64 s[0:1], 0
.LBB111_939:
	s_andn2_b64 vcc, exec, s[0:1]
	s_cbranch_vccnz .LBB111_950
; %bb.940:
	s_cmp_lt_i32 s58, 6
	s_cbranch_scc1 .LBB111_943
; %bb.941:
	s_cmp_gt_i32 s58, 6
	s_cbranch_scc0 .LBB111_944
; %bb.942:
	global_load_dwordx2 v[5:6], v[3:4], off
	s_mov_b64 s[0:1], 0
	s_waitcnt vmcnt(0)
	v_cvt_f32_f64_e32 v5, v[5:6]
	s_branch .LBB111_945
.LBB111_943:
	s_mov_b64 s[0:1], -1
                                        ; implicit-def: $vgpr5
	s_branch .LBB111_948
.LBB111_944:
	s_mov_b64 s[0:1], -1
                                        ; implicit-def: $vgpr5
.LBB111_945:
	s_andn2_b64 vcc, exec, s[0:1]
	s_cbranch_vccnz .LBB111_947
; %bb.946:
	global_load_dword v5, v[3:4], off
.LBB111_947:
	s_mov_b64 s[0:1], 0
.LBB111_948:
	s_andn2_b64 vcc, exec, s[0:1]
	s_cbranch_vccnz .LBB111_950
; %bb.949:
	global_load_ushort v1, v[3:4], off
	s_waitcnt vmcnt(0)
	v_cvt_f32_f16_e32 v5, v1
.LBB111_950:
	s_mov_b64 s[0:1], 0
.LBB111_951:
	s_andn2_b64 vcc, exec, s[0:1]
	s_cbranch_vccnz .LBB111_971
; %bb.952:
	s_cmp_lt_i32 s58, 2
	s_cbranch_scc1 .LBB111_956
; %bb.953:
	s_cmp_lt_i32 s58, 3
	s_cbranch_scc1 .LBB111_957
; %bb.954:
	s_cmp_gt_i32 s58, 3
	s_cbranch_scc0 .LBB111_958
; %bb.955:
	global_load_dwordx2 v[5:6], v[3:4], off
	s_mov_b64 s[0:1], 0
	s_waitcnt vmcnt(0)
	v_xor_b32_e32 v7, v5, v6
	v_ffbh_i32_e32 v1, v6
	v_ashrrev_i32_e32 v7, 31, v7
	v_add_u32_e32 v1, -1, v1
	v_add_u32_e32 v7, 32, v7
	v_min_u32_e32 v1, v1, v7
	v_lshlrev_b64 v[5:6], v1, v[5:6]
	v_sub_u32_e32 v1, 32, v1
	v_min_u32_e32 v5, 1, v5
	v_or_b32_e32 v5, v6, v5
	v_cvt_f32_i32_e32 v5, v5
	v_ldexp_f32 v5, v5, v1
	s_branch .LBB111_959
.LBB111_956:
	s_mov_b64 s[0:1], -1
                                        ; implicit-def: $vgpr5
	s_branch .LBB111_965
.LBB111_957:
	s_mov_b64 s[0:1], -1
                                        ; implicit-def: $vgpr5
	s_branch .LBB111_962
.LBB111_958:
	s_mov_b64 s[0:1], -1
                                        ; implicit-def: $vgpr5
.LBB111_959:
	s_andn2_b64 vcc, exec, s[0:1]
	s_cbranch_vccnz .LBB111_961
; %bb.960:
	global_load_dword v1, v[3:4], off
	s_waitcnt vmcnt(0)
	v_cvt_f32_i32_e32 v5, v1
.LBB111_961:
	s_mov_b64 s[0:1], 0
.LBB111_962:
	s_andn2_b64 vcc, exec, s[0:1]
	s_cbranch_vccnz .LBB111_964
; %bb.963:
	global_load_sshort v1, v[3:4], off
	s_waitcnt vmcnt(0)
	v_cvt_f32_i32_e32 v5, v1
.LBB111_964:
	s_mov_b64 s[0:1], 0
.LBB111_965:
	s_andn2_b64 vcc, exec, s[0:1]
	s_cbranch_vccnz .LBB111_971
; %bb.966:
	s_cmp_gt_i32 s58, 0
	s_cbranch_scc0 .LBB111_968
; %bb.967:
	global_load_sbyte v1, v[3:4], off
	s_mov_b64 s[0:1], 0
	s_waitcnt vmcnt(0)
	v_cvt_f32_i32_e32 v5, v1
	s_branch .LBB111_969
.LBB111_968:
	s_mov_b64 s[0:1], -1
                                        ; implicit-def: $vgpr5
.LBB111_969:
	s_andn2_b64 vcc, exec, s[0:1]
	s_cbranch_vccnz .LBB111_971
; %bb.970:
	global_load_ubyte v1, v[3:4], off
	s_waitcnt vmcnt(0)
	v_cvt_f32_ubyte0_e32 v5, v1
.LBB111_971:
	s_mov_b64 s[0:1], -1
.LBB111_972:
	s_andn2_b64 vcc, exec, s[0:1]
	s_cbranch_vccnz .LBB111_980
; %bb.973:
	v_mov_b32_e32 v3, s13
	s_and_b32 s64, s71, 0xff
	v_add_co_u32_e32 v1, vcc, s12, v2
	s_cmp_lt_i32 s64, 11
	v_addc_co_u32_e32 v2, vcc, 0, v3, vcc
	s_cbranch_scc1 .LBB111_982
; %bb.974:
	s_and_b32 s65, 0xffff, s64
	s_cmp_gt_i32 s65, 25
	s_cbranch_scc0 .LBB111_983
; %bb.975:
	s_cmp_gt_i32 s65, 28
	s_cbranch_scc0 .LBB111_984
; %bb.976:
	;; [unrolled: 3-line block ×4, first 2 shown]
	s_cmp_eq_u32 s65, 46
	s_mov_b64 s[60:61], 0
	s_cbranch_scc0 .LBB111_989
; %bb.979:
	global_load_dword v3, v[1:2], off
	s_mov_b64 s[0:1], -1
	s_mov_b64 s[58:59], 0
	s_waitcnt vmcnt(0)
	v_lshlrev_b32_e32 v3, 16, v3
	s_branch .LBB111_990
.LBB111_980:
	s_mov_b64 s[62:63], 0
	s_mov_b64 s[0:1], s[50:51]
	;; [unrolled: 1-line block ×3, first 2 shown]
.LBB111_981:
                                        ; implicit-def: $vgpr8
	s_branch .LBB111_1245
.LBB111_982:
	s_mov_b64 s[60:61], -1
	s_mov_b64 s[0:1], 0
                                        ; implicit-def: $vgpr3
	s_mov_b64 s[58:59], s[48:49]
	s_branch .LBB111_1055
.LBB111_983:
	s_mov_b64 s[60:61], -1
	s_mov_b64 s[0:1], 0
	s_mov_b64 s[58:59], s[48:49]
                                        ; implicit-def: $vgpr3
	s_branch .LBB111_1019
.LBB111_984:
	s_mov_b64 s[60:61], -1
	s_mov_b64 s[0:1], 0
	s_mov_b64 s[58:59], s[48:49]
                                        ; implicit-def: $vgpr3
	s_branch .LBB111_1000
.LBB111_985:
	s_mov_b64 s[60:61], -1
	s_mov_b64 s[0:1], 0
	s_mov_b64 s[58:59], s[48:49]
                                        ; implicit-def: $vgpr3
	s_branch .LBB111_995
.LBB111_986:
	s_mov_b64 s[60:61], -1
	s_mov_b64 s[0:1], 0
	s_mov_b64 s[58:59], s[48:49]
                                        ; implicit-def: $vgpr3
	s_branch .LBB111_990
.LBB111_987:
	s_andn2_saveexec_b64 s[58:59], s[58:59]
	s_cbranch_execz .LBB111_751
.LBB111_988:
	v_add_f32_e32 v2, 0x42800000, v3
	v_and_b32_e32 v2, 0xff, v2
	v_cmp_ne_u32_e32 vcc, 0, v2
	s_andn2_b64 s[56:57], s[56:57], exec
	s_and_b64 s[62:63], vcc, exec
	s_or_b64 s[56:57], s[56:57], s[62:63]
	s_or_b64 exec, exec, s[58:59]
	v_mov_b32_e32 v4, 0
	s_and_saveexec_b64 s[58:59], s[56:57]
	s_cbranch_execnz .LBB111_752
	s_branch .LBB111_753
.LBB111_989:
	s_mov_b64 s[58:59], -1
                                        ; implicit-def: $vgpr3
	s_mov_b64 s[0:1], 0
.LBB111_990:
	s_and_b64 vcc, exec, s[60:61]
	s_cbranch_vccz .LBB111_994
; %bb.991:
	s_cmp_eq_u32 s65, 44
	s_cbranch_scc0 .LBB111_993
; %bb.992:
	global_load_ubyte v3, v[1:2], off
	s_movk_i32 s58, 0xff
	v_mov_b32_e32 v4, 0x7f800001
	v_mov_b32_e32 v6, 0x400000
	s_mov_b64 s[0:1], -1
	s_waitcnt vmcnt(0)
	v_lshlrev_b32_e32 v7, 23, v3
	v_cmp_ne_u32_e32 vcc, s58, v3
	v_cndmask_b32_e32 v4, v4, v7, vcc
	v_cmp_ne_u32_e32 vcc, 0, v3
	v_cndmask_b32_e32 v3, v6, v4, vcc
	s_mov_b64 s[58:59], 0
	s_branch .LBB111_994
.LBB111_993:
	s_mov_b64 s[58:59], -1
                                        ; implicit-def: $vgpr3
.LBB111_994:
	s_mov_b64 s[60:61], 0
.LBB111_995:
	s_and_b64 vcc, exec, s[60:61]
	s_cbranch_vccz .LBB111_999
; %bb.996:
	s_cmp_eq_u32 s65, 29
	s_cbranch_scc0 .LBB111_998
; %bb.997:
	global_load_dwordx2 v[3:4], v[1:2], off
	s_mov_b64 s[0:1], -1
	s_mov_b64 s[58:59], 0
	s_mov_b64 s[60:61], 0
	s_waitcnt vmcnt(0)
	v_ffbh_u32_e32 v6, v4
	v_min_u32_e32 v6, 32, v6
	v_lshlrev_b64 v[3:4], v6, v[3:4]
	v_min_u32_e32 v3, 1, v3
	v_or_b32_e32 v3, v4, v3
	v_cvt_f32_u32_e32 v3, v3
	v_sub_u32_e32 v4, 32, v6
	v_ldexp_f32 v3, v3, v4
	s_branch .LBB111_1000
.LBB111_998:
	s_mov_b64 s[58:59], -1
                                        ; implicit-def: $vgpr3
.LBB111_999:
	s_mov_b64 s[60:61], 0
.LBB111_1000:
	s_and_b64 vcc, exec, s[60:61]
	s_cbranch_vccz .LBB111_1018
; %bb.1001:
	s_cmp_lt_i32 s65, 27
	s_cbranch_scc1 .LBB111_1004
; %bb.1002:
	s_cmp_gt_i32 s65, 27
	s_cbranch_scc0 .LBB111_1005
; %bb.1003:
	global_load_dword v3, v[1:2], off
	s_mov_b64 s[0:1], 0
	s_waitcnt vmcnt(0)
	v_cvt_f32_u32_e32 v3, v3
	s_branch .LBB111_1006
.LBB111_1004:
	s_mov_b64 s[0:1], -1
                                        ; implicit-def: $vgpr3
	s_branch .LBB111_1009
.LBB111_1005:
	s_mov_b64 s[0:1], -1
                                        ; implicit-def: $vgpr3
.LBB111_1006:
	s_andn2_b64 vcc, exec, s[0:1]
	s_cbranch_vccnz .LBB111_1008
; %bb.1007:
	global_load_ushort v3, v[1:2], off
	s_waitcnt vmcnt(0)
	v_cvt_f32_u32_e32 v3, v3
.LBB111_1008:
	s_mov_b64 s[0:1], 0
.LBB111_1009:
	s_andn2_b64 vcc, exec, s[0:1]
	s_cbranch_vccnz .LBB111_1017
; %bb.1010:
	global_load_ubyte v4, v[1:2], off
	s_movk_i32 s0, 0x7f
	s_waitcnt vmcnt(0)
	v_cmp_lt_i16_e32 vcc, s0, v4
	s_mov_b64 s[0:1], 0
	s_and_saveexec_b64 s[60:61], vcc
	s_xor_b64 s[60:61], exec, s[60:61]
	s_cbranch_execz .LBB111_1031
; %bb.1011:
	s_movk_i32 s0, 0x80
	v_cmp_eq_u16_e32 vcc, s0, v4
	s_mov_b64 s[0:1], -1
	s_and_saveexec_b64 s[62:63], vcc
; %bb.1012:
	s_xor_b64 s[0:1], exec, -1
; %bb.1013:
	s_or_b64 exec, exec, s[62:63]
	s_and_b64 s[0:1], s[0:1], exec
	s_or_saveexec_b64 s[60:61], s[60:61]
	v_mov_b32_e32 v3, 0x7f800001
	s_xor_b64 exec, exec, s[60:61]
	s_cbranch_execnz .LBB111_1032
.LBB111_1014:
	s_or_b64 exec, exec, s[60:61]
	s_and_saveexec_b64 s[60:61], s[0:1]
	s_cbranch_execz .LBB111_1016
.LBB111_1015:
	v_lshlrev_b32_e32 v3, 24, v4
	v_and_b32_e32 v4, 0xffff, v4
	v_and_b32_e32 v6, 7, v4
	v_ffbh_u32_e32 v9, v6
	v_min_u32_e32 v9, 32, v9
	v_subrev_u32_e32 v10, 28, v9
	v_bfe_u32 v7, v4, 3, 4
	v_lshlrev_b32_e32 v4, v10, v4
	v_sub_u32_e32 v9, 29, v9
	v_and_b32_e32 v4, 7, v4
	v_cmp_eq_u32_e32 vcc, 0, v7
	v_cndmask_b32_e32 v7, v7, v9, vcc
	v_cndmask_b32_e32 v4, v6, v4, vcc
	v_mov_b32_e32 v6, 0x3b800000
	v_lshlrev_b32_e32 v4, 20, v4
	v_and_b32_e32 v3, 0x80000000, v3
	v_lshl_add_u32 v6, v7, 23, v6
	v_or3_b32 v3, v3, v6, v4
.LBB111_1016:
	s_or_b64 exec, exec, s[60:61]
.LBB111_1017:
	s_mov_b64 s[0:1], -1
.LBB111_1018:
	s_mov_b64 s[60:61], 0
.LBB111_1019:
	s_and_b64 vcc, exec, s[60:61]
	s_cbranch_vccz .LBB111_1054
; %bb.1020:
	s_cmp_gt_i32 s65, 22
	s_cbranch_scc0 .LBB111_1030
; %bb.1021:
	s_cmp_lt_i32 s65, 24
	s_cbranch_scc1 .LBB111_1033
; %bb.1022:
	s_cmp_gt_i32 s65, 24
	s_cbranch_scc0 .LBB111_1034
; %bb.1023:
	global_load_ubyte v4, v[1:2], off
	s_movk_i32 s0, 0x7f
	s_waitcnt vmcnt(0)
	v_cmp_lt_i16_e32 vcc, s0, v4
	s_mov_b64 s[0:1], 0
	s_and_saveexec_b64 s[60:61], vcc
	s_xor_b64 s[60:61], exec, s[60:61]
	s_cbranch_execz .LBB111_1046
; %bb.1024:
	s_movk_i32 s0, 0x80
	v_cmp_eq_u16_e32 vcc, s0, v4
	s_mov_b64 s[0:1], -1
	s_and_saveexec_b64 s[62:63], vcc
; %bb.1025:
	s_xor_b64 s[0:1], exec, -1
; %bb.1026:
	s_or_b64 exec, exec, s[62:63]
	s_and_b64 s[0:1], s[0:1], exec
	s_or_saveexec_b64 s[60:61], s[60:61]
	v_mov_b32_e32 v3, 0x7f800001
	s_xor_b64 exec, exec, s[60:61]
	s_cbranch_execnz .LBB111_1047
.LBB111_1027:
	s_or_b64 exec, exec, s[60:61]
	s_and_saveexec_b64 s[60:61], s[0:1]
	s_cbranch_execz .LBB111_1029
.LBB111_1028:
	v_lshlrev_b32_e32 v3, 24, v4
	v_and_b32_e32 v4, 0xffff, v4
	v_and_b32_e32 v6, 3, v4
	v_ffbh_u32_e32 v9, v6
	v_min_u32_e32 v9, 32, v9
	v_subrev_u32_e32 v10, 29, v9
	v_bfe_u32 v7, v4, 2, 5
	v_lshlrev_b32_e32 v4, v10, v4
	v_sub_u32_e32 v9, 30, v9
	v_and_b32_e32 v4, 3, v4
	v_cmp_eq_u32_e32 vcc, 0, v7
	v_cndmask_b32_e32 v7, v7, v9, vcc
	v_cndmask_b32_e32 v4, v6, v4, vcc
	v_mov_b32_e32 v6, 0x37800000
	v_lshlrev_b32_e32 v4, 21, v4
	v_and_b32_e32 v3, 0x80000000, v3
	v_lshl_add_u32 v6, v7, 23, v6
	v_or3_b32 v3, v3, v6, v4
.LBB111_1029:
	s_or_b64 exec, exec, s[60:61]
	s_mov_b64 s[0:1], 0
	s_branch .LBB111_1035
.LBB111_1030:
	s_mov_b64 s[60:61], -1
                                        ; implicit-def: $vgpr3
	s_branch .LBB111_1041
.LBB111_1031:
	s_or_saveexec_b64 s[60:61], s[60:61]
	v_mov_b32_e32 v3, 0x7f800001
	s_xor_b64 exec, exec, s[60:61]
	s_cbranch_execz .LBB111_1014
.LBB111_1032:
	v_cmp_ne_u16_e32 vcc, 0, v4
	s_andn2_b64 s[0:1], s[0:1], exec
	s_and_b64 s[62:63], vcc, exec
	v_mov_b32_e32 v3, 0
	s_or_b64 s[0:1], s[0:1], s[62:63]
	s_or_b64 exec, exec, s[60:61]
	s_and_saveexec_b64 s[60:61], s[0:1]
	s_cbranch_execnz .LBB111_1015
	s_branch .LBB111_1016
.LBB111_1033:
	s_mov_b64 s[0:1], -1
                                        ; implicit-def: $vgpr3
	s_branch .LBB111_1038
.LBB111_1034:
	s_mov_b64 s[0:1], -1
                                        ; implicit-def: $vgpr3
.LBB111_1035:
	s_and_b64 vcc, exec, s[0:1]
	s_cbranch_vccz .LBB111_1037
; %bb.1036:
	global_load_ubyte v3, v[1:2], off
	s_mov_b32 s0, 0x7f800000
	s_waitcnt vmcnt(0)
	v_lshlrev_b32_e32 v3, 24, v3
	v_and_b32_e32 v4, 0x7f000000, v3
	v_ffbh_u32_e32 v6, v4
	v_min_u32_e32 v6, 32, v6
	v_sub_u32_e64 v6, v6, 4 clamp
	v_lshlrev_b32_e32 v9, v6, v4
	v_lshlrev_b32_e32 v6, 23, v6
	v_lshrrev_b32_e32 v9, 4, v9
	v_add_u32_e32 v7, 0x1000000, v4
	v_sub_u32_e32 v6, v9, v6
	v_ashrrev_i32_e32 v7, 8, v7
	v_add_u32_e32 v6, 0x3c000000, v6
	v_and_or_b32 v6, v7, s0, v6
	v_cmp_ne_u32_e32 vcc, 0, v4
	v_cndmask_b32_e32 v4, 0, v6, vcc
	s_brev_b32 s0, 1
	v_and_or_b32 v3, v3, s0, v4
.LBB111_1037:
	s_mov_b64 s[0:1], 0
.LBB111_1038:
	s_andn2_b64 vcc, exec, s[0:1]
	s_cbranch_vccnz .LBB111_1040
; %bb.1039:
	global_load_ubyte v3, v[1:2], off
	s_movk_i32 s0, 0x7f00
	s_brev_b32 s1, 16
	s_waitcnt vmcnt(0)
	v_lshlrev_b16_e32 v4, 8, v3
	v_lshlrev_b32_e32 v3, 25, v3
	v_lshrrev_b32_e32 v6, 4, v3
	v_and_or_b32 v7, v4, s0, 0.5
	v_or_b32_e32 v6, 0x70000000, v6
	v_add_f32_e32 v7, -0.5, v7
	v_mul_f32_e32 v6, 0x7800000, v6
	v_cmp_gt_u32_e32 vcc, s1, v3
	v_bfe_i32 v4, v4, 0, 16
	v_cndmask_b32_e32 v3, v6, v7, vcc
	s_brev_b32 s0, 1
	v_and_or_b32 v3, v4, s0, v3
.LBB111_1040:
	s_mov_b64 s[60:61], 0
	s_mov_b64 s[0:1], -1
.LBB111_1041:
	s_andn2_b64 vcc, exec, s[60:61]
	s_cbranch_vccnz .LBB111_1054
; %bb.1042:
	s_cmp_gt_i32 s65, 14
	s_cbranch_scc0 .LBB111_1045
; %bb.1043:
	s_cmp_eq_u32 s65, 15
	s_cbranch_scc0 .LBB111_1048
; %bb.1044:
	global_load_ushort v3, v[1:2], off
	s_mov_b64 s[0:1], -1
	s_mov_b64 s[58:59], 0
	s_waitcnt vmcnt(0)
	v_lshlrev_b32_e32 v3, 16, v3
	s_branch .LBB111_1049
.LBB111_1045:
	s_mov_b64 s[60:61], -1
                                        ; implicit-def: $vgpr3
	s_branch .LBB111_1050
.LBB111_1046:
	s_or_saveexec_b64 s[60:61], s[60:61]
	v_mov_b32_e32 v3, 0x7f800001
	s_xor_b64 exec, exec, s[60:61]
	s_cbranch_execz .LBB111_1027
.LBB111_1047:
	v_cmp_ne_u16_e32 vcc, 0, v4
	s_andn2_b64 s[0:1], s[0:1], exec
	s_and_b64 s[62:63], vcc, exec
	v_mov_b32_e32 v3, 0
	s_or_b64 s[0:1], s[0:1], s[62:63]
	s_or_b64 exec, exec, s[60:61]
	s_and_saveexec_b64 s[60:61], s[0:1]
	s_cbranch_execnz .LBB111_1028
	s_branch .LBB111_1029
.LBB111_1048:
	s_mov_b64 s[58:59], -1
                                        ; implicit-def: $vgpr3
.LBB111_1049:
	s_mov_b64 s[60:61], 0
.LBB111_1050:
	s_and_b64 vcc, exec, s[60:61]
	s_cbranch_vccz .LBB111_1054
; %bb.1051:
	s_cmp_eq_u32 s65, 11
	s_cbranch_scc0 .LBB111_1053
; %bb.1052:
	global_load_ubyte v3, v[1:2], off
	s_mov_b64 s[0:1], -1
	s_mov_b64 s[58:59], 0
	s_waitcnt vmcnt(0)
	v_cmp_ne_u16_e32 vcc, 0, v3
	v_cndmask_b32_e64 v3, 0, 1.0, vcc
	s_branch .LBB111_1054
.LBB111_1053:
	s_mov_b64 s[58:59], -1
                                        ; implicit-def: $vgpr3
.LBB111_1054:
	s_mov_b64 s[60:61], 0
.LBB111_1055:
	s_and_b64 vcc, exec, s[60:61]
	s_cbranch_vccz .LBB111_1104
; %bb.1056:
	s_and_b32 s60, 0xffff, s64
	s_cmp_lt_i32 s60, 5
	s_cbranch_scc1 .LBB111_1061
; %bb.1057:
	s_cmp_lt_i32 s60, 8
	s_cbranch_scc1 .LBB111_1062
; %bb.1058:
	;; [unrolled: 3-line block ×3, first 2 shown]
	s_cmp_gt_i32 s60, 9
	s_cbranch_scc0 .LBB111_1064
; %bb.1060:
	global_load_dwordx2 v[3:4], v[1:2], off
	s_mov_b64 s[0:1], 0
	s_waitcnt vmcnt(0)
	v_cvt_f32_f64_e32 v3, v[3:4]
	s_branch .LBB111_1065
.LBB111_1061:
	s_mov_b64 s[0:1], -1
                                        ; implicit-def: $vgpr3
	s_branch .LBB111_1083
.LBB111_1062:
	s_mov_b64 s[0:1], -1
                                        ; implicit-def: $vgpr3
	s_branch .LBB111_1071
.LBB111_1063:
	s_mov_b64 s[0:1], -1
                                        ; implicit-def: $vgpr3
	s_branch .LBB111_1068
.LBB111_1064:
	s_mov_b64 s[0:1], -1
                                        ; implicit-def: $vgpr3
.LBB111_1065:
	s_andn2_b64 vcc, exec, s[0:1]
	s_cbranch_vccnz .LBB111_1067
; %bb.1066:
	global_load_dword v3, v[1:2], off
.LBB111_1067:
	s_mov_b64 s[0:1], 0
.LBB111_1068:
	s_andn2_b64 vcc, exec, s[0:1]
	s_cbranch_vccnz .LBB111_1070
; %bb.1069:
	global_load_dword v3, v[1:2], off
	s_waitcnt vmcnt(0)
	v_cvt_f32_f16_e32 v3, v3
.LBB111_1070:
	s_mov_b64 s[0:1], 0
.LBB111_1071:
	s_andn2_b64 vcc, exec, s[0:1]
	s_cbranch_vccnz .LBB111_1082
; %bb.1072:
	s_cmp_lt_i32 s60, 6
	s_cbranch_scc1 .LBB111_1075
; %bb.1073:
	s_cmp_gt_i32 s60, 6
	s_cbranch_scc0 .LBB111_1076
; %bb.1074:
	global_load_dwordx2 v[3:4], v[1:2], off
	s_mov_b64 s[0:1], 0
	s_waitcnt vmcnt(0)
	v_cvt_f32_f64_e32 v3, v[3:4]
	s_branch .LBB111_1077
.LBB111_1075:
	s_mov_b64 s[0:1], -1
                                        ; implicit-def: $vgpr3
	s_branch .LBB111_1080
.LBB111_1076:
	s_mov_b64 s[0:1], -1
                                        ; implicit-def: $vgpr3
.LBB111_1077:
	s_andn2_b64 vcc, exec, s[0:1]
	s_cbranch_vccnz .LBB111_1079
; %bb.1078:
	global_load_dword v3, v[1:2], off
.LBB111_1079:
	s_mov_b64 s[0:1], 0
.LBB111_1080:
	s_andn2_b64 vcc, exec, s[0:1]
	s_cbranch_vccnz .LBB111_1082
; %bb.1081:
	global_load_ushort v3, v[1:2], off
	s_waitcnt vmcnt(0)
	v_cvt_f32_f16_e32 v3, v3
.LBB111_1082:
	s_mov_b64 s[0:1], 0
.LBB111_1083:
	s_andn2_b64 vcc, exec, s[0:1]
	s_cbranch_vccnz .LBB111_1103
; %bb.1084:
	s_cmp_lt_i32 s60, 2
	s_cbranch_scc1 .LBB111_1088
; %bb.1085:
	s_cmp_lt_i32 s60, 3
	s_cbranch_scc1 .LBB111_1089
; %bb.1086:
	s_cmp_gt_i32 s60, 3
	s_cbranch_scc0 .LBB111_1090
; %bb.1087:
	global_load_dwordx2 v[3:4], v[1:2], off
	s_mov_b64 s[0:1], 0
	s_waitcnt vmcnt(0)
	v_xor_b32_e32 v7, v3, v4
	v_ffbh_i32_e32 v6, v4
	v_ashrrev_i32_e32 v7, 31, v7
	v_add_u32_e32 v6, -1, v6
	v_add_u32_e32 v7, 32, v7
	v_min_u32_e32 v6, v6, v7
	v_lshlrev_b64 v[3:4], v6, v[3:4]
	v_min_u32_e32 v3, 1, v3
	v_or_b32_e32 v3, v4, v3
	v_cvt_f32_i32_e32 v3, v3
	v_sub_u32_e32 v4, 32, v6
	v_ldexp_f32 v3, v3, v4
	s_branch .LBB111_1091
.LBB111_1088:
	s_mov_b64 s[0:1], -1
                                        ; implicit-def: $vgpr3
	s_branch .LBB111_1097
.LBB111_1089:
	s_mov_b64 s[0:1], -1
                                        ; implicit-def: $vgpr3
	s_branch .LBB111_1094
.LBB111_1090:
	s_mov_b64 s[0:1], -1
                                        ; implicit-def: $vgpr3
.LBB111_1091:
	s_andn2_b64 vcc, exec, s[0:1]
	s_cbranch_vccnz .LBB111_1093
; %bb.1092:
	global_load_dword v3, v[1:2], off
	s_waitcnt vmcnt(0)
	v_cvt_f32_i32_e32 v3, v3
.LBB111_1093:
	s_mov_b64 s[0:1], 0
.LBB111_1094:
	s_andn2_b64 vcc, exec, s[0:1]
	s_cbranch_vccnz .LBB111_1096
; %bb.1095:
	global_load_sshort v3, v[1:2], off
	s_waitcnt vmcnt(0)
	v_cvt_f32_i32_e32 v3, v3
.LBB111_1096:
	s_mov_b64 s[0:1], 0
.LBB111_1097:
	s_andn2_b64 vcc, exec, s[0:1]
	s_cbranch_vccnz .LBB111_1103
; %bb.1098:
	s_cmp_gt_i32 s60, 0
	s_cbranch_scc0 .LBB111_1100
; %bb.1099:
	global_load_sbyte v3, v[1:2], off
	s_mov_b64 s[0:1], 0
	s_waitcnt vmcnt(0)
	v_cvt_f32_i32_e32 v3, v3
	s_branch .LBB111_1101
.LBB111_1100:
	s_mov_b64 s[0:1], -1
                                        ; implicit-def: $vgpr3
.LBB111_1101:
	s_andn2_b64 vcc, exec, s[0:1]
	s_cbranch_vccnz .LBB111_1103
; %bb.1102:
	global_load_ubyte v1, v[1:2], off
	s_waitcnt vmcnt(0)
	v_cvt_f32_ubyte0_e32 v3, v1
.LBB111_1103:
	s_mov_b64 s[0:1], -1
.LBB111_1104:
	s_andn2_b64 vcc, exec, s[0:1]
	s_cbranch_vccnz .LBB111_1109
; %bb.1105:
	s_cmp_lt_i32 s14, 1
	s_mov_b64 s[0:1], 0
	s_cbranch_scc1 .LBB111_1110
; %bb.1106:
	s_cmp_gt_i32 s14, 1
	s_cbranch_scc0 .LBB111_1111
; %bb.1107:
	s_cmp_eq_u32 s14, 2
	s_cbranch_scc0 .LBB111_1112
; %bb.1108:
	s_waitcnt vmcnt(0)
	v_cmp_le_f32_e64 s[60:61], v5, v3
	s_mov_b64 s[62:63], 0
	s_branch .LBB111_1113
.LBB111_1109:
	s_mov_b64 s[62:63], 0
                                        ; implicit-def: $vgpr8
	s_mov_b64 s[0:1], s[50:51]
	s_branch .LBB111_1245
.LBB111_1110:
	s_mov_b64 s[64:65], -1
                                        ; implicit-def: $sgpr60_sgpr61
	s_mov_b64 s[62:63], 0
	s_branch .LBB111_1117
.LBB111_1111:
	s_mov_b64 s[64:65], -1
	s_mov_b64 s[62:63], 0
                                        ; implicit-def: $sgpr60_sgpr61
	s_branch .LBB111_1114
.LBB111_1112:
	s_mov_b64 s[62:63], -1
                                        ; implicit-def: $sgpr60_sgpr61
.LBB111_1113:
	s_mov_b64 s[64:65], 0
.LBB111_1114:
	s_and_b64 vcc, exec, s[64:65]
	s_cbranch_vccz .LBB111_1116
; %bb.1115:
	s_waitcnt vmcnt(0)
	v_cmp_gt_f32_e32 vcc, v5, v3
	s_andn2_b64 s[60:61], s[60:61], exec
	s_and_b64 s[64:65], vcc, exec
	s_or_b64 s[60:61], s[60:61], s[64:65]
.LBB111_1116:
	s_mov_b64 s[64:65], 0
.LBB111_1117:
	s_and_b64 vcc, exec, s[64:65]
	s_cbranch_vccz .LBB111_1128
; %bb.1118:
	s_cmp_lg_u32 s14, 0
	s_mov_b64 s[0:1], -1
	s_cselect_b64 s[62:63], -1, 0
	s_andn2_b64 vcc, exec, s[62:63]
	s_cbranch_vccz .LBB111_1129
.LBB111_1119:
	s_andn2_b64 vcc, exec, s[0:1]
	s_cbranch_vccnz .LBB111_1121
.LBB111_1120:
	s_waitcnt vmcnt(0)
	v_cmp_ge_f32_e32 vcc, v5, v3
	s_andn2_b64 s[0:1], s[60:61], exec
	s_and_b64 s[60:61], vcc, exec
	s_or_b64 s[60:61], s[0:1], s[60:61]
.LBB111_1121:
	v_mov_b32_e32 v1, s9
	s_and_b32 s69, s15, 0xff
	v_add_co_u32_e32 v0, vcc, s8, v0
	s_cmp_lt_i32 s69, 11
	v_addc_co_u32_e32 v1, vcc, 0, v1, vcc
	s_cbranch_scc1 .LBB111_1130
; %bb.1122:
	s_and_b32 s74, 0xffff, s69
	s_cmp_gt_i32 s74, 25
	s_cbranch_scc0 .LBB111_1131
; %bb.1123:
	s_cmp_gt_i32 s74, 28
	s_cbranch_scc0 .LBB111_1132
; %bb.1124:
	;; [unrolled: 3-line block ×4, first 2 shown]
	s_mov_b64 s[64:65], 0
	s_mov_b64 s[0:1], -1
	s_cmp_eq_u32 s74, 46
	s_mov_b64 s[62:63], 0
	s_cbranch_scc0 .LBB111_1135
; %bb.1127:
	v_cndmask_b32_e64 v2, 0, 1.0, s[60:61]
	s_waitcnt vmcnt(0)
	v_bfe_u32 v3, v2, 16, 1
	s_movk_i32 s0, 0x7fff
	v_add3_u32 v2, v2, v3, s0
	v_lshrrev_b32_e32 v2, 16, v2
	global_store_dword v[0:1], v2, off
	s_mov_b64 s[62:63], -1
	s_mov_b64 s[0:1], 0
	s_branch .LBB111_1135
.LBB111_1128:
	s_andn2_b64 vcc, exec, s[62:63]
	s_cbranch_vccnz .LBB111_1119
.LBB111_1129:
	s_waitcnt vmcnt(0)
	v_cmp_lt_f32_e32 vcc, v5, v3
	s_andn2_b64 s[60:61], s[60:61], exec
	s_and_b64 s[62:63], vcc, exec
	s_or_b64 s[60:61], s[60:61], s[62:63]
	s_cbranch_execz .LBB111_1120
	s_branch .LBB111_1121
.LBB111_1130:
	s_mov_b64 s[64:65], -1
	s_mov_b64 s[62:63], 0
	s_mov_b64 s[0:1], s[50:51]
	s_branch .LBB111_1204
.LBB111_1131:
	s_mov_b64 s[64:65], -1
	s_mov_b64 s[62:63], 0
	s_mov_b64 s[0:1], s[50:51]
	s_branch .LBB111_1162
.LBB111_1132:
	s_mov_b64 s[64:65], -1
	s_mov_b64 s[62:63], 0
	s_mov_b64 s[0:1], s[50:51]
	s_branch .LBB111_1145
.LBB111_1133:
	s_mov_b64 s[64:65], -1
	s_mov_b64 s[62:63], 0
	s_mov_b64 s[0:1], s[50:51]
	s_branch .LBB111_1141
.LBB111_1134:
	s_mov_b64 s[64:65], -1
	s_mov_b64 s[62:63], 0
	s_mov_b64 s[0:1], s[50:51]
.LBB111_1135:
	s_and_b64 vcc, exec, s[64:65]
	s_cbranch_vccz .LBB111_1140
; %bb.1136:
	s_cmp_eq_u32 s74, 44
	s_mov_b64 s[0:1], -1
	s_cbranch_scc0 .LBB111_1140
; %bb.1137:
	s_waitcnt vmcnt(0)
	v_cndmask_b32_e64 v3, 0, 1.0, s[60:61]
	v_lshrrev_b32_e32 v2, 23, v3
	s_movk_i32 s0, 0xff
	v_cmp_ne_u32_e32 vcc, s0, v2
	v_mov_b32_e32 v4, 0xff
	s_and_saveexec_b64 s[62:63], vcc
; %bb.1138:
	s_mov_b32 s0, 0x3fffff
	v_and_b32_e32 v4, 0x400000, v3
	v_and_or_b32 v3, v3, s0, v2
	v_cmp_ne_u32_e32 vcc, 0, v4
	v_cmp_ne_u32_e64 s[0:1], 0, v3
	s_and_b64 s[0:1], vcc, s[0:1]
	v_cndmask_b32_e64 v3, 0, 1, s[0:1]
	v_add_u32_e32 v4, v2, v3
; %bb.1139:
	s_or_b64 exec, exec, s[62:63]
	s_mov_b64 s[62:63], -1
	s_mov_b64 s[0:1], 0
	global_store_byte v[0:1], v4, off
.LBB111_1140:
	s_mov_b64 s[64:65], 0
.LBB111_1141:
	s_and_b64 vcc, exec, s[64:65]
	s_cbranch_vccz .LBB111_1144
; %bb.1142:
	s_cmp_eq_u32 s74, 29
	s_mov_b64 s[0:1], -1
	s_cbranch_scc0 .LBB111_1144
; %bb.1143:
	s_mov_b32 s0, 0
	v_cndmask_b32_e64 v2, 0, 1, s[60:61]
	s_waitcnt vmcnt(0)
	v_mov_b32_e32 v3, s0
	global_store_dwordx2 v[0:1], v[2:3], off
	s_mov_b64 s[62:63], -1
	s_mov_b64 s[0:1], 0
.LBB111_1144:
	s_mov_b64 s[64:65], 0
.LBB111_1145:
	s_and_b64 vcc, exec, s[64:65]
	s_cbranch_vccz .LBB111_1161
; %bb.1146:
	s_cmp_lt_i32 s74, 27
	s_mov_b64 s[62:63], -1
	s_cbranch_scc1 .LBB111_1152
; %bb.1147:
	s_cmp_gt_i32 s74, 27
	s_cbranch_scc0 .LBB111_1149
; %bb.1148:
	v_cndmask_b32_e64 v2, 0, 1, s[60:61]
	s_mov_b64 s[62:63], 0
	global_store_dword v[0:1], v2, off
.LBB111_1149:
	s_andn2_b64 vcc, exec, s[62:63]
	s_cbranch_vccnz .LBB111_1151
; %bb.1150:
	v_cndmask_b32_e64 v2, 0, 1, s[60:61]
	global_store_short v[0:1], v2, off
.LBB111_1151:
	s_mov_b64 s[62:63], 0
.LBB111_1152:
	s_andn2_b64 vcc, exec, s[62:63]
	s_cbranch_vccnz .LBB111_1160
; %bb.1153:
	s_waitcnt vmcnt(0)
	v_cndmask_b32_e64 v3, 0, 1.0, s[60:61]
	s_mov_b32 s62, 0x43800000
	v_cmp_gt_u32_e32 vcc, s62, v3
	v_mov_b32_e32 v4, 0x80
	s_and_saveexec_b64 s[62:63], vcc
	s_cbranch_execz .LBB111_1159
; %bb.1154:
	s_mov_b32 s64, 0x3bffffff
	v_cmp_lt_u32_e32 vcc, s64, v3
	s_mov_b64 s[64:65], 0
                                        ; implicit-def: $vgpr2
	s_and_saveexec_b64 s[66:67], vcc
	s_xor_b64 s[66:67], exec, s[66:67]
	s_cbranch_execz .LBB111_1273
; %bb.1155:
	v_bfe_u32 v2, v3, 20, 1
	s_mov_b32 s75, 0x487ffff
	v_add3_u32 v2, v3, v2, s75
	s_mov_b64 s[64:65], exec
	v_lshrrev_b32_e32 v2, 20, v2
                                        ; implicit-def: $vgpr3
	s_andn2_saveexec_b64 s[66:67], s[66:67]
	s_cbranch_execnz .LBB111_1274
.LBB111_1156:
	s_or_b64 exec, exec, s[66:67]
	v_mov_b32_e32 v4, 0
	s_and_saveexec_b64 s[66:67], s[64:65]
.LBB111_1157:
	v_mov_b32_e32 v4, v2
.LBB111_1158:
	s_or_b64 exec, exec, s[66:67]
.LBB111_1159:
	s_or_b64 exec, exec, s[62:63]
	global_store_byte v[0:1], v4, off
.LBB111_1160:
	s_mov_b64 s[62:63], -1
.LBB111_1161:
	s_mov_b64 s[64:65], 0
.LBB111_1162:
	s_and_b64 vcc, exec, s[64:65]
	s_cbranch_vccz .LBB111_1203
; %bb.1163:
	s_cmp_gt_i32 s74, 22
	s_mov_b64 s[64:65], -1
	s_cbranch_scc0 .LBB111_1195
; %bb.1164:
	s_cmp_lt_i32 s74, 24
	s_mov_b64 s[62:63], -1
	s_cbranch_scc1 .LBB111_1184
; %bb.1165:
	s_cmp_gt_i32 s74, 24
	s_cbranch_scc0 .LBB111_1173
; %bb.1166:
	s_waitcnt vmcnt(0)
	v_cndmask_b32_e64 v3, 0, 1.0, s[60:61]
	s_mov_b32 s62, 0x47800000
	v_cmp_gt_u32_e32 vcc, s62, v3
	v_mov_b32_e32 v4, 0x80
	s_and_saveexec_b64 s[62:63], vcc
	s_cbranch_execz .LBB111_1172
; %bb.1167:
	s_mov_b32 s64, 0x37ffffff
	v_cmp_lt_u32_e32 vcc, s64, v3
	s_mov_b64 s[64:65], 0
                                        ; implicit-def: $vgpr2
	s_and_saveexec_b64 s[66:67], vcc
	s_xor_b64 s[66:67], exec, s[66:67]
	s_cbranch_execz .LBB111_2388
; %bb.1168:
	v_bfe_u32 v2, v3, 21, 1
	s_mov_b32 s75, 0x88fffff
	v_add3_u32 v2, v3, v2, s75
	s_mov_b64 s[64:65], exec
	v_lshrrev_b32_e32 v2, 21, v2
                                        ; implicit-def: $vgpr3
	s_andn2_saveexec_b64 s[66:67], s[66:67]
	s_cbranch_execnz .LBB111_2389
.LBB111_1169:
	s_or_b64 exec, exec, s[66:67]
	v_mov_b32_e32 v4, 0
	s_and_saveexec_b64 s[66:67], s[64:65]
.LBB111_1170:
	v_mov_b32_e32 v4, v2
.LBB111_1171:
	s_or_b64 exec, exec, s[66:67]
.LBB111_1172:
	s_or_b64 exec, exec, s[62:63]
	s_mov_b64 s[62:63], 0
	global_store_byte v[0:1], v4, off
.LBB111_1173:
	s_and_b64 vcc, exec, s[62:63]
	s_cbranch_vccz .LBB111_1183
; %bb.1174:
	v_cndmask_b32_e64 v2, 0, 1.0, s[60:61]
	s_mov_b32 s62, 0x43f00000
	v_cmp_gt_u32_e32 vcc, s62, v2
                                        ; implicit-def: $vgpr3
	s_and_saveexec_b64 s[62:63], vcc
	s_xor_b64 s[62:63], exec, s[62:63]
	s_cbranch_execz .LBB111_1180
; %bb.1175:
	s_mov_b32 s64, 0x3c7fffff
	v_cmp_lt_u32_e32 vcc, s64, v2
                                        ; implicit-def: $vgpr3
	s_and_saveexec_b64 s[64:65], vcc
	s_xor_b64 s[64:65], exec, s[64:65]
	s_cbranch_execz .LBB111_1177
; %bb.1176:
	s_waitcnt vmcnt(0)
	v_bfe_u32 v3, v2, 20, 1
	s_mov_b32 s66, 0x407ffff
	v_add3_u32 v2, v2, v3, s66
	v_lshrrev_b32_e32 v3, 20, v2
	v_and_b32_e32 v2, 0xff00000, v2
	s_mov_b32 s66, 0x7f00000
	v_mov_b32_e32 v4, 0x7e
	v_cmp_ne_u32_e32 vcc, s66, v2
	v_cndmask_b32_e32 v3, v4, v3, vcc
                                        ; implicit-def: $vgpr2
.LBB111_1177:
	s_andn2_saveexec_b64 s[64:65], s[64:65]
	s_cbranch_execz .LBB111_1179
; %bb.1178:
	s_waitcnt vmcnt(0)
	v_add_f32_e32 v3, 0x46800000, v2
.LBB111_1179:
	s_or_b64 exec, exec, s[64:65]
                                        ; implicit-def: $vgpr2
.LBB111_1180:
	s_andn2_saveexec_b64 s[62:63], s[62:63]
	s_cbranch_execz .LBB111_1182
; %bb.1181:
	s_mov_b32 s64, 0x7f800000
	s_waitcnt vmcnt(0)
	v_mov_b32_e32 v3, 0x7e
	v_mov_b32_e32 v4, 0x7f
	v_cmp_lt_u32_e32 vcc, s64, v2
	v_cndmask_b32_e32 v3, v3, v4, vcc
.LBB111_1182:
	s_or_b64 exec, exec, s[62:63]
	s_waitcnt vmcnt(0)
	global_store_byte v[0:1], v3, off
.LBB111_1183:
	s_mov_b64 s[62:63], 0
.LBB111_1184:
	s_andn2_b64 vcc, exec, s[62:63]
	s_cbranch_vccnz .LBB111_1194
; %bb.1185:
	v_cndmask_b32_e64 v2, 0, 1.0, s[60:61]
	s_mov_b32 s62, 0x47800000
	v_cmp_gt_u32_e32 vcc, s62, v2
                                        ; implicit-def: $vgpr3
	s_and_saveexec_b64 s[62:63], vcc
	s_xor_b64 s[62:63], exec, s[62:63]
	s_cbranch_execz .LBB111_1191
; %bb.1186:
	s_mov_b32 s64, 0x387fffff
	v_cmp_lt_u32_e32 vcc, s64, v2
                                        ; implicit-def: $vgpr3
	s_and_saveexec_b64 s[64:65], vcc
	s_xor_b64 s[64:65], exec, s[64:65]
	s_cbranch_execz .LBB111_1188
; %bb.1187:
	s_waitcnt vmcnt(0)
	v_bfe_u32 v3, v2, 21, 1
	s_mov_b32 s66, 0x80fffff
	v_add3_u32 v2, v2, v3, s66
	v_lshrrev_b32_e32 v3, 21, v2
                                        ; implicit-def: $vgpr2
.LBB111_1188:
	s_andn2_saveexec_b64 s[64:65], s[64:65]
	s_cbranch_execz .LBB111_1190
; %bb.1189:
	s_waitcnt vmcnt(0)
	v_add_f32_e32 v3, 0x43000000, v2
.LBB111_1190:
	s_or_b64 exec, exec, s[64:65]
                                        ; implicit-def: $vgpr2
.LBB111_1191:
	s_andn2_saveexec_b64 s[62:63], s[62:63]
	s_cbranch_execz .LBB111_1193
; %bb.1192:
	s_mov_b32 s64, 0x7f800000
	s_waitcnt vmcnt(0)
	v_mov_b32_e32 v3, 0x7c
	v_mov_b32_e32 v4, 0x7f
	v_cmp_lt_u32_e32 vcc, s64, v2
	v_cndmask_b32_e32 v3, v3, v4, vcc
.LBB111_1193:
	s_or_b64 exec, exec, s[62:63]
	s_waitcnt vmcnt(0)
	global_store_byte v[0:1], v3, off
.LBB111_1194:
	s_mov_b64 s[64:65], 0
	s_mov_b64 s[62:63], -1
.LBB111_1195:
	s_andn2_b64 vcc, exec, s[64:65]
	s_cbranch_vccnz .LBB111_1203
; %bb.1196:
	s_cmp_gt_i32 s74, 14
	s_mov_b64 s[64:65], -1
	s_cbranch_scc0 .LBB111_1200
; %bb.1197:
	s_cmp_eq_u32 s74, 15
	s_mov_b64 s[0:1], -1
	s_cbranch_scc0 .LBB111_1199
; %bb.1198:
	v_cndmask_b32_e64 v2, 0, 1.0, s[60:61]
	s_waitcnt vmcnt(0)
	v_bfe_u32 v3, v2, 16, 1
	s_movk_i32 s0, 0x7fff
	v_add3_u32 v2, v2, v3, s0
	global_store_short_d16_hi v[0:1], v2, off
	s_mov_b64 s[62:63], -1
	s_mov_b64 s[0:1], 0
.LBB111_1199:
	s_mov_b64 s[64:65], 0
.LBB111_1200:
	s_and_b64 vcc, exec, s[64:65]
	s_cbranch_vccz .LBB111_1203
; %bb.1201:
	s_cmp_eq_u32 s74, 11
	s_mov_b64 s[0:1], -1
	s_cbranch_scc0 .LBB111_1203
; %bb.1202:
	v_cndmask_b32_e64 v2, 0, 1, s[60:61]
	s_mov_b64 s[62:63], -1
	s_mov_b64 s[0:1], 0
	global_store_byte v[0:1], v2, off
.LBB111_1203:
	s_mov_b64 s[64:65], 0
.LBB111_1204:
	s_and_b64 vcc, exec, s[64:65]
	s_cbranch_vccz .LBB111_1243
; %bb.1205:
	s_and_b32 s64, 0xffff, s69
	s_cmp_lt_i32 s64, 5
	s_mov_b64 s[62:63], -1
	s_cbranch_scc1 .LBB111_1226
; %bb.1206:
	s_cmp_lt_i32 s64, 8
	s_cbranch_scc1 .LBB111_1216
; %bb.1207:
	s_cmp_lt_i32 s64, 9
	s_cbranch_scc1 .LBB111_1213
; %bb.1208:
	s_cmp_gt_i32 s64, 9
	s_cbranch_scc0 .LBB111_1210
; %bb.1209:
	v_cndmask_b32_e64 v2, 0, 1, s[60:61]
	s_waitcnt vmcnt(0)
	v_cvt_f64_u32_e32 v[2:3], v2
	v_mov_b32_e32 v4, 0
	v_mov_b32_e32 v5, v4
	s_mov_b64 s[62:63], 0
	global_store_dwordx4 v[0:1], v[2:5], off
.LBB111_1210:
	s_andn2_b64 vcc, exec, s[62:63]
	s_cbranch_vccnz .LBB111_1212
; %bb.1211:
	v_cndmask_b32_e64 v2, 0, 1.0, s[60:61]
	s_waitcnt vmcnt(0)
	v_mov_b32_e32 v3, 0
	global_store_dwordx2 v[0:1], v[2:3], off
.LBB111_1212:
	s_mov_b64 s[62:63], 0
.LBB111_1213:
	s_andn2_b64 vcc, exec, s[62:63]
	s_cbranch_vccnz .LBB111_1215
; %bb.1214:
	v_cndmask_b32_e64 v2, 0, 1.0, s[60:61]
	v_cvt_f16_f32_e32 v2, v2
	global_store_dword v[0:1], v2, off
.LBB111_1215:
	s_mov_b64 s[62:63], 0
.LBB111_1216:
	s_andn2_b64 vcc, exec, s[62:63]
	s_cbranch_vccnz .LBB111_1225
; %bb.1217:
	s_cmp_lt_i32 s64, 6
	s_mov_b64 s[62:63], -1
	s_cbranch_scc1 .LBB111_1223
; %bb.1218:
	s_cmp_gt_i32 s64, 6
	s_cbranch_scc0 .LBB111_1220
; %bb.1219:
	v_cndmask_b32_e64 v2, 0, 1, s[60:61]
	s_waitcnt vmcnt(0)
	v_cvt_f64_u32_e32 v[2:3], v2
	s_mov_b64 s[62:63], 0
	global_store_dwordx2 v[0:1], v[2:3], off
.LBB111_1220:
	s_andn2_b64 vcc, exec, s[62:63]
	s_cbranch_vccnz .LBB111_1222
; %bb.1221:
	v_cndmask_b32_e64 v2, 0, 1.0, s[60:61]
	global_store_dword v[0:1], v2, off
.LBB111_1222:
	s_mov_b64 s[62:63], 0
.LBB111_1223:
	s_andn2_b64 vcc, exec, s[62:63]
	s_cbranch_vccnz .LBB111_1225
; %bb.1224:
	v_cndmask_b32_e64 v2, 0, 1.0, s[60:61]
	v_cvt_f16_f32_e32 v2, v2
	global_store_short v[0:1], v2, off
.LBB111_1225:
	s_mov_b64 s[62:63], 0
.LBB111_1226:
	s_andn2_b64 vcc, exec, s[62:63]
	s_cbranch_vccnz .LBB111_1242
; %bb.1227:
	s_cmp_lt_i32 s64, 2
	s_mov_b64 s[62:63], -1
	s_cbranch_scc1 .LBB111_1237
; %bb.1228:
	s_cmp_lt_i32 s64, 3
	s_cbranch_scc1 .LBB111_1234
; %bb.1229:
	s_cmp_gt_i32 s64, 3
	s_cbranch_scc0 .LBB111_1231
; %bb.1230:
	s_mov_b32 s62, 0
	v_cndmask_b32_e64 v2, 0, 1, s[60:61]
	s_waitcnt vmcnt(0)
	v_mov_b32_e32 v3, s62
	s_mov_b64 s[62:63], 0
	global_store_dwordx2 v[0:1], v[2:3], off
.LBB111_1231:
	s_andn2_b64 vcc, exec, s[62:63]
	s_cbranch_vccnz .LBB111_1233
; %bb.1232:
	v_cndmask_b32_e64 v2, 0, 1, s[60:61]
	global_store_dword v[0:1], v2, off
.LBB111_1233:
	s_mov_b64 s[62:63], 0
.LBB111_1234:
	s_andn2_b64 vcc, exec, s[62:63]
	s_cbranch_vccnz .LBB111_1236
; %bb.1235:
	v_cndmask_b32_e64 v2, 0, 1, s[60:61]
	global_store_short v[0:1], v2, off
.LBB111_1236:
	s_mov_b64 s[62:63], 0
.LBB111_1237:
	s_andn2_b64 vcc, exec, s[62:63]
	s_cbranch_vccnz .LBB111_1242
; %bb.1238:
	s_mov_b64 s[62:63], -1
	s_cmp_gt_i32 s64, 0
	v_cndmask_b32_e64 v2, 0, 1, s[60:61]
	s_cbranch_scc0 .LBB111_1240
; %bb.1239:
	s_mov_b64 s[62:63], 0
	global_store_byte v[0:1], v2, off
.LBB111_1240:
	s_andn2_b64 vcc, exec, s[62:63]
	s_cbranch_vccnz .LBB111_1242
; %bb.1241:
	global_store_byte v[0:1], v2, off
.LBB111_1242:
	s_mov_b64 s[62:63], -1
.LBB111_1243:
	s_andn2_b64 vcc, exec, s[62:63]
	s_cbranch_vccnz .LBB111_1255
; %bb.1244:
	v_add_u32_e32 v8, 0x80, v8
	s_mov_b64 s[62:63], -1
.LBB111_1245:
	s_andn2_b64 s[60:61], s[50:51], exec
	s_and_b64 s[0:1], s[0:1], exec
	s_or_b64 s[60:61], s[60:61], s[0:1]
	s_andn2_b64 s[0:1], s[48:49], exec
	s_and_b64 s[58:59], s[58:59], exec
	s_or_b64 s[58:59], s[0:1], s[58:59]
	;; [unrolled: 3-line block ×3, first 2 shown]
	s_orn2_b64 s[66:67], s[62:63], exec
.LBB111_1246:
	s_or_b64 exec, exec, s[54:55]
	s_mov_b64 s[62:63], 0
	s_mov_b64 s[56:57], 0
	;; [unrolled: 1-line block ×3, first 2 shown]
                                        ; implicit-def: $sgpr74
                                        ; implicit-def: $vgpr3_vgpr4
                                        ; implicit-def: $vgpr0
                                        ; implicit-def: $vgpr2
                                        ; implicit-def: $vgpr5
	s_and_saveexec_b64 s[54:55], s[66:67]
	s_cbranch_execz .LBB111_1341
; %bb.1247:
	v_cmp_gt_i32_e32 vcc, s68, v8
	s_mov_b64 s[66:67], s[0:1]
	s_mov_b64 s[68:69], 0
                                        ; implicit-def: $sgpr74
                                        ; implicit-def: $vgpr3_vgpr4
                                        ; implicit-def: $vgpr0
                                        ; implicit-def: $vgpr2
                                        ; implicit-def: $vgpr5
	s_and_saveexec_b64 s[56:57], vcc
	s_cbranch_execz .LBB111_1340
; %bb.1248:
	s_andn2_b64 vcc, exec, s[24:25]
	s_cbranch_vccnz .LBB111_1254
; %bb.1249:
	s_andn2_b64 vcc, exec, s[36:37]
	s_cbranch_vccnz .LBB111_1256
; %bb.1250:
	s_add_i32 s36, s73, 1
	s_and_b32 s62, s36, 30
	s_add_u32 s36, s2, 0xffffffe8
	s_addc_u32 s37, s3, -1
	v_mov_b32_e32 v2, 0
	v_mov_b32_e32 v4, 0
	v_mov_b32_e32 v0, 0
	v_mov_b32_e32 v1, v8
.LBB111_1251:                           ; =>This Inner Loop Header: Depth=1
	s_load_dwordx4 s[64:67], s[36:37], 0x1c
	s_load_dwordx2 s[68:69], s[36:37], 0x2c
	s_load_dwordx2 s[74:75], s[36:37], 0xec
	s_load_dwordx4 s[76:79], s[36:37], 0xdc
	s_add_u32 s36, s36, 24
	s_waitcnt vmcnt(0) lgkmcnt(0)
	v_mul_hi_u32 v3, s65, v1
	s_addc_u32 s37, s37, 0
	s_add_i32 s62, s62, -2
	s_cmp_eq_u32 s62, 0
	v_add_u32_e32 v3, v1, v3
	v_lshrrev_b32_e32 v3, s66, v3
	v_mul_lo_u32 v5, v3, s64
	v_mul_hi_u32 v6, s68, v3
	v_sub_u32_e32 v5, v1, v5
	v_add_u32_e32 v1, v3, v6
	v_lshrrev_b32_e32 v1, s69, v1
	v_mul_lo_u32 v9, v1, s67
	v_mul_lo_u32 v6, v5, s76
	;; [unrolled: 1-line block ×4, first 2 shown]
	v_sub_u32_e32 v3, v3, v9
	v_mul_lo_u32 v9, v3, s79
	v_mul_lo_u32 v10, v3, s74
	;; [unrolled: 1-line block ×3, first 2 shown]
	v_add3_u32 v0, v6, v0, v9
	v_add3_u32 v4, v7, v4, v10
	;; [unrolled: 1-line block ×3, first 2 shown]
	s_cbranch_scc0 .LBB111_1251
; %bb.1252:
	s_bitcmp1_b32 s73, 0
	s_cselect_b64 s[62:63], -1, 0
	s_and_b64 vcc, exec, s[62:63]
	s_cbranch_vccnz .LBB111_1257
; %bb.1253:
	s_load_dwordx2 s[62:63], s[36:37], 0x1c
	s_load_dword s66, s[36:37], 0x24
	s_load_dwordx2 s[64:65], s[36:37], 0xdc
	s_waitcnt lgkmcnt(0)
	v_mul_hi_u32 v3, s63, v1
	v_add_u32_e32 v3, v1, v3
	v_lshrrev_b32_e32 v3, s66, v3
	v_mul_lo_u32 v3, v3, s62
	s_load_dword s62, s[36:37], 0xe4
	v_sub_u32_e32 v3, v1, v3
	v_mad_u64_u32 v[0:1], s[36:37], v3, s64, v[0:1]
	v_mad_u64_u32 v[4:5], s[36:37], v3, s65, v[4:5]
	s_waitcnt lgkmcnt(0)
	v_mad_u64_u32 v[2:3], s[36:37], v3, s62, v[2:3]
	s_branch .LBB111_1257
.LBB111_1254:
	s_mov_b64 s[36:37], -1
                                        ; implicit-def: $vgpr0
                                        ; implicit-def: $vgpr4
                                        ; implicit-def: $vgpr2
	s_branch .LBB111_1258
.LBB111_1255:
	s_mov_b64 s[62:63], 0
	s_branch .LBB111_981
.LBB111_1256:
	v_mov_b32_e32 v0, 0
	v_mov_b32_e32 v4, 0
	;; [unrolled: 1-line block ×3, first 2 shown]
.LBB111_1257:
	s_mov_b64 s[36:37], 0
.LBB111_1258:
	s_andn2_b64 vcc, exec, s[36:37]
	s_cbranch_vccnz .LBB111_1261
; %bb.1259:
	v_mul_hi_u32 v0, s17, v8
	s_andn2_b64 vcc, exec, s[34:35]
	v_add_u32_e32 v0, v8, v0
	v_lshrrev_b32_e32 v1, s18, v0
	v_mul_lo_u32 v0, v1, s16
	v_sub_u32_e32 v2, v8, v0
	v_mul_lo_u32 v0, v2, s20
	v_mul_lo_u32 v4, v2, s21
	;; [unrolled: 1-line block ×3, first 2 shown]
	s_cbranch_vccnz .LBB111_1261
; %bb.1260:
	s_waitcnt vmcnt(0)
	v_mul_hi_u32 v3, s30, v1
	v_add_u32_e32 v3, v1, v3
	v_lshrrev_b32_e32 v3, s31, v3
	v_mul_lo_u32 v3, v3, s19
	v_sub_u32_e32 v3, v1, v3
	v_mad_u64_u32 v[0:1], s[16:17], v3, s23, v[0:1]
	v_mad_u64_u32 v[4:5], s[16:17], v3, s28, v[4:5]
	v_mad_u64_u32 v[2:3], s[16:17], v3, s29, v[2:3]
.LBB111_1261:
	v_mov_b32_e32 v1, s11
	s_and_b32 s74, s72, 0xff
	s_waitcnt vmcnt(0)
	v_add_co_u32_e32 v3, vcc, s10, v4
	s_cmp_lt_i32 s74, 11
	v_addc_co_u32_e32 v4, vcc, 0, v1, vcc
	s_cbranch_scc1 .LBB111_1268
; %bb.1262:
	s_and_b32 s28, 0xffff, s74
	s_cmp_gt_i32 s28, 25
	s_mov_b64 s[16:17], 0
	s_cbranch_scc0 .LBB111_1269
; %bb.1263:
	s_cmp_gt_i32 s28, 28
	s_cbranch_scc0 .LBB111_1270
; %bb.1264:
	s_cmp_gt_i32 s28, 43
	;; [unrolled: 3-line block ×3, first 2 shown]
	s_cbranch_scc0 .LBB111_1272
; %bb.1266:
	s_cmp_eq_u32 s28, 46
	s_mov_b64 s[20:21], 0
	s_cbranch_scc0 .LBB111_1275
; %bb.1267:
	global_load_dword v1, v[3:4], off
	s_mov_b64 s[10:11], 0
	s_mov_b64 s[18:19], -1
	s_waitcnt vmcnt(0)
	v_lshlrev_b32_e32 v5, 16, v1
	s_branch .LBB111_1276
.LBB111_1268:
	s_mov_b64 s[20:21], -1
	s_mov_b64 s[18:19], 0
	s_mov_b64 s[16:17], 0
	;; [unrolled: 1-line block ×3, first 2 shown]
                                        ; implicit-def: $vgpr5
	s_branch .LBB111_1339
.LBB111_1269:
	s_mov_b64 s[20:21], -1
	s_mov_b64 s[18:19], 0
	s_mov_b64 s[10:11], s[0:1]
                                        ; implicit-def: $vgpr5
	s_branch .LBB111_1305
.LBB111_1270:
	s_mov_b64 s[20:21], -1
	s_mov_b64 s[18:19], 0
	s_mov_b64 s[10:11], s[0:1]
                                        ; implicit-def: $vgpr5
	s_branch .LBB111_1286
.LBB111_1271:
	s_mov_b64 s[20:21], -1
	s_mov_b64 s[18:19], 0
	s_mov_b64 s[10:11], s[0:1]
                                        ; implicit-def: $vgpr5
	s_branch .LBB111_1281
.LBB111_1272:
	s_mov_b64 s[20:21], -1
	s_mov_b64 s[18:19], 0
	s_mov_b64 s[10:11], s[0:1]
                                        ; implicit-def: $vgpr5
	s_branch .LBB111_1276
.LBB111_1273:
	s_andn2_saveexec_b64 s[66:67], s[66:67]
	s_cbranch_execz .LBB111_1156
.LBB111_1274:
	v_add_f32_e32 v2, 0x46000000, v3
	v_and_b32_e32 v2, 0xff, v2
	v_cmp_ne_u32_e32 vcc, 0, v2
	s_andn2_b64 s[64:65], s[64:65], exec
	s_and_b64 s[76:77], vcc, exec
	s_or_b64 s[64:65], s[64:65], s[76:77]
	s_or_b64 exec, exec, s[66:67]
	v_mov_b32_e32 v4, 0
	s_and_saveexec_b64 s[66:67], s[64:65]
	s_cbranch_execnz .LBB111_1157
	s_branch .LBB111_1158
.LBB111_1275:
	s_mov_b64 s[10:11], -1
                                        ; implicit-def: $vgpr5
	s_mov_b64 s[18:19], 0
.LBB111_1276:
	s_and_b64 vcc, exec, s[20:21]
	s_cbranch_vccz .LBB111_1280
; %bb.1277:
	s_cmp_eq_u32 s28, 44
	s_cbranch_scc0 .LBB111_1279
; %bb.1278:
	global_load_ubyte v1, v[3:4], off
	s_movk_i32 s18, 0xff
	v_mov_b32_e32 v5, 0x7f800001
	v_mov_b32_e32 v6, 0x400000
	s_mov_b64 s[10:11], 0
	s_waitcnt vmcnt(0)
	v_lshlrev_b32_e32 v7, 23, v1
	v_cmp_ne_u32_e32 vcc, s18, v1
	v_cndmask_b32_e32 v5, v5, v7, vcc
	v_cmp_ne_u32_e32 vcc, 0, v1
	v_cndmask_b32_e32 v5, v6, v5, vcc
	s_mov_b64 s[18:19], -1
	s_branch .LBB111_1280
.LBB111_1279:
	s_mov_b64 s[10:11], -1
                                        ; implicit-def: $vgpr5
.LBB111_1280:
	s_mov_b64 s[20:21], 0
.LBB111_1281:
	s_and_b64 vcc, exec, s[20:21]
	s_cbranch_vccz .LBB111_1285
; %bb.1282:
	s_cmp_eq_u32 s28, 29
	s_cbranch_scc0 .LBB111_1284
; %bb.1283:
	global_load_dwordx2 v[5:6], v[3:4], off
	s_mov_b64 s[10:11], 0
	s_mov_b64 s[18:19], -1
	s_mov_b64 s[20:21], 0
	s_waitcnt vmcnt(0)
	v_ffbh_u32_e32 v1, v6
	v_min_u32_e32 v1, 32, v1
	v_lshlrev_b64 v[5:6], v1, v[5:6]
	v_sub_u32_e32 v1, 32, v1
	v_min_u32_e32 v5, 1, v5
	v_or_b32_e32 v5, v6, v5
	v_cvt_f32_u32_e32 v5, v5
	v_ldexp_f32 v5, v5, v1
	s_branch .LBB111_1286
.LBB111_1284:
	s_mov_b64 s[10:11], -1
                                        ; implicit-def: $vgpr5
.LBB111_1285:
	s_mov_b64 s[20:21], 0
.LBB111_1286:
	s_and_b64 vcc, exec, s[20:21]
	s_cbranch_vccz .LBB111_1304
; %bb.1287:
	s_cmp_lt_i32 s28, 27
	s_cbranch_scc1 .LBB111_1290
; %bb.1288:
	s_cmp_gt_i32 s28, 27
	s_cbranch_scc0 .LBB111_1291
; %bb.1289:
	global_load_dword v1, v[3:4], off
	s_mov_b64 s[18:19], 0
	s_waitcnt vmcnt(0)
	v_cvt_f32_u32_e32 v5, v1
	s_branch .LBB111_1292
.LBB111_1290:
	s_mov_b64 s[18:19], -1
                                        ; implicit-def: $vgpr5
	s_branch .LBB111_1295
.LBB111_1291:
	s_mov_b64 s[18:19], -1
                                        ; implicit-def: $vgpr5
.LBB111_1292:
	s_andn2_b64 vcc, exec, s[18:19]
	s_cbranch_vccnz .LBB111_1294
; %bb.1293:
	global_load_ushort v1, v[3:4], off
	s_waitcnt vmcnt(0)
	v_cvt_f32_u32_e32 v5, v1
.LBB111_1294:
	s_mov_b64 s[18:19], 0
.LBB111_1295:
	s_andn2_b64 vcc, exec, s[18:19]
	s_cbranch_vccnz .LBB111_1303
; %bb.1296:
	global_load_ubyte v1, v[3:4], off
	s_movk_i32 s18, 0x7f
	s_waitcnt vmcnt(0)
	v_cmp_lt_i16_e32 vcc, s18, v1
	s_mov_b64 s[18:19], 0
	s_and_saveexec_b64 s[20:21], vcc
	s_xor_b64 s[20:21], exec, s[20:21]
	s_cbranch_execz .LBB111_1317
; %bb.1297:
	s_movk_i32 s18, 0x80
	v_cmp_eq_u16_e32 vcc, s18, v1
	s_mov_b64 s[18:19], -1
	s_and_saveexec_b64 s[22:23], vcc
; %bb.1298:
	s_xor_b64 s[18:19], exec, -1
; %bb.1299:
	s_or_b64 exec, exec, s[22:23]
	s_and_b64 s[18:19], s[18:19], exec
	s_or_saveexec_b64 s[20:21], s[20:21]
	v_mov_b32_e32 v5, 0x7f800001
	s_xor_b64 exec, exec, s[20:21]
	s_cbranch_execnz .LBB111_1318
.LBB111_1300:
	s_or_b64 exec, exec, s[20:21]
	s_and_saveexec_b64 s[20:21], s[18:19]
	s_cbranch_execz .LBB111_1302
.LBB111_1301:
	v_lshlrev_b32_e32 v5, 24, v1
	v_and_b32_e32 v1, 0xffff, v1
	v_and_b32_e32 v6, 7, v1
	v_ffbh_u32_e32 v8, v6
	v_min_u32_e32 v8, 32, v8
	v_subrev_u32_e32 v9, 28, v8
	v_bfe_u32 v7, v1, 3, 4
	v_lshlrev_b32_e32 v1, v9, v1
	v_sub_u32_e32 v8, 29, v8
	v_and_b32_e32 v1, 7, v1
	v_cmp_eq_u32_e32 vcc, 0, v7
	v_cndmask_b32_e32 v7, v7, v8, vcc
	v_cndmask_b32_e32 v1, v6, v1, vcc
	v_mov_b32_e32 v6, 0x3b800000
	v_lshlrev_b32_e32 v1, 20, v1
	v_and_b32_e32 v5, 0x80000000, v5
	v_lshl_add_u32 v6, v7, 23, v6
	v_or3_b32 v5, v5, v6, v1
.LBB111_1302:
	s_or_b64 exec, exec, s[20:21]
.LBB111_1303:
	s_mov_b64 s[18:19], -1
.LBB111_1304:
	s_mov_b64 s[20:21], 0
.LBB111_1305:
	s_and_b64 vcc, exec, s[20:21]
	s_cbranch_vccz .LBB111_1338
; %bb.1306:
	s_cmp_gt_i32 s28, 22
	s_cbranch_scc0 .LBB111_1316
; %bb.1307:
	s_cmp_lt_i32 s28, 24
	s_cbranch_scc1 .LBB111_1319
; %bb.1308:
	s_cmp_gt_i32 s28, 24
	s_cbranch_scc0 .LBB111_1320
; %bb.1309:
	global_load_ubyte v1, v[3:4], off
	s_movk_i32 s16, 0x7f
	s_waitcnt vmcnt(0)
	v_cmp_lt_i16_e32 vcc, s16, v1
	s_mov_b64 s[16:17], 0
	s_and_saveexec_b64 s[18:19], vcc
	s_xor_b64 s[18:19], exec, s[18:19]
	s_cbranch_execz .LBB111_1332
; %bb.1310:
	s_movk_i32 s16, 0x80
	v_cmp_eq_u16_e32 vcc, s16, v1
	s_mov_b64 s[16:17], -1
	s_and_saveexec_b64 s[20:21], vcc
; %bb.1311:
	s_xor_b64 s[16:17], exec, -1
; %bb.1312:
	s_or_b64 exec, exec, s[20:21]
	s_and_b64 s[16:17], s[16:17], exec
	s_or_saveexec_b64 s[18:19], s[18:19]
	v_mov_b32_e32 v5, 0x7f800001
	s_xor_b64 exec, exec, s[18:19]
	s_cbranch_execnz .LBB111_1333
.LBB111_1313:
	s_or_b64 exec, exec, s[18:19]
	s_and_saveexec_b64 s[18:19], s[16:17]
	s_cbranch_execz .LBB111_1315
.LBB111_1314:
	v_lshlrev_b32_e32 v5, 24, v1
	v_and_b32_e32 v1, 0xffff, v1
	v_and_b32_e32 v6, 3, v1
	v_ffbh_u32_e32 v8, v6
	v_min_u32_e32 v8, 32, v8
	v_subrev_u32_e32 v9, 29, v8
	v_bfe_u32 v7, v1, 2, 5
	v_lshlrev_b32_e32 v1, v9, v1
	v_sub_u32_e32 v8, 30, v8
	v_and_b32_e32 v1, 3, v1
	v_cmp_eq_u32_e32 vcc, 0, v7
	v_cndmask_b32_e32 v7, v7, v8, vcc
	v_cndmask_b32_e32 v1, v6, v1, vcc
	v_mov_b32_e32 v6, 0x37800000
	v_lshlrev_b32_e32 v1, 21, v1
	v_and_b32_e32 v5, 0x80000000, v5
	v_lshl_add_u32 v6, v7, 23, v6
	v_or3_b32 v5, v5, v6, v1
.LBB111_1315:
	s_or_b64 exec, exec, s[18:19]
	s_mov_b64 s[16:17], 0
	s_branch .LBB111_1321
.LBB111_1316:
	s_mov_b64 s[16:17], -1
                                        ; implicit-def: $vgpr5
	s_branch .LBB111_1327
.LBB111_1317:
	s_or_saveexec_b64 s[20:21], s[20:21]
	v_mov_b32_e32 v5, 0x7f800001
	s_xor_b64 exec, exec, s[20:21]
	s_cbranch_execz .LBB111_1300
.LBB111_1318:
	v_cmp_ne_u16_e32 vcc, 0, v1
	s_andn2_b64 s[18:19], s[18:19], exec
	s_and_b64 s[22:23], vcc, exec
	v_mov_b32_e32 v5, 0
	s_or_b64 s[18:19], s[18:19], s[22:23]
	s_or_b64 exec, exec, s[20:21]
	s_and_saveexec_b64 s[20:21], s[18:19]
	s_cbranch_execnz .LBB111_1301
	s_branch .LBB111_1302
.LBB111_1319:
	s_mov_b64 s[16:17], -1
                                        ; implicit-def: $vgpr5
	s_branch .LBB111_1324
.LBB111_1320:
	s_mov_b64 s[16:17], -1
                                        ; implicit-def: $vgpr5
.LBB111_1321:
	s_and_b64 vcc, exec, s[16:17]
	s_cbranch_vccz .LBB111_1323
; %bb.1322:
	global_load_ubyte v1, v[3:4], off
	s_mov_b32 s16, 0x7f800000
	s_waitcnt vmcnt(0)
	v_lshlrev_b32_e32 v1, 24, v1
	v_and_b32_e32 v5, 0x7f000000, v1
	v_ffbh_u32_e32 v6, v5
	v_min_u32_e32 v6, 32, v6
	v_sub_u32_e64 v6, v6, 4 clamp
	v_lshlrev_b32_e32 v8, v6, v5
	v_lshlrev_b32_e32 v6, 23, v6
	v_lshrrev_b32_e32 v8, 4, v8
	v_add_u32_e32 v7, 0x1000000, v5
	v_sub_u32_e32 v6, v8, v6
	v_ashrrev_i32_e32 v7, 8, v7
	v_add_u32_e32 v6, 0x3c000000, v6
	v_and_or_b32 v6, v7, s16, v6
	v_cmp_ne_u32_e32 vcc, 0, v5
	v_cndmask_b32_e32 v5, 0, v6, vcc
	s_brev_b32 s16, 1
	v_and_or_b32 v5, v1, s16, v5
.LBB111_1323:
	s_mov_b64 s[16:17], 0
.LBB111_1324:
	s_andn2_b64 vcc, exec, s[16:17]
	s_cbranch_vccnz .LBB111_1326
; %bb.1325:
	global_load_ubyte v1, v[3:4], off
	s_movk_i32 s16, 0x7f00
	s_brev_b32 s17, 16
	s_waitcnt vmcnt(0)
	v_lshlrev_b16_e32 v5, 8, v1
	v_lshlrev_b32_e32 v1, 25, v1
	v_lshrrev_b32_e32 v6, 4, v1
	v_and_or_b32 v7, v5, s16, 0.5
	v_or_b32_e32 v6, 0x70000000, v6
	v_add_f32_e32 v7, -0.5, v7
	v_mul_f32_e32 v6, 0x7800000, v6
	v_cmp_gt_u32_e32 vcc, s17, v1
	v_bfe_i32 v5, v5, 0, 16
	v_cndmask_b32_e32 v1, v6, v7, vcc
	s_brev_b32 s16, 1
	v_and_or_b32 v5, v5, s16, v1
.LBB111_1326:
	s_mov_b64 s[16:17], 0
	s_mov_b64 s[18:19], -1
.LBB111_1327:
	s_andn2_b64 vcc, exec, s[16:17]
	s_mov_b64 s[16:17], 0
	s_cbranch_vccnz .LBB111_1338
; %bb.1328:
	s_cmp_gt_i32 s28, 14
	s_cbranch_scc0 .LBB111_1331
; %bb.1329:
	s_cmp_eq_u32 s28, 15
	s_cbranch_scc0 .LBB111_1334
; %bb.1330:
	global_load_ushort v1, v[3:4], off
	s_mov_b64 s[10:11], 0
	s_mov_b64 s[18:19], -1
	s_waitcnt vmcnt(0)
	v_lshlrev_b32_e32 v5, 16, v1
	s_branch .LBB111_1335
.LBB111_1331:
	s_mov_b64 s[20:21], -1
                                        ; implicit-def: $vgpr5
	s_branch .LBB111_1336
.LBB111_1332:
	s_or_saveexec_b64 s[18:19], s[18:19]
	v_mov_b32_e32 v5, 0x7f800001
	s_xor_b64 exec, exec, s[18:19]
	s_cbranch_execz .LBB111_1313
.LBB111_1333:
	v_cmp_ne_u16_e32 vcc, 0, v1
	s_andn2_b64 s[16:17], s[16:17], exec
	s_and_b64 s[20:21], vcc, exec
	v_mov_b32_e32 v5, 0
	s_or_b64 s[16:17], s[16:17], s[20:21]
	s_or_b64 exec, exec, s[18:19]
	s_and_saveexec_b64 s[18:19], s[16:17]
	s_cbranch_execnz .LBB111_1314
	s_branch .LBB111_1315
.LBB111_1334:
	s_mov_b64 s[10:11], -1
                                        ; implicit-def: $vgpr5
.LBB111_1335:
	s_mov_b64 s[20:21], 0
.LBB111_1336:
	s_and_b64 vcc, exec, s[20:21]
	s_cbranch_vccz .LBB111_1338
; %bb.1337:
	s_cmp_lg_u32 s28, 11
	s_cselect_b64 s[20:21], -1, 0
	s_andn2_b64 s[10:11], s[10:11], exec
	s_and_b64 s[20:21], s[20:21], exec
	s_mov_b64 s[16:17], -1
	s_or_b64 s[10:11], s[10:11], s[20:21]
.LBB111_1338:
	s_mov_b64 s[20:21], 0
.LBB111_1339:
	s_and_b64 s[62:63], s[16:17], exec
	s_andn2_b64 s[16:17], s[0:1], exec
	s_and_b64 s[10:11], s[10:11], exec
	s_and_b64 s[64:65], s[18:19], exec
	s_and_b64 s[68:69], s[20:21], exec
	s_or_b64 s[66:67], s[16:17], s[10:11]
.LBB111_1340:
	s_or_b64 exec, exec, s[56:57]
	s_andn2_b64 s[0:1], s[0:1], exec
	s_and_b64 s[10:11], s[66:67], exec
	s_and_b64 s[64:65], s[64:65], exec
	;; [unrolled: 1-line block ×4, first 2 shown]
	s_or_b64 s[0:1], s[0:1], s[10:11]
.LBB111_1341:
	s_or_b64 exec, exec, s[54:55]
	s_andn2_b64 s[10:11], s[50:51], exec
	s_and_b64 s[16:17], s[60:61], exec
	s_or_b64 s[50:51], s[10:11], s[16:17]
	s_andn2_b64 s[10:11], s[48:49], exec
	s_and_b64 s[16:17], s[58:59], exec
	s_or_b64 s[48:49], s[10:11], s[16:17]
	s_andn2_b64 s[10:11], s[46:47], exec
	s_and_b64 s[0:1], s[0:1], exec
	s_and_b64 s[58:59], s[64:65], exec
	;; [unrolled: 1-line block ×4, first 2 shown]
	s_or_b64 s[46:47], s[10:11], s[0:1]
.LBB111_1342:
	s_or_b64 exec, exec, s[52:53]
	s_andn2_b64 s[0:1], s[38:39], exec
	s_and_b64 s[10:11], s[50:51], exec
	s_or_b64 s[38:39], s[0:1], s[10:11]
	s_andn2_b64 s[0:1], s[40:41], exec
	s_and_b64 s[10:11], s[48:49], exec
	s_or_b64 s[40:41], s[0:1], s[10:11]
	s_andn2_b64 s[0:1], s[42:43], exec
	s_and_b64 s[10:11], s[46:47], exec
	s_and_b64 s[50:51], s[58:59], exec
	;; [unrolled: 1-line block ×4, first 2 shown]
	s_or_b64 s[42:43], s[0:1], s[10:11]
	s_or_b64 exec, exec, s[44:45]
	s_mov_b64 s[10:11], 0
	s_and_saveexec_b64 s[0:1], s[42:43]
	s_cbranch_execz .LBB111_419
.LBB111_1343:
	s_mov_b64 s[10:11], exec
	s_andn2_b64 s[48:49], s[48:49], exec
	s_trap 2
	s_or_b64 exec, exec, s[0:1]
	s_and_saveexec_b64 s[0:1], s[48:49]
	s_xor_b64 s[0:1], exec, s[0:1]
	s_cbranch_execnz .LBB111_420
.LBB111_1344:
	s_or_b64 exec, exec, s[0:1]
	s_and_saveexec_b64 s[0:1], s[52:53]
	s_cbranch_execz .LBB111_1390
.LBB111_1345:
	s_sext_i32_i16 s16, s74
	s_cmp_lt_i32 s16, 5
	s_cbranch_scc1 .LBB111_1350
; %bb.1346:
	s_cmp_lt_i32 s16, 8
	s_cbranch_scc1 .LBB111_1351
; %bb.1347:
	;; [unrolled: 3-line block ×3, first 2 shown]
	s_cmp_gt_i32 s16, 9
	s_cbranch_scc0 .LBB111_1353
; %bb.1349:
	s_waitcnt vmcnt(0)
	global_load_dwordx2 v[5:6], v[3:4], off
	s_mov_b64 s[16:17], 0
	s_waitcnt vmcnt(0)
	v_cvt_f32_f64_e32 v5, v[5:6]
	s_branch .LBB111_1354
.LBB111_1350:
                                        ; implicit-def: $vgpr5
	s_branch .LBB111_1371
.LBB111_1351:
                                        ; implicit-def: $vgpr5
	s_branch .LBB111_1360
.LBB111_1352:
	s_mov_b64 s[16:17], -1
                                        ; implicit-def: $vgpr5
	s_branch .LBB111_1357
.LBB111_1353:
	s_mov_b64 s[16:17], -1
                                        ; implicit-def: $vgpr5
.LBB111_1354:
	s_andn2_b64 vcc, exec, s[16:17]
	s_cbranch_vccnz .LBB111_1356
; %bb.1355:
	s_waitcnt vmcnt(0)
	global_load_dword v5, v[3:4], off
.LBB111_1356:
	s_mov_b64 s[16:17], 0
.LBB111_1357:
	s_andn2_b64 vcc, exec, s[16:17]
	s_cbranch_vccnz .LBB111_1359
; %bb.1358:
	s_waitcnt vmcnt(0)
	global_load_dword v1, v[3:4], off
	s_waitcnt vmcnt(0)
	v_cvt_f32_f16_e32 v5, v1
.LBB111_1359:
	s_cbranch_execnz .LBB111_1370
.LBB111_1360:
	s_sext_i32_i16 s16, s74
	s_cmp_lt_i32 s16, 6
	s_cbranch_scc1 .LBB111_1363
; %bb.1361:
	s_cmp_gt_i32 s16, 6
	s_cbranch_scc0 .LBB111_1364
; %bb.1362:
	s_waitcnt vmcnt(0)
	global_load_dwordx2 v[5:6], v[3:4], off
	s_mov_b64 s[16:17], 0
	s_waitcnt vmcnt(0)
	v_cvt_f32_f64_e32 v5, v[5:6]
	s_branch .LBB111_1365
.LBB111_1363:
	s_mov_b64 s[16:17], -1
                                        ; implicit-def: $vgpr5
	s_branch .LBB111_1368
.LBB111_1364:
	s_mov_b64 s[16:17], -1
                                        ; implicit-def: $vgpr5
.LBB111_1365:
	s_andn2_b64 vcc, exec, s[16:17]
	s_cbranch_vccnz .LBB111_1367
; %bb.1366:
	s_waitcnt vmcnt(0)
	global_load_dword v5, v[3:4], off
.LBB111_1367:
	s_mov_b64 s[16:17], 0
.LBB111_1368:
	s_andn2_b64 vcc, exec, s[16:17]
	s_cbranch_vccnz .LBB111_1370
; %bb.1369:
	s_waitcnt vmcnt(0)
	global_load_ushort v1, v[3:4], off
	s_waitcnt vmcnt(0)
	v_cvt_f32_f16_e32 v5, v1
.LBB111_1370:
	s_cbranch_execnz .LBB111_1389
.LBB111_1371:
	s_sext_i32_i16 s16, s74
	s_cmp_lt_i32 s16, 2
	s_cbranch_scc1 .LBB111_1375
; %bb.1372:
	s_cmp_lt_i32 s16, 3
	s_cbranch_scc1 .LBB111_1376
; %bb.1373:
	s_cmp_gt_i32 s16, 3
	s_cbranch_scc0 .LBB111_1377
; %bb.1374:
	s_waitcnt vmcnt(0)
	global_load_dwordx2 v[5:6], v[3:4], off
	s_mov_b64 s[16:17], 0
	s_waitcnt vmcnt(0)
	v_xor_b32_e32 v7, v5, v6
	v_ffbh_i32_e32 v1, v6
	v_ashrrev_i32_e32 v7, 31, v7
	v_add_u32_e32 v1, -1, v1
	v_add_u32_e32 v7, 32, v7
	v_min_u32_e32 v1, v1, v7
	v_lshlrev_b64 v[5:6], v1, v[5:6]
	v_sub_u32_e32 v1, 32, v1
	v_min_u32_e32 v5, 1, v5
	v_or_b32_e32 v5, v6, v5
	v_cvt_f32_i32_e32 v5, v5
	v_ldexp_f32 v5, v5, v1
	s_branch .LBB111_1378
.LBB111_1375:
                                        ; implicit-def: $vgpr5
	s_branch .LBB111_1384
.LBB111_1376:
	s_mov_b64 s[16:17], -1
                                        ; implicit-def: $vgpr5
	s_branch .LBB111_1381
.LBB111_1377:
	s_mov_b64 s[16:17], -1
                                        ; implicit-def: $vgpr5
.LBB111_1378:
	s_andn2_b64 vcc, exec, s[16:17]
	s_cbranch_vccnz .LBB111_1380
; %bb.1379:
	s_waitcnt vmcnt(0)
	global_load_dword v1, v[3:4], off
	s_waitcnt vmcnt(0)
	v_cvt_f32_i32_e32 v5, v1
.LBB111_1380:
	s_mov_b64 s[16:17], 0
.LBB111_1381:
	s_andn2_b64 vcc, exec, s[16:17]
	s_cbranch_vccnz .LBB111_1383
; %bb.1382:
	s_waitcnt vmcnt(0)
	global_load_sshort v1, v[3:4], off
	s_waitcnt vmcnt(0)
	v_cvt_f32_i32_e32 v5, v1
.LBB111_1383:
	s_cbranch_execnz .LBB111_1389
.LBB111_1384:
	s_sext_i32_i16 s16, s74
	s_cmp_gt_i32 s16, 0
	s_cbranch_scc0 .LBB111_1386
; %bb.1385:
	s_waitcnt vmcnt(0)
	global_load_sbyte v1, v[3:4], off
	s_mov_b64 s[16:17], 0
	s_waitcnt vmcnt(0)
	v_cvt_f32_i32_e32 v5, v1
	s_branch .LBB111_1387
.LBB111_1386:
	s_mov_b64 s[16:17], -1
                                        ; implicit-def: $vgpr5
.LBB111_1387:
	s_andn2_b64 vcc, exec, s[16:17]
	s_cbranch_vccnz .LBB111_1389
; %bb.1388:
	s_waitcnt vmcnt(0)
	global_load_ubyte v1, v[3:4], off
	s_waitcnt vmcnt(0)
	v_cvt_f32_ubyte0_e32 v5, v1
.LBB111_1389:
	s_or_b64 s[50:51], s[50:51], exec
.LBB111_1390:
	s_or_b64 exec, exec, s[0:1]
	s_mov_b64 s[16:17], 0
	s_mov_b64 s[20:21], 0
	;; [unrolled: 1-line block ×3, first 2 shown]
                                        ; implicit-def: $sgpr28
                                        ; implicit-def: $vgpr3_vgpr4
                                        ; implicit-def: $vgpr6
	s_and_saveexec_b64 s[0:1], s[50:51]
	s_cbranch_execz .LBB111_1398
; %bb.1391:
	v_mov_b32_e32 v1, s13
	s_and_b32 s28, s71, 0xff
	s_waitcnt vmcnt(0)
	v_add_co_u32_e32 v3, vcc, s12, v2
	s_cmp_lt_i32 s28, 11
	v_addc_co_u32_e32 v4, vcc, 0, v1, vcc
	s_cbranch_scc1 .LBB111_1401
; %bb.1392:
	s_and_b32 s29, 0xffff, s28
	s_cmp_gt_i32 s29, 25
	s_cbranch_scc0 .LBB111_1402
; %bb.1393:
	s_cmp_gt_i32 s29, 28
	s_cbranch_scc0 .LBB111_1403
; %bb.1394:
	;; [unrolled: 3-line block ×4, first 2 shown]
	s_cmp_eq_u32 s29, 46
	s_cbranch_scc0 .LBB111_1406
; %bb.1397:
	global_load_dword v1, v[3:4], off
	s_mov_b64 s[12:13], 0
	s_mov_b64 s[18:19], -1
	s_waitcnt vmcnt(0)
	v_lshlrev_b32_e32 v6, 16, v1
	s_branch .LBB111_1408
.LBB111_1398:
	s_or_b64 exec, exec, s[0:1]
	s_and_saveexec_b64 s[0:1], s[40:41]
	s_cbranch_execnz .LBB111_1471
.LBB111_1399:
	s_or_b64 exec, exec, s[0:1]
	s_and_saveexec_b64 s[0:1], s[16:17]
	s_xor_b64 s[0:1], exec, s[0:1]
	s_cbranch_execz .LBB111_1472
.LBB111_1400:
	s_waitcnt vmcnt(0)
	global_load_ubyte v1, v[3:4], off
	s_or_b64 s[18:19], s[18:19], exec
	s_waitcnt vmcnt(0)
	v_cmp_ne_u16_e32 vcc, 0, v1
	v_cndmask_b32_e64 v6, 0, 1.0, vcc
	s_or_b64 exec, exec, s[0:1]
	s_and_saveexec_b64 s[0:1], s[20:21]
	s_cbranch_execz .LBB111_1518
	s_branch .LBB111_1473
.LBB111_1401:
	s_mov_b64 s[20:21], -1
                                        ; implicit-def: $vgpr6
	s_mov_b64 s[12:13], s[40:41]
	s_branch .LBB111_1470
.LBB111_1402:
	s_mov_b64 s[12:13], s[40:41]
                                        ; implicit-def: $vgpr6
	s_cbranch_execnz .LBB111_1437
	s_branch .LBB111_1469
.LBB111_1403:
	s_mov_b64 s[20:21], -1
	s_mov_b64 s[12:13], s[40:41]
                                        ; implicit-def: $vgpr6
	s_branch .LBB111_1418
.LBB111_1404:
	s_mov_b64 s[20:21], -1
	s_mov_b64 s[12:13], s[40:41]
                                        ; implicit-def: $vgpr6
	s_branch .LBB111_1413
.LBB111_1405:
	s_mov_b64 s[20:21], -1
	s_mov_b64 s[12:13], s[40:41]
	s_branch .LBB111_1407
.LBB111_1406:
	s_mov_b64 s[12:13], -1
.LBB111_1407:
                                        ; implicit-def: $vgpr6
.LBB111_1408:
	s_and_b64 vcc, exec, s[20:21]
	s_cbranch_vccz .LBB111_1412
; %bb.1409:
	s_cmp_eq_u32 s29, 44
	s_cbranch_scc0 .LBB111_1411
; %bb.1410:
	global_load_ubyte v1, v[3:4], off
	s_movk_i32 s18, 0xff
	v_mov_b32_e32 v2, 0x7f800001
	v_mov_b32_e32 v6, 0x400000
	s_mov_b64 s[12:13], 0
	s_waitcnt vmcnt(0)
	v_lshlrev_b32_e32 v7, 23, v1
	v_cmp_ne_u32_e32 vcc, s18, v1
	v_cndmask_b32_e32 v2, v2, v7, vcc
	v_cmp_ne_u32_e32 vcc, 0, v1
	v_cndmask_b32_e32 v6, v6, v2, vcc
	s_mov_b64 s[18:19], -1
	s_branch .LBB111_1412
.LBB111_1411:
	s_mov_b64 s[12:13], -1
                                        ; implicit-def: $vgpr6
.LBB111_1412:
	s_mov_b64 s[20:21], 0
.LBB111_1413:
	s_and_b64 vcc, exec, s[20:21]
	s_cbranch_vccz .LBB111_1417
; %bb.1414:
	s_cmp_eq_u32 s29, 29
	s_cbranch_scc0 .LBB111_1416
; %bb.1415:
	global_load_dwordx2 v[1:2], v[3:4], off
	s_mov_b64 s[12:13], 0
	s_mov_b64 s[18:19], -1
	s_mov_b64 s[20:21], 0
	s_waitcnt vmcnt(0)
	v_ffbh_u32_e32 v6, v2
	v_min_u32_e32 v6, 32, v6
	v_lshlrev_b64 v[1:2], v6, v[1:2]
	v_min_u32_e32 v1, 1, v1
	v_or_b32_e32 v1, v2, v1
	v_cvt_f32_u32_e32 v1, v1
	v_sub_u32_e32 v2, 32, v6
	v_ldexp_f32 v6, v1, v2
	s_branch .LBB111_1418
.LBB111_1416:
	s_mov_b64 s[12:13], -1
                                        ; implicit-def: $vgpr6
.LBB111_1417:
	s_mov_b64 s[20:21], 0
.LBB111_1418:
	s_and_b64 vcc, exec, s[20:21]
	s_cbranch_vccz .LBB111_1436
; %bb.1419:
	s_cmp_lt_i32 s29, 27
	s_cbranch_scc1 .LBB111_1422
; %bb.1420:
	s_cmp_gt_i32 s29, 27
	s_cbranch_scc0 .LBB111_1423
; %bb.1421:
	global_load_dword v1, v[3:4], off
	s_mov_b64 s[18:19], 0
	s_waitcnt vmcnt(0)
	v_cvt_f32_u32_e32 v6, v1
	s_branch .LBB111_1424
.LBB111_1422:
	s_mov_b64 s[18:19], -1
                                        ; implicit-def: $vgpr6
	s_branch .LBB111_1427
.LBB111_1423:
	s_mov_b64 s[18:19], -1
                                        ; implicit-def: $vgpr6
.LBB111_1424:
	s_andn2_b64 vcc, exec, s[18:19]
	s_cbranch_vccnz .LBB111_1426
; %bb.1425:
	global_load_ushort v1, v[3:4], off
	s_waitcnt vmcnt(0)
	v_cvt_f32_u32_e32 v6, v1
.LBB111_1426:
	s_mov_b64 s[18:19], 0
.LBB111_1427:
	s_andn2_b64 vcc, exec, s[18:19]
	s_cbranch_vccnz .LBB111_1435
; %bb.1428:
	global_load_ubyte v1, v[3:4], off
	s_movk_i32 s18, 0x7f
	s_waitcnt vmcnt(0)
	v_cmp_lt_i16_e32 vcc, s18, v1
	s_mov_b64 s[18:19], 0
	s_and_saveexec_b64 s[20:21], vcc
	s_xor_b64 s[20:21], exec, s[20:21]
	s_cbranch_execz .LBB111_1448
; %bb.1429:
	s_movk_i32 s18, 0x80
	v_cmp_eq_u16_e32 vcc, s18, v1
	s_mov_b64 s[18:19], -1
	s_and_saveexec_b64 s[22:23], vcc
; %bb.1430:
	s_xor_b64 s[18:19], exec, -1
; %bb.1431:
	s_or_b64 exec, exec, s[22:23]
	s_and_b64 s[18:19], s[18:19], exec
	s_or_saveexec_b64 s[20:21], s[20:21]
	v_mov_b32_e32 v6, 0x7f800001
	s_xor_b64 exec, exec, s[20:21]
	s_cbranch_execnz .LBB111_1449
.LBB111_1432:
	s_or_b64 exec, exec, s[20:21]
	s_and_saveexec_b64 s[20:21], s[18:19]
	s_cbranch_execz .LBB111_1434
.LBB111_1433:
	v_lshlrev_b32_e32 v2, 24, v1
	v_and_b32_e32 v1, 0xffff, v1
	v_and_b32_e32 v6, 7, v1
	v_ffbh_u32_e32 v8, v6
	v_min_u32_e32 v8, 32, v8
	v_subrev_u32_e32 v9, 28, v8
	v_bfe_u32 v7, v1, 3, 4
	v_lshlrev_b32_e32 v1, v9, v1
	v_sub_u32_e32 v8, 29, v8
	v_and_b32_e32 v1, 7, v1
	v_cmp_eq_u32_e32 vcc, 0, v7
	v_cndmask_b32_e32 v7, v7, v8, vcc
	v_cndmask_b32_e32 v1, v6, v1, vcc
	v_mov_b32_e32 v6, 0x3b800000
	v_lshlrev_b32_e32 v1, 20, v1
	v_and_b32_e32 v2, 0x80000000, v2
	v_lshl_add_u32 v6, v7, 23, v6
	v_or3_b32 v6, v2, v6, v1
.LBB111_1434:
	s_or_b64 exec, exec, s[20:21]
.LBB111_1435:
	s_mov_b64 s[18:19], -1
.LBB111_1436:
	s_branch .LBB111_1469
.LBB111_1437:
	s_cmp_gt_i32 s29, 22
	s_cbranch_scc0 .LBB111_1447
; %bb.1438:
	s_cmp_lt_i32 s29, 24
	s_cbranch_scc1 .LBB111_1450
; %bb.1439:
	s_cmp_gt_i32 s29, 24
	s_cbranch_scc0 .LBB111_1451
; %bb.1440:
	global_load_ubyte v1, v[3:4], off
	s_movk_i32 s16, 0x7f
	s_waitcnt vmcnt(0)
	v_cmp_lt_i16_e32 vcc, s16, v1
	s_mov_b64 s[16:17], 0
	s_and_saveexec_b64 s[18:19], vcc
	s_xor_b64 s[18:19], exec, s[18:19]
	s_cbranch_execz .LBB111_1463
; %bb.1441:
	s_movk_i32 s16, 0x80
	v_cmp_eq_u16_e32 vcc, s16, v1
	s_mov_b64 s[16:17], -1
	s_and_saveexec_b64 s[20:21], vcc
; %bb.1442:
	s_xor_b64 s[16:17], exec, -1
; %bb.1443:
	s_or_b64 exec, exec, s[20:21]
	s_and_b64 s[16:17], s[16:17], exec
	s_or_saveexec_b64 s[18:19], s[18:19]
	v_mov_b32_e32 v6, 0x7f800001
	s_xor_b64 exec, exec, s[18:19]
	s_cbranch_execnz .LBB111_1464
.LBB111_1444:
	s_or_b64 exec, exec, s[18:19]
	s_and_saveexec_b64 s[18:19], s[16:17]
	s_cbranch_execz .LBB111_1446
.LBB111_1445:
	v_lshlrev_b32_e32 v2, 24, v1
	v_and_b32_e32 v1, 0xffff, v1
	v_and_b32_e32 v6, 3, v1
	v_ffbh_u32_e32 v8, v6
	v_min_u32_e32 v8, 32, v8
	v_subrev_u32_e32 v9, 29, v8
	v_bfe_u32 v7, v1, 2, 5
	v_lshlrev_b32_e32 v1, v9, v1
	v_sub_u32_e32 v8, 30, v8
	v_and_b32_e32 v1, 3, v1
	v_cmp_eq_u32_e32 vcc, 0, v7
	v_cndmask_b32_e32 v7, v7, v8, vcc
	v_cndmask_b32_e32 v1, v6, v1, vcc
	v_mov_b32_e32 v6, 0x37800000
	v_lshlrev_b32_e32 v1, 21, v1
	v_and_b32_e32 v2, 0x80000000, v2
	v_lshl_add_u32 v6, v7, 23, v6
	v_or3_b32 v6, v2, v6, v1
.LBB111_1446:
	s_or_b64 exec, exec, s[18:19]
	s_mov_b64 s[16:17], 0
	s_branch .LBB111_1452
.LBB111_1447:
	s_mov_b64 s[16:17], -1
                                        ; implicit-def: $vgpr6
	s_branch .LBB111_1458
.LBB111_1448:
	s_or_saveexec_b64 s[20:21], s[20:21]
	v_mov_b32_e32 v6, 0x7f800001
	s_xor_b64 exec, exec, s[20:21]
	s_cbranch_execz .LBB111_1432
.LBB111_1449:
	v_cmp_ne_u16_e32 vcc, 0, v1
	s_andn2_b64 s[18:19], s[18:19], exec
	s_and_b64 s[22:23], vcc, exec
	v_mov_b32_e32 v6, 0
	s_or_b64 s[18:19], s[18:19], s[22:23]
	s_or_b64 exec, exec, s[20:21]
	s_and_saveexec_b64 s[20:21], s[18:19]
	s_cbranch_execnz .LBB111_1433
	s_branch .LBB111_1434
.LBB111_1450:
	s_mov_b64 s[16:17], -1
                                        ; implicit-def: $vgpr6
	s_branch .LBB111_1455
.LBB111_1451:
	s_mov_b64 s[16:17], -1
                                        ; implicit-def: $vgpr6
.LBB111_1452:
	s_and_b64 vcc, exec, s[16:17]
	s_cbranch_vccz .LBB111_1454
; %bb.1453:
	global_load_ubyte v1, v[3:4], off
	s_mov_b32 s16, 0x7f800000
	s_waitcnt vmcnt(0)
	v_lshlrev_b32_e32 v1, 24, v1
	v_and_b32_e32 v2, 0x7f000000, v1
	v_ffbh_u32_e32 v6, v2
	v_min_u32_e32 v6, 32, v6
	v_sub_u32_e64 v6, v6, 4 clamp
	v_lshlrev_b32_e32 v8, v6, v2
	v_lshlrev_b32_e32 v6, 23, v6
	v_lshrrev_b32_e32 v8, 4, v8
	v_add_u32_e32 v7, 0x1000000, v2
	v_sub_u32_e32 v6, v8, v6
	v_ashrrev_i32_e32 v7, 8, v7
	v_add_u32_e32 v6, 0x3c000000, v6
	v_and_or_b32 v6, v7, s16, v6
	v_cmp_ne_u32_e32 vcc, 0, v2
	v_cndmask_b32_e32 v2, 0, v6, vcc
	s_brev_b32 s16, 1
	v_and_or_b32 v6, v1, s16, v2
.LBB111_1454:
	s_mov_b64 s[16:17], 0
.LBB111_1455:
	s_andn2_b64 vcc, exec, s[16:17]
	s_cbranch_vccnz .LBB111_1457
; %bb.1456:
	global_load_ubyte v1, v[3:4], off
	s_movk_i32 s16, 0x7f00
	s_brev_b32 s17, 16
	s_waitcnt vmcnt(0)
	v_lshlrev_b16_e32 v2, 8, v1
	v_lshlrev_b32_e32 v1, 25, v1
	v_lshrrev_b32_e32 v6, 4, v1
	v_and_or_b32 v7, v2, s16, 0.5
	v_or_b32_e32 v6, 0x70000000, v6
	v_add_f32_e32 v7, -0.5, v7
	v_mul_f32_e32 v6, 0x7800000, v6
	v_cmp_gt_u32_e32 vcc, s17, v1
	v_bfe_i32 v2, v2, 0, 16
	v_cndmask_b32_e32 v1, v6, v7, vcc
	s_brev_b32 s16, 1
	v_and_or_b32 v6, v2, s16, v1
.LBB111_1457:
	s_mov_b64 s[16:17], 0
	s_mov_b64 s[18:19], -1
.LBB111_1458:
	s_andn2_b64 vcc, exec, s[16:17]
	s_mov_b64 s[16:17], 0
	s_cbranch_vccnz .LBB111_1469
; %bb.1459:
	s_cmp_gt_i32 s29, 14
	s_cbranch_scc0 .LBB111_1462
; %bb.1460:
	s_cmp_eq_u32 s29, 15
	s_cbranch_scc0 .LBB111_1465
; %bb.1461:
	global_load_ushort v1, v[3:4], off
	s_mov_b64 s[12:13], 0
	s_mov_b64 s[18:19], -1
	s_waitcnt vmcnt(0)
	v_lshlrev_b32_e32 v6, 16, v1
	s_branch .LBB111_1466
.LBB111_1462:
	s_mov_b64 s[20:21], -1
                                        ; implicit-def: $vgpr6
	s_branch .LBB111_1467
.LBB111_1463:
	s_or_saveexec_b64 s[18:19], s[18:19]
	v_mov_b32_e32 v6, 0x7f800001
	s_xor_b64 exec, exec, s[18:19]
	s_cbranch_execz .LBB111_1444
.LBB111_1464:
	v_cmp_ne_u16_e32 vcc, 0, v1
	s_andn2_b64 s[16:17], s[16:17], exec
	s_and_b64 s[20:21], vcc, exec
	v_mov_b32_e32 v6, 0
	s_or_b64 s[16:17], s[16:17], s[20:21]
	s_or_b64 exec, exec, s[18:19]
	s_and_saveexec_b64 s[18:19], s[16:17]
	s_cbranch_execnz .LBB111_1445
	s_branch .LBB111_1446
.LBB111_1465:
	s_mov_b64 s[12:13], -1
                                        ; implicit-def: $vgpr6
.LBB111_1466:
	s_mov_b64 s[20:21], 0
.LBB111_1467:
	s_and_b64 vcc, exec, s[20:21]
	s_cbranch_vccz .LBB111_1469
; %bb.1468:
	s_cmp_lg_u32 s29, 11
	s_cselect_b64 s[20:21], -1, 0
	s_andn2_b64 s[12:13], s[12:13], exec
	s_and_b64 s[20:21], s[20:21], exec
	s_mov_b64 s[16:17], -1
	s_or_b64 s[12:13], s[12:13], s[20:21]
.LBB111_1469:
	s_mov_b64 s[20:21], 0
.LBB111_1470:
	s_andn2_b64 s[22:23], s[40:41], exec
	s_and_b64 s[12:13], s[12:13], exec
	s_and_b64 s[18:19], s[18:19], exec
	;; [unrolled: 1-line block ×4, first 2 shown]
	s_or_b64 s[40:41], s[22:23], s[12:13]
	s_or_b64 exec, exec, s[0:1]
	s_and_saveexec_b64 s[0:1], s[40:41]
	s_cbranch_execz .LBB111_1399
.LBB111_1471:
	s_or_b64 s[10:11], s[10:11], exec
	s_andn2_b64 s[16:17], s[16:17], exec
	s_trap 2
	s_or_b64 exec, exec, s[0:1]
	s_and_saveexec_b64 s[0:1], s[16:17]
	s_xor_b64 s[0:1], exec, s[0:1]
	s_cbranch_execnz .LBB111_1400
.LBB111_1472:
	s_or_b64 exec, exec, s[0:1]
	s_and_saveexec_b64 s[0:1], s[20:21]
	s_cbranch_execz .LBB111_1518
.LBB111_1473:
	s_sext_i32_i16 s12, s28
	s_cmp_lt_i32 s12, 5
	s_cbranch_scc1 .LBB111_1478
; %bb.1474:
	s_cmp_lt_i32 s12, 8
	s_cbranch_scc1 .LBB111_1479
; %bb.1475:
	;; [unrolled: 3-line block ×3, first 2 shown]
	s_cmp_gt_i32 s12, 9
	s_cbranch_scc0 .LBB111_1481
; %bb.1477:
	s_waitcnt vmcnt(0)
	global_load_dwordx2 v[1:2], v[3:4], off
	s_mov_b64 s[12:13], 0
	s_waitcnt vmcnt(0)
	v_cvt_f32_f64_e32 v6, v[1:2]
	s_branch .LBB111_1482
.LBB111_1478:
                                        ; implicit-def: $vgpr6
	s_branch .LBB111_1499
.LBB111_1479:
                                        ; implicit-def: $vgpr6
	s_branch .LBB111_1488
.LBB111_1480:
	s_mov_b64 s[12:13], -1
                                        ; implicit-def: $vgpr6
	s_branch .LBB111_1485
.LBB111_1481:
	s_mov_b64 s[12:13], -1
                                        ; implicit-def: $vgpr6
.LBB111_1482:
	s_andn2_b64 vcc, exec, s[12:13]
	s_cbranch_vccnz .LBB111_1484
; %bb.1483:
	s_waitcnt vmcnt(0)
	global_load_dword v6, v[3:4], off
.LBB111_1484:
	s_mov_b64 s[12:13], 0
.LBB111_1485:
	s_andn2_b64 vcc, exec, s[12:13]
	s_cbranch_vccnz .LBB111_1487
; %bb.1486:
	s_waitcnt vmcnt(0)
	global_load_dword v1, v[3:4], off
	s_waitcnt vmcnt(0)
	v_cvt_f32_f16_e32 v6, v1
.LBB111_1487:
	s_cbranch_execnz .LBB111_1498
.LBB111_1488:
	s_sext_i32_i16 s12, s28
	s_cmp_lt_i32 s12, 6
	s_cbranch_scc1 .LBB111_1491
; %bb.1489:
	s_cmp_gt_i32 s12, 6
	s_cbranch_scc0 .LBB111_1492
; %bb.1490:
	s_waitcnt vmcnt(0)
	global_load_dwordx2 v[1:2], v[3:4], off
	s_mov_b64 s[12:13], 0
	s_waitcnt vmcnt(0)
	v_cvt_f32_f64_e32 v6, v[1:2]
	s_branch .LBB111_1493
.LBB111_1491:
	s_mov_b64 s[12:13], -1
                                        ; implicit-def: $vgpr6
	s_branch .LBB111_1496
.LBB111_1492:
	s_mov_b64 s[12:13], -1
                                        ; implicit-def: $vgpr6
.LBB111_1493:
	s_andn2_b64 vcc, exec, s[12:13]
	s_cbranch_vccnz .LBB111_1495
; %bb.1494:
	s_waitcnt vmcnt(0)
	global_load_dword v6, v[3:4], off
.LBB111_1495:
	s_mov_b64 s[12:13], 0
.LBB111_1496:
	s_andn2_b64 vcc, exec, s[12:13]
	s_cbranch_vccnz .LBB111_1498
; %bb.1497:
	s_waitcnt vmcnt(0)
	global_load_ushort v1, v[3:4], off
	s_waitcnt vmcnt(0)
	v_cvt_f32_f16_e32 v6, v1
.LBB111_1498:
	s_cbranch_execnz .LBB111_1517
.LBB111_1499:
	s_sext_i32_i16 s12, s28
	s_cmp_lt_i32 s12, 2
	s_cbranch_scc1 .LBB111_1503
; %bb.1500:
	s_cmp_lt_i32 s12, 3
	s_cbranch_scc1 .LBB111_1504
; %bb.1501:
	s_cmp_gt_i32 s12, 3
	s_cbranch_scc0 .LBB111_1505
; %bb.1502:
	s_waitcnt vmcnt(0)
	global_load_dwordx2 v[1:2], v[3:4], off
	s_mov_b64 s[12:13], 0
	s_waitcnt vmcnt(0)
	v_xor_b32_e32 v7, v1, v2
	v_ffbh_i32_e32 v6, v2
	v_ashrrev_i32_e32 v7, 31, v7
	v_add_u32_e32 v6, -1, v6
	v_add_u32_e32 v7, 32, v7
	v_min_u32_e32 v6, v6, v7
	v_lshlrev_b64 v[1:2], v6, v[1:2]
	v_min_u32_e32 v1, 1, v1
	v_or_b32_e32 v1, v2, v1
	v_cvt_f32_i32_e32 v1, v1
	v_sub_u32_e32 v2, 32, v6
	v_ldexp_f32 v6, v1, v2
	s_branch .LBB111_1506
.LBB111_1503:
                                        ; implicit-def: $vgpr6
	s_branch .LBB111_1512
.LBB111_1504:
	s_mov_b64 s[12:13], -1
                                        ; implicit-def: $vgpr6
	s_branch .LBB111_1509
.LBB111_1505:
	s_mov_b64 s[12:13], -1
                                        ; implicit-def: $vgpr6
.LBB111_1506:
	s_andn2_b64 vcc, exec, s[12:13]
	s_cbranch_vccnz .LBB111_1508
; %bb.1507:
	s_waitcnt vmcnt(0)
	global_load_dword v1, v[3:4], off
	s_waitcnt vmcnt(0)
	v_cvt_f32_i32_e32 v6, v1
.LBB111_1508:
	s_mov_b64 s[12:13], 0
.LBB111_1509:
	s_andn2_b64 vcc, exec, s[12:13]
	s_cbranch_vccnz .LBB111_1511
; %bb.1510:
	s_waitcnt vmcnt(0)
	global_load_sshort v1, v[3:4], off
	s_waitcnt vmcnt(0)
	v_cvt_f32_i32_e32 v6, v1
.LBB111_1511:
	s_cbranch_execnz .LBB111_1517
.LBB111_1512:
	s_sext_i32_i16 s12, s28
	s_cmp_gt_i32 s12, 0
	s_cbranch_scc0 .LBB111_1514
; %bb.1513:
	s_waitcnt vmcnt(0)
	global_load_sbyte v1, v[3:4], off
	s_mov_b64 s[12:13], 0
	s_waitcnt vmcnt(0)
	v_cvt_f32_i32_e32 v6, v1
	s_branch .LBB111_1515
.LBB111_1514:
	s_mov_b64 s[12:13], -1
                                        ; implicit-def: $vgpr6
.LBB111_1515:
	s_andn2_b64 vcc, exec, s[12:13]
	s_cbranch_vccnz .LBB111_1517
; %bb.1516:
	s_waitcnt vmcnt(0)
	global_load_ubyte v1, v[3:4], off
	s_waitcnt vmcnt(0)
	v_cvt_f32_ubyte0_e32 v6, v1
.LBB111_1517:
	s_or_b64 s[18:19], s[18:19], exec
.LBB111_1518:
	s_or_b64 exec, exec, s[0:1]
	s_mov_b64 s[22:23], 0
	s_mov_b64 s[20:21], 0
                                        ; implicit-def: $sgpr12_sgpr13
                                        ; implicit-def: $sgpr28
                                        ; implicit-def: $vgpr1_vgpr2
	s_and_saveexec_b64 s[16:17], s[18:19]
	s_cbranch_execz .LBB111_1523
; %bb.1519:
	s_cmp_lt_i32 s14, 1
	s_mov_b64 s[0:1], 0
	s_cbranch_scc1 .LBB111_1526
; %bb.1520:
	s_cmp_gt_i32 s14, 1
	s_cbranch_scc0 .LBB111_1527
; %bb.1521:
	s_cmp_eq_u32 s14, 2
	s_cbranch_scc0 .LBB111_1528
; %bb.1522:
	s_waitcnt vmcnt(0)
	v_cmp_le_f32_e64 s[12:13], v5, v6
	s_mov_b64 s[18:19], 0
	s_branch .LBB111_1530
.LBB111_1523:
	s_or_b64 exec, exec, s[16:17]
	s_and_saveexec_b64 s[0:1], s[38:39]
	s_cbranch_execnz .LBB111_1615
.LBB111_1524:
	s_or_b64 exec, exec, s[0:1]
	s_and_saveexec_b64 s[0:1], s[22:23]
	s_xor_b64 s[0:1], exec, s[0:1]
	s_cbranch_execz .LBB111_1616
.LBB111_1525:
	v_cndmask_b32_e64 v0, 0, 1, s[12:13]
	global_store_byte v[1:2], v0, off
	s_or_b64 exec, exec, s[0:1]
	s_and_saveexec_b64 s[0:1], s[20:21]
	s_xor_b64 s[0:1], exec, s[0:1]
	s_cbranch_execz .LBB111_1654
	s_branch .LBB111_1617
.LBB111_1526:
                                        ; implicit-def: $sgpr12_sgpr13
	s_mov_b64 s[18:19], 0
	s_cbranch_execnz .LBB111_1533
	s_branch .LBB111_1534
.LBB111_1527:
	s_mov_b64 s[20:21], -1
	s_mov_b64 s[18:19], 0
	s_branch .LBB111_1529
.LBB111_1528:
	s_mov_b64 s[18:19], -1
.LBB111_1529:
                                        ; implicit-def: $sgpr12_sgpr13
.LBB111_1530:
	s_and_b64 vcc, exec, s[20:21]
	s_cbranch_vccz .LBB111_1532
; %bb.1531:
	s_waitcnt vmcnt(0)
	v_cmp_gt_f32_e32 vcc, v5, v6
	s_andn2_b64 s[12:13], s[12:13], exec
	s_and_b64 s[20:21], vcc, exec
	s_or_b64 s[12:13], s[12:13], s[20:21]
.LBB111_1532:
	s_branch .LBB111_1534
.LBB111_1533:
	s_cmp_lg_u32 s14, 0
	s_mov_b64 s[0:1], -1
	s_cselect_b64 s[18:19], -1, 0
.LBB111_1534:
	s_andn2_b64 vcc, exec, s[18:19]
	s_cbranch_vccnz .LBB111_1536
; %bb.1535:
	s_waitcnt vmcnt(0)
	v_cmp_lt_f32_e32 vcc, v5, v6
	s_andn2_b64 s[12:13], s[12:13], exec
	s_and_b64 s[18:19], vcc, exec
	s_or_b64 s[12:13], s[12:13], s[18:19]
	s_cbranch_execz .LBB111_1537
	s_branch .LBB111_1538
.LBB111_1536:
	s_andn2_b64 vcc, exec, s[0:1]
	s_cbranch_vccnz .LBB111_1538
.LBB111_1537:
	s_waitcnt vmcnt(0)
	v_cmp_ge_f32_e32 vcc, v5, v6
	s_andn2_b64 s[0:1], s[12:13], exec
	s_and_b64 s[12:13], vcc, exec
	s_or_b64 s[12:13], s[0:1], s[12:13]
.LBB111_1538:
	v_mov_b32_e32 v2, s9
	s_and_b32 s28, s15, 0xff
	v_add_co_u32_e32 v1, vcc, s8, v0
	s_cmp_lt_i32 s28, 11
	v_addc_co_u32_e32 v2, vcc, 0, v2, vcc
	s_cbranch_scc1 .LBB111_1612
; %bb.1539:
	s_and_b32 s22, 0xffff, s28
	s_mov_b64 s[14:15], -1
	s_cmp_gt_i32 s22, 25
	s_mov_b64 s[0:1], s[38:39]
	s_cbranch_scc0 .LBB111_1572
; %bb.1540:
	s_mov_b64 s[8:9], -1
	s_cmp_gt_i32 s22, 28
	s_mov_b64 s[0:1], s[38:39]
	s_cbranch_scc0 .LBB111_1556
; %bb.1541:
	s_cmp_gt_i32 s22, 43
	s_mov_b64 s[0:1], s[38:39]
	s_cbranch_scc0 .LBB111_1552
; %bb.1542:
	;; [unrolled: 4-line block ×3, first 2 shown]
	s_cmp_eq_u32 s22, 46
	s_mov_b64 s[0:1], -1
	s_cbranch_scc0 .LBB111_1545
; %bb.1544:
	v_cndmask_b32_e64 v0, 0, 1.0, s[12:13]
	s_waitcnt vmcnt(0)
	v_bfe_u32 v3, v0, 16, 1
	s_movk_i32 s0, 0x7fff
	v_add3_u32 v0, v0, v3, s0
	v_lshrrev_b32_e32 v0, 16, v0
	global_store_dword v[1:2], v0, off
	s_mov_b64 s[0:1], 0
.LBB111_1545:
	s_mov_b64 s[8:9], 0
.LBB111_1546:
	s_and_b64 vcc, exec, s[8:9]
	s_cbranch_vccz .LBB111_1551
; %bb.1547:
	s_cmp_eq_u32 s22, 44
	s_mov_b64 s[0:1], -1
	s_cbranch_scc0 .LBB111_1551
; %bb.1548:
	s_waitcnt vmcnt(0)
	v_cndmask_b32_e64 v3, 0, 1.0, s[12:13]
	v_lshrrev_b32_e32 v0, 23, v3
	s_movk_i32 s0, 0xff
	v_cmp_ne_u32_e32 vcc, s0, v0
	v_mov_b32_e32 v4, 0xff
	s_and_saveexec_b64 s[8:9], vcc
; %bb.1549:
	s_mov_b32 s0, 0x3fffff
	v_and_b32_e32 v4, 0x400000, v3
	v_and_or_b32 v3, v3, s0, v0
	v_cmp_ne_u32_e32 vcc, 0, v4
	v_cmp_ne_u32_e64 s[0:1], 0, v3
	s_and_b64 s[0:1], vcc, s[0:1]
	v_cndmask_b32_e64 v3, 0, 1, s[0:1]
	v_add_u32_e32 v4, v0, v3
; %bb.1550:
	s_or_b64 exec, exec, s[8:9]
	s_mov_b64 s[0:1], 0
	global_store_byte v[1:2], v4, off
.LBB111_1551:
	s_mov_b64 s[8:9], 0
.LBB111_1552:
	s_and_b64 vcc, exec, s[8:9]
	s_cbranch_vccz .LBB111_1555
; %bb.1553:
	s_cmp_eq_u32 s22, 29
	s_mov_b64 s[0:1], -1
	s_cbranch_scc0 .LBB111_1555
; %bb.1554:
	s_mov_b32 s0, 0
	s_waitcnt vmcnt(0)
	v_cndmask_b32_e64 v3, 0, 1, s[12:13]
	v_mov_b32_e32 v4, s0
	global_store_dwordx2 v[1:2], v[3:4], off
	s_mov_b64 s[0:1], 0
.LBB111_1555:
	s_mov_b64 s[8:9], 0
.LBB111_1556:
	s_and_b64 vcc, exec, s[8:9]
	s_cbranch_vccz .LBB111_1571
; %bb.1557:
	s_cmp_lt_i32 s22, 27
	s_mov_b64 s[8:9], -1
	s_cbranch_scc1 .LBB111_1563
; %bb.1558:
	s_cmp_gt_i32 s22, 27
	s_cbranch_scc0 .LBB111_1560
; %bb.1559:
	v_cndmask_b32_e64 v0, 0, 1, s[12:13]
	s_mov_b64 s[8:9], 0
	global_store_dword v[1:2], v0, off
.LBB111_1560:
	s_andn2_b64 vcc, exec, s[8:9]
	s_cbranch_vccnz .LBB111_1562
; %bb.1561:
	v_cndmask_b32_e64 v0, 0, 1, s[12:13]
	global_store_short v[1:2], v0, off
.LBB111_1562:
	s_mov_b64 s[8:9], 0
.LBB111_1563:
	s_andn2_b64 vcc, exec, s[8:9]
	s_cbranch_vccnz .LBB111_1571
; %bb.1564:
	s_waitcnt vmcnt(0)
	v_cndmask_b32_e64 v3, 0, 1.0, s[12:13]
	s_mov_b32 s8, 0x43800000
	v_cmp_gt_u32_e32 vcc, s8, v3
	v_mov_b32_e32 v4, 0x80
	s_and_saveexec_b64 s[8:9], vcc
	s_cbranch_execz .LBB111_1570
; %bb.1565:
	s_mov_b32 s14, 0x3bffffff
	v_cmp_lt_u32_e32 vcc, s14, v3
	s_mov_b64 s[14:15], 0
                                        ; implicit-def: $vgpr0
	s_and_saveexec_b64 s[18:19], vcc
	s_xor_b64 s[18:19], exec, s[18:19]
	s_cbranch_execz .LBB111_1713
; %bb.1566:
	v_bfe_u32 v0, v3, 20, 1
	s_mov_b32 s20, 0x487ffff
	v_add3_u32 v0, v3, v0, s20
	s_mov_b64 s[14:15], exec
	v_lshrrev_b32_e32 v0, 20, v0
                                        ; implicit-def: $vgpr3
	s_andn2_saveexec_b64 s[18:19], s[18:19]
	s_cbranch_execnz .LBB111_1714
.LBB111_1567:
	s_or_b64 exec, exec, s[18:19]
	v_mov_b32_e32 v4, 0
	s_and_saveexec_b64 s[18:19], s[14:15]
.LBB111_1568:
	v_mov_b32_e32 v4, v0
.LBB111_1569:
	s_or_b64 exec, exec, s[18:19]
.LBB111_1570:
	s_or_b64 exec, exec, s[8:9]
	global_store_byte v[1:2], v4, off
.LBB111_1571:
	s_mov_b64 s[14:15], 0
.LBB111_1572:
	s_mov_b64 s[8:9], 0
	s_and_b64 vcc, exec, s[14:15]
	s_cbranch_vccz .LBB111_1613
; %bb.1573:
	s_cmp_gt_i32 s22, 22
	s_mov_b64 s[14:15], -1
	s_cbranch_scc0 .LBB111_1605
; %bb.1574:
	s_cmp_lt_i32 s22, 24
	s_cbranch_scc1 .LBB111_1594
; %bb.1575:
	s_cmp_gt_i32 s22, 24
	s_cbranch_scc0 .LBB111_1583
; %bb.1576:
	s_waitcnt vmcnt(0)
	v_cndmask_b32_e64 v3, 0, 1.0, s[12:13]
	s_mov_b32 s14, 0x47800000
	v_cmp_gt_u32_e32 vcc, s14, v3
	v_mov_b32_e32 v4, 0x80
	s_and_saveexec_b64 s[14:15], vcc
	s_cbranch_execz .LBB111_1582
; %bb.1577:
	s_mov_b32 s18, 0x37ffffff
	v_cmp_lt_u32_e32 vcc, s18, v3
	s_mov_b64 s[18:19], 0
                                        ; implicit-def: $vgpr0
	s_and_saveexec_b64 s[20:21], vcc
	s_xor_b64 s[20:21], exec, s[20:21]
	s_cbranch_execz .LBB111_1838
; %bb.1578:
	v_bfe_u32 v0, v3, 21, 1
	s_mov_b32 s23, 0x88fffff
	v_add3_u32 v0, v3, v0, s23
	s_mov_b64 s[18:19], exec
	v_lshrrev_b32_e32 v0, 21, v0
                                        ; implicit-def: $vgpr3
	s_andn2_saveexec_b64 s[20:21], s[20:21]
	s_cbranch_execnz .LBB111_1839
.LBB111_1579:
	s_or_b64 exec, exec, s[20:21]
	v_mov_b32_e32 v4, 0
	s_and_saveexec_b64 s[20:21], s[18:19]
.LBB111_1580:
	v_mov_b32_e32 v4, v0
.LBB111_1581:
	s_or_b64 exec, exec, s[20:21]
.LBB111_1582:
	s_or_b64 exec, exec, s[14:15]
	s_mov_b64 s[14:15], 0
	global_store_byte v[1:2], v4, off
.LBB111_1583:
	s_and_b64 vcc, exec, s[14:15]
	s_cbranch_vccz .LBB111_1593
; %bb.1584:
	v_cndmask_b32_e64 v0, 0, 1.0, s[12:13]
	s_mov_b32 s14, 0x43f00000
	v_cmp_gt_u32_e32 vcc, s14, v0
                                        ; implicit-def: $vgpr3
	s_and_saveexec_b64 s[14:15], vcc
	s_xor_b64 s[14:15], exec, s[14:15]
	s_cbranch_execz .LBB111_1590
; %bb.1585:
	s_mov_b32 s18, 0x3c7fffff
	v_cmp_lt_u32_e32 vcc, s18, v0
                                        ; implicit-def: $vgpr3
	s_and_saveexec_b64 s[18:19], vcc
	s_xor_b64 s[18:19], exec, s[18:19]
	s_cbranch_execz .LBB111_1587
; %bb.1586:
	s_waitcnt vmcnt(0)
	v_bfe_u32 v3, v0, 20, 1
	s_mov_b32 s20, 0x407ffff
	v_add3_u32 v0, v0, v3, s20
	v_lshrrev_b32_e32 v3, 20, v0
	v_and_b32_e32 v0, 0xff00000, v0
	s_mov_b32 s20, 0x7f00000
	v_mov_b32_e32 v4, 0x7e
	v_cmp_ne_u32_e32 vcc, s20, v0
	v_cndmask_b32_e32 v3, v4, v3, vcc
                                        ; implicit-def: $vgpr0
.LBB111_1587:
	s_andn2_saveexec_b64 s[18:19], s[18:19]
	s_cbranch_execz .LBB111_1589
; %bb.1588:
	s_waitcnt vmcnt(0)
	v_add_f32_e32 v3, 0x46800000, v0
.LBB111_1589:
	s_or_b64 exec, exec, s[18:19]
                                        ; implicit-def: $vgpr0
.LBB111_1590:
	s_andn2_saveexec_b64 s[14:15], s[14:15]
	s_cbranch_execz .LBB111_1592
; %bb.1591:
	s_mov_b32 s18, 0x7f800000
	s_waitcnt vmcnt(0)
	v_mov_b32_e32 v3, 0x7e
	v_mov_b32_e32 v4, 0x7f
	v_cmp_lt_u32_e32 vcc, s18, v0
	v_cndmask_b32_e32 v3, v3, v4, vcc
.LBB111_1592:
	s_or_b64 exec, exec, s[14:15]
	s_waitcnt vmcnt(0)
	global_store_byte v[1:2], v3, off
.LBB111_1593:
	s_mov_b64 s[14:15], 0
.LBB111_1594:
	s_andn2_b64 vcc, exec, s[14:15]
	s_cbranch_vccnz .LBB111_1604
; %bb.1595:
	v_cndmask_b32_e64 v0, 0, 1.0, s[12:13]
	s_mov_b32 s14, 0x47800000
	v_cmp_gt_u32_e32 vcc, s14, v0
                                        ; implicit-def: $vgpr3
	s_and_saveexec_b64 s[14:15], vcc
	s_xor_b64 s[14:15], exec, s[14:15]
	s_cbranch_execz .LBB111_1601
; %bb.1596:
	s_mov_b32 s18, 0x387fffff
	v_cmp_lt_u32_e32 vcc, s18, v0
                                        ; implicit-def: $vgpr3
	s_and_saveexec_b64 s[18:19], vcc
	s_xor_b64 s[18:19], exec, s[18:19]
	s_cbranch_execz .LBB111_1598
; %bb.1597:
	s_waitcnt vmcnt(0)
	v_bfe_u32 v3, v0, 21, 1
	s_mov_b32 s20, 0x80fffff
	v_add3_u32 v0, v0, v3, s20
	v_lshrrev_b32_e32 v3, 21, v0
                                        ; implicit-def: $vgpr0
.LBB111_1598:
	s_andn2_saveexec_b64 s[18:19], s[18:19]
	s_cbranch_execz .LBB111_1600
; %bb.1599:
	s_waitcnt vmcnt(0)
	v_add_f32_e32 v3, 0x43000000, v0
.LBB111_1600:
	s_or_b64 exec, exec, s[18:19]
                                        ; implicit-def: $vgpr0
.LBB111_1601:
	s_andn2_saveexec_b64 s[14:15], s[14:15]
	s_cbranch_execz .LBB111_1603
; %bb.1602:
	s_mov_b32 s18, 0x7f800000
	s_waitcnt vmcnt(0)
	v_mov_b32_e32 v3, 0x7c
	v_mov_b32_e32 v4, 0x7f
	v_cmp_lt_u32_e32 vcc, s18, v0
	v_cndmask_b32_e32 v3, v3, v4, vcc
.LBB111_1603:
	s_or_b64 exec, exec, s[14:15]
	s_waitcnt vmcnt(0)
	global_store_byte v[1:2], v3, off
.LBB111_1604:
	s_mov_b64 s[14:15], 0
.LBB111_1605:
	s_andn2_b64 vcc, exec, s[14:15]
	s_mov_b64 s[14:15], 0
	s_cbranch_vccnz .LBB111_1614
; %bb.1606:
	s_cmp_gt_i32 s22, 14
	s_mov_b64 s[18:19], -1
	s_cbranch_scc0 .LBB111_1610
; %bb.1607:
	s_cmp_eq_u32 s22, 15
	s_mov_b64 s[0:1], -1
	s_cbranch_scc0 .LBB111_1609
; %bb.1608:
	v_cndmask_b32_e64 v0, 0, 1.0, s[12:13]
	s_waitcnt vmcnt(0)
	v_bfe_u32 v3, v0, 16, 1
	s_movk_i32 s0, 0x7fff
	v_add3_u32 v0, v0, v3, s0
	global_store_short_d16_hi v[1:2], v0, off
	s_mov_b64 s[0:1], 0
.LBB111_1609:
	s_mov_b64 s[18:19], 0
.LBB111_1610:
	s_and_b64 vcc, exec, s[18:19]
	s_cbranch_vccz .LBB111_1614
; %bb.1611:
	s_cmp_lg_u32 s22, 11
	s_cselect_b64 s[18:19], -1, 0
	s_andn2_b64 s[0:1], s[0:1], exec
	s_and_b64 s[18:19], s[18:19], exec
	s_mov_b64 s[14:15], -1
	s_or_b64 s[0:1], s[0:1], s[18:19]
	s_branch .LBB111_1614
.LBB111_1612:
	s_mov_b64 s[14:15], 0
	s_mov_b64 s[8:9], -1
	s_mov_b64 s[0:1], s[38:39]
	s_branch .LBB111_1614
.LBB111_1613:
	s_mov_b64 s[14:15], 0
.LBB111_1614:
	s_and_b64 s[20:21], s[8:9], exec
	s_andn2_b64 s[8:9], s[38:39], exec
	s_and_b64 s[0:1], s[0:1], exec
	s_and_b64 s[22:23], s[14:15], exec
	s_or_b64 s[38:39], s[8:9], s[0:1]
	s_or_b64 exec, exec, s[16:17]
	s_and_saveexec_b64 s[0:1], s[38:39]
	s_cbranch_execz .LBB111_1524
.LBB111_1615:
	s_or_b64 s[10:11], s[10:11], exec
	s_andn2_b64 s[22:23], s[22:23], exec
	s_trap 2
	s_or_b64 exec, exec, s[0:1]
	s_and_saveexec_b64 s[0:1], s[22:23]
	s_xor_b64 s[0:1], exec, s[0:1]
	s_cbranch_execnz .LBB111_1525
.LBB111_1616:
	s_or_b64 exec, exec, s[0:1]
	s_and_saveexec_b64 s[0:1], s[20:21]
	s_xor_b64 s[0:1], exec, s[0:1]
	s_cbranch_execz .LBB111_1654
.LBB111_1617:
	s_sext_i32_i16 s14, s28
	s_cmp_lt_i32 s14, 5
	s_mov_b64 s[8:9], -1
	s_cbranch_scc1 .LBB111_1638
; %bb.1618:
	s_cmp_lt_i32 s14, 8
	s_cbranch_scc1 .LBB111_1628
; %bb.1619:
	s_cmp_lt_i32 s14, 9
	s_cbranch_scc1 .LBB111_1625
; %bb.1620:
	s_cmp_gt_i32 s14, 9
	s_cbranch_scc0 .LBB111_1622
; %bb.1621:
	v_cndmask_b32_e64 v0, 0, 1, s[12:13]
	s_waitcnt vmcnt(0)
	v_cvt_f64_u32_e32 v[3:4], v0
	v_mov_b32_e32 v5, 0
	v_mov_b32_e32 v6, v5
	s_mov_b64 s[8:9], 0
	global_store_dwordx4 v[1:2], v[3:6], off
.LBB111_1622:
	s_andn2_b64 vcc, exec, s[8:9]
	s_cbranch_vccnz .LBB111_1624
; %bb.1623:
	s_waitcnt vmcnt(0)
	v_cndmask_b32_e64 v3, 0, 1.0, s[12:13]
	v_mov_b32_e32 v4, 0
	global_store_dwordx2 v[1:2], v[3:4], off
.LBB111_1624:
	s_mov_b64 s[8:9], 0
.LBB111_1625:
	s_andn2_b64 vcc, exec, s[8:9]
	s_cbranch_vccnz .LBB111_1627
; %bb.1626:
	v_cndmask_b32_e64 v0, 0, 1.0, s[12:13]
	v_cvt_f16_f32_e32 v0, v0
	global_store_dword v[1:2], v0, off
.LBB111_1627:
	s_mov_b64 s[8:9], 0
.LBB111_1628:
	s_andn2_b64 vcc, exec, s[8:9]
	s_cbranch_vccnz .LBB111_1637
; %bb.1629:
	s_sext_i32_i16 s14, s28
	s_cmp_lt_i32 s14, 6
	s_mov_b64 s[8:9], -1
	s_cbranch_scc1 .LBB111_1635
; %bb.1630:
	s_cmp_gt_i32 s14, 6
	s_cbranch_scc0 .LBB111_1632
; %bb.1631:
	v_cndmask_b32_e64 v0, 0, 1, s[12:13]
	s_waitcnt vmcnt(0)
	v_cvt_f64_u32_e32 v[3:4], v0
	s_mov_b64 s[8:9], 0
	global_store_dwordx2 v[1:2], v[3:4], off
.LBB111_1632:
	s_andn2_b64 vcc, exec, s[8:9]
	s_cbranch_vccnz .LBB111_1634
; %bb.1633:
	v_cndmask_b32_e64 v0, 0, 1.0, s[12:13]
	global_store_dword v[1:2], v0, off
.LBB111_1634:
	s_mov_b64 s[8:9], 0
.LBB111_1635:
	s_andn2_b64 vcc, exec, s[8:9]
	s_cbranch_vccnz .LBB111_1637
; %bb.1636:
	v_cndmask_b32_e64 v0, 0, 1.0, s[12:13]
	v_cvt_f16_f32_e32 v0, v0
	global_store_short v[1:2], v0, off
.LBB111_1637:
	s_mov_b64 s[8:9], 0
.LBB111_1638:
	s_andn2_b64 vcc, exec, s[8:9]
	s_cbranch_vccnz .LBB111_1654
; %bb.1639:
	s_sext_i32_i16 s14, s28
	s_cmp_lt_i32 s14, 2
	s_mov_b64 s[8:9], -1
	s_cbranch_scc1 .LBB111_1649
; %bb.1640:
	s_cmp_lt_i32 s14, 3
	s_cbranch_scc1 .LBB111_1646
; %bb.1641:
	s_cmp_gt_i32 s14, 3
	s_cbranch_scc0 .LBB111_1643
; %bb.1642:
	s_mov_b32 s8, 0
	s_waitcnt vmcnt(0)
	v_cndmask_b32_e64 v3, 0, 1, s[12:13]
	v_mov_b32_e32 v4, s8
	s_mov_b64 s[8:9], 0
	global_store_dwordx2 v[1:2], v[3:4], off
.LBB111_1643:
	s_andn2_b64 vcc, exec, s[8:9]
	s_cbranch_vccnz .LBB111_1645
; %bb.1644:
	v_cndmask_b32_e64 v0, 0, 1, s[12:13]
	global_store_dword v[1:2], v0, off
.LBB111_1645:
	s_mov_b64 s[8:9], 0
.LBB111_1646:
	s_andn2_b64 vcc, exec, s[8:9]
	s_cbranch_vccnz .LBB111_1648
; %bb.1647:
	v_cndmask_b32_e64 v0, 0, 1, s[12:13]
	global_store_short v[1:2], v0, off
.LBB111_1648:
	s_mov_b64 s[8:9], 0
.LBB111_1649:
	s_andn2_b64 vcc, exec, s[8:9]
	s_cbranch_vccnz .LBB111_1654
; %bb.1650:
	s_sext_i32_i16 s14, s28
	s_mov_b64 s[8:9], -1
	s_cmp_gt_i32 s14, 0
	v_cndmask_b32_e64 v0, 0, 1, s[12:13]
	s_cbranch_scc0 .LBB111_1652
; %bb.1651:
	s_mov_b64 s[8:9], 0
	global_store_byte v[1:2], v0, off
.LBB111_1652:
	s_andn2_b64 vcc, exec, s[8:9]
	s_cbranch_vccnz .LBB111_1654
; %bb.1653:
	global_store_byte v[1:2], v0, off
.LBB111_1654:
	s_or_b64 exec, exec, s[0:1]
	s_and_b64 s[12:13], s[10:11], exec
                                        ; implicit-def: $vgpr23
                                        ; implicit-def: $vgpr8
.LBB111_1655:
	s_or_saveexec_b64 s[14:15], s[26:27]
	s_mov_b64 s[0:1], 0
                                        ; implicit-def: $sgpr10_sgpr11
                                        ; implicit-def: $vgpr0_vgpr1
                                        ; implicit-def: $sgpr26
	s_xor_b64 exec, exec, s[14:15]
	s_cbranch_execz .LBB111_2791
; %bb.1656:
	v_cndmask_b32_e64 v0, 0, 1, s[24:25]
	v_cmp_ne_u32_e64 s[0:1], 1, v0
	s_andn2_b64 vcc, exec, s[24:25]
	s_cbranch_vccnz .LBB111_1662
; %bb.1657:
	s_cmp_lg_u32 s33, 0
	s_cbranch_scc0 .LBB111_1663
; %bb.1658:
	s_min_u32 s8, s70, 15
	s_add_i32 s6, s8, 1
	s_and_b32 s9, s6, 30
	s_add_u32 s6, s2, 0xffffffe8
	s_addc_u32 s7, s3, -1
	v_mov_b32_e32 v19, 0
	v_mov_b32_e32 v21, 0
	s_waitcnt vmcnt(0)
	v_mov_b32_e32 v6, 0
	v_mov_b32_e32 v0, v8
.LBB111_1659:                           ; =>This Inner Loop Header: Depth=1
	s_load_dwordx4 s[16:19], s[6:7], 0x1c
	s_load_dwordx2 s[10:11], s[6:7], 0x2c
	s_load_dwordx2 s[24:25], s[6:7], 0xec
	s_load_dwordx4 s[20:23], s[6:7], 0xdc
	s_add_u32 s6, s6, 24
	s_waitcnt lgkmcnt(0)
	v_mul_hi_u32 v1, s17, v0
	s_addc_u32 s7, s7, 0
	s_add_i32 s9, s9, -2
	s_cmp_lg_u32 s9, 0
	v_add_u32_e32 v1, v0, v1
	v_lshrrev_b32_e32 v1, s18, v1
	v_mul_lo_u32 v2, v1, s16
	v_mul_hi_u32 v3, s10, v1
	v_sub_u32_e32 v2, v0, v2
	v_add_u32_e32 v0, v1, v3
	v_lshrrev_b32_e32 v0, s11, v0
	v_mul_lo_u32 v5, v0, s19
	v_mul_lo_u32 v3, v2, s20
	;; [unrolled: 1-line block ×4, first 2 shown]
	v_sub_u32_e32 v1, v1, v5
	v_mul_lo_u32 v5, v1, s23
	v_mul_lo_u32 v7, v1, s24
	;; [unrolled: 1-line block ×3, first 2 shown]
	v_add3_u32 v6, v3, v6, v5
	v_add3_u32 v21, v4, v21, v7
	;; [unrolled: 1-line block ×3, first 2 shown]
	s_cbranch_scc1 .LBB111_1659
; %bb.1660:
	s_bitcmp1_b32 s8, 0
	s_cselect_b64 s[8:9], -1, 0
	s_and_b64 vcc, exec, s[8:9]
	s_cbranch_vccnz .LBB111_1664
; %bb.1661:
	s_load_dwordx2 s[8:9], s[6:7], 0x1c
	s_load_dword s16, s[6:7], 0x24
	s_load_dwordx2 s[10:11], s[6:7], 0xdc
	s_waitcnt lgkmcnt(0)
	v_mul_hi_u32 v1, s9, v0
	v_add_u32_e32 v1, v0, v1
	v_lshrrev_b32_e32 v1, s16, v1
	v_mul_lo_u32 v1, v1, s8
	s_load_dword s8, s[6:7], 0xe4
	v_sub_u32_e32 v0, v0, v1
	v_mad_u64_u32 v[6:7], s[6:7], v0, s10, v[6:7]
	v_mad_u64_u32 v[21:22], s[6:7], v0, s11, v[21:22]
	s_waitcnt lgkmcnt(0)
	v_mad_u64_u32 v[19:20], s[6:7], v0, s8, v[19:20]
	s_cbranch_execz .LBB111_1665
	s_branch .LBB111_1667
.LBB111_1662:
                                        ; implicit-def: $vgpr6
                                        ; implicit-def: $vgpr21
                                        ; implicit-def: $vgpr19
	s_branch .LBB111_1665
.LBB111_1663:
	s_waitcnt vmcnt(0)
	v_mov_b32_e32 v6, 0
	v_mov_b32_e32 v21, 0
	;; [unrolled: 1-line block ×3, first 2 shown]
.LBB111_1664:
	s_cbranch_execnz .LBB111_1667
.LBB111_1665:
	s_load_dwordx4 s[8:11], s[2:3], 0x4
	s_load_dwordx4 s[16:19], s[2:3], 0xc4
	s_cmp_lt_u32 s33, 2
	s_waitcnt lgkmcnt(0)
	v_mul_hi_u32 v0, s9, v8
	v_add_u32_e32 v0, v8, v0
	v_lshrrev_b32_e32 v0, s10, v0
	v_mul_lo_u32 v1, v0, s8
	v_sub_u32_e32 v1, v8, v1
	s_waitcnt vmcnt(0)
	v_mul_lo_u32 v6, v1, s16
	v_mul_lo_u32 v21, v1, s17
	;; [unrolled: 1-line block ×3, first 2 shown]
	s_cbranch_scc1 .LBB111_1667
; %bb.1666:
	s_load_dwordx4 s[8:11], s[2:3], 0x10
	s_load_dwordx4 s[16:19], s[2:3], 0xd0
	s_waitcnt lgkmcnt(0)
	v_mul_hi_u32 v1, s9, v0
	v_add_u32_e32 v1, v0, v1
	v_lshrrev_b32_e32 v1, s10, v1
	v_mul_lo_u32 v1, v1, s8
	v_sub_u32_e32 v0, v0, v1
	v_mad_u64_u32 v[6:7], s[6:7], v0, s16, v[6:7]
	v_mad_u64_u32 v[21:22], s[6:7], v0, s17, v[21:22]
	;; [unrolled: 1-line block ×3, first 2 shown]
.LBB111_1667:
	s_and_b64 vcc, exec, s[0:1]
	v_add_u32_e32 v0, 0x80, v8
	s_cbranch_vccnz .LBB111_1673
; %bb.1668:
	s_cmp_lg_u32 s33, 0
	s_cbranch_scc0 .LBB111_1674
; %bb.1669:
	s_min_u32 s8, s70, 15
	s_add_i32 s6, s8, 1
	s_and_b32 s9, s6, 30
	s_add_u32 s6, s2, 0xffffffe8
	s_addc_u32 s7, s3, -1
	v_mov_b32_e32 v15, 0
	v_mov_b32_e32 v17, 0
	;; [unrolled: 1-line block ×4, first 2 shown]
.LBB111_1670:                           ; =>This Inner Loop Header: Depth=1
	s_load_dwordx4 s[16:19], s[6:7], 0x1c
	s_load_dwordx2 s[10:11], s[6:7], 0x2c
	s_load_dwordx2 s[24:25], s[6:7], 0xec
	s_load_dwordx4 s[20:23], s[6:7], 0xdc
	s_add_u32 s6, s6, 24
	s_waitcnt lgkmcnt(0)
	v_mul_hi_u32 v2, s17, v1
	s_addc_u32 s7, s7, 0
	s_add_i32 s9, s9, -2
	s_cmp_lg_u32 s9, 0
	v_add_u32_e32 v2, v1, v2
	v_lshrrev_b32_e32 v2, s18, v2
	s_waitcnt vmcnt(0)
	v_mul_lo_u32 v3, v2, s16
	v_mul_hi_u32 v5, s10, v2
	v_sub_u32_e32 v3, v1, v3
	v_add_u32_e32 v1, v2, v5
	v_lshrrev_b32_e32 v1, s11, v1
	v_mul_lo_u32 v9, v1, s19
	v_mul_lo_u32 v5, v3, s20
	;; [unrolled: 1-line block ×4, first 2 shown]
	v_sub_u32_e32 v2, v2, v9
	v_mul_lo_u32 v9, v2, s23
	v_mul_lo_u32 v10, v2, s24
	;; [unrolled: 1-line block ×3, first 2 shown]
	v_add3_u32 v4, v5, v4, v9
	v_add3_u32 v17, v7, v17, v10
	v_add3_u32 v15, v3, v15, v2
	s_cbranch_scc1 .LBB111_1670
; %bb.1671:
	s_bitcmp1_b32 s8, 0
	s_cselect_b64 s[8:9], -1, 0
	s_and_b64 vcc, exec, s[8:9]
	s_cbranch_vccnz .LBB111_1675
; %bb.1672:
	s_load_dwordx2 s[8:9], s[6:7], 0x1c
	s_load_dword s16, s[6:7], 0x24
	s_load_dwordx2 s[10:11], s[6:7], 0xdc
	s_waitcnt lgkmcnt(0)
	v_mul_hi_u32 v2, s9, v1
	v_add_u32_e32 v2, v1, v2
	v_lshrrev_b32_e32 v2, s16, v2
	v_mul_lo_u32 v2, v2, s8
	s_load_dword s8, s[6:7], 0xe4
	v_sub_u32_e32 v1, v1, v2
	v_mad_u64_u32 v[4:5], s[6:7], v1, s10, v[4:5]
	v_mad_u64_u32 v[17:18], s[6:7], v1, s11, v[17:18]
	s_waitcnt lgkmcnt(0)
	v_mad_u64_u32 v[15:16], s[6:7], v1, s8, v[15:16]
	s_cbranch_execz .LBB111_1676
	s_branch .LBB111_1678
.LBB111_1673:
                                        ; implicit-def: $vgpr4
                                        ; implicit-def: $vgpr17
                                        ; implicit-def: $vgpr15
	s_branch .LBB111_1676
.LBB111_1674:
	v_mov_b32_e32 v4, 0
	v_mov_b32_e32 v17, 0
	;; [unrolled: 1-line block ×3, first 2 shown]
.LBB111_1675:
	s_cbranch_execnz .LBB111_1678
.LBB111_1676:
	s_load_dwordx4 s[8:11], s[2:3], 0x4
	s_load_dwordx4 s[16:19], s[2:3], 0xc4
	s_cmp_lt_u32 s33, 2
	s_waitcnt lgkmcnt(0)
	v_mul_hi_u32 v1, s9, v0
	v_add_u32_e32 v1, v0, v1
	v_lshrrev_b32_e32 v1, s10, v1
	v_mul_lo_u32 v2, v1, s8
	v_sub_u32_e32 v0, v0, v2
	v_mul_lo_u32 v4, v0, s16
	v_mul_lo_u32 v17, v0, s17
	v_mul_lo_u32 v15, v0, s18
	s_cbranch_scc1 .LBB111_1678
; %bb.1677:
	s_load_dwordx4 s[8:11], s[2:3], 0x10
	s_load_dwordx4 s[16:19], s[2:3], 0xd0
	s_waitcnt lgkmcnt(0)
	v_mul_hi_u32 v0, s9, v1
	v_add_u32_e32 v0, v1, v0
	v_lshrrev_b32_e32 v0, s10, v0
	v_mul_lo_u32 v0, v0, s8
	v_sub_u32_e32 v0, v1, v0
	s_waitcnt vmcnt(0)
	v_mad_u64_u32 v[4:5], s[6:7], v0, s16, v[4:5]
	v_mad_u64_u32 v[17:18], s[6:7], v0, s17, v[17:18]
	;; [unrolled: 1-line block ×3, first 2 shown]
.LBB111_1678:
	s_and_b64 vcc, exec, s[0:1]
	v_add_u32_e32 v0, 0x100, v8
	s_cbranch_vccnz .LBB111_1684
; %bb.1679:
	s_cmp_lg_u32 s33, 0
	s_cbranch_scc0 .LBB111_1685
; %bb.1680:
	s_min_u32 s8, s70, 15
	s_add_i32 s6, s8, 1
	s_and_b32 s9, s6, 30
	s_add_u32 s6, s2, 0xffffffe8
	s_addc_u32 s7, s3, -1
	v_mov_b32_e32 v11, 0
	v_mov_b32_e32 v13, 0
	;; [unrolled: 1-line block ×4, first 2 shown]
.LBB111_1681:                           ; =>This Inner Loop Header: Depth=1
	s_load_dwordx4 s[16:19], s[6:7], 0x1c
	s_load_dwordx2 s[10:11], s[6:7], 0x2c
	s_load_dwordx2 s[24:25], s[6:7], 0xec
	s_load_dwordx4 s[20:23], s[6:7], 0xdc
	s_add_u32 s6, s6, 24
	s_waitcnt vmcnt(0) lgkmcnt(0)
	v_mul_hi_u32 v3, s17, v1
	s_addc_u32 s7, s7, 0
	s_add_i32 s9, s9, -2
	s_cmp_lg_u32 s9, 0
	v_add_u32_e32 v3, v1, v3
	v_lshrrev_b32_e32 v3, s18, v3
	v_mul_lo_u32 v5, v3, s16
	v_mul_hi_u32 v7, s10, v3
	v_sub_u32_e32 v5, v1, v5
	v_add_u32_e32 v1, v3, v7
	v_lshrrev_b32_e32 v1, s11, v1
	v_mul_lo_u32 v9, v1, s19
	v_mul_lo_u32 v7, v5, s20
	v_mul_lo_u32 v8, v5, s21
	v_mul_lo_u32 v5, v5, s22
	v_sub_u32_e32 v3, v3, v9
	v_mul_lo_u32 v9, v3, s23
	v_mul_lo_u32 v10, v3, s24
	;; [unrolled: 1-line block ×3, first 2 shown]
	v_add3_u32 v2, v7, v2, v9
	v_add3_u32 v13, v8, v13, v10
	v_add3_u32 v11, v5, v11, v3
	s_cbranch_scc1 .LBB111_1681
; %bb.1682:
	s_bitcmp1_b32 s8, 0
	s_cselect_b64 s[8:9], -1, 0
	s_and_b64 vcc, exec, s[8:9]
	s_cbranch_vccnz .LBB111_1686
; %bb.1683:
	s_load_dwordx2 s[8:9], s[6:7], 0x1c
	s_load_dword s16, s[6:7], 0x24
	s_load_dwordx2 s[10:11], s[6:7], 0xdc
	s_waitcnt lgkmcnt(0)
	v_mul_hi_u32 v3, s9, v1
	v_add_u32_e32 v3, v1, v3
	v_lshrrev_b32_e32 v3, s16, v3
	v_mul_lo_u32 v3, v3, s8
	s_load_dword s8, s[6:7], 0xe4
	v_sub_u32_e32 v1, v1, v3
	v_mad_u64_u32 v[2:3], s[6:7], v1, s10, v[2:3]
	v_mad_u64_u32 v[13:14], s[6:7], v1, s11, v[13:14]
	s_waitcnt lgkmcnt(0)
	v_mad_u64_u32 v[11:12], s[6:7], v1, s8, v[11:12]
	s_cbranch_execz .LBB111_1687
	s_branch .LBB111_1689
.LBB111_1684:
                                        ; implicit-def: $vgpr2
                                        ; implicit-def: $vgpr13
                                        ; implicit-def: $vgpr11
	s_branch .LBB111_1687
.LBB111_1685:
	v_mov_b32_e32 v2, 0
	v_mov_b32_e32 v13, 0
	;; [unrolled: 1-line block ×3, first 2 shown]
.LBB111_1686:
	s_cbranch_execnz .LBB111_1689
.LBB111_1687:
	s_load_dwordx4 s[8:11], s[2:3], 0x4
	s_load_dwordx4 s[16:19], s[2:3], 0xc4
	s_cmp_lt_u32 s33, 2
	s_waitcnt lgkmcnt(0)
	v_mul_hi_u32 v1, s9, v0
	v_add_u32_e32 v1, v0, v1
	v_lshrrev_b32_e32 v1, s10, v1
	v_mul_lo_u32 v2, v1, s8
	v_sub_u32_e32 v0, v0, v2
	v_mul_lo_u32 v2, v0, s16
	v_mul_lo_u32 v13, v0, s17
	;; [unrolled: 1-line block ×3, first 2 shown]
	s_cbranch_scc1 .LBB111_1689
; %bb.1688:
	s_load_dwordx4 s[8:11], s[2:3], 0x10
	s_load_dwordx4 s[16:19], s[2:3], 0xd0
	s_waitcnt lgkmcnt(0)
	v_mul_hi_u32 v0, s9, v1
	v_add_u32_e32 v0, v1, v0
	v_lshrrev_b32_e32 v0, s10, v0
	v_mul_lo_u32 v0, v0, s8
	v_sub_u32_e32 v0, v1, v0
	s_waitcnt vmcnt(0)
	v_mad_u64_u32 v[2:3], s[6:7], v0, s16, v[2:3]
	v_mad_u64_u32 v[13:14], s[6:7], v0, s17, v[13:14]
	;; [unrolled: 1-line block ×3, first 2 shown]
.LBB111_1689:
	s_and_b64 vcc, exec, s[0:1]
	s_cbranch_vccnz .LBB111_1695
; %bb.1690:
	s_cmp_lg_u32 s33, 0
	s_cbranch_scc0 .LBB111_1696
; %bb.1691:
	s_min_u32 s6, s70, 15
	s_add_i32 s0, s6, 1
	s_and_b32 s7, s0, 30
	s_add_u32 s0, s2, 0xffffffe8
	s_addc_u32 s1, s3, -1
	v_mov_b32_e32 v7, 0
	v_mov_b32_e32 v9, 0
	;; [unrolled: 1-line block ×4, first 2 shown]
.LBB111_1692:                           ; =>This Inner Loop Header: Depth=1
	s_load_dwordx4 s[8:11], s[0:1], 0x1c
	s_load_dwordx2 s[20:21], s[0:1], 0x2c
	s_load_dwordx2 s[22:23], s[0:1], 0xec
	s_load_dwordx4 s[16:19], s[0:1], 0xdc
	s_add_u32 s0, s0, 24
	s_waitcnt vmcnt(0) lgkmcnt(0)
	v_mul_hi_u32 v3, s9, v1
	s_addc_u32 s1, s1, 0
	s_add_i32 s7, s7, -2
	s_cmp_lg_u32 s7, 0
	v_add_u32_e32 v3, v1, v3
	v_lshrrev_b32_e32 v3, s10, v3
	v_mul_lo_u32 v5, v3, s8
	v_mul_hi_u32 v8, s20, v3
	v_sub_u32_e32 v5, v1, v5
	v_add_u32_e32 v1, v3, v8
	v_lshrrev_b32_e32 v1, s21, v1
	v_mul_lo_u32 v12, v1, s11
	v_mul_lo_u32 v8, v5, s16
	;; [unrolled: 1-line block ×4, first 2 shown]
	v_sub_u32_e32 v3, v3, v12
	v_mul_lo_u32 v12, v3, s19
	v_mul_lo_u32 v14, v3, s22
	;; [unrolled: 1-line block ×3, first 2 shown]
	v_add3_u32 v0, v8, v0, v12
	v_add3_u32 v9, v10, v9, v14
	;; [unrolled: 1-line block ×3, first 2 shown]
	s_cbranch_scc1 .LBB111_1692
; %bb.1693:
	s_bitcmp1_b32 s6, 0
	s_cselect_b64 s[6:7], -1, 0
	s_and_b64 vcc, exec, s[6:7]
	s_cbranch_vccnz .LBB111_1697
; %bb.1694:
	s_load_dwordx2 s[6:7], s[0:1], 0x1c
	s_load_dword s10, s[0:1], 0x24
	s_load_dwordx2 s[8:9], s[0:1], 0xdc
	s_waitcnt lgkmcnt(0)
	v_mul_hi_u32 v3, s7, v1
	v_add_u32_e32 v3, v1, v3
	v_lshrrev_b32_e32 v3, s10, v3
	v_mul_lo_u32 v3, v3, s6
	s_load_dword s6, s[0:1], 0xe4
	v_sub_u32_e32 v3, v1, v3
	v_mad_u64_u32 v[0:1], s[0:1], v3, s8, v[0:1]
	v_mad_u64_u32 v[9:10], s[0:1], v3, s9, v[9:10]
	s_waitcnt lgkmcnt(0)
	v_mad_u64_u32 v[7:8], s[0:1], v3, s6, v[7:8]
	s_cbranch_execz .LBB111_1698
	s_branch .LBB111_1700
.LBB111_1695:
                                        ; implicit-def: $vgpr0
                                        ; implicit-def: $vgpr9
                                        ; implicit-def: $vgpr7
	s_branch .LBB111_1698
.LBB111_1696:
	v_mov_b32_e32 v0, 0
	v_mov_b32_e32 v9, 0
	;; [unrolled: 1-line block ×3, first 2 shown]
.LBB111_1697:
	s_cbranch_execnz .LBB111_1700
.LBB111_1698:
	s_load_dwordx4 s[8:11], s[2:3], 0x4
	s_load_dwordx4 s[16:19], s[2:3], 0xc4
	s_cmp_lt_u32 s33, 2
	s_waitcnt lgkmcnt(0)
	v_mul_hi_u32 v0, s9, v23
	v_add_u32_e32 v0, v23, v0
	v_lshrrev_b32_e32 v1, s10, v0
	v_mul_lo_u32 v0, v1, s8
	s_waitcnt vmcnt(0)
	v_sub_u32_e32 v3, v23, v0
	v_mul_lo_u32 v0, v3, s16
	v_mul_lo_u32 v9, v3, s17
	;; [unrolled: 1-line block ×3, first 2 shown]
	s_cbranch_scc1 .LBB111_1700
; %bb.1699:
	s_load_dwordx4 s[8:11], s[2:3], 0x10
	s_load_dwordx4 s[16:19], s[2:3], 0xd0
	s_waitcnt lgkmcnt(0)
	v_mul_hi_u32 v3, s9, v1
	v_add_u32_e32 v3, v1, v3
	v_lshrrev_b32_e32 v3, s10, v3
	v_mul_lo_u32 v3, v3, s8
	v_sub_u32_e32 v3, v1, v3
	v_mad_u64_u32 v[0:1], s[0:1], v3, s16, v[0:1]
	v_mad_u64_u32 v[9:10], s[0:1], v3, s17, v[9:10]
	;; [unrolled: 1-line block ×3, first 2 shown]
.LBB111_1700:
	s_load_dwordx4 s[8:11], s[2:3], 0x188
	s_load_dword s24, s[4:5], 0x1ac
	s_waitcnt lgkmcnt(0)
	v_mov_b32_e32 v1, s11
	s_bfe_u32 s20, s24, 0x80008
	v_add_co_u32_e32 v20, vcc, s10, v21
	s_cmp_lt_i32 s20, 11
	v_addc_co_u32_e32 v21, vcc, 0, v1, vcc
	s_cbranch_scc1 .LBB111_1707
; %bb.1701:
	s_and_b32 s21, 0xffff, s20
	s_cmp_gt_i32 s21, 25
	s_mov_b64 s[6:7], 0
	s_cbranch_scc0 .LBB111_1709
; %bb.1702:
	s_cmp_gt_i32 s21, 28
	s_cbranch_scc0 .LBB111_1710
; %bb.1703:
	s_cmp_gt_i32 s21, 43
	s_cbranch_scc0 .LBB111_1711
; %bb.1704:
	s_cmp_gt_i32 s21, 45
	s_cbranch_scc0 .LBB111_1712
; %bb.1705:
	s_cmp_eq_u32 s21, 46
	s_mov_b64 s[4:5], 0
	s_cbranch_scc0 .LBB111_1715
; %bb.1706:
	global_load_dword v1, v[20:21], off
	s_mov_b64 s[0:1], 0
	s_mov_b64 s[16:17], -1
	s_waitcnt vmcnt(0)
	v_lshlrev_b32_e32 v1, 16, v1
	s_branch .LBB111_1716
.LBB111_1707:
	s_mov_b64 s[16:17], 0
                                        ; implicit-def: $vgpr1
	s_mov_b64 s[4:5], s[12:13]
	s_cbranch_execnz .LBB111_1779
.LBB111_1708:
	s_andn2_b64 vcc, exec, s[16:17]
	s_cbranch_vccz .LBB111_1824
	s_branch .LBB111_2788
.LBB111_1709:
	s_mov_b64 s[16:17], 0
	s_mov_b64 s[0:1], 0
                                        ; implicit-def: $vgpr1
	s_cbranch_execnz .LBB111_1744
	s_branch .LBB111_1775
.LBB111_1710:
	s_mov_b64 s[4:5], -1
	s_mov_b64 s[16:17], 0
	s_mov_b64 s[0:1], 0
                                        ; implicit-def: $vgpr1
	s_branch .LBB111_1725
.LBB111_1711:
	s_mov_b64 s[16:17], 0
	s_mov_b64 s[0:1], 0
                                        ; implicit-def: $vgpr1
	s_cbranch_execnz .LBB111_1721
	s_branch .LBB111_1724
.LBB111_1712:
	s_mov_b64 s[4:5], -1
	s_mov_b64 s[16:17], 0
	s_mov_b64 s[0:1], 0
                                        ; implicit-def: $vgpr1
	s_branch .LBB111_1716
.LBB111_1713:
	s_andn2_saveexec_b64 s[18:19], s[18:19]
	s_cbranch_execz .LBB111_1567
.LBB111_1714:
	v_add_f32_e32 v0, 0x46000000, v3
	v_and_b32_e32 v0, 0xff, v0
	v_cmp_ne_u32_e32 vcc, 0, v0
	s_andn2_b64 s[14:15], s[14:15], exec
	s_and_b64 s[20:21], vcc, exec
	s_or_b64 s[14:15], s[14:15], s[20:21]
	s_or_b64 exec, exec, s[18:19]
	v_mov_b32_e32 v4, 0
	s_and_saveexec_b64 s[18:19], s[14:15]
	s_cbranch_execnz .LBB111_1568
	s_branch .LBB111_1569
.LBB111_1715:
	s_mov_b64 s[0:1], -1
                                        ; implicit-def: $vgpr1
	s_mov_b64 s[16:17], 0
.LBB111_1716:
	s_and_b64 vcc, exec, s[4:5]
	s_cbranch_vccz .LBB111_1719
; %bb.1717:
	s_cmp_eq_u32 s21, 44
	s_cbranch_scc0 .LBB111_1720
; %bb.1718:
	global_load_ubyte v1, v[20:21], off
	s_movk_i32 s4, 0xff
	s_waitcnt vmcnt(1)
	v_mov_b32_e32 v3, 0x7f800001
	v_mov_b32_e32 v5, 0x400000
	s_mov_b64 s[0:1], 0
	s_mov_b64 s[16:17], -1
	s_waitcnt vmcnt(0)
	v_lshlrev_b32_e32 v8, 23, v1
	v_cmp_ne_u32_e32 vcc, s4, v1
	v_cndmask_b32_e32 v3, v3, v8, vcc
	v_cmp_ne_u32_e32 vcc, 0, v1
	v_cndmask_b32_e32 v1, v5, v3, vcc
.LBB111_1719:
	s_branch .LBB111_1724
.LBB111_1720:
	s_mov_b64 s[0:1], -1
                                        ; implicit-def: $vgpr1
	s_branch .LBB111_1724
.LBB111_1721:
	s_cmp_eq_u32 s21, 29
	s_cbranch_scc0 .LBB111_1723
; %bb.1722:
	global_load_dwordx2 v[22:23], v[20:21], off
	s_mov_b64 s[0:1], 0
	s_mov_b64 s[16:17], -1
	s_mov_b64 s[4:5], 0
	s_waitcnt vmcnt(0)
	v_ffbh_u32_e32 v1, v23
	v_min_u32_e32 v1, 32, v1
	v_lshlrev_b64 v[22:23], v1, v[22:23]
	v_sub_u32_e32 v1, 32, v1
	v_min_u32_e32 v3, 1, v22
	v_or_b32_e32 v3, v23, v3
	v_cvt_f32_u32_e32 v3, v3
	v_ldexp_f32 v1, v3, v1
	s_branch .LBB111_1725
.LBB111_1723:
	s_mov_b64 s[0:1], -1
                                        ; implicit-def: $vgpr1
.LBB111_1724:
	s_mov_b64 s[4:5], 0
.LBB111_1725:
	s_and_b64 vcc, exec, s[4:5]
	s_cbranch_vccz .LBB111_1743
; %bb.1726:
	s_cmp_lt_i32 s21, 27
	s_cbranch_scc1 .LBB111_1729
; %bb.1727:
	s_cmp_gt_i32 s21, 27
	s_cbranch_scc0 .LBB111_1730
; %bb.1728:
	global_load_dword v1, v[20:21], off
	s_mov_b64 s[4:5], 0
	s_waitcnt vmcnt(0)
	v_cvt_f32_u32_e32 v1, v1
	s_branch .LBB111_1731
.LBB111_1729:
	s_mov_b64 s[4:5], -1
                                        ; implicit-def: $vgpr1
	s_branch .LBB111_1734
.LBB111_1730:
	s_mov_b64 s[4:5], -1
                                        ; implicit-def: $vgpr1
.LBB111_1731:
	s_andn2_b64 vcc, exec, s[4:5]
	s_cbranch_vccnz .LBB111_1733
; %bb.1732:
	global_load_ushort v1, v[20:21], off
	s_waitcnt vmcnt(0)
	v_cvt_f32_u32_e32 v1, v1
.LBB111_1733:
	s_mov_b64 s[4:5], 0
.LBB111_1734:
	s_andn2_b64 vcc, exec, s[4:5]
	s_cbranch_vccnz .LBB111_1742
; %bb.1735:
	global_load_ubyte v3, v[20:21], off
	s_movk_i32 s4, 0x7f
	s_waitcnt vmcnt(0)
	v_cmp_lt_i16_e32 vcc, s4, v3
	s_mov_b64 s[4:5], 0
	s_and_saveexec_b64 s[16:17], vcc
	s_xor_b64 s[16:17], exec, s[16:17]
	s_cbranch_execz .LBB111_1755
; %bb.1736:
	s_movk_i32 s4, 0x80
	v_cmp_eq_u16_e32 vcc, s4, v3
	s_mov_b64 s[4:5], -1
	s_and_saveexec_b64 s[18:19], vcc
; %bb.1737:
	s_xor_b64 s[4:5], exec, -1
; %bb.1738:
	s_or_b64 exec, exec, s[18:19]
	s_and_b64 s[4:5], s[4:5], exec
	s_or_saveexec_b64 s[16:17], s[16:17]
	v_mov_b32_e32 v1, 0x7f800001
	s_xor_b64 exec, exec, s[16:17]
	s_cbranch_execnz .LBB111_1756
.LBB111_1739:
	s_or_b64 exec, exec, s[16:17]
	s_and_saveexec_b64 s[16:17], s[4:5]
	s_cbranch_execz .LBB111_1741
.LBB111_1740:
	v_lshlrev_b32_e32 v1, 24, v3
	v_and_b32_e32 v3, 0xffff, v3
	v_and_b32_e32 v5, 7, v3
	v_ffbh_u32_e32 v10, v5
	v_min_u32_e32 v10, 32, v10
	v_subrev_u32_e32 v12, 28, v10
	v_bfe_u32 v8, v3, 3, 4
	v_lshlrev_b32_e32 v3, v12, v3
	v_sub_u32_e32 v10, 29, v10
	v_and_b32_e32 v3, 7, v3
	v_cmp_eq_u32_e32 vcc, 0, v8
	v_cndmask_b32_e32 v8, v8, v10, vcc
	v_cndmask_b32_e32 v3, v5, v3, vcc
	v_mov_b32_e32 v5, 0x3b800000
	v_lshlrev_b32_e32 v3, 20, v3
	v_and_b32_e32 v1, 0x80000000, v1
	v_lshl_add_u32 v5, v8, 23, v5
	v_or3_b32 v1, v1, v5, v3
.LBB111_1741:
	s_or_b64 exec, exec, s[16:17]
.LBB111_1742:
	s_mov_b64 s[16:17], -1
.LBB111_1743:
	s_branch .LBB111_1775
.LBB111_1744:
	s_cmp_gt_i32 s21, 22
	s_cbranch_scc0 .LBB111_1754
; %bb.1745:
	s_cmp_lt_i32 s21, 24
	s_cbranch_scc1 .LBB111_1757
; %bb.1746:
	s_cmp_gt_i32 s21, 24
	s_cbranch_scc0 .LBB111_1758
; %bb.1747:
	global_load_ubyte v3, v[20:21], off
	s_movk_i32 s4, 0x7f
	s_waitcnt vmcnt(0)
	v_cmp_lt_i16_e32 vcc, s4, v3
	s_mov_b64 s[4:5], 0
	s_and_saveexec_b64 s[6:7], vcc
	s_xor_b64 s[6:7], exec, s[6:7]
	s_cbranch_execz .LBB111_1769
; %bb.1748:
	s_movk_i32 s4, 0x80
	v_cmp_eq_u16_e32 vcc, s4, v3
	s_mov_b64 s[4:5], -1
	s_and_saveexec_b64 s[16:17], vcc
; %bb.1749:
	s_xor_b64 s[4:5], exec, -1
; %bb.1750:
	s_or_b64 exec, exec, s[16:17]
	s_and_b64 s[4:5], s[4:5], exec
	s_or_saveexec_b64 s[6:7], s[6:7]
	v_mov_b32_e32 v1, 0x7f800001
	s_xor_b64 exec, exec, s[6:7]
	s_cbranch_execnz .LBB111_1770
.LBB111_1751:
	s_or_b64 exec, exec, s[6:7]
	s_and_saveexec_b64 s[6:7], s[4:5]
	s_cbranch_execz .LBB111_1753
.LBB111_1752:
	v_lshlrev_b32_e32 v1, 24, v3
	v_and_b32_e32 v3, 0xffff, v3
	v_and_b32_e32 v5, 3, v3
	v_ffbh_u32_e32 v10, v5
	v_min_u32_e32 v10, 32, v10
	v_subrev_u32_e32 v12, 29, v10
	v_bfe_u32 v8, v3, 2, 5
	v_lshlrev_b32_e32 v3, v12, v3
	v_sub_u32_e32 v10, 30, v10
	v_and_b32_e32 v3, 3, v3
	v_cmp_eq_u32_e32 vcc, 0, v8
	v_cndmask_b32_e32 v8, v8, v10, vcc
	v_cndmask_b32_e32 v3, v5, v3, vcc
	v_mov_b32_e32 v5, 0x37800000
	v_lshlrev_b32_e32 v3, 21, v3
	v_and_b32_e32 v1, 0x80000000, v1
	v_lshl_add_u32 v5, v8, 23, v5
	v_or3_b32 v1, v1, v5, v3
.LBB111_1753:
	s_or_b64 exec, exec, s[6:7]
	s_mov_b64 s[4:5], 0
	s_branch .LBB111_1759
.LBB111_1754:
                                        ; implicit-def: $vgpr1
	s_mov_b64 s[6:7], 0
	s_branch .LBB111_1765
.LBB111_1755:
	s_or_saveexec_b64 s[16:17], s[16:17]
	v_mov_b32_e32 v1, 0x7f800001
	s_xor_b64 exec, exec, s[16:17]
	s_cbranch_execz .LBB111_1739
.LBB111_1756:
	v_cmp_ne_u16_e32 vcc, 0, v3
	s_andn2_b64 s[4:5], s[4:5], exec
	s_and_b64 s[18:19], vcc, exec
	v_mov_b32_e32 v1, 0
	s_or_b64 s[4:5], s[4:5], s[18:19]
	s_or_b64 exec, exec, s[16:17]
	s_and_saveexec_b64 s[16:17], s[4:5]
	s_cbranch_execnz .LBB111_1740
	s_branch .LBB111_1741
.LBB111_1757:
	s_mov_b64 s[4:5], -1
                                        ; implicit-def: $vgpr1
	s_branch .LBB111_1762
.LBB111_1758:
	s_mov_b64 s[4:5], -1
                                        ; implicit-def: $vgpr1
.LBB111_1759:
	s_and_b64 vcc, exec, s[4:5]
	s_cbranch_vccz .LBB111_1761
; %bb.1760:
	global_load_ubyte v1, v[20:21], off
	s_mov_b32 s4, 0x7f800000
	s_waitcnt vmcnt(0)
	v_lshlrev_b32_e32 v1, 24, v1
	v_and_b32_e32 v3, 0x7f000000, v1
	v_ffbh_u32_e32 v5, v3
	v_min_u32_e32 v5, 32, v5
	v_sub_u32_e64 v5, v5, 4 clamp
	v_lshlrev_b32_e32 v10, v5, v3
	v_lshlrev_b32_e32 v5, 23, v5
	v_lshrrev_b32_e32 v10, 4, v10
	v_add_u32_e32 v8, 0x1000000, v3
	v_sub_u32_e32 v5, v10, v5
	v_ashrrev_i32_e32 v8, 8, v8
	v_add_u32_e32 v5, 0x3c000000, v5
	v_and_or_b32 v5, v8, s4, v5
	v_cmp_ne_u32_e32 vcc, 0, v3
	v_cndmask_b32_e32 v3, 0, v5, vcc
	s_brev_b32 s4, 1
	v_and_or_b32 v1, v1, s4, v3
.LBB111_1761:
	s_mov_b64 s[4:5], 0
.LBB111_1762:
	s_andn2_b64 vcc, exec, s[4:5]
	s_cbranch_vccnz .LBB111_1764
; %bb.1763:
	global_load_ubyte v1, v[20:21], off
	s_movk_i32 s4, 0x7f00
	s_brev_b32 s5, 16
	s_waitcnt vmcnt(0)
	v_lshlrev_b16_e32 v3, 8, v1
	v_lshlrev_b32_e32 v1, 25, v1
	v_lshrrev_b32_e32 v5, 4, v1
	v_and_or_b32 v8, v3, s4, 0.5
	v_or_b32_e32 v5, 0x70000000, v5
	v_add_f32_e32 v8, -0.5, v8
	v_mul_f32_e32 v5, 0x7800000, v5
	v_cmp_gt_u32_e32 vcc, s5, v1
	v_bfe_i32 v3, v3, 0, 16
	v_cndmask_b32_e32 v1, v5, v8, vcc
	s_brev_b32 s4, 1
	v_and_or_b32 v1, v3, s4, v1
.LBB111_1764:
	s_mov_b64 s[16:17], -1
	s_mov_b64 s[6:7], 0
	s_cbranch_execnz .LBB111_1775
.LBB111_1765:
	s_cmp_gt_i32 s21, 14
	s_cbranch_scc0 .LBB111_1768
; %bb.1766:
	s_cmp_eq_u32 s21, 15
	s_cbranch_scc0 .LBB111_1771
; %bb.1767:
	global_load_ushort v1, v[20:21], off
	s_mov_b64 s[0:1], 0
	s_mov_b64 s[16:17], -1
	s_waitcnt vmcnt(0)
	v_lshlrev_b32_e32 v1, 16, v1
	s_branch .LBB111_1772
.LBB111_1768:
	s_mov_b64 s[4:5], -1
                                        ; implicit-def: $vgpr1
	s_branch .LBB111_1773
.LBB111_1769:
	s_or_saveexec_b64 s[6:7], s[6:7]
	v_mov_b32_e32 v1, 0x7f800001
	s_xor_b64 exec, exec, s[6:7]
	s_cbranch_execz .LBB111_1751
.LBB111_1770:
	v_cmp_ne_u16_e32 vcc, 0, v3
	s_andn2_b64 s[4:5], s[4:5], exec
	s_and_b64 s[16:17], vcc, exec
	v_mov_b32_e32 v1, 0
	s_or_b64 s[4:5], s[4:5], s[16:17]
	s_or_b64 exec, exec, s[6:7]
	s_and_saveexec_b64 s[6:7], s[4:5]
	s_cbranch_execnz .LBB111_1752
	s_branch .LBB111_1753
.LBB111_1771:
	s_mov_b64 s[0:1], -1
                                        ; implicit-def: $vgpr1
.LBB111_1772:
	s_mov_b64 s[4:5], 0
.LBB111_1773:
	s_and_b64 vcc, exec, s[4:5]
	s_cbranch_vccz .LBB111_1775
; %bb.1774:
	s_cmp_lg_u32 s21, 11
	s_mov_b64 s[6:7], -1
	s_cselect_b64 s[0:1], -1, 0
.LBB111_1775:
	s_and_b64 vcc, exec, s[0:1]
	s_mov_b64 s[4:5], s[12:13]
	s_cbranch_vccnz .LBB111_1836
; %bb.1776:
	s_andn2_b64 vcc, exec, s[6:7]
	s_cbranch_vccnz .LBB111_1778
.LBB111_1777:
	global_load_ubyte v1, v[20:21], off
	s_mov_b64 s[16:17], -1
	s_waitcnt vmcnt(0)
	v_cmp_ne_u16_e32 vcc, 0, v1
	v_cndmask_b32_e64 v1, 0, 1.0, vcc
.LBB111_1778:
	s_branch .LBB111_1708
.LBB111_1779:
	s_and_b32 s6, 0xffff, s20
	s_cmp_lt_i32 s6, 5
	s_cbranch_scc1 .LBB111_1784
; %bb.1780:
	s_cmp_lt_i32 s6, 8
	s_cbranch_scc1 .LBB111_1785
; %bb.1781:
	;; [unrolled: 3-line block ×3, first 2 shown]
	s_cmp_gt_i32 s6, 9
	s_cbranch_scc0 .LBB111_1787
; %bb.1783:
	global_load_dwordx2 v[22:23], v[20:21], off
	s_mov_b64 s[0:1], 0
	s_waitcnt vmcnt(0)
	v_cvt_f32_f64_e32 v1, v[22:23]
	s_branch .LBB111_1788
.LBB111_1784:
                                        ; implicit-def: $vgpr1
	s_branch .LBB111_1805
.LBB111_1785:
                                        ; implicit-def: $vgpr1
	s_branch .LBB111_1794
.LBB111_1786:
	s_mov_b64 s[0:1], -1
                                        ; implicit-def: $vgpr1
	s_branch .LBB111_1791
.LBB111_1787:
	s_mov_b64 s[0:1], -1
                                        ; implicit-def: $vgpr1
.LBB111_1788:
	s_andn2_b64 vcc, exec, s[0:1]
	s_cbranch_vccnz .LBB111_1790
; %bb.1789:
	global_load_dword v1, v[20:21], off
.LBB111_1790:
	s_mov_b64 s[0:1], 0
.LBB111_1791:
	s_andn2_b64 vcc, exec, s[0:1]
	s_cbranch_vccnz .LBB111_1793
; %bb.1792:
	global_load_dword v1, v[20:21], off
	s_waitcnt vmcnt(0)
	v_cvt_f32_f16_e32 v1, v1
.LBB111_1793:
	s_cbranch_execnz .LBB111_1804
.LBB111_1794:
	s_cmp_lt_i32 s6, 6
	s_cbranch_scc1 .LBB111_1797
; %bb.1795:
	s_cmp_gt_i32 s6, 6
	s_cbranch_scc0 .LBB111_1798
; %bb.1796:
	global_load_dwordx2 v[22:23], v[20:21], off
	s_mov_b64 s[0:1], 0
	s_waitcnt vmcnt(0)
	v_cvt_f32_f64_e32 v1, v[22:23]
	s_branch .LBB111_1799
.LBB111_1797:
	s_mov_b64 s[0:1], -1
                                        ; implicit-def: $vgpr1
	s_branch .LBB111_1802
.LBB111_1798:
	s_mov_b64 s[0:1], -1
                                        ; implicit-def: $vgpr1
.LBB111_1799:
	s_andn2_b64 vcc, exec, s[0:1]
	s_cbranch_vccnz .LBB111_1801
; %bb.1800:
	global_load_dword v1, v[20:21], off
.LBB111_1801:
	s_mov_b64 s[0:1], 0
.LBB111_1802:
	s_andn2_b64 vcc, exec, s[0:1]
	s_cbranch_vccnz .LBB111_1804
; %bb.1803:
	global_load_ushort v1, v[20:21], off
	s_waitcnt vmcnt(0)
	v_cvt_f32_f16_e32 v1, v1
.LBB111_1804:
	s_cbranch_execnz .LBB111_1823
.LBB111_1805:
	s_cmp_lt_i32 s6, 2
	s_cbranch_scc1 .LBB111_1809
; %bb.1806:
	s_cmp_lt_i32 s6, 3
	s_cbranch_scc1 .LBB111_1810
; %bb.1807:
	s_cmp_gt_i32 s6, 3
	s_cbranch_scc0 .LBB111_1811
; %bb.1808:
	global_load_dwordx2 v[22:23], v[20:21], off
	s_mov_b64 s[0:1], 0
	s_waitcnt vmcnt(0)
	v_xor_b32_e32 v3, v22, v23
	v_ffbh_i32_e32 v1, v23
	v_ashrrev_i32_e32 v3, 31, v3
	v_add_u32_e32 v1, -1, v1
	v_add_u32_e32 v3, 32, v3
	v_min_u32_e32 v1, v1, v3
	v_lshlrev_b64 v[22:23], v1, v[22:23]
	v_sub_u32_e32 v1, 32, v1
	v_min_u32_e32 v3, 1, v22
	v_or_b32_e32 v3, v23, v3
	v_cvt_f32_i32_e32 v3, v3
	v_ldexp_f32 v1, v3, v1
	s_branch .LBB111_1812
.LBB111_1809:
                                        ; implicit-def: $vgpr1
	s_branch .LBB111_1818
.LBB111_1810:
	s_mov_b64 s[0:1], -1
                                        ; implicit-def: $vgpr1
	s_branch .LBB111_1815
.LBB111_1811:
	s_mov_b64 s[0:1], -1
                                        ; implicit-def: $vgpr1
.LBB111_1812:
	s_andn2_b64 vcc, exec, s[0:1]
	s_cbranch_vccnz .LBB111_1814
; %bb.1813:
	global_load_dword v1, v[20:21], off
	s_waitcnt vmcnt(0)
	v_cvt_f32_i32_e32 v1, v1
.LBB111_1814:
	s_mov_b64 s[0:1], 0
.LBB111_1815:
	s_andn2_b64 vcc, exec, s[0:1]
	s_cbranch_vccnz .LBB111_1817
; %bb.1816:
	global_load_sshort v1, v[20:21], off
	s_waitcnt vmcnt(0)
	v_cvt_f32_i32_e32 v1, v1
.LBB111_1817:
	s_cbranch_execnz .LBB111_1823
.LBB111_1818:
	s_cmp_gt_i32 s6, 0
	s_cbranch_scc0 .LBB111_1820
; %bb.1819:
	global_load_sbyte v1, v[20:21], off
	s_mov_b64 s[0:1], 0
	s_waitcnt vmcnt(0)
	v_cvt_f32_i32_e32 v1, v1
	s_branch .LBB111_1821
.LBB111_1820:
	s_mov_b64 s[0:1], -1
                                        ; implicit-def: $vgpr1
.LBB111_1821:
	s_andn2_b64 vcc, exec, s[0:1]
	s_cbranch_vccnz .LBB111_1823
; %bb.1822:
	global_load_ubyte v1, v[20:21], off
	s_waitcnt vmcnt(0)
	v_cvt_f32_ubyte0_e32 v1, v1
.LBB111_1823:
.LBB111_1824:
	s_load_dwordx2 s[0:1], s[2:3], 0x198
	s_bfe_u32 s25, s24, 0x80010
	s_cmp_lt_i32 s25, 11
	s_waitcnt vmcnt(0) lgkmcnt(0)
	v_mov_b32_e32 v3, s1
	v_add_co_u32_e32 v18, vcc, s0, v19
	v_addc_co_u32_e32 v19, vcc, 0, v3, vcc
	s_cbranch_scc1 .LBB111_1831
; %bb.1825:
	s_and_b32 s26, 0xffff, s25
	s_cmp_gt_i32 s26, 25
	s_mov_b64 s[16:17], 0
	s_cbranch_scc0 .LBB111_1833
; %bb.1826:
	s_cmp_gt_i32 s26, 28
	s_cbranch_scc0 .LBB111_1834
; %bb.1827:
	s_cmp_gt_i32 s26, 43
	;; [unrolled: 3-line block ×3, first 2 shown]
	s_cbranch_scc0 .LBB111_1837
; %bb.1829:
	s_cmp_eq_u32 s26, 46
	s_mov_b64 s[20:21], 0
	s_cbranch_scc0 .LBB111_1840
; %bb.1830:
	global_load_dword v3, v[18:19], off
	s_mov_b64 s[6:7], 0
	s_mov_b64 s[18:19], -1
	s_waitcnt vmcnt(0)
	v_lshlrev_b32_e32 v3, 16, v3
	s_branch .LBB111_1841
.LBB111_1831:
	s_mov_b64 s[18:19], 0
                                        ; implicit-def: $vgpr3
	s_cbranch_execnz .LBB111_1906
.LBB111_1832:
	s_andn2_b64 vcc, exec, s[18:19]
	s_cbranch_vccnz .LBB111_2788
	s_branch .LBB111_1953
.LBB111_1833:
	s_mov_b64 s[18:19], 0
	s_mov_b64 s[6:7], 0
                                        ; implicit-def: $vgpr3
	s_cbranch_execnz .LBB111_1870
	s_branch .LBB111_1902
.LBB111_1834:
	s_mov_b64 s[20:21], -1
	s_mov_b64 s[18:19], 0
	s_mov_b64 s[6:7], 0
                                        ; implicit-def: $vgpr3
	s_branch .LBB111_1851
.LBB111_1835:
	s_mov_b64 s[20:21], -1
	s_mov_b64 s[18:19], 0
	s_mov_b64 s[6:7], 0
                                        ; implicit-def: $vgpr3
	s_branch .LBB111_1846
.LBB111_1836:
	s_or_b64 s[4:5], s[12:13], exec
	s_trap 2
	s_cbranch_execz .LBB111_1777
	s_branch .LBB111_1778
.LBB111_1837:
	s_mov_b64 s[20:21], -1
	s_mov_b64 s[18:19], 0
	s_mov_b64 s[6:7], 0
                                        ; implicit-def: $vgpr3
	s_branch .LBB111_1841
.LBB111_1838:
	s_andn2_saveexec_b64 s[20:21], s[20:21]
	s_cbranch_execz .LBB111_1579
.LBB111_1839:
	v_add_f32_e32 v0, 0x42800000, v3
	v_and_b32_e32 v0, 0xff, v0
	v_cmp_ne_u32_e32 vcc, 0, v0
	s_andn2_b64 s[18:19], s[18:19], exec
	s_and_b64 s[30:31], vcc, exec
	s_or_b64 s[18:19], s[18:19], s[30:31]
	s_or_b64 exec, exec, s[20:21]
	v_mov_b32_e32 v4, 0
	s_and_saveexec_b64 s[20:21], s[18:19]
	s_cbranch_execnz .LBB111_1580
	s_branch .LBB111_1581
.LBB111_1840:
	s_mov_b64 s[6:7], -1
                                        ; implicit-def: $vgpr3
	s_mov_b64 s[18:19], 0
.LBB111_1841:
	s_and_b64 vcc, exec, s[20:21]
	s_cbranch_vccz .LBB111_1845
; %bb.1842:
	s_cmp_eq_u32 s26, 44
	s_cbranch_scc0 .LBB111_1844
; %bb.1843:
	global_load_ubyte v3, v[18:19], off
	s_movk_i32 s18, 0xff
	v_mov_b32_e32 v5, 0x7f800001
	v_mov_b32_e32 v8, 0x400000
	s_mov_b64 s[6:7], 0
	s_waitcnt vmcnt(0)
	v_lshlrev_b32_e32 v10, 23, v3
	v_cmp_ne_u32_e32 vcc, s18, v3
	v_cndmask_b32_e32 v5, v5, v10, vcc
	v_cmp_ne_u32_e32 vcc, 0, v3
	v_cndmask_b32_e32 v3, v8, v5, vcc
	s_mov_b64 s[18:19], -1
	s_branch .LBB111_1845
.LBB111_1844:
	s_mov_b64 s[6:7], -1
                                        ; implicit-def: $vgpr3
.LBB111_1845:
	s_mov_b64 s[20:21], 0
.LBB111_1846:
	s_and_b64 vcc, exec, s[20:21]
	s_cbranch_vccz .LBB111_1850
; %bb.1847:
	s_cmp_eq_u32 s26, 29
	s_cbranch_scc0 .LBB111_1849
; %bb.1848:
	global_load_dwordx2 v[20:21], v[18:19], off
	s_mov_b64 s[6:7], 0
	s_mov_b64 s[18:19], -1
	s_mov_b64 s[20:21], 0
	s_waitcnt vmcnt(0)
	v_ffbh_u32_e32 v3, v21
	v_min_u32_e32 v3, 32, v3
	v_lshlrev_b64 v[20:21], v3, v[20:21]
	v_sub_u32_e32 v3, 32, v3
	v_min_u32_e32 v5, 1, v20
	v_or_b32_e32 v5, v21, v5
	v_cvt_f32_u32_e32 v5, v5
	v_ldexp_f32 v3, v5, v3
	s_branch .LBB111_1851
.LBB111_1849:
	s_mov_b64 s[6:7], -1
                                        ; implicit-def: $vgpr3
.LBB111_1850:
	s_mov_b64 s[20:21], 0
.LBB111_1851:
	s_and_b64 vcc, exec, s[20:21]
	s_cbranch_vccz .LBB111_1869
; %bb.1852:
	s_cmp_lt_i32 s26, 27
	s_cbranch_scc1 .LBB111_1855
; %bb.1853:
	s_cmp_gt_i32 s26, 27
	s_cbranch_scc0 .LBB111_1856
; %bb.1854:
	global_load_dword v3, v[18:19], off
	s_mov_b64 s[18:19], 0
	s_waitcnt vmcnt(0)
	v_cvt_f32_u32_e32 v3, v3
	s_branch .LBB111_1857
.LBB111_1855:
	s_mov_b64 s[18:19], -1
                                        ; implicit-def: $vgpr3
	s_branch .LBB111_1860
.LBB111_1856:
	s_mov_b64 s[18:19], -1
                                        ; implicit-def: $vgpr3
.LBB111_1857:
	s_andn2_b64 vcc, exec, s[18:19]
	s_cbranch_vccnz .LBB111_1859
; %bb.1858:
	global_load_ushort v3, v[18:19], off
	s_waitcnt vmcnt(0)
	v_cvt_f32_u32_e32 v3, v3
.LBB111_1859:
	s_mov_b64 s[18:19], 0
.LBB111_1860:
	s_andn2_b64 vcc, exec, s[18:19]
	s_cbranch_vccnz .LBB111_1868
; %bb.1861:
	global_load_ubyte v5, v[18:19], off
	s_movk_i32 s18, 0x7f
	s_waitcnt vmcnt(0)
	v_cmp_lt_i16_e32 vcc, s18, v5
	s_mov_b64 s[18:19], 0
	s_and_saveexec_b64 s[20:21], vcc
	s_xor_b64 s[20:21], exec, s[20:21]
	s_cbranch_execz .LBB111_1881
; %bb.1862:
	s_movk_i32 s18, 0x80
	v_cmp_eq_u16_e32 vcc, s18, v5
	s_mov_b64 s[18:19], -1
	s_and_saveexec_b64 s[22:23], vcc
; %bb.1863:
	s_xor_b64 s[18:19], exec, -1
; %bb.1864:
	s_or_b64 exec, exec, s[22:23]
	s_and_b64 s[18:19], s[18:19], exec
	s_or_saveexec_b64 s[20:21], s[20:21]
	v_mov_b32_e32 v3, 0x7f800001
	s_xor_b64 exec, exec, s[20:21]
	s_cbranch_execnz .LBB111_1882
.LBB111_1865:
	s_or_b64 exec, exec, s[20:21]
	s_and_saveexec_b64 s[20:21], s[18:19]
	s_cbranch_execz .LBB111_1867
.LBB111_1866:
	v_lshlrev_b32_e32 v3, 24, v5
	v_and_b32_e32 v5, 0xffff, v5
	v_and_b32_e32 v8, 7, v5
	v_ffbh_u32_e32 v12, v8
	v_min_u32_e32 v12, 32, v12
	v_subrev_u32_e32 v14, 28, v12
	v_bfe_u32 v10, v5, 3, 4
	v_lshlrev_b32_e32 v5, v14, v5
	v_sub_u32_e32 v12, 29, v12
	v_and_b32_e32 v5, 7, v5
	v_cmp_eq_u32_e32 vcc, 0, v10
	v_cndmask_b32_e32 v10, v10, v12, vcc
	v_cndmask_b32_e32 v5, v8, v5, vcc
	v_mov_b32_e32 v8, 0x3b800000
	v_lshlrev_b32_e32 v5, 20, v5
	v_and_b32_e32 v3, 0x80000000, v3
	v_lshl_add_u32 v8, v10, 23, v8
	v_or3_b32 v3, v3, v8, v5
.LBB111_1867:
	s_or_b64 exec, exec, s[20:21]
.LBB111_1868:
	s_mov_b64 s[18:19], -1
.LBB111_1869:
	s_branch .LBB111_1902
.LBB111_1870:
	s_cmp_gt_i32 s26, 22
	s_cbranch_scc0 .LBB111_1880
; %bb.1871:
	s_cmp_lt_i32 s26, 24
	s_cbranch_scc1 .LBB111_1883
; %bb.1872:
	s_cmp_gt_i32 s26, 24
	s_cbranch_scc0 .LBB111_1884
; %bb.1873:
	global_load_ubyte v5, v[18:19], off
	s_movk_i32 s16, 0x7f
	s_waitcnt vmcnt(0)
	v_cmp_lt_i16_e32 vcc, s16, v5
	s_mov_b64 s[16:17], 0
	s_and_saveexec_b64 s[18:19], vcc
	s_xor_b64 s[18:19], exec, s[18:19]
	s_cbranch_execz .LBB111_1896
; %bb.1874:
	s_movk_i32 s16, 0x80
	v_cmp_eq_u16_e32 vcc, s16, v5
	s_mov_b64 s[16:17], -1
	s_and_saveexec_b64 s[20:21], vcc
; %bb.1875:
	s_xor_b64 s[16:17], exec, -1
; %bb.1876:
	s_or_b64 exec, exec, s[20:21]
	s_and_b64 s[16:17], s[16:17], exec
	s_or_saveexec_b64 s[18:19], s[18:19]
	v_mov_b32_e32 v3, 0x7f800001
	s_xor_b64 exec, exec, s[18:19]
	s_cbranch_execnz .LBB111_1897
.LBB111_1877:
	s_or_b64 exec, exec, s[18:19]
	s_and_saveexec_b64 s[18:19], s[16:17]
	s_cbranch_execz .LBB111_1879
.LBB111_1878:
	v_lshlrev_b32_e32 v3, 24, v5
	v_and_b32_e32 v5, 0xffff, v5
	v_and_b32_e32 v8, 3, v5
	v_ffbh_u32_e32 v12, v8
	v_min_u32_e32 v12, 32, v12
	v_subrev_u32_e32 v14, 29, v12
	v_bfe_u32 v10, v5, 2, 5
	v_lshlrev_b32_e32 v5, v14, v5
	v_sub_u32_e32 v12, 30, v12
	v_and_b32_e32 v5, 3, v5
	v_cmp_eq_u32_e32 vcc, 0, v10
	v_cndmask_b32_e32 v10, v10, v12, vcc
	v_cndmask_b32_e32 v5, v8, v5, vcc
	v_mov_b32_e32 v8, 0x37800000
	v_lshlrev_b32_e32 v5, 21, v5
	v_and_b32_e32 v3, 0x80000000, v3
	v_lshl_add_u32 v8, v10, 23, v8
	v_or3_b32 v3, v3, v8, v5
.LBB111_1879:
	s_or_b64 exec, exec, s[18:19]
	s_mov_b64 s[16:17], 0
	s_branch .LBB111_1885
.LBB111_1880:
	s_mov_b64 s[16:17], -1
                                        ; implicit-def: $vgpr3
	s_branch .LBB111_1891
.LBB111_1881:
	s_or_saveexec_b64 s[20:21], s[20:21]
	v_mov_b32_e32 v3, 0x7f800001
	s_xor_b64 exec, exec, s[20:21]
	s_cbranch_execz .LBB111_1865
.LBB111_1882:
	v_cmp_ne_u16_e32 vcc, 0, v5
	s_andn2_b64 s[18:19], s[18:19], exec
	s_and_b64 s[22:23], vcc, exec
	v_mov_b32_e32 v3, 0
	s_or_b64 s[18:19], s[18:19], s[22:23]
	s_or_b64 exec, exec, s[20:21]
	s_and_saveexec_b64 s[20:21], s[18:19]
	s_cbranch_execnz .LBB111_1866
	s_branch .LBB111_1867
.LBB111_1883:
	s_mov_b64 s[16:17], -1
                                        ; implicit-def: $vgpr3
	s_branch .LBB111_1888
.LBB111_1884:
	s_mov_b64 s[16:17], -1
                                        ; implicit-def: $vgpr3
.LBB111_1885:
	s_and_b64 vcc, exec, s[16:17]
	s_cbranch_vccz .LBB111_1887
; %bb.1886:
	global_load_ubyte v3, v[18:19], off
	s_mov_b32 s16, 0x7f800000
	s_waitcnt vmcnt(0)
	v_lshlrev_b32_e32 v3, 24, v3
	v_and_b32_e32 v5, 0x7f000000, v3
	v_ffbh_u32_e32 v8, v5
	v_min_u32_e32 v8, 32, v8
	v_sub_u32_e64 v8, v8, 4 clamp
	v_lshlrev_b32_e32 v12, v8, v5
	v_lshlrev_b32_e32 v8, 23, v8
	v_lshrrev_b32_e32 v12, 4, v12
	v_add_u32_e32 v10, 0x1000000, v5
	v_sub_u32_e32 v8, v12, v8
	v_ashrrev_i32_e32 v10, 8, v10
	v_add_u32_e32 v8, 0x3c000000, v8
	v_and_or_b32 v8, v10, s16, v8
	v_cmp_ne_u32_e32 vcc, 0, v5
	v_cndmask_b32_e32 v5, 0, v8, vcc
	s_brev_b32 s16, 1
	v_and_or_b32 v3, v3, s16, v5
.LBB111_1887:
	s_mov_b64 s[16:17], 0
.LBB111_1888:
	s_andn2_b64 vcc, exec, s[16:17]
	s_cbranch_vccnz .LBB111_1890
; %bb.1889:
	global_load_ubyte v3, v[18:19], off
	s_movk_i32 s16, 0x7f00
	s_brev_b32 s17, 16
	s_waitcnt vmcnt(0)
	v_lshlrev_b16_e32 v5, 8, v3
	v_lshlrev_b32_e32 v3, 25, v3
	v_lshrrev_b32_e32 v8, 4, v3
	v_and_or_b32 v10, v5, s16, 0.5
	v_or_b32_e32 v8, 0x70000000, v8
	v_add_f32_e32 v10, -0.5, v10
	v_mul_f32_e32 v8, 0x7800000, v8
	v_cmp_gt_u32_e32 vcc, s17, v3
	v_bfe_i32 v5, v5, 0, 16
	v_cndmask_b32_e32 v3, v8, v10, vcc
	s_brev_b32 s16, 1
	v_and_or_b32 v3, v5, s16, v3
.LBB111_1890:
	s_mov_b64 s[16:17], 0
	s_mov_b64 s[18:19], -1
.LBB111_1891:
	s_andn2_b64 vcc, exec, s[16:17]
	s_mov_b64 s[16:17], 0
	s_cbranch_vccnz .LBB111_1902
; %bb.1892:
	s_cmp_gt_i32 s26, 14
	s_cbranch_scc0 .LBB111_1895
; %bb.1893:
	s_cmp_eq_u32 s26, 15
	s_cbranch_scc0 .LBB111_1898
; %bb.1894:
	global_load_ushort v3, v[18:19], off
	s_mov_b64 s[6:7], 0
	s_mov_b64 s[18:19], -1
	s_waitcnt vmcnt(0)
	v_lshlrev_b32_e32 v3, 16, v3
	s_branch .LBB111_1899
.LBB111_1895:
	s_mov_b64 s[20:21], -1
                                        ; implicit-def: $vgpr3
	s_branch .LBB111_1900
.LBB111_1896:
	s_or_saveexec_b64 s[18:19], s[18:19]
	v_mov_b32_e32 v3, 0x7f800001
	s_xor_b64 exec, exec, s[18:19]
	s_cbranch_execz .LBB111_1877
.LBB111_1897:
	v_cmp_ne_u16_e32 vcc, 0, v5
	s_andn2_b64 s[16:17], s[16:17], exec
	s_and_b64 s[20:21], vcc, exec
	v_mov_b32_e32 v3, 0
	s_or_b64 s[16:17], s[16:17], s[20:21]
	s_or_b64 exec, exec, s[18:19]
	s_and_saveexec_b64 s[18:19], s[16:17]
	s_cbranch_execnz .LBB111_1878
	s_branch .LBB111_1879
.LBB111_1898:
	s_mov_b64 s[6:7], -1
                                        ; implicit-def: $vgpr3
.LBB111_1899:
	s_mov_b64 s[20:21], 0
.LBB111_1900:
	s_and_b64 vcc, exec, s[20:21]
	s_cbranch_vccz .LBB111_1902
; %bb.1901:
	s_cmp_lg_u32 s26, 11
	s_mov_b64 s[16:17], -1
	s_cselect_b64 s[6:7], -1, 0
.LBB111_1902:
	s_and_b64 vcc, exec, s[6:7]
	s_cbranch_vccnz .LBB111_1981
; %bb.1903:
	s_andn2_b64 vcc, exec, s[16:17]
	s_cbranch_vccnz .LBB111_1905
.LBB111_1904:
	global_load_ubyte v3, v[18:19], off
	s_mov_b64 s[18:19], -1
	s_waitcnt vmcnt(0)
	v_cmp_ne_u16_e32 vcc, 0, v3
	v_cndmask_b32_e64 v3, 0, 1.0, vcc
.LBB111_1905:
	s_branch .LBB111_1832
.LBB111_1906:
	s_and_b32 s16, 0xffff, s25
	s_cmp_lt_i32 s16, 5
	s_cbranch_scc1 .LBB111_1911
; %bb.1907:
	s_cmp_lt_i32 s16, 8
	s_cbranch_scc1 .LBB111_1912
; %bb.1908:
	;; [unrolled: 3-line block ×3, first 2 shown]
	s_cmp_gt_i32 s16, 9
	s_cbranch_scc0 .LBB111_1914
; %bb.1910:
	global_load_dwordx2 v[20:21], v[18:19], off
	s_mov_b64 s[6:7], 0
	s_waitcnt vmcnt(0)
	v_cvt_f32_f64_e32 v3, v[20:21]
	s_branch .LBB111_1915
.LBB111_1911:
                                        ; implicit-def: $vgpr3
	s_branch .LBB111_1933
.LBB111_1912:
	s_mov_b64 s[6:7], -1
                                        ; implicit-def: $vgpr3
	s_branch .LBB111_1921
.LBB111_1913:
	s_mov_b64 s[6:7], -1
                                        ; implicit-def: $vgpr3
	s_branch .LBB111_1918
.LBB111_1914:
	s_mov_b64 s[6:7], -1
                                        ; implicit-def: $vgpr3
.LBB111_1915:
	s_andn2_b64 vcc, exec, s[6:7]
	s_cbranch_vccnz .LBB111_1917
; %bb.1916:
	global_load_dword v3, v[18:19], off
.LBB111_1917:
	s_mov_b64 s[6:7], 0
.LBB111_1918:
	s_andn2_b64 vcc, exec, s[6:7]
	s_cbranch_vccnz .LBB111_1920
; %bb.1919:
	global_load_dword v3, v[18:19], off
	s_waitcnt vmcnt(0)
	v_cvt_f32_f16_e32 v3, v3
.LBB111_1920:
	s_mov_b64 s[6:7], 0
.LBB111_1921:
	s_andn2_b64 vcc, exec, s[6:7]
	s_cbranch_vccnz .LBB111_1932
; %bb.1922:
	s_cmp_lt_i32 s16, 6
	s_cbranch_scc1 .LBB111_1925
; %bb.1923:
	s_cmp_gt_i32 s16, 6
	s_cbranch_scc0 .LBB111_1926
; %bb.1924:
	global_load_dwordx2 v[20:21], v[18:19], off
	s_mov_b64 s[6:7], 0
	s_waitcnt vmcnt(0)
	v_cvt_f32_f64_e32 v3, v[20:21]
	s_branch .LBB111_1927
.LBB111_1925:
	s_mov_b64 s[6:7], -1
                                        ; implicit-def: $vgpr3
	s_branch .LBB111_1930
.LBB111_1926:
	s_mov_b64 s[6:7], -1
                                        ; implicit-def: $vgpr3
.LBB111_1927:
	s_andn2_b64 vcc, exec, s[6:7]
	s_cbranch_vccnz .LBB111_1929
; %bb.1928:
	global_load_dword v3, v[18:19], off
.LBB111_1929:
	s_mov_b64 s[6:7], 0
.LBB111_1930:
	s_andn2_b64 vcc, exec, s[6:7]
	s_cbranch_vccnz .LBB111_1932
; %bb.1931:
	global_load_ushort v3, v[18:19], off
	s_waitcnt vmcnt(0)
	v_cvt_f32_f16_e32 v3, v3
.LBB111_1932:
	s_cbranch_execnz .LBB111_1952
.LBB111_1933:
	s_cmp_lt_i32 s16, 2
	s_cbranch_scc1 .LBB111_1937
; %bb.1934:
	s_cmp_lt_i32 s16, 3
	s_cbranch_scc1 .LBB111_1938
; %bb.1935:
	s_cmp_gt_i32 s16, 3
	s_cbranch_scc0 .LBB111_1939
; %bb.1936:
	global_load_dwordx2 v[20:21], v[18:19], off
	s_mov_b64 s[6:7], 0
	s_waitcnt vmcnt(0)
	v_xor_b32_e32 v5, v20, v21
	v_ffbh_i32_e32 v3, v21
	v_ashrrev_i32_e32 v5, 31, v5
	v_add_u32_e32 v3, -1, v3
	v_add_u32_e32 v5, 32, v5
	v_min_u32_e32 v3, v3, v5
	v_lshlrev_b64 v[20:21], v3, v[20:21]
	v_sub_u32_e32 v3, 32, v3
	v_min_u32_e32 v5, 1, v20
	v_or_b32_e32 v5, v21, v5
	v_cvt_f32_i32_e32 v5, v5
	v_ldexp_f32 v3, v5, v3
	s_branch .LBB111_1940
.LBB111_1937:
	s_mov_b64 s[6:7], -1
                                        ; implicit-def: $vgpr3
	s_branch .LBB111_1946
.LBB111_1938:
	s_mov_b64 s[6:7], -1
                                        ; implicit-def: $vgpr3
	s_branch .LBB111_1943
.LBB111_1939:
	s_mov_b64 s[6:7], -1
                                        ; implicit-def: $vgpr3
.LBB111_1940:
	s_andn2_b64 vcc, exec, s[6:7]
	s_cbranch_vccnz .LBB111_1942
; %bb.1941:
	global_load_dword v3, v[18:19], off
	s_waitcnt vmcnt(0)
	v_cvt_f32_i32_e32 v3, v3
.LBB111_1942:
	s_mov_b64 s[6:7], 0
.LBB111_1943:
	s_andn2_b64 vcc, exec, s[6:7]
	s_cbranch_vccnz .LBB111_1945
; %bb.1944:
	global_load_sshort v3, v[18:19], off
	s_waitcnt vmcnt(0)
	v_cvt_f32_i32_e32 v3, v3
.LBB111_1945:
	s_mov_b64 s[6:7], 0
.LBB111_1946:
	s_andn2_b64 vcc, exec, s[6:7]
	s_cbranch_vccnz .LBB111_1952
; %bb.1947:
	s_cmp_gt_i32 s16, 0
	s_cbranch_scc0 .LBB111_1949
; %bb.1948:
	global_load_sbyte v3, v[18:19], off
	s_mov_b64 s[6:7], 0
	s_waitcnt vmcnt(0)
	v_cvt_f32_i32_e32 v3, v3
	s_branch .LBB111_1950
.LBB111_1949:
	s_mov_b64 s[6:7], -1
                                        ; implicit-def: $vgpr3
.LBB111_1950:
	s_andn2_b64 vcc, exec, s[6:7]
	s_cbranch_vccnz .LBB111_1952
; %bb.1951:
	global_load_ubyte v3, v[18:19], off
	s_waitcnt vmcnt(0)
	v_cvt_f32_ubyte0_e32 v3, v3
.LBB111_1952:
.LBB111_1953:
	s_load_dword s28, s[2:3], 0x1a0
	s_mov_b64 s[16:17], 0
	s_waitcnt lgkmcnt(0)
	s_cmp_lt_i32 s28, 1
	s_cbranch_scc1 .LBB111_1957
; %bb.1954:
	s_cmp_gt_i32 s28, 1
	s_cbranch_scc0 .LBB111_1958
; %bb.1955:
	s_cmp_eq_u32 s28, 2
	s_cbranch_scc0 .LBB111_1959
; %bb.1956:
	s_waitcnt vmcnt(0)
	v_cmp_le_f32_e64 s[6:7], v1, v3
	s_mov_b64 s[18:19], 0
	s_branch .LBB111_1960
.LBB111_1957:
                                        ; implicit-def: $sgpr6_sgpr7
	s_mov_b64 s[18:19], 0
	s_cbranch_execnz .LBB111_1964
	s_branch .LBB111_1965
.LBB111_1958:
	s_mov_b64 s[20:21], -1
	s_mov_b64 s[18:19], 0
                                        ; implicit-def: $sgpr6_sgpr7
	s_branch .LBB111_1961
.LBB111_1959:
	s_mov_b64 s[18:19], -1
                                        ; implicit-def: $sgpr6_sgpr7
.LBB111_1960:
	s_mov_b64 s[20:21], 0
.LBB111_1961:
	s_and_b64 vcc, exec, s[20:21]
	s_cbranch_vccz .LBB111_1963
; %bb.1962:
	s_waitcnt vmcnt(0)
	v_cmp_gt_f32_e32 vcc, v1, v3
	s_andn2_b64 s[6:7], s[6:7], exec
	s_and_b64 s[20:21], vcc, exec
	s_or_b64 s[6:7], s[6:7], s[20:21]
.LBB111_1963:
	s_branch .LBB111_1965
.LBB111_1964:
	s_cmp_lg_u32 s28, 0
	s_mov_b64 s[16:17], -1
	s_cselect_b64 s[18:19], -1, 0
.LBB111_1965:
	s_andn2_b64 vcc, exec, s[18:19]
	s_cbranch_vccnz .LBB111_1967
; %bb.1966:
	s_waitcnt vmcnt(0)
	v_cmp_lt_f32_e32 vcc, v1, v3
	s_andn2_b64 s[6:7], s[6:7], exec
	s_and_b64 s[18:19], vcc, exec
	s_or_b64 s[6:7], s[6:7], s[18:19]
	s_cbranch_execz .LBB111_1968
	s_branch .LBB111_1969
.LBB111_1967:
	s_andn2_b64 vcc, exec, s[16:17]
	s_cbranch_vccnz .LBB111_1969
.LBB111_1968:
	s_waitcnt vmcnt(0)
	v_cmp_ge_f32_e32 vcc, v1, v3
	s_andn2_b64 s[6:7], s[6:7], exec
	s_and_b64 s[16:17], vcc, exec
	s_or_b64 s[6:7], s[6:7], s[16:17]
.LBB111_1969:
	s_lshr_b32 s16, s24, 8
	s_lshr_b32 s26, s24, 16
	v_mov_b32_e32 v1, s11
	s_and_b32 s29, s16, 0xff
	v_add_co_u32_e32 v16, vcc, s10, v17
	s_cmp_lt_i32 s29, 11
	v_addc_co_u32_e32 v17, vcc, 0, v1, vcc
	s_cbranch_scc1 .LBB111_1976
; %bb.1970:
	s_and_b32 s27, 0xffff, s29
	s_cmp_gt_i32 s27, 25
	s_mov_b64 s[18:19], 0
	s_cbranch_scc0 .LBB111_1978
; %bb.1971:
	s_cmp_gt_i32 s27, 28
	s_cbranch_scc0 .LBB111_1979
; %bb.1972:
	s_cmp_gt_i32 s27, 43
	;; [unrolled: 3-line block ×3, first 2 shown]
	s_cbranch_scc0 .LBB111_1982
; %bb.1974:
	s_cmp_eq_u32 s27, 46
	s_mov_b64 s[22:23], 0
	s_cbranch_scc0 .LBB111_1983
; %bb.1975:
	global_load_dword v1, v[16:17], off
	s_mov_b64 s[16:17], 0
	s_mov_b64 s[20:21], -1
	s_waitcnt vmcnt(0)
	v_lshlrev_b32_e32 v1, 16, v1
	s_branch .LBB111_1984
.LBB111_1976:
	s_mov_b64 s[20:21], 0
                                        ; implicit-def: $vgpr1
	s_cbranch_execnz .LBB111_2050
.LBB111_1977:
	s_andn2_b64 vcc, exec, s[20:21]
	s_cbranch_vccnz .LBB111_2788
	s_branch .LBB111_2098
.LBB111_1978:
	s_mov_b64 s[22:23], -1
	s_mov_b64 s[20:21], 0
	s_mov_b64 s[16:17], 0
                                        ; implicit-def: $vgpr1
	s_branch .LBB111_2013
.LBB111_1979:
	s_mov_b64 s[22:23], -1
	s_mov_b64 s[20:21], 0
	s_mov_b64 s[16:17], 0
                                        ; implicit-def: $vgpr1
	s_branch .LBB111_1994
.LBB111_1980:
	s_mov_b64 s[22:23], -1
	s_mov_b64 s[20:21], 0
	s_mov_b64 s[16:17], 0
                                        ; implicit-def: $vgpr1
	s_branch .LBB111_1989
.LBB111_1981:
	s_trap 2
	s_or_b64 s[4:5], s[4:5], exec
	s_cbranch_execz .LBB111_1904
	s_branch .LBB111_1905
.LBB111_1982:
	s_mov_b64 s[22:23], -1
	s_mov_b64 s[20:21], 0
	s_mov_b64 s[16:17], 0
                                        ; implicit-def: $vgpr1
	s_branch .LBB111_1984
.LBB111_1983:
	s_mov_b64 s[16:17], -1
                                        ; implicit-def: $vgpr1
	s_mov_b64 s[20:21], 0
.LBB111_1984:
	s_and_b64 vcc, exec, s[22:23]
	s_cbranch_vccz .LBB111_1988
; %bb.1985:
	s_cmp_eq_u32 s27, 44
	s_cbranch_scc0 .LBB111_1987
; %bb.1986:
	global_load_ubyte v1, v[16:17], off
	s_movk_i32 s20, 0xff
	s_waitcnt vmcnt(1)
	v_mov_b32_e32 v3, 0x7f800001
	v_mov_b32_e32 v5, 0x400000
	s_mov_b64 s[16:17], 0
	s_waitcnt vmcnt(0)
	v_lshlrev_b32_e32 v8, 23, v1
	v_cmp_ne_u32_e32 vcc, s20, v1
	v_cndmask_b32_e32 v3, v3, v8, vcc
	v_cmp_ne_u32_e32 vcc, 0, v1
	v_cndmask_b32_e32 v1, v5, v3, vcc
	s_mov_b64 s[20:21], -1
	s_branch .LBB111_1988
.LBB111_1987:
	s_mov_b64 s[16:17], -1
                                        ; implicit-def: $vgpr1
.LBB111_1988:
	s_mov_b64 s[22:23], 0
.LBB111_1989:
	s_and_b64 vcc, exec, s[22:23]
	s_cbranch_vccz .LBB111_1993
; %bb.1990:
	s_cmp_eq_u32 s27, 29
	s_cbranch_scc0 .LBB111_1992
; %bb.1991:
	global_load_dwordx2 v[18:19], v[16:17], off
	s_mov_b64 s[16:17], 0
	s_mov_b64 s[20:21], -1
	s_mov_b64 s[22:23], 0
	s_waitcnt vmcnt(0)
	v_ffbh_u32_e32 v1, v19
	v_min_u32_e32 v1, 32, v1
	v_lshlrev_b64 v[18:19], v1, v[18:19]
	v_sub_u32_e32 v1, 32, v1
	v_min_u32_e32 v3, 1, v18
	v_or_b32_e32 v3, v19, v3
	v_cvt_f32_u32_e32 v3, v3
	v_ldexp_f32 v1, v3, v1
	s_branch .LBB111_1994
.LBB111_1992:
	s_mov_b64 s[16:17], -1
                                        ; implicit-def: $vgpr1
.LBB111_1993:
	s_mov_b64 s[22:23], 0
.LBB111_1994:
	s_and_b64 vcc, exec, s[22:23]
	s_cbranch_vccz .LBB111_2012
; %bb.1995:
	s_cmp_lt_i32 s27, 27
	s_cbranch_scc1 .LBB111_1998
; %bb.1996:
	s_cmp_gt_i32 s27, 27
	s_cbranch_scc0 .LBB111_1999
; %bb.1997:
	global_load_dword v1, v[16:17], off
	s_mov_b64 s[20:21], 0
	s_waitcnt vmcnt(0)
	v_cvt_f32_u32_e32 v1, v1
	s_branch .LBB111_2000
.LBB111_1998:
	s_mov_b64 s[20:21], -1
                                        ; implicit-def: $vgpr1
	s_branch .LBB111_2003
.LBB111_1999:
	s_mov_b64 s[20:21], -1
                                        ; implicit-def: $vgpr1
.LBB111_2000:
	s_andn2_b64 vcc, exec, s[20:21]
	s_cbranch_vccnz .LBB111_2002
; %bb.2001:
	global_load_ushort v1, v[16:17], off
	s_waitcnt vmcnt(0)
	v_cvt_f32_u32_e32 v1, v1
.LBB111_2002:
	s_mov_b64 s[20:21], 0
.LBB111_2003:
	s_andn2_b64 vcc, exec, s[20:21]
	s_cbranch_vccnz .LBB111_2011
; %bb.2004:
	global_load_ubyte v3, v[16:17], off
	s_movk_i32 s20, 0x7f
	s_waitcnt vmcnt(0)
	v_cmp_lt_i16_e32 vcc, s20, v3
	s_mov_b64 s[20:21], 0
	s_and_saveexec_b64 s[22:23], vcc
	s_xor_b64 s[22:23], exec, s[22:23]
	s_cbranch_execz .LBB111_2025
; %bb.2005:
	s_movk_i32 s20, 0x80
	v_cmp_eq_u16_e32 vcc, s20, v3
	s_mov_b64 s[20:21], -1
	s_and_saveexec_b64 s[24:25], vcc
; %bb.2006:
	s_xor_b64 s[20:21], exec, -1
; %bb.2007:
	s_or_b64 exec, exec, s[24:25]
	s_and_b64 s[20:21], s[20:21], exec
	s_or_saveexec_b64 s[22:23], s[22:23]
	v_mov_b32_e32 v1, 0x7f800001
	s_xor_b64 exec, exec, s[22:23]
	s_cbranch_execnz .LBB111_2026
.LBB111_2008:
	s_or_b64 exec, exec, s[22:23]
	s_and_saveexec_b64 s[22:23], s[20:21]
	s_cbranch_execz .LBB111_2010
.LBB111_2009:
	v_lshlrev_b32_e32 v1, 24, v3
	v_and_b32_e32 v3, 0xffff, v3
	v_and_b32_e32 v5, 7, v3
	v_ffbh_u32_e32 v10, v5
	v_min_u32_e32 v10, 32, v10
	v_subrev_u32_e32 v12, 28, v10
	v_bfe_u32 v8, v3, 3, 4
	v_lshlrev_b32_e32 v3, v12, v3
	v_sub_u32_e32 v10, 29, v10
	v_and_b32_e32 v3, 7, v3
	v_cmp_eq_u32_e32 vcc, 0, v8
	v_cndmask_b32_e32 v8, v8, v10, vcc
	v_cndmask_b32_e32 v3, v5, v3, vcc
	v_mov_b32_e32 v5, 0x3b800000
	v_lshlrev_b32_e32 v3, 20, v3
	v_and_b32_e32 v1, 0x80000000, v1
	v_lshl_add_u32 v5, v8, 23, v5
	v_or3_b32 v1, v1, v5, v3
.LBB111_2010:
	s_or_b64 exec, exec, s[22:23]
.LBB111_2011:
	s_mov_b64 s[20:21], -1
.LBB111_2012:
	s_mov_b64 s[22:23], 0
.LBB111_2013:
	s_and_b64 vcc, exec, s[22:23]
	s_cbranch_vccz .LBB111_2046
; %bb.2014:
	s_cmp_gt_i32 s27, 22
	s_cbranch_scc0 .LBB111_2024
; %bb.2015:
	s_cmp_lt_i32 s27, 24
	s_cbranch_scc1 .LBB111_2027
; %bb.2016:
	s_cmp_gt_i32 s27, 24
	s_cbranch_scc0 .LBB111_2028
; %bb.2017:
	global_load_ubyte v3, v[16:17], off
	s_movk_i32 s18, 0x7f
	s_waitcnt vmcnt(0)
	v_cmp_lt_i16_e32 vcc, s18, v3
	s_mov_b64 s[18:19], 0
	s_and_saveexec_b64 s[20:21], vcc
	s_xor_b64 s[20:21], exec, s[20:21]
	s_cbranch_execz .LBB111_2040
; %bb.2018:
	s_movk_i32 s18, 0x80
	v_cmp_eq_u16_e32 vcc, s18, v3
	s_mov_b64 s[18:19], -1
	s_and_saveexec_b64 s[22:23], vcc
; %bb.2019:
	s_xor_b64 s[18:19], exec, -1
; %bb.2020:
	s_or_b64 exec, exec, s[22:23]
	s_and_b64 s[18:19], s[18:19], exec
	s_or_saveexec_b64 s[20:21], s[20:21]
	v_mov_b32_e32 v1, 0x7f800001
	s_xor_b64 exec, exec, s[20:21]
	s_cbranch_execnz .LBB111_2041
.LBB111_2021:
	s_or_b64 exec, exec, s[20:21]
	s_and_saveexec_b64 s[20:21], s[18:19]
	s_cbranch_execz .LBB111_2023
.LBB111_2022:
	v_lshlrev_b32_e32 v1, 24, v3
	v_and_b32_e32 v3, 0xffff, v3
	v_and_b32_e32 v5, 3, v3
	v_ffbh_u32_e32 v10, v5
	v_min_u32_e32 v10, 32, v10
	v_subrev_u32_e32 v12, 29, v10
	v_bfe_u32 v8, v3, 2, 5
	v_lshlrev_b32_e32 v3, v12, v3
	v_sub_u32_e32 v10, 30, v10
	v_and_b32_e32 v3, 3, v3
	v_cmp_eq_u32_e32 vcc, 0, v8
	v_cndmask_b32_e32 v8, v8, v10, vcc
	v_cndmask_b32_e32 v3, v5, v3, vcc
	v_mov_b32_e32 v5, 0x37800000
	v_lshlrev_b32_e32 v3, 21, v3
	v_and_b32_e32 v1, 0x80000000, v1
	v_lshl_add_u32 v5, v8, 23, v5
	v_or3_b32 v1, v1, v5, v3
.LBB111_2023:
	s_or_b64 exec, exec, s[20:21]
	s_mov_b64 s[18:19], 0
	s_branch .LBB111_2029
.LBB111_2024:
	s_mov_b64 s[18:19], -1
                                        ; implicit-def: $vgpr1
	s_branch .LBB111_2035
.LBB111_2025:
	s_or_saveexec_b64 s[22:23], s[22:23]
	v_mov_b32_e32 v1, 0x7f800001
	s_xor_b64 exec, exec, s[22:23]
	s_cbranch_execz .LBB111_2008
.LBB111_2026:
	v_cmp_ne_u16_e32 vcc, 0, v3
	s_andn2_b64 s[20:21], s[20:21], exec
	s_and_b64 s[24:25], vcc, exec
	v_mov_b32_e32 v1, 0
	s_or_b64 s[20:21], s[20:21], s[24:25]
	s_or_b64 exec, exec, s[22:23]
	s_and_saveexec_b64 s[22:23], s[20:21]
	s_cbranch_execnz .LBB111_2009
	s_branch .LBB111_2010
.LBB111_2027:
	s_mov_b64 s[18:19], -1
                                        ; implicit-def: $vgpr1
	s_branch .LBB111_2032
.LBB111_2028:
	s_mov_b64 s[18:19], -1
                                        ; implicit-def: $vgpr1
.LBB111_2029:
	s_and_b64 vcc, exec, s[18:19]
	s_cbranch_vccz .LBB111_2031
; %bb.2030:
	global_load_ubyte v1, v[16:17], off
	s_mov_b32 s18, 0x7f800000
	s_waitcnt vmcnt(0)
	v_lshlrev_b32_e32 v1, 24, v1
	v_and_b32_e32 v3, 0x7f000000, v1
	v_ffbh_u32_e32 v5, v3
	v_min_u32_e32 v5, 32, v5
	v_sub_u32_e64 v5, v5, 4 clamp
	v_lshlrev_b32_e32 v10, v5, v3
	v_lshlrev_b32_e32 v5, 23, v5
	v_lshrrev_b32_e32 v10, 4, v10
	v_add_u32_e32 v8, 0x1000000, v3
	v_sub_u32_e32 v5, v10, v5
	v_ashrrev_i32_e32 v8, 8, v8
	v_add_u32_e32 v5, 0x3c000000, v5
	v_and_or_b32 v5, v8, s18, v5
	v_cmp_ne_u32_e32 vcc, 0, v3
	v_cndmask_b32_e32 v3, 0, v5, vcc
	s_brev_b32 s18, 1
	v_and_or_b32 v1, v1, s18, v3
.LBB111_2031:
	s_mov_b64 s[18:19], 0
.LBB111_2032:
	s_andn2_b64 vcc, exec, s[18:19]
	s_cbranch_vccnz .LBB111_2034
; %bb.2033:
	global_load_ubyte v1, v[16:17], off
	s_movk_i32 s18, 0x7f00
	s_brev_b32 s19, 16
	s_waitcnt vmcnt(0)
	v_lshlrev_b16_e32 v3, 8, v1
	v_lshlrev_b32_e32 v1, 25, v1
	v_lshrrev_b32_e32 v5, 4, v1
	v_and_or_b32 v8, v3, s18, 0.5
	v_or_b32_e32 v5, 0x70000000, v5
	v_add_f32_e32 v8, -0.5, v8
	v_mul_f32_e32 v5, 0x7800000, v5
	v_cmp_gt_u32_e32 vcc, s19, v1
	v_bfe_i32 v3, v3, 0, 16
	v_cndmask_b32_e32 v1, v5, v8, vcc
	s_brev_b32 s18, 1
	v_and_or_b32 v1, v3, s18, v1
.LBB111_2034:
	s_mov_b64 s[18:19], 0
	s_mov_b64 s[20:21], -1
.LBB111_2035:
	s_andn2_b64 vcc, exec, s[18:19]
	s_mov_b64 s[18:19], 0
	s_cbranch_vccnz .LBB111_2046
; %bb.2036:
	s_cmp_gt_i32 s27, 14
	s_cbranch_scc0 .LBB111_2039
; %bb.2037:
	s_cmp_eq_u32 s27, 15
	s_cbranch_scc0 .LBB111_2042
; %bb.2038:
	global_load_ushort v1, v[16:17], off
	s_mov_b64 s[16:17], 0
	s_mov_b64 s[20:21], -1
	s_waitcnt vmcnt(0)
	v_lshlrev_b32_e32 v1, 16, v1
	s_branch .LBB111_2043
.LBB111_2039:
	s_mov_b64 s[22:23], -1
                                        ; implicit-def: $vgpr1
	s_branch .LBB111_2044
.LBB111_2040:
	s_or_saveexec_b64 s[20:21], s[20:21]
	v_mov_b32_e32 v1, 0x7f800001
	s_xor_b64 exec, exec, s[20:21]
	s_cbranch_execz .LBB111_2021
.LBB111_2041:
	v_cmp_ne_u16_e32 vcc, 0, v3
	s_andn2_b64 s[18:19], s[18:19], exec
	s_and_b64 s[22:23], vcc, exec
	v_mov_b32_e32 v1, 0
	s_or_b64 s[18:19], s[18:19], s[22:23]
	s_or_b64 exec, exec, s[20:21]
	s_and_saveexec_b64 s[20:21], s[18:19]
	s_cbranch_execnz .LBB111_2022
	s_branch .LBB111_2023
.LBB111_2042:
	s_mov_b64 s[16:17], -1
                                        ; implicit-def: $vgpr1
.LBB111_2043:
	s_mov_b64 s[22:23], 0
.LBB111_2044:
	s_and_b64 vcc, exec, s[22:23]
	s_cbranch_vccz .LBB111_2046
; %bb.2045:
	s_cmp_lg_u32 s27, 11
	s_mov_b64 s[18:19], -1
	s_cselect_b64 s[16:17], -1, 0
.LBB111_2046:
	s_and_b64 vcc, exec, s[16:17]
	s_cbranch_vccnz .LBB111_2109
; %bb.2047:
	s_andn2_b64 vcc, exec, s[18:19]
	s_cbranch_vccnz .LBB111_2049
.LBB111_2048:
	global_load_ubyte v1, v[16:17], off
	s_mov_b64 s[20:21], -1
	s_waitcnt vmcnt(0)
	v_cmp_ne_u16_e32 vcc, 0, v1
	v_cndmask_b32_e64 v1, 0, 1.0, vcc
.LBB111_2049:
	s_branch .LBB111_1977
.LBB111_2050:
	s_and_b32 s18, 0xffff, s29
	s_cmp_lt_i32 s18, 5
	s_cbranch_scc1 .LBB111_2055
; %bb.2051:
	s_cmp_lt_i32 s18, 8
	s_cbranch_scc1 .LBB111_2056
; %bb.2052:
	;; [unrolled: 3-line block ×3, first 2 shown]
	s_cmp_gt_i32 s18, 9
	s_cbranch_scc0 .LBB111_2058
; %bb.2054:
	global_load_dwordx2 v[18:19], v[16:17], off
	s_mov_b64 s[16:17], 0
	s_waitcnt vmcnt(0)
	v_cvt_f32_f64_e32 v1, v[18:19]
	s_branch .LBB111_2059
.LBB111_2055:
	s_mov_b64 s[16:17], -1
                                        ; implicit-def: $vgpr1
	s_branch .LBB111_2077
.LBB111_2056:
	s_mov_b64 s[16:17], -1
                                        ; implicit-def: $vgpr1
	s_branch .LBB111_2065
.LBB111_2057:
	s_mov_b64 s[16:17], -1
                                        ; implicit-def: $vgpr1
	s_branch .LBB111_2062
.LBB111_2058:
	s_mov_b64 s[16:17], -1
                                        ; implicit-def: $vgpr1
.LBB111_2059:
	s_andn2_b64 vcc, exec, s[16:17]
	s_cbranch_vccnz .LBB111_2061
; %bb.2060:
	global_load_dword v1, v[16:17], off
.LBB111_2061:
	s_mov_b64 s[16:17], 0
.LBB111_2062:
	s_andn2_b64 vcc, exec, s[16:17]
	s_cbranch_vccnz .LBB111_2064
; %bb.2063:
	global_load_dword v1, v[16:17], off
	s_waitcnt vmcnt(0)
	v_cvt_f32_f16_e32 v1, v1
.LBB111_2064:
	s_mov_b64 s[16:17], 0
.LBB111_2065:
	s_andn2_b64 vcc, exec, s[16:17]
	s_cbranch_vccnz .LBB111_2076
; %bb.2066:
	s_cmp_lt_i32 s18, 6
	s_cbranch_scc1 .LBB111_2069
; %bb.2067:
	s_cmp_gt_i32 s18, 6
	s_cbranch_scc0 .LBB111_2070
; %bb.2068:
	global_load_dwordx2 v[18:19], v[16:17], off
	s_mov_b64 s[16:17], 0
	s_waitcnt vmcnt(0)
	v_cvt_f32_f64_e32 v1, v[18:19]
	s_branch .LBB111_2071
.LBB111_2069:
	s_mov_b64 s[16:17], -1
                                        ; implicit-def: $vgpr1
	s_branch .LBB111_2074
.LBB111_2070:
	s_mov_b64 s[16:17], -1
                                        ; implicit-def: $vgpr1
.LBB111_2071:
	s_andn2_b64 vcc, exec, s[16:17]
	s_cbranch_vccnz .LBB111_2073
; %bb.2072:
	global_load_dword v1, v[16:17], off
.LBB111_2073:
	s_mov_b64 s[16:17], 0
.LBB111_2074:
	s_andn2_b64 vcc, exec, s[16:17]
	s_cbranch_vccnz .LBB111_2076
; %bb.2075:
	global_load_ushort v1, v[16:17], off
	s_waitcnt vmcnt(0)
	v_cvt_f32_f16_e32 v1, v1
.LBB111_2076:
	s_mov_b64 s[16:17], 0
.LBB111_2077:
	s_andn2_b64 vcc, exec, s[16:17]
	s_cbranch_vccnz .LBB111_2097
; %bb.2078:
	s_cmp_lt_i32 s18, 2
	s_cbranch_scc1 .LBB111_2082
; %bb.2079:
	s_cmp_lt_i32 s18, 3
	s_cbranch_scc1 .LBB111_2083
; %bb.2080:
	s_cmp_gt_i32 s18, 3
	s_cbranch_scc0 .LBB111_2084
; %bb.2081:
	global_load_dwordx2 v[18:19], v[16:17], off
	s_mov_b64 s[16:17], 0
	s_waitcnt vmcnt(0)
	v_xor_b32_e32 v3, v18, v19
	v_ffbh_i32_e32 v1, v19
	v_ashrrev_i32_e32 v3, 31, v3
	v_add_u32_e32 v1, -1, v1
	v_add_u32_e32 v3, 32, v3
	v_min_u32_e32 v1, v1, v3
	v_lshlrev_b64 v[18:19], v1, v[18:19]
	v_sub_u32_e32 v1, 32, v1
	v_min_u32_e32 v3, 1, v18
	v_or_b32_e32 v3, v19, v3
	v_cvt_f32_i32_e32 v3, v3
	v_ldexp_f32 v1, v3, v1
	s_branch .LBB111_2085
.LBB111_2082:
	s_mov_b64 s[16:17], -1
                                        ; implicit-def: $vgpr1
	s_branch .LBB111_2091
.LBB111_2083:
	s_mov_b64 s[16:17], -1
                                        ; implicit-def: $vgpr1
	s_branch .LBB111_2088
.LBB111_2084:
	s_mov_b64 s[16:17], -1
                                        ; implicit-def: $vgpr1
.LBB111_2085:
	s_andn2_b64 vcc, exec, s[16:17]
	s_cbranch_vccnz .LBB111_2087
; %bb.2086:
	global_load_dword v1, v[16:17], off
	s_waitcnt vmcnt(0)
	v_cvt_f32_i32_e32 v1, v1
.LBB111_2087:
	s_mov_b64 s[16:17], 0
.LBB111_2088:
	s_andn2_b64 vcc, exec, s[16:17]
	s_cbranch_vccnz .LBB111_2090
; %bb.2089:
	global_load_sshort v1, v[16:17], off
	s_waitcnt vmcnt(0)
	v_cvt_f32_i32_e32 v1, v1
.LBB111_2090:
	s_mov_b64 s[16:17], 0
.LBB111_2091:
	s_andn2_b64 vcc, exec, s[16:17]
	s_cbranch_vccnz .LBB111_2097
; %bb.2092:
	s_cmp_gt_i32 s18, 0
	s_cbranch_scc0 .LBB111_2094
; %bb.2093:
	global_load_sbyte v1, v[16:17], off
	s_mov_b64 s[16:17], 0
	s_waitcnt vmcnt(0)
	v_cvt_f32_i32_e32 v1, v1
	s_branch .LBB111_2095
.LBB111_2094:
	s_mov_b64 s[16:17], -1
                                        ; implicit-def: $vgpr1
.LBB111_2095:
	s_andn2_b64 vcc, exec, s[16:17]
	s_cbranch_vccnz .LBB111_2097
; %bb.2096:
	global_load_ubyte v1, v[16:17], off
	s_waitcnt vmcnt(0)
	v_cvt_f32_ubyte0_e32 v1, v1
.LBB111_2097:
.LBB111_2098:
	s_waitcnt vmcnt(0)
	v_mov_b32_e32 v3, s1
	s_and_b32 s30, s26, 0xff
	v_add_co_u32_e32 v14, vcc, s0, v15
	s_cmp_lt_i32 s30, 11
	v_addc_co_u32_e32 v15, vcc, 0, v3, vcc
	s_cbranch_scc1 .LBB111_2105
; %bb.2099:
	s_and_b32 s26, 0xffff, s30
	s_cmp_gt_i32 s26, 25
	s_mov_b64 s[18:19], 0
	s_cbranch_scc0 .LBB111_2106
; %bb.2100:
	s_cmp_gt_i32 s26, 28
	s_cbranch_scc0 .LBB111_2107
; %bb.2101:
	s_cmp_gt_i32 s26, 43
	s_cbranch_scc0 .LBB111_2108
; %bb.2102:
	s_cmp_gt_i32 s26, 45
	s_cbranch_scc0 .LBB111_2110
; %bb.2103:
	s_cmp_eq_u32 s26, 46
	s_mov_b64 s[22:23], 0
	s_cbranch_scc0 .LBB111_2111
; %bb.2104:
	global_load_dword v3, v[14:15], off
	s_mov_b64 s[16:17], 0
	s_mov_b64 s[20:21], -1
	s_waitcnt vmcnt(0)
	v_lshlrev_b32_e32 v3, 16, v3
	s_branch .LBB111_2112
.LBB111_2105:
	s_mov_b64 s[16:17], -1
	s_mov_b64 s[20:21], 0
                                        ; implicit-def: $vgpr3
	s_branch .LBB111_2178
.LBB111_2106:
	s_mov_b64 s[22:23], -1
	s_mov_b64 s[20:21], 0
	s_mov_b64 s[16:17], 0
                                        ; implicit-def: $vgpr3
	s_branch .LBB111_2141
.LBB111_2107:
	s_mov_b64 s[22:23], -1
	s_mov_b64 s[20:21], 0
	s_mov_b64 s[16:17], 0
                                        ; implicit-def: $vgpr3
	s_branch .LBB111_2122
.LBB111_2108:
	s_mov_b64 s[22:23], -1
	s_mov_b64 s[20:21], 0
	s_mov_b64 s[16:17], 0
                                        ; implicit-def: $vgpr3
	s_branch .LBB111_2117
.LBB111_2109:
	s_trap 2
	s_or_b64 s[4:5], s[4:5], exec
	s_cbranch_execz .LBB111_2048
	s_branch .LBB111_2049
.LBB111_2110:
	s_mov_b64 s[22:23], -1
	s_mov_b64 s[20:21], 0
	s_mov_b64 s[16:17], 0
                                        ; implicit-def: $vgpr3
	s_branch .LBB111_2112
.LBB111_2111:
	s_mov_b64 s[16:17], -1
                                        ; implicit-def: $vgpr3
	s_mov_b64 s[20:21], 0
.LBB111_2112:
	s_and_b64 vcc, exec, s[22:23]
	s_cbranch_vccz .LBB111_2116
; %bb.2113:
	s_cmp_eq_u32 s26, 44
	s_cbranch_scc0 .LBB111_2115
; %bb.2114:
	global_load_ubyte v3, v[14:15], off
	s_movk_i32 s20, 0xff
	v_mov_b32_e32 v5, 0x7f800001
	v_mov_b32_e32 v8, 0x400000
	s_mov_b64 s[16:17], 0
	s_waitcnt vmcnt(0)
	v_lshlrev_b32_e32 v10, 23, v3
	v_cmp_ne_u32_e32 vcc, s20, v3
	v_cndmask_b32_e32 v5, v5, v10, vcc
	v_cmp_ne_u32_e32 vcc, 0, v3
	v_cndmask_b32_e32 v3, v8, v5, vcc
	s_mov_b64 s[20:21], -1
	s_branch .LBB111_2116
.LBB111_2115:
	s_mov_b64 s[16:17], -1
                                        ; implicit-def: $vgpr3
.LBB111_2116:
	s_mov_b64 s[22:23], 0
.LBB111_2117:
	s_and_b64 vcc, exec, s[22:23]
	s_cbranch_vccz .LBB111_2121
; %bb.2118:
	s_cmp_eq_u32 s26, 29
	s_cbranch_scc0 .LBB111_2120
; %bb.2119:
	global_load_dwordx2 v[16:17], v[14:15], off
	s_mov_b64 s[16:17], 0
	s_mov_b64 s[20:21], -1
	s_mov_b64 s[22:23], 0
	s_waitcnt vmcnt(0)
	v_ffbh_u32_e32 v3, v17
	v_min_u32_e32 v3, 32, v3
	v_lshlrev_b64 v[16:17], v3, v[16:17]
	v_sub_u32_e32 v3, 32, v3
	v_min_u32_e32 v5, 1, v16
	v_or_b32_e32 v5, v17, v5
	v_cvt_f32_u32_e32 v5, v5
	v_ldexp_f32 v3, v5, v3
	s_branch .LBB111_2122
.LBB111_2120:
	s_mov_b64 s[16:17], -1
                                        ; implicit-def: $vgpr3
.LBB111_2121:
	s_mov_b64 s[22:23], 0
.LBB111_2122:
	s_and_b64 vcc, exec, s[22:23]
	s_cbranch_vccz .LBB111_2140
; %bb.2123:
	s_cmp_lt_i32 s26, 27
	s_cbranch_scc1 .LBB111_2126
; %bb.2124:
	s_cmp_gt_i32 s26, 27
	s_cbranch_scc0 .LBB111_2127
; %bb.2125:
	global_load_dword v3, v[14:15], off
	s_mov_b64 s[20:21], 0
	s_waitcnt vmcnt(0)
	v_cvt_f32_u32_e32 v3, v3
	s_branch .LBB111_2128
.LBB111_2126:
	s_mov_b64 s[20:21], -1
                                        ; implicit-def: $vgpr3
	s_branch .LBB111_2131
.LBB111_2127:
	s_mov_b64 s[20:21], -1
                                        ; implicit-def: $vgpr3
.LBB111_2128:
	s_andn2_b64 vcc, exec, s[20:21]
	s_cbranch_vccnz .LBB111_2130
; %bb.2129:
	global_load_ushort v3, v[14:15], off
	s_waitcnt vmcnt(0)
	v_cvt_f32_u32_e32 v3, v3
.LBB111_2130:
	s_mov_b64 s[20:21], 0
.LBB111_2131:
	s_andn2_b64 vcc, exec, s[20:21]
	s_cbranch_vccnz .LBB111_2139
; %bb.2132:
	global_load_ubyte v5, v[14:15], off
	s_movk_i32 s20, 0x7f
	s_waitcnt vmcnt(0)
	v_cmp_lt_i16_e32 vcc, s20, v5
	s_mov_b64 s[20:21], 0
	s_and_saveexec_b64 s[22:23], vcc
	s_xor_b64 s[22:23], exec, s[22:23]
	s_cbranch_execz .LBB111_2153
; %bb.2133:
	s_movk_i32 s20, 0x80
	v_cmp_eq_u16_e32 vcc, s20, v5
	s_mov_b64 s[20:21], -1
	s_and_saveexec_b64 s[24:25], vcc
; %bb.2134:
	s_xor_b64 s[20:21], exec, -1
; %bb.2135:
	s_or_b64 exec, exec, s[24:25]
	s_and_b64 s[20:21], s[20:21], exec
	s_or_saveexec_b64 s[22:23], s[22:23]
	v_mov_b32_e32 v3, 0x7f800001
	s_xor_b64 exec, exec, s[22:23]
	s_cbranch_execnz .LBB111_2154
.LBB111_2136:
	s_or_b64 exec, exec, s[22:23]
	s_and_saveexec_b64 s[22:23], s[20:21]
	s_cbranch_execz .LBB111_2138
.LBB111_2137:
	v_lshlrev_b32_e32 v3, 24, v5
	v_and_b32_e32 v5, 0xffff, v5
	v_and_b32_e32 v8, 7, v5
	v_ffbh_u32_e32 v12, v8
	v_min_u32_e32 v12, 32, v12
	v_subrev_u32_e32 v16, 28, v12
	v_bfe_u32 v10, v5, 3, 4
	v_lshlrev_b32_e32 v5, v16, v5
	v_sub_u32_e32 v12, 29, v12
	v_and_b32_e32 v5, 7, v5
	v_cmp_eq_u32_e32 vcc, 0, v10
	v_cndmask_b32_e32 v10, v10, v12, vcc
	v_cndmask_b32_e32 v5, v8, v5, vcc
	v_mov_b32_e32 v8, 0x3b800000
	v_lshlrev_b32_e32 v5, 20, v5
	v_and_b32_e32 v3, 0x80000000, v3
	v_lshl_add_u32 v8, v10, 23, v8
	v_or3_b32 v3, v3, v8, v5
.LBB111_2138:
	s_or_b64 exec, exec, s[22:23]
.LBB111_2139:
	s_mov_b64 s[20:21], -1
.LBB111_2140:
	s_mov_b64 s[22:23], 0
.LBB111_2141:
	s_and_b64 vcc, exec, s[22:23]
	s_cbranch_vccz .LBB111_2174
; %bb.2142:
	s_cmp_gt_i32 s26, 22
	s_cbranch_scc0 .LBB111_2152
; %bb.2143:
	s_cmp_lt_i32 s26, 24
	s_cbranch_scc1 .LBB111_2155
; %bb.2144:
	s_cmp_gt_i32 s26, 24
	s_cbranch_scc0 .LBB111_2156
; %bb.2145:
	global_load_ubyte v5, v[14:15], off
	s_movk_i32 s18, 0x7f
	s_waitcnt vmcnt(0)
	v_cmp_lt_i16_e32 vcc, s18, v5
	s_mov_b64 s[18:19], 0
	s_and_saveexec_b64 s[20:21], vcc
	s_xor_b64 s[20:21], exec, s[20:21]
	s_cbranch_execz .LBB111_2168
; %bb.2146:
	s_movk_i32 s18, 0x80
	v_cmp_eq_u16_e32 vcc, s18, v5
	s_mov_b64 s[18:19], -1
	s_and_saveexec_b64 s[22:23], vcc
; %bb.2147:
	s_xor_b64 s[18:19], exec, -1
; %bb.2148:
	s_or_b64 exec, exec, s[22:23]
	s_and_b64 s[18:19], s[18:19], exec
	s_or_saveexec_b64 s[20:21], s[20:21]
	v_mov_b32_e32 v3, 0x7f800001
	s_xor_b64 exec, exec, s[20:21]
	s_cbranch_execnz .LBB111_2169
.LBB111_2149:
	s_or_b64 exec, exec, s[20:21]
	s_and_saveexec_b64 s[20:21], s[18:19]
	s_cbranch_execz .LBB111_2151
.LBB111_2150:
	v_lshlrev_b32_e32 v3, 24, v5
	v_and_b32_e32 v5, 0xffff, v5
	v_and_b32_e32 v8, 3, v5
	v_ffbh_u32_e32 v12, v8
	v_min_u32_e32 v12, 32, v12
	v_subrev_u32_e32 v16, 29, v12
	v_bfe_u32 v10, v5, 2, 5
	v_lshlrev_b32_e32 v5, v16, v5
	v_sub_u32_e32 v12, 30, v12
	v_and_b32_e32 v5, 3, v5
	v_cmp_eq_u32_e32 vcc, 0, v10
	v_cndmask_b32_e32 v10, v10, v12, vcc
	v_cndmask_b32_e32 v5, v8, v5, vcc
	v_mov_b32_e32 v8, 0x37800000
	v_lshlrev_b32_e32 v5, 21, v5
	v_and_b32_e32 v3, 0x80000000, v3
	v_lshl_add_u32 v8, v10, 23, v8
	v_or3_b32 v3, v3, v8, v5
.LBB111_2151:
	s_or_b64 exec, exec, s[20:21]
	s_mov_b64 s[18:19], 0
	s_branch .LBB111_2157
.LBB111_2152:
	s_mov_b64 s[18:19], -1
                                        ; implicit-def: $vgpr3
	s_branch .LBB111_2163
.LBB111_2153:
	s_or_saveexec_b64 s[22:23], s[22:23]
	v_mov_b32_e32 v3, 0x7f800001
	s_xor_b64 exec, exec, s[22:23]
	s_cbranch_execz .LBB111_2136
.LBB111_2154:
	v_cmp_ne_u16_e32 vcc, 0, v5
	s_andn2_b64 s[20:21], s[20:21], exec
	s_and_b64 s[24:25], vcc, exec
	v_mov_b32_e32 v3, 0
	s_or_b64 s[20:21], s[20:21], s[24:25]
	s_or_b64 exec, exec, s[22:23]
	s_and_saveexec_b64 s[22:23], s[20:21]
	s_cbranch_execnz .LBB111_2137
	s_branch .LBB111_2138
.LBB111_2155:
	s_mov_b64 s[18:19], -1
                                        ; implicit-def: $vgpr3
	s_branch .LBB111_2160
.LBB111_2156:
	s_mov_b64 s[18:19], -1
                                        ; implicit-def: $vgpr3
.LBB111_2157:
	s_and_b64 vcc, exec, s[18:19]
	s_cbranch_vccz .LBB111_2159
; %bb.2158:
	global_load_ubyte v3, v[14:15], off
	s_mov_b32 s18, 0x7f800000
	s_waitcnt vmcnt(0)
	v_lshlrev_b32_e32 v3, 24, v3
	v_and_b32_e32 v5, 0x7f000000, v3
	v_ffbh_u32_e32 v8, v5
	v_min_u32_e32 v8, 32, v8
	v_sub_u32_e64 v8, v8, 4 clamp
	v_lshlrev_b32_e32 v12, v8, v5
	v_lshlrev_b32_e32 v8, 23, v8
	v_lshrrev_b32_e32 v12, 4, v12
	v_add_u32_e32 v10, 0x1000000, v5
	v_sub_u32_e32 v8, v12, v8
	v_ashrrev_i32_e32 v10, 8, v10
	v_add_u32_e32 v8, 0x3c000000, v8
	v_and_or_b32 v8, v10, s18, v8
	v_cmp_ne_u32_e32 vcc, 0, v5
	v_cndmask_b32_e32 v5, 0, v8, vcc
	s_brev_b32 s18, 1
	v_and_or_b32 v3, v3, s18, v5
.LBB111_2159:
	s_mov_b64 s[18:19], 0
.LBB111_2160:
	s_andn2_b64 vcc, exec, s[18:19]
	s_cbranch_vccnz .LBB111_2162
; %bb.2161:
	global_load_ubyte v3, v[14:15], off
	s_movk_i32 s18, 0x7f00
	s_brev_b32 s19, 16
	s_waitcnt vmcnt(0)
	v_lshlrev_b16_e32 v5, 8, v3
	v_lshlrev_b32_e32 v3, 25, v3
	v_lshrrev_b32_e32 v8, 4, v3
	v_and_or_b32 v10, v5, s18, 0.5
	v_or_b32_e32 v8, 0x70000000, v8
	v_add_f32_e32 v10, -0.5, v10
	v_mul_f32_e32 v8, 0x7800000, v8
	v_cmp_gt_u32_e32 vcc, s19, v3
	v_bfe_i32 v5, v5, 0, 16
	v_cndmask_b32_e32 v3, v8, v10, vcc
	s_brev_b32 s18, 1
	v_and_or_b32 v3, v5, s18, v3
.LBB111_2162:
	s_mov_b64 s[18:19], 0
	s_mov_b64 s[20:21], -1
.LBB111_2163:
	s_andn2_b64 vcc, exec, s[18:19]
	s_mov_b64 s[18:19], 0
	s_cbranch_vccnz .LBB111_2174
; %bb.2164:
	s_cmp_gt_i32 s26, 14
	s_cbranch_scc0 .LBB111_2167
; %bb.2165:
	s_cmp_eq_u32 s26, 15
	s_cbranch_scc0 .LBB111_2170
; %bb.2166:
	global_load_ushort v3, v[14:15], off
	s_mov_b64 s[16:17], 0
	s_mov_b64 s[20:21], -1
	s_waitcnt vmcnt(0)
	v_lshlrev_b32_e32 v3, 16, v3
	s_branch .LBB111_2171
.LBB111_2167:
	s_mov_b64 s[22:23], -1
                                        ; implicit-def: $vgpr3
	s_branch .LBB111_2172
.LBB111_2168:
	s_or_saveexec_b64 s[20:21], s[20:21]
	v_mov_b32_e32 v3, 0x7f800001
	s_xor_b64 exec, exec, s[20:21]
	s_cbranch_execz .LBB111_2149
.LBB111_2169:
	v_cmp_ne_u16_e32 vcc, 0, v5
	s_andn2_b64 s[18:19], s[18:19], exec
	s_and_b64 s[22:23], vcc, exec
	v_mov_b32_e32 v3, 0
	s_or_b64 s[18:19], s[18:19], s[22:23]
	s_or_b64 exec, exec, s[20:21]
	s_and_saveexec_b64 s[20:21], s[18:19]
	s_cbranch_execnz .LBB111_2150
	s_branch .LBB111_2151
.LBB111_2170:
	s_mov_b64 s[16:17], -1
                                        ; implicit-def: $vgpr3
.LBB111_2171:
	s_mov_b64 s[22:23], 0
.LBB111_2172:
	s_and_b64 vcc, exec, s[22:23]
	s_cbranch_vccz .LBB111_2174
; %bb.2173:
	s_cmp_lg_u32 s26, 11
	s_mov_b64 s[18:19], -1
	s_cselect_b64 s[16:17], -1, 0
.LBB111_2174:
	s_and_b64 vcc, exec, s[16:17]
	s_cbranch_vccnz .LBB111_2256
; %bb.2175:
	s_andn2_b64 vcc, exec, s[18:19]
	s_cbranch_vccnz .LBB111_2177
.LBB111_2176:
	global_load_ubyte v3, v[14:15], off
	s_mov_b64 s[20:21], -1
	s_waitcnt vmcnt(0)
	v_cmp_ne_u16_e32 vcc, 0, v3
	v_cndmask_b32_e64 v3, 0, 1.0, vcc
.LBB111_2177:
	s_mov_b64 s[16:17], 0
.LBB111_2178:
	s_and_b64 vcc, exec, s[16:17]
	s_cbranch_vccz .LBB111_2227
; %bb.2179:
	s_and_b32 s18, 0xffff, s30
	s_cmp_lt_i32 s18, 5
	s_cbranch_scc1 .LBB111_2184
; %bb.2180:
	s_cmp_lt_i32 s18, 8
	s_cbranch_scc1 .LBB111_2185
; %bb.2181:
	;; [unrolled: 3-line block ×3, first 2 shown]
	s_cmp_gt_i32 s18, 9
	s_cbranch_scc0 .LBB111_2187
; %bb.2183:
	global_load_dwordx2 v[16:17], v[14:15], off
	s_mov_b64 s[16:17], 0
	s_waitcnt vmcnt(0)
	v_cvt_f32_f64_e32 v3, v[16:17]
	s_branch .LBB111_2188
.LBB111_2184:
	s_mov_b64 s[16:17], -1
                                        ; implicit-def: $vgpr3
	s_branch .LBB111_2206
.LBB111_2185:
	s_mov_b64 s[16:17], -1
                                        ; implicit-def: $vgpr3
	s_branch .LBB111_2194
.LBB111_2186:
	s_mov_b64 s[16:17], -1
                                        ; implicit-def: $vgpr3
	s_branch .LBB111_2191
.LBB111_2187:
	s_mov_b64 s[16:17], -1
                                        ; implicit-def: $vgpr3
.LBB111_2188:
	s_andn2_b64 vcc, exec, s[16:17]
	s_cbranch_vccnz .LBB111_2190
; %bb.2189:
	global_load_dword v3, v[14:15], off
.LBB111_2190:
	s_mov_b64 s[16:17], 0
.LBB111_2191:
	s_andn2_b64 vcc, exec, s[16:17]
	s_cbranch_vccnz .LBB111_2193
; %bb.2192:
	global_load_dword v3, v[14:15], off
	s_waitcnt vmcnt(0)
	v_cvt_f32_f16_e32 v3, v3
.LBB111_2193:
	s_mov_b64 s[16:17], 0
.LBB111_2194:
	s_andn2_b64 vcc, exec, s[16:17]
	s_cbranch_vccnz .LBB111_2205
; %bb.2195:
	s_cmp_lt_i32 s18, 6
	s_cbranch_scc1 .LBB111_2198
; %bb.2196:
	s_cmp_gt_i32 s18, 6
	s_cbranch_scc0 .LBB111_2199
; %bb.2197:
	global_load_dwordx2 v[16:17], v[14:15], off
	s_mov_b64 s[16:17], 0
	s_waitcnt vmcnt(0)
	v_cvt_f32_f64_e32 v3, v[16:17]
	s_branch .LBB111_2200
.LBB111_2198:
	s_mov_b64 s[16:17], -1
                                        ; implicit-def: $vgpr3
	s_branch .LBB111_2203
.LBB111_2199:
	s_mov_b64 s[16:17], -1
                                        ; implicit-def: $vgpr3
.LBB111_2200:
	s_andn2_b64 vcc, exec, s[16:17]
	s_cbranch_vccnz .LBB111_2202
; %bb.2201:
	global_load_dword v3, v[14:15], off
.LBB111_2202:
	s_mov_b64 s[16:17], 0
.LBB111_2203:
	s_andn2_b64 vcc, exec, s[16:17]
	s_cbranch_vccnz .LBB111_2205
; %bb.2204:
	global_load_ushort v3, v[14:15], off
	s_waitcnt vmcnt(0)
	v_cvt_f32_f16_e32 v3, v3
.LBB111_2205:
	s_mov_b64 s[16:17], 0
.LBB111_2206:
	s_andn2_b64 vcc, exec, s[16:17]
	s_cbranch_vccnz .LBB111_2226
; %bb.2207:
	s_cmp_lt_i32 s18, 2
	s_cbranch_scc1 .LBB111_2211
; %bb.2208:
	s_cmp_lt_i32 s18, 3
	s_cbranch_scc1 .LBB111_2212
; %bb.2209:
	s_cmp_gt_i32 s18, 3
	s_cbranch_scc0 .LBB111_2213
; %bb.2210:
	global_load_dwordx2 v[16:17], v[14:15], off
	s_mov_b64 s[16:17], 0
	s_waitcnt vmcnt(0)
	v_xor_b32_e32 v5, v16, v17
	v_ffbh_i32_e32 v3, v17
	v_ashrrev_i32_e32 v5, 31, v5
	v_add_u32_e32 v3, -1, v3
	v_add_u32_e32 v5, 32, v5
	v_min_u32_e32 v3, v3, v5
	v_lshlrev_b64 v[16:17], v3, v[16:17]
	v_sub_u32_e32 v3, 32, v3
	v_min_u32_e32 v5, 1, v16
	v_or_b32_e32 v5, v17, v5
	v_cvt_f32_i32_e32 v5, v5
	v_ldexp_f32 v3, v5, v3
	s_branch .LBB111_2214
.LBB111_2211:
	s_mov_b64 s[16:17], -1
                                        ; implicit-def: $vgpr3
	s_branch .LBB111_2220
.LBB111_2212:
	s_mov_b64 s[16:17], -1
                                        ; implicit-def: $vgpr3
	s_branch .LBB111_2217
.LBB111_2213:
	s_mov_b64 s[16:17], -1
                                        ; implicit-def: $vgpr3
.LBB111_2214:
	s_andn2_b64 vcc, exec, s[16:17]
	s_cbranch_vccnz .LBB111_2216
; %bb.2215:
	global_load_dword v3, v[14:15], off
	s_waitcnt vmcnt(0)
	v_cvt_f32_i32_e32 v3, v3
.LBB111_2216:
	s_mov_b64 s[16:17], 0
.LBB111_2217:
	s_andn2_b64 vcc, exec, s[16:17]
	s_cbranch_vccnz .LBB111_2219
; %bb.2218:
	global_load_sshort v3, v[14:15], off
	s_waitcnt vmcnt(0)
	v_cvt_f32_i32_e32 v3, v3
.LBB111_2219:
	s_mov_b64 s[16:17], 0
.LBB111_2220:
	s_andn2_b64 vcc, exec, s[16:17]
	s_cbranch_vccnz .LBB111_2226
; %bb.2221:
	s_cmp_gt_i32 s18, 0
	s_cbranch_scc0 .LBB111_2223
; %bb.2222:
	global_load_sbyte v3, v[14:15], off
	s_mov_b64 s[16:17], 0
	s_waitcnt vmcnt(0)
	v_cvt_f32_i32_e32 v3, v3
	s_branch .LBB111_2224
.LBB111_2223:
	s_mov_b64 s[16:17], -1
                                        ; implicit-def: $vgpr3
.LBB111_2224:
	s_andn2_b64 vcc, exec, s[16:17]
	s_cbranch_vccnz .LBB111_2226
; %bb.2225:
	global_load_ubyte v3, v[14:15], off
	s_waitcnt vmcnt(0)
	v_cvt_f32_ubyte0_e32 v3, v3
.LBB111_2226:
	s_mov_b64 s[20:21], -1
.LBB111_2227:
	s_andn2_b64 vcc, exec, s[20:21]
	s_cbranch_vccnz .LBB111_2788
; %bb.2228:
	s_cmp_lt_i32 s28, 1
	s_mov_b64 s[18:19], 0
	s_cbranch_scc1 .LBB111_2232
; %bb.2229:
	s_cmp_gt_i32 s28, 1
	s_cbranch_scc0 .LBB111_2233
; %bb.2230:
	s_cmp_eq_u32 s28, 2
	s_cbranch_scc0 .LBB111_2234
; %bb.2231:
	s_waitcnt vmcnt(0)
	v_cmp_le_f32_e64 s[16:17], v1, v3
	s_mov_b64 s[20:21], 0
	s_branch .LBB111_2235
.LBB111_2232:
	s_mov_b64 s[22:23], -1
                                        ; implicit-def: $sgpr16_sgpr17
	s_mov_b64 s[20:21], 0
	s_branch .LBB111_2239
.LBB111_2233:
	s_mov_b64 s[22:23], -1
	s_mov_b64 s[20:21], 0
                                        ; implicit-def: $sgpr16_sgpr17
	s_branch .LBB111_2236
.LBB111_2234:
	s_mov_b64 s[20:21], -1
                                        ; implicit-def: $sgpr16_sgpr17
.LBB111_2235:
	s_mov_b64 s[22:23], 0
.LBB111_2236:
	s_and_b64 vcc, exec, s[22:23]
	s_cbranch_vccz .LBB111_2238
; %bb.2237:
	s_waitcnt vmcnt(0)
	v_cmp_gt_f32_e32 vcc, v1, v3
	s_andn2_b64 s[16:17], s[16:17], exec
	s_and_b64 s[22:23], vcc, exec
	s_or_b64 s[16:17], s[16:17], s[22:23]
.LBB111_2238:
	s_mov_b64 s[22:23], 0
.LBB111_2239:
	s_and_b64 vcc, exec, s[22:23]
	s_cbranch_vccz .LBB111_2250
; %bb.2240:
	s_cmp_lg_u32 s28, 0
	s_mov_b64 s[18:19], -1
	s_cselect_b64 s[20:21], -1, 0
	s_andn2_b64 vcc, exec, s[20:21]
	s_cbranch_vccz .LBB111_2251
.LBB111_2241:
	s_andn2_b64 vcc, exec, s[18:19]
	s_cbranch_vccnz .LBB111_2243
.LBB111_2242:
	s_waitcnt vmcnt(0)
	v_cmp_ge_f32_e32 vcc, v1, v3
	s_andn2_b64 s[16:17], s[16:17], exec
	s_and_b64 s[18:19], vcc, exec
	s_or_b64 s[16:17], s[16:17], s[18:19]
.LBB111_2243:
	v_mov_b32_e32 v1, s11
	v_add_co_u32_e32 v12, vcc, s10, v13
	s_cmp_lt_i32 s29, 11
	v_addc_co_u32_e32 v13, vcc, 0, v1, vcc
	s_cbranch_scc1 .LBB111_2252
; %bb.2244:
	s_and_b32 s31, 0xffff, s29
	s_cmp_gt_i32 s31, 25
	s_mov_b64 s[20:21], 0
	s_cbranch_scc0 .LBB111_2253
; %bb.2245:
	s_cmp_gt_i32 s31, 28
	s_cbranch_scc0 .LBB111_2254
; %bb.2246:
	s_cmp_gt_i32 s31, 43
	;; [unrolled: 3-line block ×3, first 2 shown]
	s_cbranch_scc0 .LBB111_2257
; %bb.2248:
	s_cmp_eq_u32 s31, 46
	s_mov_b64 s[24:25], 0
	s_cbranch_scc0 .LBB111_2258
; %bb.2249:
	global_load_dword v1, v[12:13], off
	s_mov_b64 s[18:19], 0
	s_mov_b64 s[22:23], -1
	s_waitcnt vmcnt(0)
	v_lshlrev_b32_e32 v1, 16, v1
	s_branch .LBB111_2259
.LBB111_2250:
	s_andn2_b64 vcc, exec, s[20:21]
	s_cbranch_vccnz .LBB111_2241
.LBB111_2251:
	s_waitcnt vmcnt(0)
	v_cmp_lt_f32_e32 vcc, v1, v3
	s_andn2_b64 s[16:17], s[16:17], exec
	s_and_b64 s[20:21], vcc, exec
	s_or_b64 s[16:17], s[16:17], s[20:21]
	s_cbranch_execz .LBB111_2242
	s_branch .LBB111_2243
.LBB111_2252:
	s_mov_b64 s[18:19], -1
	s_mov_b64 s[22:23], 0
                                        ; implicit-def: $vgpr1
	s_branch .LBB111_2325
.LBB111_2253:
	s_mov_b64 s[24:25], -1
	s_mov_b64 s[22:23], 0
	s_mov_b64 s[18:19], 0
                                        ; implicit-def: $vgpr1
	s_branch .LBB111_2288
.LBB111_2254:
	s_mov_b64 s[24:25], -1
	s_mov_b64 s[22:23], 0
	s_mov_b64 s[18:19], 0
                                        ; implicit-def: $vgpr1
	s_branch .LBB111_2269
.LBB111_2255:
	s_mov_b64 s[24:25], -1
	s_mov_b64 s[22:23], 0
	s_mov_b64 s[18:19], 0
                                        ; implicit-def: $vgpr1
	s_branch .LBB111_2264
.LBB111_2256:
	s_trap 2
	s_or_b64 s[4:5], s[4:5], exec
	s_cbranch_execz .LBB111_2176
	s_branch .LBB111_2177
.LBB111_2257:
	s_mov_b64 s[24:25], -1
	s_mov_b64 s[22:23], 0
	s_mov_b64 s[18:19], 0
                                        ; implicit-def: $vgpr1
	s_branch .LBB111_2259
.LBB111_2258:
	s_mov_b64 s[18:19], -1
                                        ; implicit-def: $vgpr1
	s_mov_b64 s[22:23], 0
.LBB111_2259:
	s_and_b64 vcc, exec, s[24:25]
	s_cbranch_vccz .LBB111_2263
; %bb.2260:
	s_cmp_eq_u32 s31, 44
	s_cbranch_scc0 .LBB111_2262
; %bb.2261:
	global_load_ubyte v1, v[12:13], off
	s_movk_i32 s22, 0xff
	s_waitcnt vmcnt(1)
	v_mov_b32_e32 v3, 0x7f800001
	v_mov_b32_e32 v5, 0x400000
	s_mov_b64 s[18:19], 0
	s_waitcnt vmcnt(0)
	v_lshlrev_b32_e32 v8, 23, v1
	v_cmp_ne_u32_e32 vcc, s22, v1
	v_cndmask_b32_e32 v3, v3, v8, vcc
	v_cmp_ne_u32_e32 vcc, 0, v1
	v_cndmask_b32_e32 v1, v5, v3, vcc
	s_mov_b64 s[22:23], -1
	s_branch .LBB111_2263
.LBB111_2262:
	s_mov_b64 s[18:19], -1
                                        ; implicit-def: $vgpr1
.LBB111_2263:
	s_mov_b64 s[24:25], 0
.LBB111_2264:
	s_and_b64 vcc, exec, s[24:25]
	s_cbranch_vccz .LBB111_2268
; %bb.2265:
	s_cmp_eq_u32 s31, 29
	s_cbranch_scc0 .LBB111_2267
; %bb.2266:
	global_load_dwordx2 v[14:15], v[12:13], off
	s_mov_b64 s[18:19], 0
	s_mov_b64 s[22:23], -1
	s_mov_b64 s[24:25], 0
	s_waitcnt vmcnt(0)
	v_ffbh_u32_e32 v1, v15
	v_min_u32_e32 v1, 32, v1
	v_lshlrev_b64 v[14:15], v1, v[14:15]
	v_sub_u32_e32 v1, 32, v1
	v_min_u32_e32 v3, 1, v14
	v_or_b32_e32 v3, v15, v3
	v_cvt_f32_u32_e32 v3, v3
	v_ldexp_f32 v1, v3, v1
	s_branch .LBB111_2269
.LBB111_2267:
	s_mov_b64 s[18:19], -1
                                        ; implicit-def: $vgpr1
.LBB111_2268:
	s_mov_b64 s[24:25], 0
.LBB111_2269:
	s_and_b64 vcc, exec, s[24:25]
	s_cbranch_vccz .LBB111_2287
; %bb.2270:
	s_cmp_lt_i32 s31, 27
	s_cbranch_scc1 .LBB111_2273
; %bb.2271:
	s_cmp_gt_i32 s31, 27
	s_cbranch_scc0 .LBB111_2274
; %bb.2272:
	global_load_dword v1, v[12:13], off
	s_mov_b64 s[22:23], 0
	s_waitcnt vmcnt(0)
	v_cvt_f32_u32_e32 v1, v1
	s_branch .LBB111_2275
.LBB111_2273:
	s_mov_b64 s[22:23], -1
                                        ; implicit-def: $vgpr1
	s_branch .LBB111_2278
.LBB111_2274:
	s_mov_b64 s[22:23], -1
                                        ; implicit-def: $vgpr1
.LBB111_2275:
	s_andn2_b64 vcc, exec, s[22:23]
	s_cbranch_vccnz .LBB111_2277
; %bb.2276:
	global_load_ushort v1, v[12:13], off
	s_waitcnt vmcnt(0)
	v_cvt_f32_u32_e32 v1, v1
.LBB111_2277:
	s_mov_b64 s[22:23], 0
.LBB111_2278:
	s_andn2_b64 vcc, exec, s[22:23]
	s_cbranch_vccnz .LBB111_2286
; %bb.2279:
	global_load_ubyte v3, v[12:13], off
	s_movk_i32 s22, 0x7f
	s_waitcnt vmcnt(0)
	v_cmp_lt_i16_e32 vcc, s22, v3
	s_mov_b64 s[22:23], 0
	s_and_saveexec_b64 s[24:25], vcc
	s_xor_b64 s[24:25], exec, s[24:25]
	s_cbranch_execz .LBB111_2300
; %bb.2280:
	s_movk_i32 s22, 0x80
	v_cmp_eq_u16_e32 vcc, s22, v3
	s_mov_b64 s[22:23], -1
	s_and_saveexec_b64 s[26:27], vcc
; %bb.2281:
	s_xor_b64 s[22:23], exec, -1
; %bb.2282:
	s_or_b64 exec, exec, s[26:27]
	s_and_b64 s[22:23], s[22:23], exec
	s_or_saveexec_b64 s[24:25], s[24:25]
	v_mov_b32_e32 v1, 0x7f800001
	s_xor_b64 exec, exec, s[24:25]
	s_cbranch_execnz .LBB111_2301
.LBB111_2283:
	s_or_b64 exec, exec, s[24:25]
	s_and_saveexec_b64 s[24:25], s[22:23]
	s_cbranch_execz .LBB111_2285
.LBB111_2284:
	v_lshlrev_b32_e32 v1, 24, v3
	v_and_b32_e32 v3, 0xffff, v3
	v_and_b32_e32 v5, 7, v3
	v_ffbh_u32_e32 v10, v5
	v_min_u32_e32 v10, 32, v10
	v_subrev_u32_e32 v14, 28, v10
	v_bfe_u32 v8, v3, 3, 4
	v_lshlrev_b32_e32 v3, v14, v3
	v_sub_u32_e32 v10, 29, v10
	v_and_b32_e32 v3, 7, v3
	v_cmp_eq_u32_e32 vcc, 0, v8
	v_cndmask_b32_e32 v8, v8, v10, vcc
	v_cndmask_b32_e32 v3, v5, v3, vcc
	v_mov_b32_e32 v5, 0x3b800000
	v_lshlrev_b32_e32 v3, 20, v3
	v_and_b32_e32 v1, 0x80000000, v1
	v_lshl_add_u32 v5, v8, 23, v5
	v_or3_b32 v1, v1, v5, v3
.LBB111_2285:
	s_or_b64 exec, exec, s[24:25]
.LBB111_2286:
	s_mov_b64 s[22:23], -1
.LBB111_2287:
	s_mov_b64 s[24:25], 0
.LBB111_2288:
	s_and_b64 vcc, exec, s[24:25]
	s_cbranch_vccz .LBB111_2321
; %bb.2289:
	s_cmp_gt_i32 s31, 22
	s_cbranch_scc0 .LBB111_2299
; %bb.2290:
	s_cmp_lt_i32 s31, 24
	s_cbranch_scc1 .LBB111_2302
; %bb.2291:
	s_cmp_gt_i32 s31, 24
	s_cbranch_scc0 .LBB111_2303
; %bb.2292:
	global_load_ubyte v3, v[12:13], off
	s_movk_i32 s20, 0x7f
	s_waitcnt vmcnt(0)
	v_cmp_lt_i16_e32 vcc, s20, v3
	s_mov_b64 s[20:21], 0
	s_and_saveexec_b64 s[22:23], vcc
	s_xor_b64 s[22:23], exec, s[22:23]
	s_cbranch_execz .LBB111_2315
; %bb.2293:
	s_movk_i32 s20, 0x80
	v_cmp_eq_u16_e32 vcc, s20, v3
	s_mov_b64 s[20:21], -1
	s_and_saveexec_b64 s[24:25], vcc
; %bb.2294:
	s_xor_b64 s[20:21], exec, -1
; %bb.2295:
	s_or_b64 exec, exec, s[24:25]
	s_and_b64 s[20:21], s[20:21], exec
	s_or_saveexec_b64 s[22:23], s[22:23]
	v_mov_b32_e32 v1, 0x7f800001
	s_xor_b64 exec, exec, s[22:23]
	s_cbranch_execnz .LBB111_2316
.LBB111_2296:
	s_or_b64 exec, exec, s[22:23]
	s_and_saveexec_b64 s[22:23], s[20:21]
	s_cbranch_execz .LBB111_2298
.LBB111_2297:
	v_lshlrev_b32_e32 v1, 24, v3
	v_and_b32_e32 v3, 0xffff, v3
	v_and_b32_e32 v5, 3, v3
	v_ffbh_u32_e32 v10, v5
	v_min_u32_e32 v10, 32, v10
	v_subrev_u32_e32 v14, 29, v10
	v_bfe_u32 v8, v3, 2, 5
	v_lshlrev_b32_e32 v3, v14, v3
	v_sub_u32_e32 v10, 30, v10
	v_and_b32_e32 v3, 3, v3
	v_cmp_eq_u32_e32 vcc, 0, v8
	v_cndmask_b32_e32 v8, v8, v10, vcc
	v_cndmask_b32_e32 v3, v5, v3, vcc
	v_mov_b32_e32 v5, 0x37800000
	v_lshlrev_b32_e32 v3, 21, v3
	v_and_b32_e32 v1, 0x80000000, v1
	v_lshl_add_u32 v5, v8, 23, v5
	v_or3_b32 v1, v1, v5, v3
.LBB111_2298:
	s_or_b64 exec, exec, s[22:23]
	s_mov_b64 s[20:21], 0
	s_branch .LBB111_2304
.LBB111_2299:
	s_mov_b64 s[20:21], -1
                                        ; implicit-def: $vgpr1
	s_branch .LBB111_2310
.LBB111_2300:
	s_or_saveexec_b64 s[24:25], s[24:25]
	v_mov_b32_e32 v1, 0x7f800001
	s_xor_b64 exec, exec, s[24:25]
	s_cbranch_execz .LBB111_2283
.LBB111_2301:
	v_cmp_ne_u16_e32 vcc, 0, v3
	s_andn2_b64 s[22:23], s[22:23], exec
	s_and_b64 s[26:27], vcc, exec
	v_mov_b32_e32 v1, 0
	s_or_b64 s[22:23], s[22:23], s[26:27]
	s_or_b64 exec, exec, s[24:25]
	s_and_saveexec_b64 s[24:25], s[22:23]
	s_cbranch_execnz .LBB111_2284
	s_branch .LBB111_2285
.LBB111_2302:
	s_mov_b64 s[20:21], -1
                                        ; implicit-def: $vgpr1
	s_branch .LBB111_2307
.LBB111_2303:
	s_mov_b64 s[20:21], -1
                                        ; implicit-def: $vgpr1
.LBB111_2304:
	s_and_b64 vcc, exec, s[20:21]
	s_cbranch_vccz .LBB111_2306
; %bb.2305:
	global_load_ubyte v1, v[12:13], off
	s_mov_b32 s20, 0x7f800000
	s_waitcnt vmcnt(0)
	v_lshlrev_b32_e32 v1, 24, v1
	v_and_b32_e32 v3, 0x7f000000, v1
	v_ffbh_u32_e32 v5, v3
	v_min_u32_e32 v5, 32, v5
	v_sub_u32_e64 v5, v5, 4 clamp
	v_lshlrev_b32_e32 v10, v5, v3
	v_lshlrev_b32_e32 v5, 23, v5
	v_lshrrev_b32_e32 v10, 4, v10
	v_add_u32_e32 v8, 0x1000000, v3
	v_sub_u32_e32 v5, v10, v5
	v_ashrrev_i32_e32 v8, 8, v8
	v_add_u32_e32 v5, 0x3c000000, v5
	v_and_or_b32 v5, v8, s20, v5
	v_cmp_ne_u32_e32 vcc, 0, v3
	v_cndmask_b32_e32 v3, 0, v5, vcc
	s_brev_b32 s20, 1
	v_and_or_b32 v1, v1, s20, v3
.LBB111_2306:
	s_mov_b64 s[20:21], 0
.LBB111_2307:
	s_andn2_b64 vcc, exec, s[20:21]
	s_cbranch_vccnz .LBB111_2309
; %bb.2308:
	global_load_ubyte v1, v[12:13], off
	s_movk_i32 s20, 0x7f00
	s_brev_b32 s21, 16
	s_waitcnt vmcnt(0)
	v_lshlrev_b16_e32 v3, 8, v1
	v_lshlrev_b32_e32 v1, 25, v1
	v_lshrrev_b32_e32 v5, 4, v1
	v_and_or_b32 v8, v3, s20, 0.5
	v_or_b32_e32 v5, 0x70000000, v5
	v_add_f32_e32 v8, -0.5, v8
	v_mul_f32_e32 v5, 0x7800000, v5
	v_cmp_gt_u32_e32 vcc, s21, v1
	v_bfe_i32 v3, v3, 0, 16
	v_cndmask_b32_e32 v1, v5, v8, vcc
	s_brev_b32 s20, 1
	v_and_or_b32 v1, v3, s20, v1
.LBB111_2309:
	s_mov_b64 s[20:21], 0
	s_mov_b64 s[22:23], -1
.LBB111_2310:
	s_andn2_b64 vcc, exec, s[20:21]
	s_mov_b64 s[20:21], 0
	s_cbranch_vccnz .LBB111_2321
; %bb.2311:
	s_cmp_gt_i32 s31, 14
	s_cbranch_scc0 .LBB111_2314
; %bb.2312:
	s_cmp_eq_u32 s31, 15
	s_cbranch_scc0 .LBB111_2317
; %bb.2313:
	global_load_ushort v1, v[12:13], off
	s_mov_b64 s[18:19], 0
	s_mov_b64 s[22:23], -1
	s_waitcnt vmcnt(0)
	v_lshlrev_b32_e32 v1, 16, v1
	s_branch .LBB111_2318
.LBB111_2314:
	s_mov_b64 s[24:25], -1
                                        ; implicit-def: $vgpr1
	s_branch .LBB111_2319
.LBB111_2315:
	s_or_saveexec_b64 s[22:23], s[22:23]
	v_mov_b32_e32 v1, 0x7f800001
	s_xor_b64 exec, exec, s[22:23]
	s_cbranch_execz .LBB111_2296
.LBB111_2316:
	v_cmp_ne_u16_e32 vcc, 0, v3
	s_andn2_b64 s[20:21], s[20:21], exec
	s_and_b64 s[24:25], vcc, exec
	v_mov_b32_e32 v1, 0
	s_or_b64 s[20:21], s[20:21], s[24:25]
	s_or_b64 exec, exec, s[22:23]
	s_and_saveexec_b64 s[22:23], s[20:21]
	s_cbranch_execnz .LBB111_2297
	s_branch .LBB111_2298
.LBB111_2317:
	s_mov_b64 s[18:19], -1
                                        ; implicit-def: $vgpr1
.LBB111_2318:
	s_mov_b64 s[24:25], 0
.LBB111_2319:
	s_and_b64 vcc, exec, s[24:25]
	s_cbranch_vccz .LBB111_2321
; %bb.2320:
	s_cmp_lg_u32 s31, 11
	s_mov_b64 s[20:21], -1
	s_cselect_b64 s[18:19], -1, 0
.LBB111_2321:
	s_and_b64 vcc, exec, s[18:19]
	s_cbranch_vccnz .LBB111_2386
; %bb.2322:
	s_andn2_b64 vcc, exec, s[20:21]
	s_cbranch_vccnz .LBB111_2324
.LBB111_2323:
	global_load_ubyte v1, v[12:13], off
	s_mov_b64 s[22:23], -1
	s_waitcnt vmcnt(0)
	v_cmp_ne_u16_e32 vcc, 0, v1
	v_cndmask_b32_e64 v1, 0, 1.0, vcc
.LBB111_2324:
	s_mov_b64 s[18:19], 0
.LBB111_2325:
	s_and_b64 vcc, exec, s[18:19]
	s_cbranch_vccz .LBB111_2374
; %bb.2326:
	s_and_b32 s20, 0xffff, s29
	s_cmp_lt_i32 s20, 5
	s_cbranch_scc1 .LBB111_2331
; %bb.2327:
	s_cmp_lt_i32 s20, 8
	s_cbranch_scc1 .LBB111_2332
; %bb.2328:
	;; [unrolled: 3-line block ×3, first 2 shown]
	s_cmp_gt_i32 s20, 9
	s_cbranch_scc0 .LBB111_2334
; %bb.2330:
	global_load_dwordx2 v[14:15], v[12:13], off
	s_mov_b64 s[18:19], 0
	s_waitcnt vmcnt(0)
	v_cvt_f32_f64_e32 v1, v[14:15]
	s_branch .LBB111_2335
.LBB111_2331:
	s_mov_b64 s[18:19], -1
                                        ; implicit-def: $vgpr1
	s_branch .LBB111_2353
.LBB111_2332:
	s_mov_b64 s[18:19], -1
                                        ; implicit-def: $vgpr1
	s_branch .LBB111_2341
.LBB111_2333:
	s_mov_b64 s[18:19], -1
                                        ; implicit-def: $vgpr1
	s_branch .LBB111_2338
.LBB111_2334:
	s_mov_b64 s[18:19], -1
                                        ; implicit-def: $vgpr1
.LBB111_2335:
	s_andn2_b64 vcc, exec, s[18:19]
	s_cbranch_vccnz .LBB111_2337
; %bb.2336:
	global_load_dword v1, v[12:13], off
.LBB111_2337:
	s_mov_b64 s[18:19], 0
.LBB111_2338:
	s_andn2_b64 vcc, exec, s[18:19]
	s_cbranch_vccnz .LBB111_2340
; %bb.2339:
	global_load_dword v1, v[12:13], off
	s_waitcnt vmcnt(0)
	v_cvt_f32_f16_e32 v1, v1
.LBB111_2340:
	s_mov_b64 s[18:19], 0
.LBB111_2341:
	s_andn2_b64 vcc, exec, s[18:19]
	s_cbranch_vccnz .LBB111_2352
; %bb.2342:
	s_cmp_lt_i32 s20, 6
	s_cbranch_scc1 .LBB111_2345
; %bb.2343:
	s_cmp_gt_i32 s20, 6
	s_cbranch_scc0 .LBB111_2346
; %bb.2344:
	global_load_dwordx2 v[14:15], v[12:13], off
	s_mov_b64 s[18:19], 0
	s_waitcnt vmcnt(0)
	v_cvt_f32_f64_e32 v1, v[14:15]
	s_branch .LBB111_2347
.LBB111_2345:
	s_mov_b64 s[18:19], -1
                                        ; implicit-def: $vgpr1
	s_branch .LBB111_2350
.LBB111_2346:
	s_mov_b64 s[18:19], -1
                                        ; implicit-def: $vgpr1
.LBB111_2347:
	s_andn2_b64 vcc, exec, s[18:19]
	s_cbranch_vccnz .LBB111_2349
; %bb.2348:
	global_load_dword v1, v[12:13], off
.LBB111_2349:
	s_mov_b64 s[18:19], 0
.LBB111_2350:
	s_andn2_b64 vcc, exec, s[18:19]
	s_cbranch_vccnz .LBB111_2352
; %bb.2351:
	global_load_ushort v1, v[12:13], off
	s_waitcnt vmcnt(0)
	v_cvt_f32_f16_e32 v1, v1
.LBB111_2352:
	s_mov_b64 s[18:19], 0
.LBB111_2353:
	s_andn2_b64 vcc, exec, s[18:19]
	s_cbranch_vccnz .LBB111_2373
; %bb.2354:
	s_cmp_lt_i32 s20, 2
	s_cbranch_scc1 .LBB111_2358
; %bb.2355:
	s_cmp_lt_i32 s20, 3
	s_cbranch_scc1 .LBB111_2359
; %bb.2356:
	s_cmp_gt_i32 s20, 3
	s_cbranch_scc0 .LBB111_2360
; %bb.2357:
	global_load_dwordx2 v[14:15], v[12:13], off
	s_mov_b64 s[18:19], 0
	s_waitcnt vmcnt(0)
	v_xor_b32_e32 v3, v14, v15
	v_ffbh_i32_e32 v1, v15
	v_ashrrev_i32_e32 v3, 31, v3
	v_add_u32_e32 v1, -1, v1
	v_add_u32_e32 v3, 32, v3
	v_min_u32_e32 v1, v1, v3
	v_lshlrev_b64 v[14:15], v1, v[14:15]
	v_sub_u32_e32 v1, 32, v1
	v_min_u32_e32 v3, 1, v14
	v_or_b32_e32 v3, v15, v3
	v_cvt_f32_i32_e32 v3, v3
	v_ldexp_f32 v1, v3, v1
	s_branch .LBB111_2361
.LBB111_2358:
	s_mov_b64 s[18:19], -1
                                        ; implicit-def: $vgpr1
	s_branch .LBB111_2367
.LBB111_2359:
	s_mov_b64 s[18:19], -1
                                        ; implicit-def: $vgpr1
	s_branch .LBB111_2364
.LBB111_2360:
	s_mov_b64 s[18:19], -1
                                        ; implicit-def: $vgpr1
.LBB111_2361:
	s_andn2_b64 vcc, exec, s[18:19]
	s_cbranch_vccnz .LBB111_2363
; %bb.2362:
	global_load_dword v1, v[12:13], off
	s_waitcnt vmcnt(0)
	v_cvt_f32_i32_e32 v1, v1
.LBB111_2363:
	s_mov_b64 s[18:19], 0
.LBB111_2364:
	s_andn2_b64 vcc, exec, s[18:19]
	s_cbranch_vccnz .LBB111_2366
; %bb.2365:
	global_load_sshort v1, v[12:13], off
	s_waitcnt vmcnt(0)
	v_cvt_f32_i32_e32 v1, v1
.LBB111_2366:
	s_mov_b64 s[18:19], 0
.LBB111_2367:
	s_andn2_b64 vcc, exec, s[18:19]
	s_cbranch_vccnz .LBB111_2373
; %bb.2368:
	s_cmp_gt_i32 s20, 0
	s_cbranch_scc0 .LBB111_2370
; %bb.2369:
	global_load_sbyte v1, v[12:13], off
	s_mov_b64 s[18:19], 0
	s_waitcnt vmcnt(0)
	v_cvt_f32_i32_e32 v1, v1
	s_branch .LBB111_2371
.LBB111_2370:
	s_mov_b64 s[18:19], -1
                                        ; implicit-def: $vgpr1
.LBB111_2371:
	s_andn2_b64 vcc, exec, s[18:19]
	s_cbranch_vccnz .LBB111_2373
; %bb.2372:
	global_load_ubyte v1, v[12:13], off
	s_waitcnt vmcnt(0)
	v_cvt_f32_ubyte0_e32 v1, v1
.LBB111_2373:
	s_mov_b64 s[22:23], -1
.LBB111_2374:
	s_andn2_b64 vcc, exec, s[22:23]
	s_cbranch_vccnz .LBB111_2788
; %bb.2375:
	s_waitcnt vmcnt(0)
	v_mov_b32_e32 v3, s1
	v_add_co_u32_e32 v10, vcc, s0, v11
	s_cmp_lt_i32 s30, 11
	v_addc_co_u32_e32 v11, vcc, 0, v3, vcc
	s_cbranch_scc1 .LBB111_2382
; %bb.2376:
	s_and_b32 s31, 0xffff, s30
	s_cmp_gt_i32 s31, 25
	s_mov_b64 s[20:21], 0
	s_cbranch_scc0 .LBB111_2383
; %bb.2377:
	s_cmp_gt_i32 s31, 28
	s_cbranch_scc0 .LBB111_2384
; %bb.2378:
	s_cmp_gt_i32 s31, 43
	;; [unrolled: 3-line block ×3, first 2 shown]
	s_cbranch_scc0 .LBB111_2387
; %bb.2380:
	s_cmp_eq_u32 s31, 46
	s_mov_b64 s[24:25], 0
	s_cbranch_scc0 .LBB111_2390
; %bb.2381:
	global_load_dword v3, v[10:11], off
	s_mov_b64 s[18:19], 0
	s_mov_b64 s[22:23], -1
	s_waitcnt vmcnt(0)
	v_lshlrev_b32_e32 v3, 16, v3
	s_branch .LBB111_2391
.LBB111_2382:
	s_mov_b64 s[18:19], -1
	s_mov_b64 s[22:23], 0
                                        ; implicit-def: $vgpr3
	s_branch .LBB111_2457
.LBB111_2383:
	s_mov_b64 s[24:25], -1
	s_mov_b64 s[22:23], 0
	s_mov_b64 s[18:19], 0
                                        ; implicit-def: $vgpr3
	s_branch .LBB111_2420
.LBB111_2384:
	s_mov_b64 s[24:25], -1
	s_mov_b64 s[22:23], 0
	s_mov_b64 s[18:19], 0
                                        ; implicit-def: $vgpr3
	s_branch .LBB111_2401
.LBB111_2385:
	s_mov_b64 s[24:25], -1
	s_mov_b64 s[22:23], 0
	s_mov_b64 s[18:19], 0
                                        ; implicit-def: $vgpr3
	s_branch .LBB111_2396
.LBB111_2386:
	s_trap 2
	s_or_b64 s[4:5], s[4:5], exec
	s_cbranch_execz .LBB111_2323
	s_branch .LBB111_2324
.LBB111_2387:
	s_mov_b64 s[24:25], -1
	s_mov_b64 s[22:23], 0
	s_mov_b64 s[18:19], 0
                                        ; implicit-def: $vgpr3
	s_branch .LBB111_2391
.LBB111_2388:
	s_andn2_saveexec_b64 s[66:67], s[66:67]
	s_cbranch_execz .LBB111_1169
.LBB111_2389:
	v_add_f32_e32 v2, 0x42800000, v3
	v_and_b32_e32 v2, 0xff, v2
	v_cmp_ne_u32_e32 vcc, 0, v2
	s_andn2_b64 s[64:65], s[64:65], exec
	s_and_b64 s[76:77], vcc, exec
	s_or_b64 s[64:65], s[64:65], s[76:77]
	s_or_b64 exec, exec, s[66:67]
	v_mov_b32_e32 v4, 0
	s_and_saveexec_b64 s[66:67], s[64:65]
	s_cbranch_execnz .LBB111_1170
	s_branch .LBB111_1171
.LBB111_2390:
	s_mov_b64 s[18:19], -1
                                        ; implicit-def: $vgpr3
	s_mov_b64 s[22:23], 0
.LBB111_2391:
	s_and_b64 vcc, exec, s[24:25]
	s_cbranch_vccz .LBB111_2395
; %bb.2392:
	s_cmp_eq_u32 s31, 44
	s_cbranch_scc0 .LBB111_2394
; %bb.2393:
	global_load_ubyte v3, v[10:11], off
	s_movk_i32 s22, 0xff
	v_mov_b32_e32 v5, 0x7f800001
	v_mov_b32_e32 v8, 0x400000
	s_mov_b64 s[18:19], 0
	s_waitcnt vmcnt(0)
	v_lshlrev_b32_e32 v12, 23, v3
	v_cmp_ne_u32_e32 vcc, s22, v3
	v_cndmask_b32_e32 v5, v5, v12, vcc
	v_cmp_ne_u32_e32 vcc, 0, v3
	v_cndmask_b32_e32 v3, v8, v5, vcc
	s_mov_b64 s[22:23], -1
	s_branch .LBB111_2395
.LBB111_2394:
	s_mov_b64 s[18:19], -1
                                        ; implicit-def: $vgpr3
.LBB111_2395:
	s_mov_b64 s[24:25], 0
.LBB111_2396:
	s_and_b64 vcc, exec, s[24:25]
	s_cbranch_vccz .LBB111_2400
; %bb.2397:
	s_cmp_eq_u32 s31, 29
	s_cbranch_scc0 .LBB111_2399
; %bb.2398:
	global_load_dwordx2 v[12:13], v[10:11], off
	s_mov_b64 s[18:19], 0
	s_mov_b64 s[22:23], -1
	s_mov_b64 s[24:25], 0
	s_waitcnt vmcnt(0)
	v_ffbh_u32_e32 v3, v13
	v_min_u32_e32 v3, 32, v3
	v_lshlrev_b64 v[12:13], v3, v[12:13]
	v_sub_u32_e32 v3, 32, v3
	v_min_u32_e32 v5, 1, v12
	v_or_b32_e32 v5, v13, v5
	v_cvt_f32_u32_e32 v5, v5
	v_ldexp_f32 v3, v5, v3
	s_branch .LBB111_2401
.LBB111_2399:
	s_mov_b64 s[18:19], -1
                                        ; implicit-def: $vgpr3
.LBB111_2400:
	s_mov_b64 s[24:25], 0
.LBB111_2401:
	s_and_b64 vcc, exec, s[24:25]
	s_cbranch_vccz .LBB111_2419
; %bb.2402:
	s_cmp_lt_i32 s31, 27
	s_cbranch_scc1 .LBB111_2405
; %bb.2403:
	s_cmp_gt_i32 s31, 27
	s_cbranch_scc0 .LBB111_2406
; %bb.2404:
	global_load_dword v3, v[10:11], off
	s_mov_b64 s[22:23], 0
	s_waitcnt vmcnt(0)
	v_cvt_f32_u32_e32 v3, v3
	s_branch .LBB111_2407
.LBB111_2405:
	s_mov_b64 s[22:23], -1
                                        ; implicit-def: $vgpr3
	s_branch .LBB111_2410
.LBB111_2406:
	s_mov_b64 s[22:23], -1
                                        ; implicit-def: $vgpr3
.LBB111_2407:
	s_andn2_b64 vcc, exec, s[22:23]
	s_cbranch_vccnz .LBB111_2409
; %bb.2408:
	global_load_ushort v3, v[10:11], off
	s_waitcnt vmcnt(0)
	v_cvt_f32_u32_e32 v3, v3
.LBB111_2409:
	s_mov_b64 s[22:23], 0
.LBB111_2410:
	s_andn2_b64 vcc, exec, s[22:23]
	s_cbranch_vccnz .LBB111_2418
; %bb.2411:
	global_load_ubyte v5, v[10:11], off
	s_movk_i32 s22, 0x7f
	s_waitcnt vmcnt(0)
	v_cmp_lt_i16_e32 vcc, s22, v5
	s_mov_b64 s[22:23], 0
	s_and_saveexec_b64 s[24:25], vcc
	s_xor_b64 s[24:25], exec, s[24:25]
	s_cbranch_execz .LBB111_2432
; %bb.2412:
	s_movk_i32 s22, 0x80
	v_cmp_eq_u16_e32 vcc, s22, v5
	s_mov_b64 s[22:23], -1
	s_and_saveexec_b64 s[26:27], vcc
; %bb.2413:
	s_xor_b64 s[22:23], exec, -1
; %bb.2414:
	s_or_b64 exec, exec, s[26:27]
	s_and_b64 s[22:23], s[22:23], exec
	s_or_saveexec_b64 s[24:25], s[24:25]
	v_mov_b32_e32 v3, 0x7f800001
	s_xor_b64 exec, exec, s[24:25]
	s_cbranch_execnz .LBB111_2433
.LBB111_2415:
	s_or_b64 exec, exec, s[24:25]
	s_and_saveexec_b64 s[24:25], s[22:23]
	s_cbranch_execz .LBB111_2417
.LBB111_2416:
	v_lshlrev_b32_e32 v3, 24, v5
	v_and_b32_e32 v5, 0xffff, v5
	v_and_b32_e32 v8, 7, v5
	v_ffbh_u32_e32 v13, v8
	v_min_u32_e32 v13, 32, v13
	v_subrev_u32_e32 v14, 28, v13
	v_bfe_u32 v12, v5, 3, 4
	v_lshlrev_b32_e32 v5, v14, v5
	v_sub_u32_e32 v13, 29, v13
	v_and_b32_e32 v5, 7, v5
	v_cmp_eq_u32_e32 vcc, 0, v12
	v_cndmask_b32_e32 v12, v12, v13, vcc
	v_cndmask_b32_e32 v5, v8, v5, vcc
	v_mov_b32_e32 v8, 0x3b800000
	v_lshlrev_b32_e32 v5, 20, v5
	v_and_b32_e32 v3, 0x80000000, v3
	v_lshl_add_u32 v8, v12, 23, v8
	v_or3_b32 v3, v3, v8, v5
.LBB111_2417:
	s_or_b64 exec, exec, s[24:25]
.LBB111_2418:
	s_mov_b64 s[22:23], -1
.LBB111_2419:
	s_mov_b64 s[24:25], 0
.LBB111_2420:
	s_and_b64 vcc, exec, s[24:25]
	s_cbranch_vccz .LBB111_2453
; %bb.2421:
	s_cmp_gt_i32 s31, 22
	s_cbranch_scc0 .LBB111_2431
; %bb.2422:
	s_cmp_lt_i32 s31, 24
	s_cbranch_scc1 .LBB111_2434
; %bb.2423:
	s_cmp_gt_i32 s31, 24
	s_cbranch_scc0 .LBB111_2435
; %bb.2424:
	global_load_ubyte v5, v[10:11], off
	s_movk_i32 s20, 0x7f
	s_waitcnt vmcnt(0)
	v_cmp_lt_i16_e32 vcc, s20, v5
	s_mov_b64 s[20:21], 0
	s_and_saveexec_b64 s[22:23], vcc
	s_xor_b64 s[22:23], exec, s[22:23]
	s_cbranch_execz .LBB111_2447
; %bb.2425:
	s_movk_i32 s20, 0x80
	v_cmp_eq_u16_e32 vcc, s20, v5
	s_mov_b64 s[20:21], -1
	s_and_saveexec_b64 s[24:25], vcc
; %bb.2426:
	s_xor_b64 s[20:21], exec, -1
; %bb.2427:
	s_or_b64 exec, exec, s[24:25]
	s_and_b64 s[20:21], s[20:21], exec
	s_or_saveexec_b64 s[22:23], s[22:23]
	v_mov_b32_e32 v3, 0x7f800001
	s_xor_b64 exec, exec, s[22:23]
	s_cbranch_execnz .LBB111_2448
.LBB111_2428:
	s_or_b64 exec, exec, s[22:23]
	s_and_saveexec_b64 s[22:23], s[20:21]
	s_cbranch_execz .LBB111_2430
.LBB111_2429:
	v_lshlrev_b32_e32 v3, 24, v5
	v_and_b32_e32 v5, 0xffff, v5
	v_and_b32_e32 v8, 3, v5
	v_ffbh_u32_e32 v13, v8
	v_min_u32_e32 v13, 32, v13
	v_subrev_u32_e32 v14, 29, v13
	v_bfe_u32 v12, v5, 2, 5
	v_lshlrev_b32_e32 v5, v14, v5
	v_sub_u32_e32 v13, 30, v13
	v_and_b32_e32 v5, 3, v5
	v_cmp_eq_u32_e32 vcc, 0, v12
	v_cndmask_b32_e32 v12, v12, v13, vcc
	v_cndmask_b32_e32 v5, v8, v5, vcc
	v_mov_b32_e32 v8, 0x37800000
	v_lshlrev_b32_e32 v5, 21, v5
	v_and_b32_e32 v3, 0x80000000, v3
	v_lshl_add_u32 v8, v12, 23, v8
	v_or3_b32 v3, v3, v8, v5
.LBB111_2430:
	s_or_b64 exec, exec, s[22:23]
	s_mov_b64 s[20:21], 0
	s_branch .LBB111_2436
.LBB111_2431:
	s_mov_b64 s[20:21], -1
                                        ; implicit-def: $vgpr3
	s_branch .LBB111_2442
.LBB111_2432:
	s_or_saveexec_b64 s[24:25], s[24:25]
	v_mov_b32_e32 v3, 0x7f800001
	s_xor_b64 exec, exec, s[24:25]
	s_cbranch_execz .LBB111_2415
.LBB111_2433:
	v_cmp_ne_u16_e32 vcc, 0, v5
	s_andn2_b64 s[22:23], s[22:23], exec
	s_and_b64 s[26:27], vcc, exec
	v_mov_b32_e32 v3, 0
	s_or_b64 s[22:23], s[22:23], s[26:27]
	s_or_b64 exec, exec, s[24:25]
	s_and_saveexec_b64 s[24:25], s[22:23]
	s_cbranch_execnz .LBB111_2416
	s_branch .LBB111_2417
.LBB111_2434:
	s_mov_b64 s[20:21], -1
                                        ; implicit-def: $vgpr3
	s_branch .LBB111_2439
.LBB111_2435:
	s_mov_b64 s[20:21], -1
                                        ; implicit-def: $vgpr3
.LBB111_2436:
	s_and_b64 vcc, exec, s[20:21]
	s_cbranch_vccz .LBB111_2438
; %bb.2437:
	global_load_ubyte v3, v[10:11], off
	s_mov_b32 s20, 0x7f800000
	s_waitcnt vmcnt(0)
	v_lshlrev_b32_e32 v3, 24, v3
	v_and_b32_e32 v5, 0x7f000000, v3
	v_ffbh_u32_e32 v8, v5
	v_min_u32_e32 v8, 32, v8
	v_sub_u32_e64 v8, v8, 4 clamp
	v_lshlrev_b32_e32 v13, v8, v5
	v_lshlrev_b32_e32 v8, 23, v8
	v_lshrrev_b32_e32 v13, 4, v13
	v_add_u32_e32 v12, 0x1000000, v5
	v_sub_u32_e32 v8, v13, v8
	v_ashrrev_i32_e32 v12, 8, v12
	v_add_u32_e32 v8, 0x3c000000, v8
	v_and_or_b32 v8, v12, s20, v8
	v_cmp_ne_u32_e32 vcc, 0, v5
	v_cndmask_b32_e32 v5, 0, v8, vcc
	s_brev_b32 s20, 1
	v_and_or_b32 v3, v3, s20, v5
.LBB111_2438:
	s_mov_b64 s[20:21], 0
.LBB111_2439:
	s_andn2_b64 vcc, exec, s[20:21]
	s_cbranch_vccnz .LBB111_2441
; %bb.2440:
	global_load_ubyte v3, v[10:11], off
	s_movk_i32 s20, 0x7f00
	s_brev_b32 s21, 16
	s_waitcnt vmcnt(0)
	v_lshlrev_b16_e32 v5, 8, v3
	v_lshlrev_b32_e32 v3, 25, v3
	v_lshrrev_b32_e32 v8, 4, v3
	v_and_or_b32 v12, v5, s20, 0.5
	v_or_b32_e32 v8, 0x70000000, v8
	v_add_f32_e32 v12, -0.5, v12
	v_mul_f32_e32 v8, 0x7800000, v8
	v_cmp_gt_u32_e32 vcc, s21, v3
	v_bfe_i32 v5, v5, 0, 16
	v_cndmask_b32_e32 v3, v8, v12, vcc
	s_brev_b32 s20, 1
	v_and_or_b32 v3, v5, s20, v3
.LBB111_2441:
	s_mov_b64 s[20:21], 0
	s_mov_b64 s[22:23], -1
.LBB111_2442:
	s_andn2_b64 vcc, exec, s[20:21]
	s_mov_b64 s[20:21], 0
	s_cbranch_vccnz .LBB111_2453
; %bb.2443:
	s_cmp_gt_i32 s31, 14
	s_cbranch_scc0 .LBB111_2446
; %bb.2444:
	s_cmp_eq_u32 s31, 15
	s_cbranch_scc0 .LBB111_2449
; %bb.2445:
	global_load_ushort v3, v[10:11], off
	s_mov_b64 s[18:19], 0
	s_mov_b64 s[22:23], -1
	s_waitcnt vmcnt(0)
	v_lshlrev_b32_e32 v3, 16, v3
	s_branch .LBB111_2450
.LBB111_2446:
	s_mov_b64 s[24:25], -1
                                        ; implicit-def: $vgpr3
	s_branch .LBB111_2451
.LBB111_2447:
	s_or_saveexec_b64 s[22:23], s[22:23]
	v_mov_b32_e32 v3, 0x7f800001
	s_xor_b64 exec, exec, s[22:23]
	s_cbranch_execz .LBB111_2428
.LBB111_2448:
	v_cmp_ne_u16_e32 vcc, 0, v5
	s_andn2_b64 s[20:21], s[20:21], exec
	s_and_b64 s[24:25], vcc, exec
	v_mov_b32_e32 v3, 0
	s_or_b64 s[20:21], s[20:21], s[24:25]
	s_or_b64 exec, exec, s[22:23]
	s_and_saveexec_b64 s[22:23], s[20:21]
	s_cbranch_execnz .LBB111_2429
	s_branch .LBB111_2430
.LBB111_2449:
	s_mov_b64 s[18:19], -1
                                        ; implicit-def: $vgpr3
.LBB111_2450:
	s_mov_b64 s[24:25], 0
.LBB111_2451:
	s_and_b64 vcc, exec, s[24:25]
	s_cbranch_vccz .LBB111_2453
; %bb.2452:
	s_cmp_lg_u32 s31, 11
	s_mov_b64 s[20:21], -1
	s_cselect_b64 s[18:19], -1, 0
.LBB111_2453:
	s_and_b64 vcc, exec, s[18:19]
	s_cbranch_vccnz .LBB111_2535
; %bb.2454:
	s_andn2_b64 vcc, exec, s[20:21]
	s_cbranch_vccnz .LBB111_2456
.LBB111_2455:
	global_load_ubyte v3, v[10:11], off
	s_mov_b64 s[22:23], -1
	s_waitcnt vmcnt(0)
	v_cmp_ne_u16_e32 vcc, 0, v3
	v_cndmask_b32_e64 v3, 0, 1.0, vcc
.LBB111_2456:
	s_mov_b64 s[18:19], 0
.LBB111_2457:
	s_and_b64 vcc, exec, s[18:19]
	s_cbranch_vccz .LBB111_2506
; %bb.2458:
	s_and_b32 s20, 0xffff, s30
	s_cmp_lt_i32 s20, 5
	s_cbranch_scc1 .LBB111_2463
; %bb.2459:
	s_cmp_lt_i32 s20, 8
	s_cbranch_scc1 .LBB111_2464
; %bb.2460:
	;; [unrolled: 3-line block ×3, first 2 shown]
	s_cmp_gt_i32 s20, 9
	s_cbranch_scc0 .LBB111_2466
; %bb.2462:
	global_load_dwordx2 v[12:13], v[10:11], off
	s_mov_b64 s[18:19], 0
	s_waitcnt vmcnt(0)
	v_cvt_f32_f64_e32 v3, v[12:13]
	s_branch .LBB111_2467
.LBB111_2463:
	s_mov_b64 s[18:19], -1
                                        ; implicit-def: $vgpr3
	s_branch .LBB111_2485
.LBB111_2464:
	s_mov_b64 s[18:19], -1
                                        ; implicit-def: $vgpr3
	s_branch .LBB111_2473
.LBB111_2465:
	s_mov_b64 s[18:19], -1
                                        ; implicit-def: $vgpr3
	s_branch .LBB111_2470
.LBB111_2466:
	s_mov_b64 s[18:19], -1
                                        ; implicit-def: $vgpr3
.LBB111_2467:
	s_andn2_b64 vcc, exec, s[18:19]
	s_cbranch_vccnz .LBB111_2469
; %bb.2468:
	global_load_dword v3, v[10:11], off
.LBB111_2469:
	s_mov_b64 s[18:19], 0
.LBB111_2470:
	s_andn2_b64 vcc, exec, s[18:19]
	s_cbranch_vccnz .LBB111_2472
; %bb.2471:
	global_load_dword v3, v[10:11], off
	s_waitcnt vmcnt(0)
	v_cvt_f32_f16_e32 v3, v3
.LBB111_2472:
	s_mov_b64 s[18:19], 0
.LBB111_2473:
	s_andn2_b64 vcc, exec, s[18:19]
	s_cbranch_vccnz .LBB111_2484
; %bb.2474:
	s_cmp_lt_i32 s20, 6
	s_cbranch_scc1 .LBB111_2477
; %bb.2475:
	s_cmp_gt_i32 s20, 6
	s_cbranch_scc0 .LBB111_2478
; %bb.2476:
	global_load_dwordx2 v[12:13], v[10:11], off
	s_mov_b64 s[18:19], 0
	s_waitcnt vmcnt(0)
	v_cvt_f32_f64_e32 v3, v[12:13]
	s_branch .LBB111_2479
.LBB111_2477:
	s_mov_b64 s[18:19], -1
                                        ; implicit-def: $vgpr3
	s_branch .LBB111_2482
.LBB111_2478:
	s_mov_b64 s[18:19], -1
                                        ; implicit-def: $vgpr3
.LBB111_2479:
	s_andn2_b64 vcc, exec, s[18:19]
	s_cbranch_vccnz .LBB111_2481
; %bb.2480:
	global_load_dword v3, v[10:11], off
.LBB111_2481:
	s_mov_b64 s[18:19], 0
.LBB111_2482:
	s_andn2_b64 vcc, exec, s[18:19]
	s_cbranch_vccnz .LBB111_2484
; %bb.2483:
	global_load_ushort v3, v[10:11], off
	s_waitcnt vmcnt(0)
	v_cvt_f32_f16_e32 v3, v3
.LBB111_2484:
	s_mov_b64 s[18:19], 0
.LBB111_2485:
	s_andn2_b64 vcc, exec, s[18:19]
	s_cbranch_vccnz .LBB111_2505
; %bb.2486:
	s_cmp_lt_i32 s20, 2
	s_cbranch_scc1 .LBB111_2490
; %bb.2487:
	s_cmp_lt_i32 s20, 3
	s_cbranch_scc1 .LBB111_2491
; %bb.2488:
	s_cmp_gt_i32 s20, 3
	s_cbranch_scc0 .LBB111_2492
; %bb.2489:
	global_load_dwordx2 v[12:13], v[10:11], off
	s_mov_b64 s[18:19], 0
	s_waitcnt vmcnt(0)
	v_xor_b32_e32 v5, v12, v13
	v_ffbh_i32_e32 v3, v13
	v_ashrrev_i32_e32 v5, 31, v5
	v_add_u32_e32 v3, -1, v3
	v_add_u32_e32 v5, 32, v5
	v_min_u32_e32 v3, v3, v5
	v_lshlrev_b64 v[12:13], v3, v[12:13]
	v_sub_u32_e32 v3, 32, v3
	v_min_u32_e32 v5, 1, v12
	v_or_b32_e32 v5, v13, v5
	v_cvt_f32_i32_e32 v5, v5
	v_ldexp_f32 v3, v5, v3
	s_branch .LBB111_2493
.LBB111_2490:
	s_mov_b64 s[18:19], -1
                                        ; implicit-def: $vgpr3
	s_branch .LBB111_2499
.LBB111_2491:
	s_mov_b64 s[18:19], -1
                                        ; implicit-def: $vgpr3
	s_branch .LBB111_2496
.LBB111_2492:
	s_mov_b64 s[18:19], -1
                                        ; implicit-def: $vgpr3
.LBB111_2493:
	s_andn2_b64 vcc, exec, s[18:19]
	s_cbranch_vccnz .LBB111_2495
; %bb.2494:
	global_load_dword v3, v[10:11], off
	s_waitcnt vmcnt(0)
	v_cvt_f32_i32_e32 v3, v3
.LBB111_2495:
	s_mov_b64 s[18:19], 0
.LBB111_2496:
	s_andn2_b64 vcc, exec, s[18:19]
	s_cbranch_vccnz .LBB111_2498
; %bb.2497:
	global_load_sshort v3, v[10:11], off
	s_waitcnt vmcnt(0)
	v_cvt_f32_i32_e32 v3, v3
.LBB111_2498:
	s_mov_b64 s[18:19], 0
.LBB111_2499:
	s_andn2_b64 vcc, exec, s[18:19]
	s_cbranch_vccnz .LBB111_2505
; %bb.2500:
	s_cmp_gt_i32 s20, 0
	s_cbranch_scc0 .LBB111_2502
; %bb.2501:
	global_load_sbyte v3, v[10:11], off
	s_mov_b64 s[18:19], 0
	s_waitcnt vmcnt(0)
	v_cvt_f32_i32_e32 v3, v3
	s_branch .LBB111_2503
.LBB111_2502:
	s_mov_b64 s[18:19], -1
                                        ; implicit-def: $vgpr3
.LBB111_2503:
	s_andn2_b64 vcc, exec, s[18:19]
	s_cbranch_vccnz .LBB111_2505
; %bb.2504:
	global_load_ubyte v3, v[10:11], off
	s_waitcnt vmcnt(0)
	v_cvt_f32_ubyte0_e32 v3, v3
.LBB111_2505:
	s_mov_b64 s[22:23], -1
.LBB111_2506:
	s_andn2_b64 vcc, exec, s[22:23]
	s_cbranch_vccnz .LBB111_2788
; %bb.2507:
	s_cmp_lt_i32 s28, 1
	s_mov_b64 s[20:21], 0
	s_cbranch_scc1 .LBB111_2511
; %bb.2508:
	s_cmp_gt_i32 s28, 1
	s_cbranch_scc0 .LBB111_2512
; %bb.2509:
	s_cmp_eq_u32 s28, 2
	s_cbranch_scc0 .LBB111_2513
; %bb.2510:
	s_waitcnt vmcnt(0)
	v_cmp_le_f32_e64 s[18:19], v1, v3
	s_mov_b64 s[22:23], 0
	s_branch .LBB111_2514
.LBB111_2511:
	s_mov_b64 s[24:25], -1
                                        ; implicit-def: $sgpr18_sgpr19
	s_mov_b64 s[22:23], 0
	s_branch .LBB111_2518
.LBB111_2512:
	s_mov_b64 s[24:25], -1
	s_mov_b64 s[22:23], 0
                                        ; implicit-def: $sgpr18_sgpr19
	s_branch .LBB111_2515
.LBB111_2513:
	s_mov_b64 s[22:23], -1
                                        ; implicit-def: $sgpr18_sgpr19
.LBB111_2514:
	s_mov_b64 s[24:25], 0
.LBB111_2515:
	s_and_b64 vcc, exec, s[24:25]
	s_cbranch_vccz .LBB111_2517
; %bb.2516:
	s_waitcnt vmcnt(0)
	v_cmp_gt_f32_e32 vcc, v1, v3
	s_andn2_b64 s[18:19], s[18:19], exec
	s_and_b64 s[24:25], vcc, exec
	s_or_b64 s[18:19], s[18:19], s[24:25]
.LBB111_2517:
	s_mov_b64 s[24:25], 0
.LBB111_2518:
	s_and_b64 vcc, exec, s[24:25]
	s_cbranch_vccz .LBB111_2529
; %bb.2519:
	s_cmp_lg_u32 s28, 0
	s_mov_b64 s[20:21], -1
	s_cselect_b64 s[22:23], -1, 0
	s_andn2_b64 vcc, exec, s[22:23]
	s_cbranch_vccz .LBB111_2530
.LBB111_2520:
	s_andn2_b64 vcc, exec, s[20:21]
	s_cbranch_vccnz .LBB111_2522
.LBB111_2521:
	s_waitcnt vmcnt(0)
	v_cmp_ge_f32_e32 vcc, v1, v3
	s_andn2_b64 s[18:19], s[18:19], exec
	s_and_b64 s[20:21], vcc, exec
	s_or_b64 s[18:19], s[18:19], s[20:21]
.LBB111_2522:
	v_mov_b32_e32 v1, s11
	v_add_co_u32_e32 v8, vcc, s10, v9
	s_cmp_lt_i32 s29, 11
	v_addc_co_u32_e32 v9, vcc, 0, v1, vcc
	s_cbranch_scc1 .LBB111_2531
; %bb.2523:
	s_and_b32 s31, 0xffff, s29
	s_cmp_gt_i32 s31, 25
	s_mov_b64 s[20:21], 0
	s_cbranch_scc0 .LBB111_2532
; %bb.2524:
	s_cmp_gt_i32 s31, 28
	s_cbranch_scc0 .LBB111_2533
; %bb.2525:
	s_cmp_gt_i32 s31, 43
	;; [unrolled: 3-line block ×3, first 2 shown]
	s_cbranch_scc0 .LBB111_2536
; %bb.2527:
	s_cmp_eq_u32 s31, 46
	s_mov_b64 s[24:25], 0
	s_cbranch_scc0 .LBB111_2537
; %bb.2528:
	global_load_dword v1, v[8:9], off
	s_mov_b64 s[10:11], 0
	s_mov_b64 s[22:23], -1
	s_waitcnt vmcnt(0)
	v_lshlrev_b32_e32 v1, 16, v1
	s_branch .LBB111_2538
.LBB111_2529:
	s_andn2_b64 vcc, exec, s[22:23]
	s_cbranch_vccnz .LBB111_2520
.LBB111_2530:
	s_waitcnt vmcnt(0)
	v_cmp_lt_f32_e32 vcc, v1, v3
	s_andn2_b64 s[18:19], s[18:19], exec
	s_and_b64 s[22:23], vcc, exec
	s_or_b64 s[18:19], s[18:19], s[22:23]
	s_cbranch_execz .LBB111_2521
	s_branch .LBB111_2522
.LBB111_2531:
	s_mov_b64 s[10:11], -1
	s_mov_b64 s[22:23], 0
                                        ; implicit-def: $vgpr1
	s_branch .LBB111_2604
.LBB111_2532:
	s_mov_b64 s[24:25], -1
	s_mov_b64 s[22:23], 0
	s_mov_b64 s[10:11], 0
                                        ; implicit-def: $vgpr1
	s_branch .LBB111_2567
.LBB111_2533:
	s_mov_b64 s[24:25], -1
	s_mov_b64 s[22:23], 0
	s_mov_b64 s[10:11], 0
                                        ; implicit-def: $vgpr1
	s_branch .LBB111_2548
.LBB111_2534:
	s_mov_b64 s[24:25], -1
	s_mov_b64 s[22:23], 0
	s_mov_b64 s[10:11], 0
                                        ; implicit-def: $vgpr1
	s_branch .LBB111_2543
.LBB111_2535:
	s_trap 2
	s_or_b64 s[4:5], s[4:5], exec
	s_cbranch_execz .LBB111_2455
	s_branch .LBB111_2456
.LBB111_2536:
	s_mov_b64 s[24:25], -1
	s_mov_b64 s[22:23], 0
	s_mov_b64 s[10:11], 0
                                        ; implicit-def: $vgpr1
	s_branch .LBB111_2538
.LBB111_2537:
	s_mov_b64 s[10:11], -1
                                        ; implicit-def: $vgpr1
	s_mov_b64 s[22:23], 0
.LBB111_2538:
	s_and_b64 vcc, exec, s[24:25]
	s_cbranch_vccz .LBB111_2542
; %bb.2539:
	s_cmp_eq_u32 s31, 44
	s_cbranch_scc0 .LBB111_2541
; %bb.2540:
	global_load_ubyte v1, v[8:9], off
	s_movk_i32 s22, 0xff
	s_waitcnt vmcnt(1)
	v_mov_b32_e32 v3, 0x7f800001
	v_mov_b32_e32 v5, 0x400000
	s_mov_b64 s[10:11], 0
	s_waitcnt vmcnt(0)
	v_lshlrev_b32_e32 v10, 23, v1
	v_cmp_ne_u32_e32 vcc, s22, v1
	v_cndmask_b32_e32 v3, v3, v10, vcc
	v_cmp_ne_u32_e32 vcc, 0, v1
	v_cndmask_b32_e32 v1, v5, v3, vcc
	s_mov_b64 s[22:23], -1
	s_branch .LBB111_2542
.LBB111_2541:
	s_mov_b64 s[10:11], -1
                                        ; implicit-def: $vgpr1
.LBB111_2542:
	s_mov_b64 s[24:25], 0
.LBB111_2543:
	s_and_b64 vcc, exec, s[24:25]
	s_cbranch_vccz .LBB111_2547
; %bb.2544:
	s_cmp_eq_u32 s31, 29
	s_cbranch_scc0 .LBB111_2546
; %bb.2545:
	global_load_dwordx2 v[10:11], v[8:9], off
	s_mov_b64 s[10:11], 0
	s_mov_b64 s[22:23], -1
	s_mov_b64 s[24:25], 0
	s_waitcnt vmcnt(0)
	v_ffbh_u32_e32 v1, v11
	v_min_u32_e32 v1, 32, v1
	v_lshlrev_b64 v[10:11], v1, v[10:11]
	v_sub_u32_e32 v1, 32, v1
	v_min_u32_e32 v3, 1, v10
	v_or_b32_e32 v3, v11, v3
	v_cvt_f32_u32_e32 v3, v3
	v_ldexp_f32 v1, v3, v1
	s_branch .LBB111_2548
.LBB111_2546:
	s_mov_b64 s[10:11], -1
                                        ; implicit-def: $vgpr1
.LBB111_2547:
	s_mov_b64 s[24:25], 0
.LBB111_2548:
	s_and_b64 vcc, exec, s[24:25]
	s_cbranch_vccz .LBB111_2566
; %bb.2549:
	s_cmp_lt_i32 s31, 27
	s_cbranch_scc1 .LBB111_2552
; %bb.2550:
	s_cmp_gt_i32 s31, 27
	s_cbranch_scc0 .LBB111_2553
; %bb.2551:
	global_load_dword v1, v[8:9], off
	s_mov_b64 s[22:23], 0
	s_waitcnt vmcnt(0)
	v_cvt_f32_u32_e32 v1, v1
	s_branch .LBB111_2554
.LBB111_2552:
	s_mov_b64 s[22:23], -1
                                        ; implicit-def: $vgpr1
	s_branch .LBB111_2557
.LBB111_2553:
	s_mov_b64 s[22:23], -1
                                        ; implicit-def: $vgpr1
.LBB111_2554:
	s_andn2_b64 vcc, exec, s[22:23]
	s_cbranch_vccnz .LBB111_2556
; %bb.2555:
	global_load_ushort v1, v[8:9], off
	s_waitcnt vmcnt(0)
	v_cvt_f32_u32_e32 v1, v1
.LBB111_2556:
	s_mov_b64 s[22:23], 0
.LBB111_2557:
	s_andn2_b64 vcc, exec, s[22:23]
	s_cbranch_vccnz .LBB111_2565
; %bb.2558:
	global_load_ubyte v3, v[8:9], off
	s_movk_i32 s22, 0x7f
	s_waitcnt vmcnt(0)
	v_cmp_lt_i16_e32 vcc, s22, v3
	s_mov_b64 s[22:23], 0
	s_and_saveexec_b64 s[24:25], vcc
	s_xor_b64 s[24:25], exec, s[24:25]
	s_cbranch_execz .LBB111_2579
; %bb.2559:
	s_movk_i32 s22, 0x80
	v_cmp_eq_u16_e32 vcc, s22, v3
	s_mov_b64 s[22:23], -1
	s_and_saveexec_b64 s[26:27], vcc
; %bb.2560:
	s_xor_b64 s[22:23], exec, -1
; %bb.2561:
	s_or_b64 exec, exec, s[26:27]
	s_and_b64 s[22:23], s[22:23], exec
	s_or_saveexec_b64 s[24:25], s[24:25]
	v_mov_b32_e32 v1, 0x7f800001
	s_xor_b64 exec, exec, s[24:25]
	s_cbranch_execnz .LBB111_2580
.LBB111_2562:
	s_or_b64 exec, exec, s[24:25]
	s_and_saveexec_b64 s[24:25], s[22:23]
	s_cbranch_execz .LBB111_2564
.LBB111_2563:
	v_lshlrev_b32_e32 v1, 24, v3
	v_and_b32_e32 v3, 0xffff, v3
	v_and_b32_e32 v5, 7, v3
	v_ffbh_u32_e32 v11, v5
	v_min_u32_e32 v11, 32, v11
	v_subrev_u32_e32 v12, 28, v11
	v_bfe_u32 v10, v3, 3, 4
	v_lshlrev_b32_e32 v3, v12, v3
	v_sub_u32_e32 v11, 29, v11
	v_and_b32_e32 v3, 7, v3
	v_cmp_eq_u32_e32 vcc, 0, v10
	v_cndmask_b32_e32 v10, v10, v11, vcc
	v_cndmask_b32_e32 v3, v5, v3, vcc
	v_mov_b32_e32 v5, 0x3b800000
	v_lshlrev_b32_e32 v3, 20, v3
	v_and_b32_e32 v1, 0x80000000, v1
	v_lshl_add_u32 v5, v10, 23, v5
	v_or3_b32 v1, v1, v5, v3
.LBB111_2564:
	s_or_b64 exec, exec, s[24:25]
.LBB111_2565:
	s_mov_b64 s[22:23], -1
.LBB111_2566:
	s_mov_b64 s[24:25], 0
.LBB111_2567:
	s_and_b64 vcc, exec, s[24:25]
	s_cbranch_vccz .LBB111_2600
; %bb.2568:
	s_cmp_gt_i32 s31, 22
	s_cbranch_scc0 .LBB111_2578
; %bb.2569:
	s_cmp_lt_i32 s31, 24
	s_cbranch_scc1 .LBB111_2581
; %bb.2570:
	s_cmp_gt_i32 s31, 24
	s_cbranch_scc0 .LBB111_2582
; %bb.2571:
	global_load_ubyte v3, v[8:9], off
	s_movk_i32 s20, 0x7f
	s_waitcnt vmcnt(0)
	v_cmp_lt_i16_e32 vcc, s20, v3
	s_mov_b64 s[20:21], 0
	s_and_saveexec_b64 s[22:23], vcc
	s_xor_b64 s[22:23], exec, s[22:23]
	s_cbranch_execz .LBB111_2594
; %bb.2572:
	s_movk_i32 s20, 0x80
	v_cmp_eq_u16_e32 vcc, s20, v3
	s_mov_b64 s[20:21], -1
	s_and_saveexec_b64 s[24:25], vcc
; %bb.2573:
	s_xor_b64 s[20:21], exec, -1
; %bb.2574:
	s_or_b64 exec, exec, s[24:25]
	s_and_b64 s[20:21], s[20:21], exec
	s_or_saveexec_b64 s[22:23], s[22:23]
	v_mov_b32_e32 v1, 0x7f800001
	s_xor_b64 exec, exec, s[22:23]
	s_cbranch_execnz .LBB111_2595
.LBB111_2575:
	s_or_b64 exec, exec, s[22:23]
	s_and_saveexec_b64 s[22:23], s[20:21]
	s_cbranch_execz .LBB111_2577
.LBB111_2576:
	v_lshlrev_b32_e32 v1, 24, v3
	v_and_b32_e32 v3, 0xffff, v3
	v_and_b32_e32 v5, 3, v3
	v_ffbh_u32_e32 v11, v5
	v_min_u32_e32 v11, 32, v11
	v_subrev_u32_e32 v12, 29, v11
	v_bfe_u32 v10, v3, 2, 5
	v_lshlrev_b32_e32 v3, v12, v3
	v_sub_u32_e32 v11, 30, v11
	v_and_b32_e32 v3, 3, v3
	v_cmp_eq_u32_e32 vcc, 0, v10
	v_cndmask_b32_e32 v10, v10, v11, vcc
	v_cndmask_b32_e32 v3, v5, v3, vcc
	v_mov_b32_e32 v5, 0x37800000
	v_lshlrev_b32_e32 v3, 21, v3
	v_and_b32_e32 v1, 0x80000000, v1
	v_lshl_add_u32 v5, v10, 23, v5
	v_or3_b32 v1, v1, v5, v3
.LBB111_2577:
	s_or_b64 exec, exec, s[22:23]
	s_mov_b64 s[20:21], 0
	s_branch .LBB111_2583
.LBB111_2578:
	s_mov_b64 s[20:21], -1
                                        ; implicit-def: $vgpr1
	s_branch .LBB111_2589
.LBB111_2579:
	s_or_saveexec_b64 s[24:25], s[24:25]
	v_mov_b32_e32 v1, 0x7f800001
	s_xor_b64 exec, exec, s[24:25]
	s_cbranch_execz .LBB111_2562
.LBB111_2580:
	v_cmp_ne_u16_e32 vcc, 0, v3
	s_andn2_b64 s[22:23], s[22:23], exec
	s_and_b64 s[26:27], vcc, exec
	v_mov_b32_e32 v1, 0
	s_or_b64 s[22:23], s[22:23], s[26:27]
	s_or_b64 exec, exec, s[24:25]
	s_and_saveexec_b64 s[24:25], s[22:23]
	s_cbranch_execnz .LBB111_2563
	s_branch .LBB111_2564
.LBB111_2581:
	s_mov_b64 s[20:21], -1
                                        ; implicit-def: $vgpr1
	s_branch .LBB111_2586
.LBB111_2582:
	s_mov_b64 s[20:21], -1
                                        ; implicit-def: $vgpr1
.LBB111_2583:
	s_and_b64 vcc, exec, s[20:21]
	s_cbranch_vccz .LBB111_2585
; %bb.2584:
	global_load_ubyte v1, v[8:9], off
	s_mov_b32 s20, 0x7f800000
	s_waitcnt vmcnt(0)
	v_lshlrev_b32_e32 v1, 24, v1
	v_and_b32_e32 v3, 0x7f000000, v1
	v_ffbh_u32_e32 v5, v3
	v_min_u32_e32 v5, 32, v5
	v_sub_u32_e64 v5, v5, 4 clamp
	v_lshlrev_b32_e32 v11, v5, v3
	v_lshlrev_b32_e32 v5, 23, v5
	v_lshrrev_b32_e32 v11, 4, v11
	v_add_u32_e32 v10, 0x1000000, v3
	v_sub_u32_e32 v5, v11, v5
	v_ashrrev_i32_e32 v10, 8, v10
	v_add_u32_e32 v5, 0x3c000000, v5
	v_and_or_b32 v5, v10, s20, v5
	v_cmp_ne_u32_e32 vcc, 0, v3
	v_cndmask_b32_e32 v3, 0, v5, vcc
	s_brev_b32 s20, 1
	v_and_or_b32 v1, v1, s20, v3
.LBB111_2585:
	s_mov_b64 s[20:21], 0
.LBB111_2586:
	s_andn2_b64 vcc, exec, s[20:21]
	s_cbranch_vccnz .LBB111_2588
; %bb.2587:
	global_load_ubyte v1, v[8:9], off
	s_movk_i32 s20, 0x7f00
	s_brev_b32 s21, 16
	s_waitcnt vmcnt(0)
	v_lshlrev_b16_e32 v3, 8, v1
	v_lshlrev_b32_e32 v1, 25, v1
	v_lshrrev_b32_e32 v5, 4, v1
	v_and_or_b32 v10, v3, s20, 0.5
	v_or_b32_e32 v5, 0x70000000, v5
	v_add_f32_e32 v10, -0.5, v10
	v_mul_f32_e32 v5, 0x7800000, v5
	v_cmp_gt_u32_e32 vcc, s21, v1
	v_bfe_i32 v3, v3, 0, 16
	v_cndmask_b32_e32 v1, v5, v10, vcc
	s_brev_b32 s20, 1
	v_and_or_b32 v1, v3, s20, v1
.LBB111_2588:
	s_mov_b64 s[20:21], 0
	s_mov_b64 s[22:23], -1
.LBB111_2589:
	s_andn2_b64 vcc, exec, s[20:21]
	s_mov_b64 s[20:21], 0
	s_cbranch_vccnz .LBB111_2600
; %bb.2590:
	s_cmp_gt_i32 s31, 14
	s_cbranch_scc0 .LBB111_2593
; %bb.2591:
	s_cmp_eq_u32 s31, 15
	s_cbranch_scc0 .LBB111_2596
; %bb.2592:
	global_load_ushort v1, v[8:9], off
	s_mov_b64 s[10:11], 0
	s_mov_b64 s[22:23], -1
	s_waitcnt vmcnt(0)
	v_lshlrev_b32_e32 v1, 16, v1
	s_branch .LBB111_2597
.LBB111_2593:
	s_mov_b64 s[24:25], -1
                                        ; implicit-def: $vgpr1
	s_branch .LBB111_2598
.LBB111_2594:
	s_or_saveexec_b64 s[22:23], s[22:23]
	v_mov_b32_e32 v1, 0x7f800001
	s_xor_b64 exec, exec, s[22:23]
	s_cbranch_execz .LBB111_2575
.LBB111_2595:
	v_cmp_ne_u16_e32 vcc, 0, v3
	s_andn2_b64 s[20:21], s[20:21], exec
	s_and_b64 s[24:25], vcc, exec
	v_mov_b32_e32 v1, 0
	s_or_b64 s[20:21], s[20:21], s[24:25]
	s_or_b64 exec, exec, s[22:23]
	s_and_saveexec_b64 s[22:23], s[20:21]
	s_cbranch_execnz .LBB111_2576
	s_branch .LBB111_2577
.LBB111_2596:
	s_mov_b64 s[10:11], -1
                                        ; implicit-def: $vgpr1
.LBB111_2597:
	s_mov_b64 s[24:25], 0
.LBB111_2598:
	s_and_b64 vcc, exec, s[24:25]
	s_cbranch_vccz .LBB111_2600
; %bb.2599:
	s_cmp_lg_u32 s31, 11
	s_mov_b64 s[20:21], -1
	s_cselect_b64 s[10:11], -1, 0
.LBB111_2600:
	s_and_b64 vcc, exec, s[10:11]
	s_cbranch_vccnz .LBB111_2665
; %bb.2601:
	s_andn2_b64 vcc, exec, s[20:21]
	s_cbranch_vccnz .LBB111_2603
.LBB111_2602:
	global_load_ubyte v1, v[8:9], off
	s_mov_b64 s[22:23], -1
	s_waitcnt vmcnt(0)
	v_cmp_ne_u16_e32 vcc, 0, v1
	v_cndmask_b32_e64 v1, 0, 1.0, vcc
.LBB111_2603:
	s_mov_b64 s[10:11], 0
.LBB111_2604:
	s_and_b64 vcc, exec, s[10:11]
	s_cbranch_vccz .LBB111_2653
; %bb.2605:
	s_and_b32 s20, 0xffff, s29
	s_cmp_lt_i32 s20, 5
	s_cbranch_scc1 .LBB111_2610
; %bb.2606:
	s_cmp_lt_i32 s20, 8
	s_cbranch_scc1 .LBB111_2611
; %bb.2607:
	;; [unrolled: 3-line block ×3, first 2 shown]
	s_cmp_gt_i32 s20, 9
	s_cbranch_scc0 .LBB111_2613
; %bb.2609:
	global_load_dwordx2 v[10:11], v[8:9], off
	s_mov_b64 s[10:11], 0
	s_waitcnt vmcnt(0)
	v_cvt_f32_f64_e32 v1, v[10:11]
	s_branch .LBB111_2614
.LBB111_2610:
	s_mov_b64 s[10:11], -1
                                        ; implicit-def: $vgpr1
	s_branch .LBB111_2632
.LBB111_2611:
	s_mov_b64 s[10:11], -1
                                        ; implicit-def: $vgpr1
	s_branch .LBB111_2620
.LBB111_2612:
	s_mov_b64 s[10:11], -1
                                        ; implicit-def: $vgpr1
	s_branch .LBB111_2617
.LBB111_2613:
	s_mov_b64 s[10:11], -1
                                        ; implicit-def: $vgpr1
.LBB111_2614:
	s_andn2_b64 vcc, exec, s[10:11]
	s_cbranch_vccnz .LBB111_2616
; %bb.2615:
	global_load_dword v1, v[8:9], off
.LBB111_2616:
	s_mov_b64 s[10:11], 0
.LBB111_2617:
	s_andn2_b64 vcc, exec, s[10:11]
	s_cbranch_vccnz .LBB111_2619
; %bb.2618:
	global_load_dword v1, v[8:9], off
	s_waitcnt vmcnt(0)
	v_cvt_f32_f16_e32 v1, v1
.LBB111_2619:
	s_mov_b64 s[10:11], 0
.LBB111_2620:
	s_andn2_b64 vcc, exec, s[10:11]
	s_cbranch_vccnz .LBB111_2631
; %bb.2621:
	s_cmp_lt_i32 s20, 6
	s_cbranch_scc1 .LBB111_2624
; %bb.2622:
	s_cmp_gt_i32 s20, 6
	s_cbranch_scc0 .LBB111_2625
; %bb.2623:
	global_load_dwordx2 v[10:11], v[8:9], off
	s_mov_b64 s[10:11], 0
	s_waitcnt vmcnt(0)
	v_cvt_f32_f64_e32 v1, v[10:11]
	s_branch .LBB111_2626
.LBB111_2624:
	s_mov_b64 s[10:11], -1
                                        ; implicit-def: $vgpr1
	s_branch .LBB111_2629
.LBB111_2625:
	s_mov_b64 s[10:11], -1
                                        ; implicit-def: $vgpr1
.LBB111_2626:
	s_andn2_b64 vcc, exec, s[10:11]
	s_cbranch_vccnz .LBB111_2628
; %bb.2627:
	global_load_dword v1, v[8:9], off
.LBB111_2628:
	s_mov_b64 s[10:11], 0
.LBB111_2629:
	s_andn2_b64 vcc, exec, s[10:11]
	s_cbranch_vccnz .LBB111_2631
; %bb.2630:
	global_load_ushort v1, v[8:9], off
	s_waitcnt vmcnt(0)
	v_cvt_f32_f16_e32 v1, v1
.LBB111_2631:
	s_mov_b64 s[10:11], 0
.LBB111_2632:
	s_andn2_b64 vcc, exec, s[10:11]
	s_cbranch_vccnz .LBB111_2652
; %bb.2633:
	s_cmp_lt_i32 s20, 2
	s_cbranch_scc1 .LBB111_2637
; %bb.2634:
	s_cmp_lt_i32 s20, 3
	s_cbranch_scc1 .LBB111_2638
; %bb.2635:
	s_cmp_gt_i32 s20, 3
	s_cbranch_scc0 .LBB111_2639
; %bb.2636:
	global_load_dwordx2 v[10:11], v[8:9], off
	s_mov_b64 s[10:11], 0
	s_waitcnt vmcnt(0)
	v_xor_b32_e32 v3, v10, v11
	v_ffbh_i32_e32 v1, v11
	v_ashrrev_i32_e32 v3, 31, v3
	v_add_u32_e32 v1, -1, v1
	v_add_u32_e32 v3, 32, v3
	v_min_u32_e32 v1, v1, v3
	v_lshlrev_b64 v[10:11], v1, v[10:11]
	v_sub_u32_e32 v1, 32, v1
	v_min_u32_e32 v3, 1, v10
	v_or_b32_e32 v3, v11, v3
	v_cvt_f32_i32_e32 v3, v3
	v_ldexp_f32 v1, v3, v1
	s_branch .LBB111_2640
.LBB111_2637:
	s_mov_b64 s[10:11], -1
                                        ; implicit-def: $vgpr1
	s_branch .LBB111_2646
.LBB111_2638:
	s_mov_b64 s[10:11], -1
                                        ; implicit-def: $vgpr1
	s_branch .LBB111_2643
.LBB111_2639:
	s_mov_b64 s[10:11], -1
                                        ; implicit-def: $vgpr1
.LBB111_2640:
	s_andn2_b64 vcc, exec, s[10:11]
	s_cbranch_vccnz .LBB111_2642
; %bb.2641:
	global_load_dword v1, v[8:9], off
	s_waitcnt vmcnt(0)
	v_cvt_f32_i32_e32 v1, v1
.LBB111_2642:
	s_mov_b64 s[10:11], 0
.LBB111_2643:
	s_andn2_b64 vcc, exec, s[10:11]
	s_cbranch_vccnz .LBB111_2645
; %bb.2644:
	global_load_sshort v1, v[8:9], off
	s_waitcnt vmcnt(0)
	v_cvt_f32_i32_e32 v1, v1
.LBB111_2645:
	s_mov_b64 s[10:11], 0
.LBB111_2646:
	s_andn2_b64 vcc, exec, s[10:11]
	s_cbranch_vccnz .LBB111_2652
; %bb.2647:
	s_cmp_gt_i32 s20, 0
	s_cbranch_scc0 .LBB111_2649
; %bb.2648:
	global_load_sbyte v1, v[8:9], off
	s_mov_b64 s[10:11], 0
	s_waitcnt vmcnt(0)
	v_cvt_f32_i32_e32 v1, v1
	s_branch .LBB111_2650
.LBB111_2649:
	s_mov_b64 s[10:11], -1
                                        ; implicit-def: $vgpr1
.LBB111_2650:
	s_andn2_b64 vcc, exec, s[10:11]
	s_cbranch_vccnz .LBB111_2652
; %bb.2651:
	global_load_ubyte v1, v[8:9], off
	s_waitcnt vmcnt(0)
	v_cvt_f32_ubyte0_e32 v1, v1
.LBB111_2652:
	s_mov_b64 s[22:23], -1
.LBB111_2653:
	s_andn2_b64 vcc, exec, s[22:23]
	s_cbranch_vccnz .LBB111_2788
; %bb.2654:
	s_waitcnt vmcnt(0)
	v_mov_b32_e32 v3, s1
	v_add_co_u32_e32 v7, vcc, s0, v7
	s_cmp_lt_i32 s30, 11
	v_addc_co_u32_e32 v8, vcc, 0, v3, vcc
	s_cbranch_scc1 .LBB111_2661
; %bb.2655:
	s_and_b32 s26, 0xffff, s30
	s_cmp_gt_i32 s26, 25
	s_mov_b64 s[10:11], 0
	s_cbranch_scc0 .LBB111_2662
; %bb.2656:
	s_cmp_gt_i32 s26, 28
	s_cbranch_scc0 .LBB111_2663
; %bb.2657:
	s_cmp_gt_i32 s26, 43
	;; [unrolled: 3-line block ×3, first 2 shown]
	s_cbranch_scc0 .LBB111_2666
; %bb.2659:
	s_cmp_eq_u32 s26, 46
	s_mov_b64 s[22:23], 0
	s_cbranch_scc0 .LBB111_2667
; %bb.2660:
	global_load_dword v3, v[7:8], off
	s_mov_b64 s[0:1], 0
	s_mov_b64 s[20:21], -1
	s_waitcnt vmcnt(0)
	v_lshlrev_b32_e32 v3, 16, v3
	s_branch .LBB111_2668
.LBB111_2661:
	s_mov_b64 s[0:1], -1
	s_mov_b64 s[20:21], 0
                                        ; implicit-def: $vgpr3
	s_branch .LBB111_2734
.LBB111_2662:
	s_mov_b64 s[22:23], -1
	s_mov_b64 s[20:21], 0
	s_mov_b64 s[0:1], 0
                                        ; implicit-def: $vgpr3
	s_branch .LBB111_2697
.LBB111_2663:
	s_mov_b64 s[22:23], -1
	s_mov_b64 s[20:21], 0
	s_mov_b64 s[0:1], 0
                                        ; implicit-def: $vgpr3
	s_branch .LBB111_2678
.LBB111_2664:
	s_mov_b64 s[22:23], -1
	s_mov_b64 s[20:21], 0
	s_mov_b64 s[0:1], 0
                                        ; implicit-def: $vgpr3
	s_branch .LBB111_2673
.LBB111_2665:
	s_trap 2
	s_or_b64 s[4:5], s[4:5], exec
	s_cbranch_execz .LBB111_2602
	s_branch .LBB111_2603
.LBB111_2666:
	s_mov_b64 s[22:23], -1
	s_mov_b64 s[20:21], 0
	s_mov_b64 s[0:1], 0
                                        ; implicit-def: $vgpr3
	s_branch .LBB111_2668
.LBB111_2667:
	s_mov_b64 s[0:1], -1
                                        ; implicit-def: $vgpr3
	s_mov_b64 s[20:21], 0
.LBB111_2668:
	s_and_b64 vcc, exec, s[22:23]
	s_cbranch_vccz .LBB111_2672
; %bb.2669:
	s_cmp_eq_u32 s26, 44
	s_cbranch_scc0 .LBB111_2671
; %bb.2670:
	global_load_ubyte v3, v[7:8], off
	s_movk_i32 s20, 0xff
	v_mov_b32_e32 v5, 0x7f800001
	v_mov_b32_e32 v9, 0x400000
	s_mov_b64 s[0:1], 0
	s_waitcnt vmcnt(0)
	v_lshlrev_b32_e32 v10, 23, v3
	v_cmp_ne_u32_e32 vcc, s20, v3
	v_cndmask_b32_e32 v5, v5, v10, vcc
	v_cmp_ne_u32_e32 vcc, 0, v3
	v_cndmask_b32_e32 v3, v9, v5, vcc
	s_mov_b64 s[20:21], -1
	s_branch .LBB111_2672
.LBB111_2671:
	s_mov_b64 s[0:1], -1
                                        ; implicit-def: $vgpr3
.LBB111_2672:
	s_mov_b64 s[22:23], 0
.LBB111_2673:
	s_and_b64 vcc, exec, s[22:23]
	s_cbranch_vccz .LBB111_2677
; %bb.2674:
	s_cmp_eq_u32 s26, 29
	s_cbranch_scc0 .LBB111_2676
; %bb.2675:
	global_load_dwordx2 v[9:10], v[7:8], off
	s_mov_b64 s[0:1], 0
	s_mov_b64 s[20:21], -1
	s_mov_b64 s[22:23], 0
	s_waitcnt vmcnt(0)
	v_ffbh_u32_e32 v3, v10
	v_min_u32_e32 v3, 32, v3
	v_lshlrev_b64 v[9:10], v3, v[9:10]
	v_sub_u32_e32 v3, 32, v3
	v_min_u32_e32 v5, 1, v9
	v_or_b32_e32 v5, v10, v5
	v_cvt_f32_u32_e32 v5, v5
	v_ldexp_f32 v3, v5, v3
	s_branch .LBB111_2678
.LBB111_2676:
	s_mov_b64 s[0:1], -1
                                        ; implicit-def: $vgpr3
.LBB111_2677:
	s_mov_b64 s[22:23], 0
.LBB111_2678:
	s_and_b64 vcc, exec, s[22:23]
	s_cbranch_vccz .LBB111_2696
; %bb.2679:
	s_cmp_lt_i32 s26, 27
	s_cbranch_scc1 .LBB111_2682
; %bb.2680:
	s_cmp_gt_i32 s26, 27
	s_cbranch_scc0 .LBB111_2683
; %bb.2681:
	global_load_dword v3, v[7:8], off
	s_mov_b64 s[20:21], 0
	s_waitcnt vmcnt(0)
	v_cvt_f32_u32_e32 v3, v3
	s_branch .LBB111_2684
.LBB111_2682:
	s_mov_b64 s[20:21], -1
                                        ; implicit-def: $vgpr3
	s_branch .LBB111_2687
.LBB111_2683:
	s_mov_b64 s[20:21], -1
                                        ; implicit-def: $vgpr3
.LBB111_2684:
	s_andn2_b64 vcc, exec, s[20:21]
	s_cbranch_vccnz .LBB111_2686
; %bb.2685:
	global_load_ushort v3, v[7:8], off
	s_waitcnt vmcnt(0)
	v_cvt_f32_u32_e32 v3, v3
.LBB111_2686:
	s_mov_b64 s[20:21], 0
.LBB111_2687:
	s_andn2_b64 vcc, exec, s[20:21]
	s_cbranch_vccnz .LBB111_2695
; %bb.2688:
	global_load_ubyte v5, v[7:8], off
	s_movk_i32 s20, 0x7f
	s_waitcnt vmcnt(0)
	v_cmp_lt_i16_e32 vcc, s20, v5
	s_mov_b64 s[20:21], 0
	s_and_saveexec_b64 s[22:23], vcc
	s_xor_b64 s[22:23], exec, s[22:23]
	s_cbranch_execz .LBB111_2709
; %bb.2689:
	s_movk_i32 s20, 0x80
	v_cmp_eq_u16_e32 vcc, s20, v5
	s_mov_b64 s[20:21], -1
	s_and_saveexec_b64 s[24:25], vcc
; %bb.2690:
	s_xor_b64 s[20:21], exec, -1
; %bb.2691:
	s_or_b64 exec, exec, s[24:25]
	s_and_b64 s[20:21], s[20:21], exec
	s_or_saveexec_b64 s[22:23], s[22:23]
	v_mov_b32_e32 v3, 0x7f800001
	s_xor_b64 exec, exec, s[22:23]
	s_cbranch_execnz .LBB111_2710
.LBB111_2692:
	s_or_b64 exec, exec, s[22:23]
	s_and_saveexec_b64 s[22:23], s[20:21]
	s_cbranch_execz .LBB111_2694
.LBB111_2693:
	v_lshlrev_b32_e32 v3, 24, v5
	v_and_b32_e32 v5, 0xffff, v5
	v_and_b32_e32 v9, 7, v5
	v_ffbh_u32_e32 v11, v9
	v_min_u32_e32 v11, 32, v11
	v_subrev_u32_e32 v12, 28, v11
	v_bfe_u32 v10, v5, 3, 4
	v_lshlrev_b32_e32 v5, v12, v5
	v_sub_u32_e32 v11, 29, v11
	v_and_b32_e32 v5, 7, v5
	v_cmp_eq_u32_e32 vcc, 0, v10
	v_cndmask_b32_e32 v10, v10, v11, vcc
	v_cndmask_b32_e32 v5, v9, v5, vcc
	v_mov_b32_e32 v9, 0x3b800000
	v_lshlrev_b32_e32 v5, 20, v5
	v_and_b32_e32 v3, 0x80000000, v3
	v_lshl_add_u32 v9, v10, 23, v9
	v_or3_b32 v3, v3, v9, v5
.LBB111_2694:
	s_or_b64 exec, exec, s[22:23]
.LBB111_2695:
	s_mov_b64 s[20:21], -1
.LBB111_2696:
	s_mov_b64 s[22:23], 0
.LBB111_2697:
	s_and_b64 vcc, exec, s[22:23]
	s_cbranch_vccz .LBB111_2730
; %bb.2698:
	s_cmp_gt_i32 s26, 22
	s_cbranch_scc0 .LBB111_2708
; %bb.2699:
	s_cmp_lt_i32 s26, 24
	s_cbranch_scc1 .LBB111_2711
; %bb.2700:
	s_cmp_gt_i32 s26, 24
	s_cbranch_scc0 .LBB111_2712
; %bb.2701:
	global_load_ubyte v5, v[7:8], off
	s_movk_i32 s10, 0x7f
	s_waitcnt vmcnt(0)
	v_cmp_lt_i16_e32 vcc, s10, v5
	s_mov_b64 s[10:11], 0
	s_and_saveexec_b64 s[20:21], vcc
	s_xor_b64 s[20:21], exec, s[20:21]
	s_cbranch_execz .LBB111_2724
; %bb.2702:
	s_movk_i32 s10, 0x80
	v_cmp_eq_u16_e32 vcc, s10, v5
	s_mov_b64 s[10:11], -1
	s_and_saveexec_b64 s[22:23], vcc
; %bb.2703:
	s_xor_b64 s[10:11], exec, -1
; %bb.2704:
	s_or_b64 exec, exec, s[22:23]
	s_and_b64 s[10:11], s[10:11], exec
	s_or_saveexec_b64 s[20:21], s[20:21]
	v_mov_b32_e32 v3, 0x7f800001
	s_xor_b64 exec, exec, s[20:21]
	s_cbranch_execnz .LBB111_2725
.LBB111_2705:
	s_or_b64 exec, exec, s[20:21]
	s_and_saveexec_b64 s[20:21], s[10:11]
	s_cbranch_execz .LBB111_2707
.LBB111_2706:
	v_lshlrev_b32_e32 v3, 24, v5
	v_and_b32_e32 v5, 0xffff, v5
	v_and_b32_e32 v9, 3, v5
	v_ffbh_u32_e32 v11, v9
	v_min_u32_e32 v11, 32, v11
	v_subrev_u32_e32 v12, 29, v11
	v_bfe_u32 v10, v5, 2, 5
	v_lshlrev_b32_e32 v5, v12, v5
	v_sub_u32_e32 v11, 30, v11
	v_and_b32_e32 v5, 3, v5
	v_cmp_eq_u32_e32 vcc, 0, v10
	v_cndmask_b32_e32 v10, v10, v11, vcc
	v_cndmask_b32_e32 v5, v9, v5, vcc
	v_mov_b32_e32 v9, 0x37800000
	v_lshlrev_b32_e32 v5, 21, v5
	v_and_b32_e32 v3, 0x80000000, v3
	v_lshl_add_u32 v9, v10, 23, v9
	v_or3_b32 v3, v3, v9, v5
.LBB111_2707:
	s_or_b64 exec, exec, s[20:21]
	s_mov_b64 s[10:11], 0
	s_branch .LBB111_2713
.LBB111_2708:
	s_mov_b64 s[10:11], -1
                                        ; implicit-def: $vgpr3
	s_branch .LBB111_2719
.LBB111_2709:
	s_or_saveexec_b64 s[22:23], s[22:23]
	v_mov_b32_e32 v3, 0x7f800001
	s_xor_b64 exec, exec, s[22:23]
	s_cbranch_execz .LBB111_2692
.LBB111_2710:
	v_cmp_ne_u16_e32 vcc, 0, v5
	s_andn2_b64 s[20:21], s[20:21], exec
	s_and_b64 s[24:25], vcc, exec
	v_mov_b32_e32 v3, 0
	s_or_b64 s[20:21], s[20:21], s[24:25]
	s_or_b64 exec, exec, s[22:23]
	s_and_saveexec_b64 s[22:23], s[20:21]
	s_cbranch_execnz .LBB111_2693
	s_branch .LBB111_2694
.LBB111_2711:
	s_mov_b64 s[10:11], -1
                                        ; implicit-def: $vgpr3
	s_branch .LBB111_2716
.LBB111_2712:
	s_mov_b64 s[10:11], -1
                                        ; implicit-def: $vgpr3
.LBB111_2713:
	s_and_b64 vcc, exec, s[10:11]
	s_cbranch_vccz .LBB111_2715
; %bb.2714:
	global_load_ubyte v3, v[7:8], off
	s_mov_b32 s10, 0x7f800000
	s_waitcnt vmcnt(0)
	v_lshlrev_b32_e32 v3, 24, v3
	v_and_b32_e32 v5, 0x7f000000, v3
	v_ffbh_u32_e32 v9, v5
	v_min_u32_e32 v9, 32, v9
	v_sub_u32_e64 v9, v9, 4 clamp
	v_lshlrev_b32_e32 v11, v9, v5
	v_lshlrev_b32_e32 v9, 23, v9
	v_lshrrev_b32_e32 v11, 4, v11
	v_add_u32_e32 v10, 0x1000000, v5
	v_sub_u32_e32 v9, v11, v9
	v_ashrrev_i32_e32 v10, 8, v10
	v_add_u32_e32 v9, 0x3c000000, v9
	v_and_or_b32 v9, v10, s10, v9
	v_cmp_ne_u32_e32 vcc, 0, v5
	v_cndmask_b32_e32 v5, 0, v9, vcc
	s_brev_b32 s10, 1
	v_and_or_b32 v3, v3, s10, v5
.LBB111_2715:
	s_mov_b64 s[10:11], 0
.LBB111_2716:
	s_andn2_b64 vcc, exec, s[10:11]
	s_cbranch_vccnz .LBB111_2718
; %bb.2717:
	global_load_ubyte v3, v[7:8], off
	s_movk_i32 s10, 0x7f00
	s_brev_b32 s11, 16
	s_waitcnt vmcnt(0)
	v_lshlrev_b16_e32 v5, 8, v3
	v_lshlrev_b32_e32 v3, 25, v3
	v_lshrrev_b32_e32 v9, 4, v3
	v_and_or_b32 v10, v5, s10, 0.5
	v_or_b32_e32 v9, 0x70000000, v9
	v_add_f32_e32 v10, -0.5, v10
	v_mul_f32_e32 v9, 0x7800000, v9
	v_cmp_gt_u32_e32 vcc, s11, v3
	v_bfe_i32 v5, v5, 0, 16
	v_cndmask_b32_e32 v3, v9, v10, vcc
	s_brev_b32 s10, 1
	v_and_or_b32 v3, v5, s10, v3
.LBB111_2718:
	s_mov_b64 s[10:11], 0
	s_mov_b64 s[20:21], -1
.LBB111_2719:
	s_andn2_b64 vcc, exec, s[10:11]
	s_mov_b64 s[10:11], 0
	s_cbranch_vccnz .LBB111_2730
; %bb.2720:
	s_cmp_gt_i32 s26, 14
	s_cbranch_scc0 .LBB111_2723
; %bb.2721:
	s_cmp_eq_u32 s26, 15
	s_cbranch_scc0 .LBB111_2726
; %bb.2722:
	global_load_ushort v3, v[7:8], off
	s_mov_b64 s[0:1], 0
	s_mov_b64 s[20:21], -1
	s_waitcnt vmcnt(0)
	v_lshlrev_b32_e32 v3, 16, v3
	s_branch .LBB111_2727
.LBB111_2723:
	s_mov_b64 s[22:23], -1
                                        ; implicit-def: $vgpr3
	s_branch .LBB111_2728
.LBB111_2724:
	s_or_saveexec_b64 s[20:21], s[20:21]
	v_mov_b32_e32 v3, 0x7f800001
	s_xor_b64 exec, exec, s[20:21]
	s_cbranch_execz .LBB111_2705
.LBB111_2725:
	v_cmp_ne_u16_e32 vcc, 0, v5
	s_andn2_b64 s[10:11], s[10:11], exec
	s_and_b64 s[22:23], vcc, exec
	v_mov_b32_e32 v3, 0
	s_or_b64 s[10:11], s[10:11], s[22:23]
	s_or_b64 exec, exec, s[20:21]
	s_and_saveexec_b64 s[20:21], s[10:11]
	s_cbranch_execnz .LBB111_2706
	s_branch .LBB111_2707
.LBB111_2726:
	s_mov_b64 s[0:1], -1
                                        ; implicit-def: $vgpr3
.LBB111_2727:
	s_mov_b64 s[22:23], 0
.LBB111_2728:
	s_and_b64 vcc, exec, s[22:23]
	s_cbranch_vccz .LBB111_2730
; %bb.2729:
	s_cmp_lg_u32 s26, 11
	s_mov_b64 s[10:11], -1
	s_cselect_b64 s[0:1], -1, 0
.LBB111_2730:
	s_and_b64 vcc, exec, s[0:1]
	s_cbranch_vccnz .LBB111_3282
; %bb.2731:
	s_andn2_b64 vcc, exec, s[10:11]
	s_cbranch_vccnz .LBB111_2733
.LBB111_2732:
	global_load_ubyte v3, v[7:8], off
	s_mov_b64 s[20:21], -1
	s_waitcnt vmcnt(0)
	v_cmp_ne_u16_e32 vcc, 0, v3
	v_cndmask_b32_e64 v3, 0, 1.0, vcc
.LBB111_2733:
	s_mov_b64 s[0:1], 0
.LBB111_2734:
	s_and_b64 vcc, exec, s[0:1]
	s_cbranch_vccz .LBB111_2783
; %bb.2735:
	s_and_b32 s10, 0xffff, s30
	s_cmp_lt_i32 s10, 5
	s_cbranch_scc1 .LBB111_2740
; %bb.2736:
	s_cmp_lt_i32 s10, 8
	s_cbranch_scc1 .LBB111_2741
; %bb.2737:
	;; [unrolled: 3-line block ×3, first 2 shown]
	s_cmp_gt_i32 s10, 9
	s_cbranch_scc0 .LBB111_2743
; %bb.2739:
	global_load_dwordx2 v[9:10], v[7:8], off
	s_mov_b64 s[0:1], 0
	s_waitcnt vmcnt(0)
	v_cvt_f32_f64_e32 v3, v[9:10]
	s_branch .LBB111_2744
.LBB111_2740:
	s_mov_b64 s[0:1], -1
                                        ; implicit-def: $vgpr3
	s_branch .LBB111_2762
.LBB111_2741:
	s_mov_b64 s[0:1], -1
                                        ; implicit-def: $vgpr3
	s_branch .LBB111_2750
.LBB111_2742:
	s_mov_b64 s[0:1], -1
                                        ; implicit-def: $vgpr3
	s_branch .LBB111_2747
.LBB111_2743:
	s_mov_b64 s[0:1], -1
                                        ; implicit-def: $vgpr3
.LBB111_2744:
	s_andn2_b64 vcc, exec, s[0:1]
	s_cbranch_vccnz .LBB111_2746
; %bb.2745:
	global_load_dword v3, v[7:8], off
.LBB111_2746:
	s_mov_b64 s[0:1], 0
.LBB111_2747:
	s_andn2_b64 vcc, exec, s[0:1]
	s_cbranch_vccnz .LBB111_2749
; %bb.2748:
	global_load_dword v3, v[7:8], off
	s_waitcnt vmcnt(0)
	v_cvt_f32_f16_e32 v3, v3
.LBB111_2749:
	s_mov_b64 s[0:1], 0
.LBB111_2750:
	s_andn2_b64 vcc, exec, s[0:1]
	s_cbranch_vccnz .LBB111_2761
; %bb.2751:
	s_cmp_lt_i32 s10, 6
	s_cbranch_scc1 .LBB111_2754
; %bb.2752:
	s_cmp_gt_i32 s10, 6
	s_cbranch_scc0 .LBB111_2755
; %bb.2753:
	global_load_dwordx2 v[9:10], v[7:8], off
	s_mov_b64 s[0:1], 0
	s_waitcnt vmcnt(0)
	v_cvt_f32_f64_e32 v3, v[9:10]
	s_branch .LBB111_2756
.LBB111_2754:
	s_mov_b64 s[0:1], -1
                                        ; implicit-def: $vgpr3
	s_branch .LBB111_2759
.LBB111_2755:
	s_mov_b64 s[0:1], -1
                                        ; implicit-def: $vgpr3
.LBB111_2756:
	s_andn2_b64 vcc, exec, s[0:1]
	s_cbranch_vccnz .LBB111_2758
; %bb.2757:
	global_load_dword v3, v[7:8], off
.LBB111_2758:
	s_mov_b64 s[0:1], 0
.LBB111_2759:
	s_andn2_b64 vcc, exec, s[0:1]
	s_cbranch_vccnz .LBB111_2761
; %bb.2760:
	global_load_ushort v3, v[7:8], off
	s_waitcnt vmcnt(0)
	v_cvt_f32_f16_e32 v3, v3
.LBB111_2761:
	s_mov_b64 s[0:1], 0
.LBB111_2762:
	s_andn2_b64 vcc, exec, s[0:1]
	s_cbranch_vccnz .LBB111_2782
; %bb.2763:
	s_cmp_lt_i32 s10, 2
	s_cbranch_scc1 .LBB111_2767
; %bb.2764:
	s_cmp_lt_i32 s10, 3
	s_cbranch_scc1 .LBB111_2768
; %bb.2765:
	s_cmp_gt_i32 s10, 3
	s_cbranch_scc0 .LBB111_2769
; %bb.2766:
	global_load_dwordx2 v[9:10], v[7:8], off
	s_mov_b64 s[0:1], 0
	s_waitcnt vmcnt(0)
	v_xor_b32_e32 v5, v9, v10
	v_ffbh_i32_e32 v3, v10
	v_ashrrev_i32_e32 v5, 31, v5
	v_add_u32_e32 v3, -1, v3
	v_add_u32_e32 v5, 32, v5
	v_min_u32_e32 v3, v3, v5
	v_lshlrev_b64 v[9:10], v3, v[9:10]
	v_sub_u32_e32 v3, 32, v3
	v_min_u32_e32 v5, 1, v9
	v_or_b32_e32 v5, v10, v5
	v_cvt_f32_i32_e32 v5, v5
	v_ldexp_f32 v3, v5, v3
	s_branch .LBB111_2770
.LBB111_2767:
	s_mov_b64 s[0:1], -1
                                        ; implicit-def: $vgpr3
	s_branch .LBB111_2776
.LBB111_2768:
	s_mov_b64 s[0:1], -1
                                        ; implicit-def: $vgpr3
	s_branch .LBB111_2773
.LBB111_2769:
	s_mov_b64 s[0:1], -1
                                        ; implicit-def: $vgpr3
.LBB111_2770:
	s_andn2_b64 vcc, exec, s[0:1]
	s_cbranch_vccnz .LBB111_2772
; %bb.2771:
	global_load_dword v3, v[7:8], off
	s_waitcnt vmcnt(0)
	v_cvt_f32_i32_e32 v3, v3
.LBB111_2772:
	s_mov_b64 s[0:1], 0
.LBB111_2773:
	s_andn2_b64 vcc, exec, s[0:1]
	s_cbranch_vccnz .LBB111_2775
; %bb.2774:
	global_load_sshort v3, v[7:8], off
	s_waitcnt vmcnt(0)
	v_cvt_f32_i32_e32 v3, v3
.LBB111_2775:
	s_mov_b64 s[0:1], 0
.LBB111_2776:
	s_andn2_b64 vcc, exec, s[0:1]
	s_cbranch_vccnz .LBB111_2782
; %bb.2777:
	s_cmp_gt_i32 s10, 0
	s_cbranch_scc0 .LBB111_2779
; %bb.2778:
	global_load_sbyte v3, v[7:8], off
	s_mov_b64 s[0:1], 0
	s_waitcnt vmcnt(0)
	v_cvt_f32_i32_e32 v3, v3
	s_branch .LBB111_2780
.LBB111_2779:
	s_mov_b64 s[0:1], -1
                                        ; implicit-def: $vgpr3
.LBB111_2780:
	s_andn2_b64 vcc, exec, s[0:1]
	s_cbranch_vccnz .LBB111_2782
; %bb.2781:
	global_load_ubyte v3, v[7:8], off
	s_waitcnt vmcnt(0)
	v_cvt_f32_ubyte0_e32 v3, v3
.LBB111_2782:
	s_mov_b64 s[20:21], -1
.LBB111_2783:
	s_andn2_b64 vcc, exec, s[20:21]
	s_cbranch_vccnz .LBB111_2788
; %bb.2784:
	s_cmp_lt_i32 s28, 1
	s_mov_b64 s[0:1], 0
	s_cbranch_scc1 .LBB111_2834
; %bb.2785:
	s_cmp_gt_i32 s28, 1
	s_cbranch_scc0 .LBB111_2835
; %bb.2786:
	s_cmp_eq_u32 s28, 2
	s_cbranch_scc0 .LBB111_2836
; %bb.2787:
	s_waitcnt vmcnt(0)
	v_cmp_le_f32_e64 s[10:11], v1, v3
	s_mov_b64 s[20:21], 0
	s_branch .LBB111_2837
.LBB111_2788:
	s_mov_b64 s[0:1], 0
                                        ; implicit-def: $sgpr10_sgpr11
.LBB111_2789:
	s_mov_b64 s[2:3], 0
                                        ; implicit-def: $vgpr0_vgpr1
                                        ; implicit-def: $sgpr26
.LBB111_2790:
	s_and_b64 s[6:7], s[2:3], exec
	s_andn2_b64 s[2:3], s[12:13], exec
	s_and_b64 s[4:5], s[4:5], exec
	s_and_b64 s[0:1], s[0:1], exec
	s_or_b64 s[12:13], s[2:3], s[4:5]
.LBB111_2791:
	s_or_b64 exec, exec, s[14:15]
	s_and_saveexec_b64 s[2:3], s[12:13]
	s_cbranch_execz .LBB111_2794
; %bb.2792:
	; divergent unreachable
	s_or_b64 exec, exec, s[2:3]
	s_and_saveexec_b64 s[2:3], s[6:7]
	s_xor_b64 s[2:3], exec, s[2:3]
	s_cbranch_execnz .LBB111_2795
.LBB111_2793:
	s_or_b64 exec, exec, s[2:3]
	s_and_saveexec_b64 s[2:3], s[0:1]
	s_cbranch_execnz .LBB111_2796
	s_branch .LBB111_2833
.LBB111_2794:
	s_or_b64 exec, exec, s[2:3]
	s_and_saveexec_b64 s[2:3], s[6:7]
	s_xor_b64 s[2:3], exec, s[2:3]
	s_cbranch_execz .LBB111_2793
.LBB111_2795:
	v_cndmask_b32_e64 v2, 0, 1, s[10:11]
	s_waitcnt vmcnt(0)
	global_store_byte v[0:1], v2, off
	s_or_b64 exec, exec, s[2:3]
	s_and_saveexec_b64 s[2:3], s[0:1]
	s_cbranch_execz .LBB111_2833
.LBB111_2796:
	s_sext_i32_i16 s2, s26
	s_cmp_lt_i32 s2, 5
	s_mov_b64 s[0:1], -1
	s_cbranch_scc1 .LBB111_2817
; %bb.2797:
	s_cmp_lt_i32 s2, 8
	s_cbranch_scc1 .LBB111_2807
; %bb.2798:
	s_cmp_lt_i32 s2, 9
	s_cbranch_scc1 .LBB111_2804
; %bb.2799:
	s_cmp_gt_i32 s2, 9
	s_cbranch_scc0 .LBB111_2801
; %bb.2800:
	v_cndmask_b32_e64 v2, 0, 1, s[10:11]
	s_waitcnt vmcnt(0)
	v_cvt_f64_u32_e32 v[2:3], v2
	v_mov_b32_e32 v4, 0
	v_mov_b32_e32 v5, v4
	s_mov_b64 s[0:1], 0
	global_store_dwordx4 v[0:1], v[2:5], off
.LBB111_2801:
	s_andn2_b64 vcc, exec, s[0:1]
	s_cbranch_vccnz .LBB111_2803
; %bb.2802:
	v_cndmask_b32_e64 v2, 0, 1.0, s[10:11]
	s_waitcnt vmcnt(0)
	v_mov_b32_e32 v3, 0
	global_store_dwordx2 v[0:1], v[2:3], off
.LBB111_2803:
	s_mov_b64 s[0:1], 0
.LBB111_2804:
	s_andn2_b64 vcc, exec, s[0:1]
	s_cbranch_vccnz .LBB111_2806
; %bb.2805:
	v_cndmask_b32_e64 v2, 0, 1.0, s[10:11]
	v_cvt_f16_f32_e32 v2, v2
	s_waitcnt vmcnt(0)
	global_store_dword v[0:1], v2, off
.LBB111_2806:
	s_mov_b64 s[0:1], 0
.LBB111_2807:
	s_andn2_b64 vcc, exec, s[0:1]
	s_cbranch_vccnz .LBB111_2816
; %bb.2808:
	s_sext_i32_i16 s2, s26
	s_cmp_lt_i32 s2, 6
	s_mov_b64 s[0:1], -1
	s_cbranch_scc1 .LBB111_2814
; %bb.2809:
	s_cmp_gt_i32 s2, 6
	s_cbranch_scc0 .LBB111_2811
; %bb.2810:
	v_cndmask_b32_e64 v2, 0, 1, s[10:11]
	s_waitcnt vmcnt(0)
	v_cvt_f64_u32_e32 v[2:3], v2
	s_mov_b64 s[0:1], 0
	global_store_dwordx2 v[0:1], v[2:3], off
.LBB111_2811:
	s_andn2_b64 vcc, exec, s[0:1]
	s_cbranch_vccnz .LBB111_2813
; %bb.2812:
	v_cndmask_b32_e64 v2, 0, 1.0, s[10:11]
	s_waitcnt vmcnt(0)
	global_store_dword v[0:1], v2, off
.LBB111_2813:
	s_mov_b64 s[0:1], 0
.LBB111_2814:
	s_andn2_b64 vcc, exec, s[0:1]
	s_cbranch_vccnz .LBB111_2816
; %bb.2815:
	v_cndmask_b32_e64 v2, 0, 1.0, s[10:11]
	v_cvt_f16_f32_e32 v2, v2
	s_waitcnt vmcnt(0)
	global_store_short v[0:1], v2, off
.LBB111_2816:
	s_mov_b64 s[0:1], 0
.LBB111_2817:
	s_andn2_b64 vcc, exec, s[0:1]
	s_cbranch_vccnz .LBB111_2833
; %bb.2818:
	s_sext_i32_i16 s2, s26
	s_cmp_lt_i32 s2, 2
	s_mov_b64 s[0:1], -1
	s_cbranch_scc1 .LBB111_2828
; %bb.2819:
	s_cmp_lt_i32 s2, 3
	s_cbranch_scc1 .LBB111_2825
; %bb.2820:
	s_cmp_gt_i32 s2, 3
	s_cbranch_scc0 .LBB111_2822
; %bb.2821:
	s_mov_b32 s0, 0
	v_cndmask_b32_e64 v2, 0, 1, s[10:11]
	s_waitcnt vmcnt(0)
	v_mov_b32_e32 v3, s0
	global_store_dwordx2 v[0:1], v[2:3], off
	s_mov_b64 s[0:1], 0
.LBB111_2822:
	s_andn2_b64 vcc, exec, s[0:1]
	s_cbranch_vccnz .LBB111_2824
; %bb.2823:
	v_cndmask_b32_e64 v2, 0, 1, s[10:11]
	s_waitcnt vmcnt(0)
	global_store_dword v[0:1], v2, off
.LBB111_2824:
	s_mov_b64 s[0:1], 0
.LBB111_2825:
	s_andn2_b64 vcc, exec, s[0:1]
	s_cbranch_vccnz .LBB111_2827
; %bb.2826:
	v_cndmask_b32_e64 v2, 0, 1, s[10:11]
	s_waitcnt vmcnt(0)
	global_store_short v[0:1], v2, off
.LBB111_2827:
	s_mov_b64 s[0:1], 0
.LBB111_2828:
	s_andn2_b64 vcc, exec, s[0:1]
	s_cbranch_vccnz .LBB111_2833
; %bb.2829:
	s_sext_i32_i16 s0, s26
	s_cmp_gt_i32 s0, 0
	s_mov_b64 s[0:1], -1
	s_cbranch_scc0 .LBB111_2831
; %bb.2830:
	v_cndmask_b32_e64 v2, 0, 1, s[10:11]
	s_waitcnt vmcnt(0)
	global_store_byte v[0:1], v2, off
	s_mov_b64 s[0:1], 0
.LBB111_2831:
	s_andn2_b64 vcc, exec, s[0:1]
	s_cbranch_vccnz .LBB111_2833
; %bb.2832:
	v_cndmask_b32_e64 v2, 0, 1, s[10:11]
	s_waitcnt vmcnt(0)
	global_store_byte v[0:1], v2, off
	s_endpgm
.LBB111_2833:
	s_endpgm
.LBB111_2834:
	s_mov_b64 s[22:23], -1
                                        ; implicit-def: $sgpr10_sgpr11
	s_mov_b64 s[20:21], 0
	s_branch .LBB111_2841
.LBB111_2835:
	s_mov_b64 s[22:23], -1
	s_mov_b64 s[20:21], 0
                                        ; implicit-def: $sgpr10_sgpr11
	s_branch .LBB111_2838
.LBB111_2836:
	s_mov_b64 s[20:21], -1
                                        ; implicit-def: $sgpr10_sgpr11
.LBB111_2837:
	s_mov_b64 s[22:23], 0
.LBB111_2838:
	s_and_b64 vcc, exec, s[22:23]
	s_cbranch_vccz .LBB111_2840
; %bb.2839:
	s_waitcnt vmcnt(0)
	v_cmp_gt_f32_e32 vcc, v1, v3
	s_andn2_b64 s[10:11], s[10:11], exec
	s_and_b64 s[22:23], vcc, exec
	s_or_b64 s[10:11], s[10:11], s[22:23]
.LBB111_2840:
	s_mov_b64 s[22:23], 0
.LBB111_2841:
	s_and_b64 vcc, exec, s[22:23]
	s_cbranch_vccz .LBB111_2923
; %bb.2842:
	s_cmp_lg_u32 s28, 0
	s_mov_b64 s[0:1], -1
	s_cselect_b64 s[20:21], -1, 0
	s_andn2_b64 vcc, exec, s[20:21]
	s_cbranch_vccz .LBB111_2924
.LBB111_2843:
	s_andn2_b64 vcc, exec, s[0:1]
	s_cbranch_vccnz .LBB111_2845
.LBB111_2844:
	s_waitcnt vmcnt(0)
	v_cmp_ge_f32_e32 vcc, v1, v3
	s_andn2_b64 s[0:1], s[10:11], exec
	s_and_b64 s[10:11], vcc, exec
	s_or_b64 s[10:11], s[0:1], s[10:11]
.LBB111_2845:
	s_load_dword s0, s[2:3], 0x1a4
	v_mov_b32_e32 v1, s9
	v_add_co_u32_e32 v5, vcc, s8, v6
	v_addc_co_u32_e32 v6, vcc, 0, v1, vcc
	s_waitcnt lgkmcnt(0)
	s_and_b32 s26, s0, 0xff
	s_cmp_lt_i32 s26, 11
	s_cbranch_scc1 .LBB111_2925
; %bb.2846:
	s_and_b32 s27, 0xffff, s26
	s_mov_b64 s[22:23], -1
	s_mov_b64 s[2:3], 0
	s_cmp_gt_i32 s27, 25
	s_mov_b64 s[20:21], 0
	s_mov_b64 s[0:1], 0
	s_cbranch_scc0 .LBB111_2879
; %bb.2847:
	s_cmp_gt_i32 s27, 28
	s_cbranch_scc0 .LBB111_2862
; %bb.2848:
	s_cmp_gt_i32 s27, 43
	;; [unrolled: 3-line block ×3, first 2 shown]
	s_cbranch_scc0 .LBB111_2852
; %bb.2850:
	s_mov_b64 s[0:1], -1
	s_mov_b64 s[22:23], 0
	s_cmp_eq_u32 s27, 46
	s_cbranch_scc0 .LBB111_2852
; %bb.2851:
	v_cndmask_b32_e64 v1, 0, 1.0, s[6:7]
	s_waitcnt vmcnt(0)
	v_bfe_u32 v3, v1, 16, 1
	s_movk_i32 s0, 0x7fff
	v_add3_u32 v1, v1, v3, s0
	v_lshrrev_b32_e32 v1, 16, v1
	global_store_dword v[5:6], v1, off
	s_mov_b64 s[0:1], 0
	s_mov_b64 s[20:21], -1
.LBB111_2852:
	s_and_b64 vcc, exec, s[22:23]
	s_cbranch_vccz .LBB111_2857
; %bb.2853:
	s_cmp_eq_u32 s27, 44
	s_mov_b64 s[0:1], -1
	s_cbranch_scc0 .LBB111_2857
; %bb.2854:
	s_waitcnt vmcnt(0)
	v_cndmask_b32_e64 v3, 0, 1.0, s[6:7]
	v_lshrrev_b32_e32 v1, 23, v3
	s_movk_i32 s0, 0xff
	v_cmp_ne_u32_e32 vcc, s0, v1
	v_mov_b32_e32 v7, 0xff
	s_and_saveexec_b64 s[20:21], vcc
; %bb.2855:
	s_mov_b32 s0, 0x3fffff
	v_and_b32_e32 v7, 0x400000, v3
	v_and_or_b32 v3, v3, s0, v1
	v_cmp_ne_u32_e32 vcc, 0, v7
	v_cmp_ne_u32_e64 s[0:1], 0, v3
	s_and_b64 s[0:1], vcc, s[0:1]
	v_cndmask_b32_e64 v3, 0, 1, s[0:1]
	v_add_u32_e32 v7, v1, v3
; %bb.2856:
	s_or_b64 exec, exec, s[20:21]
	s_mov_b64 s[0:1], 0
	s_mov_b64 s[20:21], -1
	global_store_byte v[5:6], v7, off
.LBB111_2857:
	s_mov_b64 s[22:23], 0
.LBB111_2858:
	s_and_b64 vcc, exec, s[22:23]
	s_cbranch_vccz .LBB111_2861
; %bb.2859:
	s_cmp_eq_u32 s27, 29
	s_mov_b64 s[0:1], -1
	s_cbranch_scc0 .LBB111_2861
; %bb.2860:
	s_mov_b32 s0, 0
	v_cndmask_b32_e64 v7, 0, 1, s[6:7]
	v_mov_b32_e32 v8, s0
	global_store_dwordx2 v[5:6], v[7:8], off
	s_mov_b64 s[0:1], 0
	s_mov_b64 s[20:21], -1
.LBB111_2861:
	s_mov_b64 s[22:23], 0
.LBB111_2862:
	s_and_b64 vcc, exec, s[22:23]
	s_cbranch_vccz .LBB111_2878
; %bb.2863:
	s_cmp_lt_i32 s27, 27
	s_mov_b64 s[20:21], -1
	s_cbranch_scc1 .LBB111_2869
; %bb.2864:
	s_cmp_gt_i32 s27, 27
	s_cbranch_scc0 .LBB111_2866
; %bb.2865:
	v_cndmask_b32_e64 v1, 0, 1, s[6:7]
	s_mov_b64 s[20:21], 0
	global_store_dword v[5:6], v1, off
.LBB111_2866:
	s_andn2_b64 vcc, exec, s[20:21]
	s_cbranch_vccnz .LBB111_2868
; %bb.2867:
	v_cndmask_b32_e64 v1, 0, 1, s[6:7]
	global_store_short v[5:6], v1, off
.LBB111_2868:
	s_mov_b64 s[20:21], 0
.LBB111_2869:
	s_andn2_b64 vcc, exec, s[20:21]
	s_cbranch_vccnz .LBB111_2877
; %bb.2870:
	s_waitcnt vmcnt(0)
	v_cndmask_b32_e64 v3, 0, 1.0, s[6:7]
	s_mov_b32 s20, 0x43800000
	v_cmp_gt_u32_e32 vcc, s20, v3
	v_mov_b32_e32 v7, 0x80
	s_and_saveexec_b64 s[20:21], vcc
	s_cbranch_execz .LBB111_2876
; %bb.2871:
	s_mov_b32 s22, 0x3bffffff
	v_cmp_lt_u32_e32 vcc, s22, v3
	s_mov_b64 s[22:23], 0
                                        ; implicit-def: $vgpr1
	s_and_saveexec_b64 s[24:25], vcc
	s_xor_b64 s[24:25], exec, s[24:25]
	s_cbranch_execz .LBB111_3283
; %bb.2872:
	v_bfe_u32 v1, v3, 20, 1
	s_mov_b32 s28, 0x487ffff
	v_add3_u32 v1, v3, v1, s28
	s_mov_b64 s[22:23], exec
	v_lshrrev_b32_e32 v1, 20, v1
                                        ; implicit-def: $vgpr3
	s_andn2_saveexec_b64 s[24:25], s[24:25]
	s_cbranch_execnz .LBB111_3284
.LBB111_2873:
	s_or_b64 exec, exec, s[24:25]
	v_mov_b32_e32 v7, 0
	s_and_saveexec_b64 s[24:25], s[22:23]
.LBB111_2874:
	v_mov_b32_e32 v7, v1
.LBB111_2875:
	s_or_b64 exec, exec, s[24:25]
.LBB111_2876:
	s_or_b64 exec, exec, s[20:21]
	global_store_byte v[5:6], v7, off
.LBB111_2877:
	s_mov_b64 s[20:21], -1
.LBB111_2878:
	s_mov_b64 s[22:23], 0
.LBB111_2879:
	s_and_b64 vcc, exec, s[22:23]
	s_cbranch_vccz .LBB111_2919
; %bb.2880:
	s_cmp_gt_i32 s27, 22
	s_mov_b64 s[2:3], -1
	s_cbranch_scc0 .LBB111_2912
; %bb.2881:
	s_cmp_lt_i32 s27, 24
	s_cbranch_scc1 .LBB111_2901
; %bb.2882:
	s_cmp_gt_i32 s27, 24
	s_cbranch_scc0 .LBB111_2890
; %bb.2883:
	s_waitcnt vmcnt(0)
	v_cndmask_b32_e64 v3, 0, 1.0, s[6:7]
	s_mov_b32 s2, 0x47800000
	v_cmp_gt_u32_e32 vcc, s2, v3
	v_mov_b32_e32 v7, 0x80
	s_and_saveexec_b64 s[2:3], vcc
	s_cbranch_execz .LBB111_2889
; %bb.2884:
	s_mov_b32 s20, 0x37ffffff
	v_cmp_lt_u32_e32 vcc, s20, v3
	s_mov_b64 s[20:21], 0
                                        ; implicit-def: $vgpr1
	s_and_saveexec_b64 s[22:23], vcc
	s_xor_b64 s[22:23], exec, s[22:23]
	s_cbranch_execz .LBB111_3286
; %bb.2885:
	v_bfe_u32 v1, v3, 21, 1
	s_mov_b32 s24, 0x88fffff
	v_add3_u32 v1, v3, v1, s24
	s_mov_b64 s[20:21], exec
	v_lshrrev_b32_e32 v1, 21, v1
                                        ; implicit-def: $vgpr3
	s_andn2_saveexec_b64 s[22:23], s[22:23]
	s_cbranch_execnz .LBB111_3287
.LBB111_2886:
	s_or_b64 exec, exec, s[22:23]
	v_mov_b32_e32 v7, 0
	s_and_saveexec_b64 s[22:23], s[20:21]
.LBB111_2887:
	v_mov_b32_e32 v7, v1
.LBB111_2888:
	s_or_b64 exec, exec, s[22:23]
.LBB111_2889:
	s_or_b64 exec, exec, s[2:3]
	s_mov_b64 s[2:3], 0
	global_store_byte v[5:6], v7, off
.LBB111_2890:
	s_and_b64 vcc, exec, s[2:3]
	s_cbranch_vccz .LBB111_2900
; %bb.2891:
	v_cndmask_b32_e64 v1, 0, 1.0, s[6:7]
	s_mov_b32 s2, 0x43f00000
	v_cmp_gt_u32_e32 vcc, s2, v1
                                        ; implicit-def: $vgpr3
	s_and_saveexec_b64 s[2:3], vcc
	s_xor_b64 s[2:3], exec, s[2:3]
	s_cbranch_execz .LBB111_2897
; %bb.2892:
	s_mov_b32 s20, 0x3c7fffff
	v_cmp_lt_u32_e32 vcc, s20, v1
                                        ; implicit-def: $vgpr3
	s_and_saveexec_b64 s[20:21], vcc
	s_xor_b64 s[20:21], exec, s[20:21]
	s_cbranch_execz .LBB111_2894
; %bb.2893:
	s_waitcnt vmcnt(0)
	v_bfe_u32 v3, v1, 20, 1
	s_mov_b32 s22, 0x407ffff
	v_add3_u32 v1, v1, v3, s22
	v_lshrrev_b32_e32 v3, 20, v1
	v_and_b32_e32 v1, 0xff00000, v1
	s_mov_b32 s22, 0x7f00000
	v_mov_b32_e32 v7, 0x7e
	v_cmp_ne_u32_e32 vcc, s22, v1
	v_cndmask_b32_e32 v3, v7, v3, vcc
                                        ; implicit-def: $vgpr1
.LBB111_2894:
	s_andn2_saveexec_b64 s[20:21], s[20:21]
	s_cbranch_execz .LBB111_2896
; %bb.2895:
	s_waitcnt vmcnt(0)
	v_add_f32_e32 v3, 0x46800000, v1
.LBB111_2896:
	s_or_b64 exec, exec, s[20:21]
                                        ; implicit-def: $vgpr1
.LBB111_2897:
	s_andn2_saveexec_b64 s[2:3], s[2:3]
	s_cbranch_execz .LBB111_2899
; %bb.2898:
	s_mov_b32 s20, 0x7f800000
	s_waitcnt vmcnt(0)
	v_mov_b32_e32 v3, 0x7e
	v_mov_b32_e32 v7, 0x7f
	v_cmp_lt_u32_e32 vcc, s20, v1
	v_cndmask_b32_e32 v3, v3, v7, vcc
.LBB111_2899:
	s_or_b64 exec, exec, s[2:3]
	s_waitcnt vmcnt(0)
	global_store_byte v[5:6], v3, off
.LBB111_2900:
	s_mov_b64 s[2:3], 0
.LBB111_2901:
	s_andn2_b64 vcc, exec, s[2:3]
	s_cbranch_vccnz .LBB111_2911
; %bb.2902:
	v_cndmask_b32_e64 v1, 0, 1.0, s[6:7]
	s_mov_b32 s2, 0x47800000
	v_cmp_gt_u32_e32 vcc, s2, v1
                                        ; implicit-def: $vgpr3
	s_and_saveexec_b64 s[2:3], vcc
	s_xor_b64 s[2:3], exec, s[2:3]
	s_cbranch_execz .LBB111_2908
; %bb.2903:
	s_mov_b32 s20, 0x387fffff
	v_cmp_lt_u32_e32 vcc, s20, v1
                                        ; implicit-def: $vgpr3
	s_and_saveexec_b64 s[20:21], vcc
	s_xor_b64 s[20:21], exec, s[20:21]
	s_cbranch_execz .LBB111_2905
; %bb.2904:
	s_waitcnt vmcnt(0)
	v_bfe_u32 v3, v1, 21, 1
	s_mov_b32 s22, 0x80fffff
	v_add3_u32 v1, v1, v3, s22
	v_lshrrev_b32_e32 v3, 21, v1
                                        ; implicit-def: $vgpr1
.LBB111_2905:
	s_andn2_saveexec_b64 s[20:21], s[20:21]
	s_cbranch_execz .LBB111_2907
; %bb.2906:
	s_waitcnt vmcnt(0)
	v_add_f32_e32 v3, 0x43000000, v1
.LBB111_2907:
	s_or_b64 exec, exec, s[20:21]
                                        ; implicit-def: $vgpr1
.LBB111_2908:
	s_andn2_saveexec_b64 s[2:3], s[2:3]
	s_cbranch_execz .LBB111_2910
; %bb.2909:
	s_mov_b32 s20, 0x7f800000
	s_waitcnt vmcnt(0)
	v_mov_b32_e32 v3, 0x7c
	v_mov_b32_e32 v7, 0x7f
	v_cmp_lt_u32_e32 vcc, s20, v1
	v_cndmask_b32_e32 v3, v3, v7, vcc
.LBB111_2910:
	s_or_b64 exec, exec, s[2:3]
	s_waitcnt vmcnt(0)
	global_store_byte v[5:6], v3, off
.LBB111_2911:
	s_mov_b64 s[2:3], 0
	s_mov_b64 s[20:21], -1
.LBB111_2912:
	s_andn2_b64 vcc, exec, s[2:3]
	s_mov_b64 s[2:3], 0
	s_cbranch_vccnz .LBB111_2919
; %bb.2913:
	s_cmp_gt_i32 s27, 14
	s_mov_b64 s[22:23], -1
	s_cbranch_scc0 .LBB111_2917
; %bb.2914:
	s_cmp_eq_u32 s27, 15
	s_mov_b64 s[0:1], -1
	s_cbranch_scc0 .LBB111_2916
; %bb.2915:
	v_cndmask_b32_e64 v1, 0, 1.0, s[6:7]
	s_waitcnt vmcnt(0)
	v_bfe_u32 v3, v1, 16, 1
	s_movk_i32 s0, 0x7fff
	v_add3_u32 v1, v1, v3, s0
	global_store_short_d16_hi v[5:6], v1, off
	s_mov_b64 s[0:1], 0
	s_mov_b64 s[20:21], -1
.LBB111_2916:
	s_mov_b64 s[22:23], 0
.LBB111_2917:
	s_and_b64 vcc, exec, s[22:23]
	s_cbranch_vccz .LBB111_2919
; %bb.2918:
	s_cmp_lg_u32 s27, 11
	s_mov_b64 s[2:3], -1
	s_cselect_b64 s[0:1], -1, 0
.LBB111_2919:
	s_and_b64 vcc, exec, s[0:1]
	s_cbranch_vccnz .LBB111_3285
; %bb.2920:
	s_andn2_b64 vcc, exec, s[2:3]
	s_cbranch_vccnz .LBB111_2922
.LBB111_2921:
	v_cndmask_b32_e64 v1, 0, 1, s[6:7]
	s_mov_b64 s[20:21], -1
	global_store_byte v[5:6], v1, off
.LBB111_2922:
	s_mov_b64 s[0:1], 0
	s_branch .LBB111_2926
.LBB111_2923:
	s_andn2_b64 vcc, exec, s[20:21]
	s_cbranch_vccnz .LBB111_2843
.LBB111_2924:
	s_waitcnt vmcnt(0)
	v_cmp_lt_f32_e32 vcc, v1, v3
	s_andn2_b64 s[10:11], s[10:11], exec
	s_and_b64 s[20:21], vcc, exec
	s_or_b64 s[10:11], s[10:11], s[20:21]
	s_cbranch_execz .LBB111_2844
	s_branch .LBB111_2845
.LBB111_2925:
	s_mov_b64 s[0:1], -1
	s_mov_b64 s[20:21], 0
.LBB111_2926:
	s_and_b64 vcc, exec, s[0:1]
	s_cbranch_vccz .LBB111_2965
; %bb.2927:
	s_and_b32 s2, 0xffff, s26
	s_cmp_lt_i32 s2, 5
	s_mov_b64 s[0:1], -1
	s_cbranch_scc1 .LBB111_2948
; %bb.2928:
	s_cmp_lt_i32 s2, 8
	s_cbranch_scc1 .LBB111_2938
; %bb.2929:
	s_cmp_lt_i32 s2, 9
	s_cbranch_scc1 .LBB111_2935
; %bb.2930:
	s_cmp_gt_i32 s2, 9
	s_cbranch_scc0 .LBB111_2932
; %bb.2931:
	v_cndmask_b32_e64 v1, 0, 1, s[6:7]
	v_cvt_f64_u32_e32 v[7:8], v1
	v_mov_b32_e32 v9, 0
	v_mov_b32_e32 v10, v9
	s_mov_b64 s[0:1], 0
	global_store_dwordx4 v[5:6], v[7:10], off
.LBB111_2932:
	s_andn2_b64 vcc, exec, s[0:1]
	s_cbranch_vccnz .LBB111_2934
; %bb.2933:
	v_cndmask_b32_e64 v7, 0, 1.0, s[6:7]
	v_mov_b32_e32 v8, 0
	global_store_dwordx2 v[5:6], v[7:8], off
.LBB111_2934:
	s_mov_b64 s[0:1], 0
.LBB111_2935:
	s_andn2_b64 vcc, exec, s[0:1]
	s_cbranch_vccnz .LBB111_2937
; %bb.2936:
	v_cndmask_b32_e64 v1, 0, 1.0, s[6:7]
	v_cvt_f16_f32_e32 v1, v1
	global_store_dword v[5:6], v1, off
.LBB111_2937:
	s_mov_b64 s[0:1], 0
.LBB111_2938:
	s_andn2_b64 vcc, exec, s[0:1]
	s_cbranch_vccnz .LBB111_2947
; %bb.2939:
	s_cmp_lt_i32 s2, 6
	s_mov_b64 s[0:1], -1
	s_cbranch_scc1 .LBB111_2945
; %bb.2940:
	s_cmp_gt_i32 s2, 6
	s_cbranch_scc0 .LBB111_2942
; %bb.2941:
	v_cndmask_b32_e64 v1, 0, 1, s[6:7]
	v_cvt_f64_u32_e32 v[7:8], v1
	s_mov_b64 s[0:1], 0
	global_store_dwordx2 v[5:6], v[7:8], off
.LBB111_2942:
	s_andn2_b64 vcc, exec, s[0:1]
	s_cbranch_vccnz .LBB111_2944
; %bb.2943:
	v_cndmask_b32_e64 v1, 0, 1.0, s[6:7]
	global_store_dword v[5:6], v1, off
.LBB111_2944:
	s_mov_b64 s[0:1], 0
.LBB111_2945:
	s_andn2_b64 vcc, exec, s[0:1]
	s_cbranch_vccnz .LBB111_2947
; %bb.2946:
	v_cndmask_b32_e64 v1, 0, 1.0, s[6:7]
	v_cvt_f16_f32_e32 v1, v1
	global_store_short v[5:6], v1, off
.LBB111_2947:
	s_mov_b64 s[0:1], 0
.LBB111_2948:
	s_andn2_b64 vcc, exec, s[0:1]
	s_cbranch_vccnz .LBB111_2964
; %bb.2949:
	s_cmp_lt_i32 s2, 2
	s_mov_b64 s[0:1], -1
	s_cbranch_scc1 .LBB111_2959
; %bb.2950:
	s_cmp_lt_i32 s2, 3
	s_cbranch_scc1 .LBB111_2956
; %bb.2951:
	s_cmp_gt_i32 s2, 3
	s_cbranch_scc0 .LBB111_2953
; %bb.2952:
	s_mov_b32 s0, 0
	v_cndmask_b32_e64 v7, 0, 1, s[6:7]
	v_mov_b32_e32 v8, s0
	global_store_dwordx2 v[5:6], v[7:8], off
	s_mov_b64 s[0:1], 0
.LBB111_2953:
	s_andn2_b64 vcc, exec, s[0:1]
	s_cbranch_vccnz .LBB111_2955
; %bb.2954:
	v_cndmask_b32_e64 v1, 0, 1, s[6:7]
	global_store_dword v[5:6], v1, off
.LBB111_2955:
	s_mov_b64 s[0:1], 0
.LBB111_2956:
	s_andn2_b64 vcc, exec, s[0:1]
	s_cbranch_vccnz .LBB111_2958
; %bb.2957:
	v_cndmask_b32_e64 v1, 0, 1, s[6:7]
	global_store_short v[5:6], v1, off
.LBB111_2958:
	s_mov_b64 s[0:1], 0
.LBB111_2959:
	s_andn2_b64 vcc, exec, s[0:1]
	s_cbranch_vccnz .LBB111_2964
; %bb.2960:
	s_mov_b64 s[0:1], -1
	s_cmp_gt_i32 s2, 0
	v_cndmask_b32_e64 v1, 0, 1, s[6:7]
	s_cbranch_scc0 .LBB111_2962
; %bb.2961:
	global_store_byte v[5:6], v1, off
	s_mov_b64 s[0:1], 0
.LBB111_2962:
	s_andn2_b64 vcc, exec, s[0:1]
	s_cbranch_vccnz .LBB111_2964
; %bb.2963:
	global_store_byte v[5:6], v1, off
.LBB111_2964:
	s_mov_b64 s[20:21], -1
.LBB111_2965:
	s_andn2_b64 vcc, exec, s[20:21]
	s_cbranch_vccnz .LBB111_3280
; %bb.2966:
	v_mov_b32_e32 v1, s9
	s_and_b32 s24, 0xffff, s26
	s_waitcnt vmcnt(0)
	v_add_co_u32_e32 v3, vcc, s8, v4
	s_cmp_lt_i32 s24, 11
	v_addc_co_u32_e32 v4, vcc, 0, v1, vcc
	s_cbranch_scc1 .LBB111_3044
; %bb.2967:
	s_mov_b64 s[20:21], -1
	s_mov_b64 s[2:3], 0
	s_cmp_gt_i32 s24, 25
	s_mov_b64 s[6:7], 0
	s_mov_b64 s[0:1], 0
	s_cbranch_scc0 .LBB111_3000
; %bb.2968:
	s_cmp_gt_i32 s24, 28
	s_cbranch_scc0 .LBB111_2983
; %bb.2969:
	s_cmp_gt_i32 s24, 43
	;; [unrolled: 3-line block ×3, first 2 shown]
	s_cbranch_scc0 .LBB111_2973
; %bb.2971:
	s_mov_b64 s[0:1], -1
	s_mov_b64 s[20:21], 0
	s_cmp_eq_u32 s24, 46
	s_cbranch_scc0 .LBB111_2973
; %bb.2972:
	v_cndmask_b32_e64 v1, 0, 1.0, s[16:17]
	v_bfe_u32 v5, v1, 16, 1
	s_movk_i32 s0, 0x7fff
	v_add3_u32 v1, v1, v5, s0
	v_lshrrev_b32_e32 v1, 16, v1
	global_store_dword v[3:4], v1, off
	s_mov_b64 s[0:1], 0
	s_mov_b64 s[6:7], -1
.LBB111_2973:
	s_and_b64 vcc, exec, s[20:21]
	s_cbranch_vccz .LBB111_2978
; %bb.2974:
	s_cmp_eq_u32 s24, 44
	s_mov_b64 s[0:1], -1
	s_cbranch_scc0 .LBB111_2978
; %bb.2975:
	v_cndmask_b32_e64 v5, 0, 1.0, s[16:17]
	v_lshrrev_b32_e32 v1, 23, v5
	s_movk_i32 s0, 0xff
	v_cmp_ne_u32_e32 vcc, s0, v1
	v_mov_b32_e32 v6, 0xff
	s_and_saveexec_b64 s[6:7], vcc
; %bb.2976:
	s_mov_b32 s0, 0x3fffff
	v_and_b32_e32 v6, 0x400000, v5
	v_and_or_b32 v5, v5, s0, v1
	v_cmp_ne_u32_e32 vcc, 0, v6
	v_cmp_ne_u32_e64 s[0:1], 0, v5
	s_and_b64 s[0:1], vcc, s[0:1]
	v_cndmask_b32_e64 v5, 0, 1, s[0:1]
	v_add_u32_e32 v6, v1, v5
; %bb.2977:
	s_or_b64 exec, exec, s[6:7]
	s_mov_b64 s[0:1], 0
	s_mov_b64 s[6:7], -1
	global_store_byte v[3:4], v6, off
.LBB111_2978:
	s_mov_b64 s[20:21], 0
.LBB111_2979:
	s_and_b64 vcc, exec, s[20:21]
	s_cbranch_vccz .LBB111_2982
; %bb.2980:
	s_cmp_eq_u32 s24, 29
	s_mov_b64 s[0:1], -1
	s_cbranch_scc0 .LBB111_2982
; %bb.2981:
	s_mov_b32 s0, 0
	v_cndmask_b32_e64 v5, 0, 1, s[16:17]
	v_mov_b32_e32 v6, s0
	global_store_dwordx2 v[3:4], v[5:6], off
	s_mov_b64 s[0:1], 0
	s_mov_b64 s[6:7], -1
.LBB111_2982:
	s_mov_b64 s[20:21], 0
.LBB111_2983:
	s_and_b64 vcc, exec, s[20:21]
	s_cbranch_vccz .LBB111_2999
; %bb.2984:
	s_cmp_lt_i32 s24, 27
	s_mov_b64 s[6:7], -1
	s_cbranch_scc1 .LBB111_2990
; %bb.2985:
	s_cmp_gt_i32 s24, 27
	s_cbranch_scc0 .LBB111_2987
; %bb.2986:
	v_cndmask_b32_e64 v1, 0, 1, s[16:17]
	s_mov_b64 s[6:7], 0
	global_store_dword v[3:4], v1, off
.LBB111_2987:
	s_andn2_b64 vcc, exec, s[6:7]
	s_cbranch_vccnz .LBB111_2989
; %bb.2988:
	v_cndmask_b32_e64 v1, 0, 1, s[16:17]
	global_store_short v[3:4], v1, off
.LBB111_2989:
	s_mov_b64 s[6:7], 0
.LBB111_2990:
	s_andn2_b64 vcc, exec, s[6:7]
	s_cbranch_vccnz .LBB111_2998
; %bb.2991:
	v_cndmask_b32_e64 v5, 0, 1.0, s[16:17]
	s_mov_b32 s6, 0x43800000
	v_cmp_gt_u32_e32 vcc, s6, v5
	v_mov_b32_e32 v6, 0x80
	s_and_saveexec_b64 s[6:7], vcc
	s_cbranch_execz .LBB111_2997
; %bb.2992:
	s_mov_b32 s20, 0x3bffffff
	v_cmp_lt_u32_e32 vcc, s20, v5
	s_mov_b64 s[20:21], 0
                                        ; implicit-def: $vgpr1
	s_and_saveexec_b64 s[22:23], vcc
	s_xor_b64 s[22:23], exec, s[22:23]
	s_cbranch_execz .LBB111_3288
; %bb.2993:
	v_bfe_u32 v1, v5, 20, 1
	s_mov_b32 s25, 0x487ffff
	v_add3_u32 v1, v5, v1, s25
	s_mov_b64 s[20:21], exec
	v_lshrrev_b32_e32 v1, 20, v1
                                        ; implicit-def: $vgpr5
	s_andn2_saveexec_b64 s[22:23], s[22:23]
	s_cbranch_execnz .LBB111_3289
.LBB111_2994:
	s_or_b64 exec, exec, s[22:23]
	v_mov_b32_e32 v6, 0
	s_and_saveexec_b64 s[22:23], s[20:21]
.LBB111_2995:
	v_mov_b32_e32 v6, v1
.LBB111_2996:
	s_or_b64 exec, exec, s[22:23]
.LBB111_2997:
	s_or_b64 exec, exec, s[6:7]
	global_store_byte v[3:4], v6, off
.LBB111_2998:
	s_mov_b64 s[6:7], -1
.LBB111_2999:
	s_mov_b64 s[20:21], 0
.LBB111_3000:
	s_and_b64 vcc, exec, s[20:21]
	s_cbranch_vccz .LBB111_3040
; %bb.3001:
	s_cmp_gt_i32 s24, 22
	s_mov_b64 s[2:3], -1
	s_cbranch_scc0 .LBB111_3033
; %bb.3002:
	s_cmp_lt_i32 s24, 24
	s_cbranch_scc1 .LBB111_3022
; %bb.3003:
	s_cmp_gt_i32 s24, 24
	s_cbranch_scc0 .LBB111_3011
; %bb.3004:
	v_cndmask_b32_e64 v5, 0, 1.0, s[16:17]
	s_mov_b32 s2, 0x47800000
	v_cmp_gt_u32_e32 vcc, s2, v5
	v_mov_b32_e32 v6, 0x80
	s_and_saveexec_b64 s[2:3], vcc
	s_cbranch_execz .LBB111_3010
; %bb.3005:
	s_mov_b32 s6, 0x37ffffff
	v_cmp_lt_u32_e32 vcc, s6, v5
	s_mov_b64 s[6:7], 0
                                        ; implicit-def: $vgpr1
	s_and_saveexec_b64 s[20:21], vcc
	s_xor_b64 s[20:21], exec, s[20:21]
	s_cbranch_execz .LBB111_3291
; %bb.3006:
	v_bfe_u32 v1, v5, 21, 1
	s_mov_b32 s22, 0x88fffff
	v_add3_u32 v1, v5, v1, s22
	s_mov_b64 s[6:7], exec
	v_lshrrev_b32_e32 v1, 21, v1
                                        ; implicit-def: $vgpr5
	s_andn2_saveexec_b64 s[20:21], s[20:21]
	s_cbranch_execnz .LBB111_3292
.LBB111_3007:
	s_or_b64 exec, exec, s[20:21]
	v_mov_b32_e32 v6, 0
	s_and_saveexec_b64 s[20:21], s[6:7]
.LBB111_3008:
	v_mov_b32_e32 v6, v1
.LBB111_3009:
	s_or_b64 exec, exec, s[20:21]
.LBB111_3010:
	s_or_b64 exec, exec, s[2:3]
	s_mov_b64 s[2:3], 0
	global_store_byte v[3:4], v6, off
.LBB111_3011:
	s_and_b64 vcc, exec, s[2:3]
	s_cbranch_vccz .LBB111_3021
; %bb.3012:
	v_cndmask_b32_e64 v1, 0, 1.0, s[16:17]
	s_mov_b32 s2, 0x43f00000
	v_cmp_gt_u32_e32 vcc, s2, v1
                                        ; implicit-def: $vgpr5
	s_and_saveexec_b64 s[2:3], vcc
	s_xor_b64 s[2:3], exec, s[2:3]
	s_cbranch_execz .LBB111_3018
; %bb.3013:
	s_mov_b32 s6, 0x3c7fffff
	v_cmp_lt_u32_e32 vcc, s6, v1
                                        ; implicit-def: $vgpr5
	s_and_saveexec_b64 s[6:7], vcc
	s_xor_b64 s[6:7], exec, s[6:7]
; %bb.3014:
	v_bfe_u32 v5, v1, 20, 1
	s_mov_b32 s20, 0x407ffff
	v_add3_u32 v1, v1, v5, s20
	v_lshrrev_b32_e32 v5, 20, v1
	v_and_b32_e32 v1, 0xff00000, v1
	s_mov_b32 s20, 0x7f00000
	v_mov_b32_e32 v6, 0x7e
	v_cmp_ne_u32_e32 vcc, s20, v1
	v_cndmask_b32_e32 v5, v6, v5, vcc
                                        ; implicit-def: $vgpr1
; %bb.3015:
	s_andn2_saveexec_b64 s[6:7], s[6:7]
; %bb.3016:
	v_add_f32_e32 v5, 0x46800000, v1
; %bb.3017:
	s_or_b64 exec, exec, s[6:7]
                                        ; implicit-def: $vgpr1
.LBB111_3018:
	s_andn2_saveexec_b64 s[2:3], s[2:3]
; %bb.3019:
	s_mov_b32 s6, 0x7f800000
	v_mov_b32_e32 v5, 0x7e
	v_mov_b32_e32 v6, 0x7f
	v_cmp_lt_u32_e32 vcc, s6, v1
	v_cndmask_b32_e32 v5, v5, v6, vcc
; %bb.3020:
	s_or_b64 exec, exec, s[2:3]
	global_store_byte v[3:4], v5, off
.LBB111_3021:
	s_mov_b64 s[2:3], 0
.LBB111_3022:
	s_andn2_b64 vcc, exec, s[2:3]
	s_cbranch_vccnz .LBB111_3032
; %bb.3023:
	v_cndmask_b32_e64 v1, 0, 1.0, s[16:17]
	s_mov_b32 s2, 0x47800000
	v_cmp_gt_u32_e32 vcc, s2, v1
                                        ; implicit-def: $vgpr5
	s_and_saveexec_b64 s[2:3], vcc
	s_xor_b64 s[2:3], exec, s[2:3]
	s_cbranch_execz .LBB111_3029
; %bb.3024:
	s_mov_b32 s6, 0x387fffff
	v_cmp_lt_u32_e32 vcc, s6, v1
                                        ; implicit-def: $vgpr5
	s_and_saveexec_b64 s[6:7], vcc
	s_xor_b64 s[6:7], exec, s[6:7]
; %bb.3025:
	v_bfe_u32 v5, v1, 21, 1
	s_mov_b32 s20, 0x80fffff
	v_add3_u32 v1, v1, v5, s20
	v_lshrrev_b32_e32 v5, 21, v1
                                        ; implicit-def: $vgpr1
; %bb.3026:
	s_andn2_saveexec_b64 s[6:7], s[6:7]
; %bb.3027:
	v_add_f32_e32 v5, 0x43000000, v1
; %bb.3028:
	s_or_b64 exec, exec, s[6:7]
                                        ; implicit-def: $vgpr1
.LBB111_3029:
	s_andn2_saveexec_b64 s[2:3], s[2:3]
; %bb.3030:
	s_mov_b32 s6, 0x7f800000
	v_mov_b32_e32 v5, 0x7c
	v_mov_b32_e32 v6, 0x7f
	v_cmp_lt_u32_e32 vcc, s6, v1
	v_cndmask_b32_e32 v5, v5, v6, vcc
; %bb.3031:
	s_or_b64 exec, exec, s[2:3]
	global_store_byte v[3:4], v5, off
.LBB111_3032:
	s_mov_b64 s[2:3], 0
	s_mov_b64 s[6:7], -1
.LBB111_3033:
	s_andn2_b64 vcc, exec, s[2:3]
	s_mov_b64 s[2:3], 0
	s_cbranch_vccnz .LBB111_3040
; %bb.3034:
	s_cmp_gt_i32 s24, 14
	s_mov_b64 s[20:21], -1
	s_cbranch_scc0 .LBB111_3038
; %bb.3035:
	s_cmp_eq_u32 s24, 15
	s_mov_b64 s[0:1], -1
	s_cbranch_scc0 .LBB111_3037
; %bb.3036:
	v_cndmask_b32_e64 v1, 0, 1.0, s[16:17]
	v_bfe_u32 v5, v1, 16, 1
	s_movk_i32 s0, 0x7fff
	v_add3_u32 v1, v1, v5, s0
	global_store_short_d16_hi v[3:4], v1, off
	s_mov_b64 s[0:1], 0
	s_mov_b64 s[6:7], -1
.LBB111_3037:
	s_mov_b64 s[20:21], 0
.LBB111_3038:
	s_and_b64 vcc, exec, s[20:21]
	s_cbranch_vccz .LBB111_3040
; %bb.3039:
	s_cmp_lg_u32 s24, 11
	s_mov_b64 s[2:3], -1
	s_cselect_b64 s[0:1], -1, 0
.LBB111_3040:
	s_and_b64 vcc, exec, s[0:1]
	s_cbranch_vccnz .LBB111_3290
; %bb.3041:
	s_andn2_b64 vcc, exec, s[2:3]
	s_cbranch_vccnz .LBB111_3043
.LBB111_3042:
	v_cndmask_b32_e64 v1, 0, 1, s[16:17]
	s_mov_b64 s[6:7], -1
	global_store_byte v[3:4], v1, off
.LBB111_3043:
	s_mov_b64 s[0:1], 0
	s_branch .LBB111_3045
.LBB111_3044:
	s_mov_b64 s[0:1], -1
	s_mov_b64 s[6:7], 0
.LBB111_3045:
	s_and_b64 vcc, exec, s[0:1]
	s_cbranch_vccz .LBB111_3084
; %bb.3046:
	s_cmp_lt_i32 s24, 5
	s_mov_b64 s[0:1], -1
	s_cbranch_scc1 .LBB111_3067
; %bb.3047:
	s_cmp_lt_i32 s24, 8
	s_cbranch_scc1 .LBB111_3057
; %bb.3048:
	s_cmp_lt_i32 s24, 9
	s_cbranch_scc1 .LBB111_3054
; %bb.3049:
	s_cmp_gt_i32 s24, 9
	s_cbranch_scc0 .LBB111_3051
; %bb.3050:
	v_cndmask_b32_e64 v1, 0, 1, s[16:17]
	v_cvt_f64_u32_e32 v[5:6], v1
	v_mov_b32_e32 v7, 0
	v_mov_b32_e32 v8, v7
	s_mov_b64 s[0:1], 0
	global_store_dwordx4 v[3:4], v[5:8], off
.LBB111_3051:
	s_andn2_b64 vcc, exec, s[0:1]
	s_cbranch_vccnz .LBB111_3053
; %bb.3052:
	v_cndmask_b32_e64 v5, 0, 1.0, s[16:17]
	v_mov_b32_e32 v6, 0
	global_store_dwordx2 v[3:4], v[5:6], off
.LBB111_3053:
	s_mov_b64 s[0:1], 0
.LBB111_3054:
	s_andn2_b64 vcc, exec, s[0:1]
	s_cbranch_vccnz .LBB111_3056
; %bb.3055:
	v_cndmask_b32_e64 v1, 0, 1.0, s[16:17]
	v_cvt_f16_f32_e32 v1, v1
	global_store_dword v[3:4], v1, off
.LBB111_3056:
	s_mov_b64 s[0:1], 0
.LBB111_3057:
	s_andn2_b64 vcc, exec, s[0:1]
	s_cbranch_vccnz .LBB111_3066
; %bb.3058:
	s_cmp_lt_i32 s24, 6
	s_mov_b64 s[0:1], -1
	s_cbranch_scc1 .LBB111_3064
; %bb.3059:
	s_cmp_gt_i32 s24, 6
	s_cbranch_scc0 .LBB111_3061
; %bb.3060:
	v_cndmask_b32_e64 v1, 0, 1, s[16:17]
	v_cvt_f64_u32_e32 v[5:6], v1
	s_mov_b64 s[0:1], 0
	global_store_dwordx2 v[3:4], v[5:6], off
.LBB111_3061:
	s_andn2_b64 vcc, exec, s[0:1]
	s_cbranch_vccnz .LBB111_3063
; %bb.3062:
	v_cndmask_b32_e64 v1, 0, 1.0, s[16:17]
	global_store_dword v[3:4], v1, off
.LBB111_3063:
	s_mov_b64 s[0:1], 0
.LBB111_3064:
	s_andn2_b64 vcc, exec, s[0:1]
	s_cbranch_vccnz .LBB111_3066
; %bb.3065:
	v_cndmask_b32_e64 v1, 0, 1.0, s[16:17]
	v_cvt_f16_f32_e32 v1, v1
	global_store_short v[3:4], v1, off
.LBB111_3066:
	s_mov_b64 s[0:1], 0
.LBB111_3067:
	s_andn2_b64 vcc, exec, s[0:1]
	s_cbranch_vccnz .LBB111_3083
; %bb.3068:
	s_cmp_lt_i32 s24, 2
	s_mov_b64 s[0:1], -1
	s_cbranch_scc1 .LBB111_3078
; %bb.3069:
	s_cmp_lt_i32 s24, 3
	s_cbranch_scc1 .LBB111_3075
; %bb.3070:
	s_cmp_gt_i32 s24, 3
	s_cbranch_scc0 .LBB111_3072
; %bb.3071:
	s_mov_b32 s0, 0
	v_cndmask_b32_e64 v5, 0, 1, s[16:17]
	v_mov_b32_e32 v6, s0
	global_store_dwordx2 v[3:4], v[5:6], off
	s_mov_b64 s[0:1], 0
.LBB111_3072:
	s_andn2_b64 vcc, exec, s[0:1]
	s_cbranch_vccnz .LBB111_3074
; %bb.3073:
	v_cndmask_b32_e64 v1, 0, 1, s[16:17]
	global_store_dword v[3:4], v1, off
.LBB111_3074:
	s_mov_b64 s[0:1], 0
.LBB111_3075:
	s_andn2_b64 vcc, exec, s[0:1]
	s_cbranch_vccnz .LBB111_3077
; %bb.3076:
	v_cndmask_b32_e64 v1, 0, 1, s[16:17]
	global_store_short v[3:4], v1, off
.LBB111_3077:
	s_mov_b64 s[0:1], 0
.LBB111_3078:
	s_andn2_b64 vcc, exec, s[0:1]
	s_cbranch_vccnz .LBB111_3083
; %bb.3079:
	s_mov_b64 s[0:1], -1
	s_cmp_gt_i32 s24, 0
	v_cndmask_b32_e64 v1, 0, 1, s[16:17]
	s_cbranch_scc0 .LBB111_3081
; %bb.3080:
	global_store_byte v[3:4], v1, off
	s_mov_b64 s[0:1], 0
.LBB111_3081:
	s_andn2_b64 vcc, exec, s[0:1]
	s_cbranch_vccnz .LBB111_3083
; %bb.3082:
	global_store_byte v[3:4], v1, off
.LBB111_3083:
	s_mov_b64 s[6:7], -1
.LBB111_3084:
	s_andn2_b64 vcc, exec, s[6:7]
	s_cbranch_vccnz .LBB111_3280
; %bb.3085:
	v_mov_b32_e32 v3, s9
	v_add_co_u32_e32 v1, vcc, s8, v2
	s_cmp_lt_i32 s24, 11
	v_addc_co_u32_e32 v2, vcc, 0, v3, vcc
	s_cbranch_scc1 .LBB111_3163
; %bb.3086:
	s_mov_b64 s[16:17], -1
	s_mov_b64 s[2:3], 0
	s_cmp_gt_i32 s24, 25
	s_mov_b64 s[6:7], 0
	s_mov_b64 s[0:1], 0
	s_cbranch_scc0 .LBB111_3119
; %bb.3087:
	s_cmp_gt_i32 s24, 28
	s_cbranch_scc0 .LBB111_3102
; %bb.3088:
	s_cmp_gt_i32 s24, 43
	;; [unrolled: 3-line block ×3, first 2 shown]
	s_cbranch_scc0 .LBB111_3092
; %bb.3090:
	s_mov_b64 s[0:1], -1
	s_mov_b64 s[16:17], 0
	s_cmp_eq_u32 s24, 46
	s_cbranch_scc0 .LBB111_3092
; %bb.3091:
	v_cndmask_b32_e64 v3, 0, 1.0, s[18:19]
	v_bfe_u32 v4, v3, 16, 1
	s_movk_i32 s0, 0x7fff
	v_add3_u32 v3, v3, v4, s0
	v_lshrrev_b32_e32 v3, 16, v3
	global_store_dword v[1:2], v3, off
	s_mov_b64 s[0:1], 0
	s_mov_b64 s[6:7], -1
.LBB111_3092:
	s_and_b64 vcc, exec, s[16:17]
	s_cbranch_vccz .LBB111_3097
; %bb.3093:
	s_cmp_eq_u32 s24, 44
	s_mov_b64 s[0:1], -1
	s_cbranch_scc0 .LBB111_3097
; %bb.3094:
	v_cndmask_b32_e64 v4, 0, 1.0, s[18:19]
	v_lshrrev_b32_e32 v3, 23, v4
	s_movk_i32 s0, 0xff
	v_cmp_ne_u32_e32 vcc, s0, v3
	v_mov_b32_e32 v5, 0xff
	s_and_saveexec_b64 s[6:7], vcc
; %bb.3095:
	s_mov_b32 s0, 0x3fffff
	v_and_b32_e32 v5, 0x400000, v4
	v_and_or_b32 v4, v4, s0, v3
	v_cmp_ne_u32_e32 vcc, 0, v5
	v_cmp_ne_u32_e64 s[0:1], 0, v4
	s_and_b64 s[0:1], vcc, s[0:1]
	v_cndmask_b32_e64 v4, 0, 1, s[0:1]
	v_add_u32_e32 v5, v3, v4
; %bb.3096:
	s_or_b64 exec, exec, s[6:7]
	s_mov_b64 s[0:1], 0
	s_mov_b64 s[6:7], -1
	global_store_byte v[1:2], v5, off
.LBB111_3097:
	s_mov_b64 s[16:17], 0
.LBB111_3098:
	s_and_b64 vcc, exec, s[16:17]
	s_cbranch_vccz .LBB111_3101
; %bb.3099:
	s_cmp_eq_u32 s24, 29
	s_mov_b64 s[0:1], -1
	s_cbranch_scc0 .LBB111_3101
; %bb.3100:
	s_mov_b32 s0, 0
	v_cndmask_b32_e64 v3, 0, 1, s[18:19]
	v_mov_b32_e32 v4, s0
	global_store_dwordx2 v[1:2], v[3:4], off
	s_mov_b64 s[0:1], 0
	s_mov_b64 s[6:7], -1
.LBB111_3101:
	s_mov_b64 s[16:17], 0
.LBB111_3102:
	s_and_b64 vcc, exec, s[16:17]
	s_cbranch_vccz .LBB111_3118
; %bb.3103:
	s_cmp_lt_i32 s24, 27
	s_mov_b64 s[6:7], -1
	s_cbranch_scc1 .LBB111_3109
; %bb.3104:
	s_cmp_gt_i32 s24, 27
	s_cbranch_scc0 .LBB111_3106
; %bb.3105:
	v_cndmask_b32_e64 v3, 0, 1, s[18:19]
	s_mov_b64 s[6:7], 0
	global_store_dword v[1:2], v3, off
.LBB111_3106:
	s_andn2_b64 vcc, exec, s[6:7]
	s_cbranch_vccnz .LBB111_3108
; %bb.3107:
	v_cndmask_b32_e64 v3, 0, 1, s[18:19]
	global_store_short v[1:2], v3, off
.LBB111_3108:
	s_mov_b64 s[6:7], 0
.LBB111_3109:
	s_andn2_b64 vcc, exec, s[6:7]
	s_cbranch_vccnz .LBB111_3117
; %bb.3110:
	v_cndmask_b32_e64 v4, 0, 1.0, s[18:19]
	s_mov_b32 s6, 0x43800000
	v_cmp_gt_u32_e32 vcc, s6, v4
	v_mov_b32_e32 v5, 0x80
	s_and_saveexec_b64 s[6:7], vcc
	s_cbranch_execz .LBB111_3116
; %bb.3111:
	s_mov_b32 s16, 0x3bffffff
	v_cmp_lt_u32_e32 vcc, s16, v4
	s_mov_b64 s[16:17], 0
                                        ; implicit-def: $vgpr3
	s_and_saveexec_b64 s[20:21], vcc
	s_xor_b64 s[20:21], exec, s[20:21]
	s_cbranch_execz .LBB111_3293
; %bb.3112:
	v_bfe_u32 v3, v4, 20, 1
	s_mov_b32 s22, 0x487ffff
	v_add3_u32 v3, v4, v3, s22
	s_mov_b64 s[16:17], exec
	v_lshrrev_b32_e32 v3, 20, v3
                                        ; implicit-def: $vgpr4
	s_andn2_saveexec_b64 s[20:21], s[20:21]
	s_cbranch_execnz .LBB111_3294
.LBB111_3113:
	s_or_b64 exec, exec, s[20:21]
	v_mov_b32_e32 v5, 0
	s_and_saveexec_b64 s[20:21], s[16:17]
.LBB111_3114:
	v_mov_b32_e32 v5, v3
.LBB111_3115:
	s_or_b64 exec, exec, s[20:21]
.LBB111_3116:
	s_or_b64 exec, exec, s[6:7]
	global_store_byte v[1:2], v5, off
.LBB111_3117:
	s_mov_b64 s[6:7], -1
.LBB111_3118:
	s_mov_b64 s[16:17], 0
.LBB111_3119:
	s_and_b64 vcc, exec, s[16:17]
	s_cbranch_vccz .LBB111_3159
; %bb.3120:
	s_cmp_gt_i32 s24, 22
	s_mov_b64 s[2:3], -1
	s_cbranch_scc0 .LBB111_3152
; %bb.3121:
	s_cmp_lt_i32 s24, 24
	s_cbranch_scc1 .LBB111_3141
; %bb.3122:
	s_cmp_gt_i32 s24, 24
	s_cbranch_scc0 .LBB111_3130
; %bb.3123:
	v_cndmask_b32_e64 v4, 0, 1.0, s[18:19]
	s_mov_b32 s2, 0x47800000
	v_cmp_gt_u32_e32 vcc, s2, v4
	v_mov_b32_e32 v5, 0x80
	s_and_saveexec_b64 s[2:3], vcc
	s_cbranch_execz .LBB111_3129
; %bb.3124:
	s_mov_b32 s6, 0x37ffffff
	v_cmp_lt_u32_e32 vcc, s6, v4
	s_mov_b64 s[6:7], 0
                                        ; implicit-def: $vgpr3
	s_and_saveexec_b64 s[16:17], vcc
	s_xor_b64 s[16:17], exec, s[16:17]
	s_cbranch_execz .LBB111_3296
; %bb.3125:
	v_bfe_u32 v3, v4, 21, 1
	s_mov_b32 s20, 0x88fffff
	v_add3_u32 v3, v4, v3, s20
	s_mov_b64 s[6:7], exec
	v_lshrrev_b32_e32 v3, 21, v3
                                        ; implicit-def: $vgpr4
	s_andn2_saveexec_b64 s[16:17], s[16:17]
	s_cbranch_execnz .LBB111_3297
.LBB111_3126:
	s_or_b64 exec, exec, s[16:17]
	v_mov_b32_e32 v5, 0
	s_and_saveexec_b64 s[16:17], s[6:7]
.LBB111_3127:
	v_mov_b32_e32 v5, v3
.LBB111_3128:
	s_or_b64 exec, exec, s[16:17]
.LBB111_3129:
	s_or_b64 exec, exec, s[2:3]
	s_mov_b64 s[2:3], 0
	global_store_byte v[1:2], v5, off
.LBB111_3130:
	s_and_b64 vcc, exec, s[2:3]
	s_cbranch_vccz .LBB111_3140
; %bb.3131:
	v_cndmask_b32_e64 v3, 0, 1.0, s[18:19]
	s_mov_b32 s2, 0x43f00000
	v_cmp_gt_u32_e32 vcc, s2, v3
                                        ; implicit-def: $vgpr4
	s_and_saveexec_b64 s[2:3], vcc
	s_xor_b64 s[2:3], exec, s[2:3]
	s_cbranch_execz .LBB111_3137
; %bb.3132:
	s_mov_b32 s6, 0x3c7fffff
	v_cmp_lt_u32_e32 vcc, s6, v3
                                        ; implicit-def: $vgpr4
	s_and_saveexec_b64 s[6:7], vcc
	s_xor_b64 s[6:7], exec, s[6:7]
; %bb.3133:
	v_bfe_u32 v4, v3, 20, 1
	s_mov_b32 s16, 0x407ffff
	v_add3_u32 v3, v3, v4, s16
	v_lshrrev_b32_e32 v4, 20, v3
	v_and_b32_e32 v3, 0xff00000, v3
	s_mov_b32 s16, 0x7f00000
	v_mov_b32_e32 v5, 0x7e
	v_cmp_ne_u32_e32 vcc, s16, v3
	v_cndmask_b32_e32 v4, v5, v4, vcc
                                        ; implicit-def: $vgpr3
; %bb.3134:
	s_andn2_saveexec_b64 s[6:7], s[6:7]
; %bb.3135:
	v_add_f32_e32 v4, 0x46800000, v3
; %bb.3136:
	s_or_b64 exec, exec, s[6:7]
                                        ; implicit-def: $vgpr3
.LBB111_3137:
	s_andn2_saveexec_b64 s[2:3], s[2:3]
; %bb.3138:
	s_mov_b32 s6, 0x7f800000
	v_mov_b32_e32 v4, 0x7e
	v_mov_b32_e32 v5, 0x7f
	v_cmp_lt_u32_e32 vcc, s6, v3
	v_cndmask_b32_e32 v4, v4, v5, vcc
; %bb.3139:
	s_or_b64 exec, exec, s[2:3]
	global_store_byte v[1:2], v4, off
.LBB111_3140:
	s_mov_b64 s[2:3], 0
.LBB111_3141:
	s_andn2_b64 vcc, exec, s[2:3]
	s_cbranch_vccnz .LBB111_3151
; %bb.3142:
	v_cndmask_b32_e64 v3, 0, 1.0, s[18:19]
	s_mov_b32 s2, 0x47800000
	v_cmp_gt_u32_e32 vcc, s2, v3
                                        ; implicit-def: $vgpr4
	s_and_saveexec_b64 s[2:3], vcc
	s_xor_b64 s[2:3], exec, s[2:3]
	s_cbranch_execz .LBB111_3148
; %bb.3143:
	s_mov_b32 s6, 0x387fffff
	v_cmp_lt_u32_e32 vcc, s6, v3
                                        ; implicit-def: $vgpr4
	s_and_saveexec_b64 s[6:7], vcc
	s_xor_b64 s[6:7], exec, s[6:7]
; %bb.3144:
	v_bfe_u32 v4, v3, 21, 1
	s_mov_b32 s16, 0x80fffff
	v_add3_u32 v3, v3, v4, s16
	v_lshrrev_b32_e32 v4, 21, v3
                                        ; implicit-def: $vgpr3
; %bb.3145:
	s_andn2_saveexec_b64 s[6:7], s[6:7]
; %bb.3146:
	v_add_f32_e32 v4, 0x43000000, v3
; %bb.3147:
	s_or_b64 exec, exec, s[6:7]
                                        ; implicit-def: $vgpr3
.LBB111_3148:
	s_andn2_saveexec_b64 s[2:3], s[2:3]
; %bb.3149:
	s_mov_b32 s6, 0x7f800000
	v_mov_b32_e32 v4, 0x7c
	v_mov_b32_e32 v5, 0x7f
	v_cmp_lt_u32_e32 vcc, s6, v3
	v_cndmask_b32_e32 v4, v4, v5, vcc
; %bb.3150:
	s_or_b64 exec, exec, s[2:3]
	global_store_byte v[1:2], v4, off
.LBB111_3151:
	s_mov_b64 s[2:3], 0
	s_mov_b64 s[6:7], -1
.LBB111_3152:
	s_andn2_b64 vcc, exec, s[2:3]
	s_mov_b64 s[2:3], 0
	s_cbranch_vccnz .LBB111_3159
; %bb.3153:
	s_cmp_gt_i32 s24, 14
	s_mov_b64 s[16:17], -1
	s_cbranch_scc0 .LBB111_3157
; %bb.3154:
	s_cmp_eq_u32 s24, 15
	s_mov_b64 s[0:1], -1
	s_cbranch_scc0 .LBB111_3156
; %bb.3155:
	v_cndmask_b32_e64 v3, 0, 1.0, s[18:19]
	v_bfe_u32 v4, v3, 16, 1
	s_movk_i32 s0, 0x7fff
	v_add3_u32 v3, v3, v4, s0
	global_store_short_d16_hi v[1:2], v3, off
	s_mov_b64 s[0:1], 0
	s_mov_b64 s[6:7], -1
.LBB111_3156:
	s_mov_b64 s[16:17], 0
.LBB111_3157:
	s_and_b64 vcc, exec, s[16:17]
	s_cbranch_vccz .LBB111_3159
; %bb.3158:
	s_cmp_lg_u32 s24, 11
	s_mov_b64 s[2:3], -1
	s_cselect_b64 s[0:1], -1, 0
.LBB111_3159:
	s_and_b64 vcc, exec, s[0:1]
	s_cbranch_vccnz .LBB111_3295
; %bb.3160:
	s_andn2_b64 vcc, exec, s[2:3]
	s_cbranch_vccnz .LBB111_3162
.LBB111_3161:
	v_cndmask_b32_e64 v3, 0, 1, s[18:19]
	s_mov_b64 s[6:7], -1
	global_store_byte v[1:2], v3, off
.LBB111_3162:
	s_mov_b64 s[0:1], 0
	s_branch .LBB111_3164
.LBB111_3163:
	s_mov_b64 s[0:1], -1
	s_mov_b64 s[6:7], 0
.LBB111_3164:
	s_and_b64 vcc, exec, s[0:1]
	s_cbranch_vccz .LBB111_3203
; %bb.3165:
	s_cmp_lt_i32 s24, 5
	s_mov_b64 s[0:1], -1
	s_cbranch_scc1 .LBB111_3186
; %bb.3166:
	s_cmp_lt_i32 s24, 8
	s_cbranch_scc1 .LBB111_3176
; %bb.3167:
	s_cmp_lt_i32 s24, 9
	s_cbranch_scc1 .LBB111_3173
; %bb.3168:
	s_cmp_gt_i32 s24, 9
	s_cbranch_scc0 .LBB111_3170
; %bb.3169:
	v_cndmask_b32_e64 v3, 0, 1, s[18:19]
	v_cvt_f64_u32_e32 v[3:4], v3
	v_mov_b32_e32 v5, 0
	v_mov_b32_e32 v6, v5
	s_mov_b64 s[0:1], 0
	global_store_dwordx4 v[1:2], v[3:6], off
.LBB111_3170:
	s_andn2_b64 vcc, exec, s[0:1]
	s_cbranch_vccnz .LBB111_3172
; %bb.3171:
	v_cndmask_b32_e64 v3, 0, 1.0, s[18:19]
	v_mov_b32_e32 v4, 0
	global_store_dwordx2 v[1:2], v[3:4], off
.LBB111_3172:
	s_mov_b64 s[0:1], 0
.LBB111_3173:
	s_andn2_b64 vcc, exec, s[0:1]
	s_cbranch_vccnz .LBB111_3175
; %bb.3174:
	v_cndmask_b32_e64 v3, 0, 1.0, s[18:19]
	v_cvt_f16_f32_e32 v3, v3
	global_store_dword v[1:2], v3, off
.LBB111_3175:
	s_mov_b64 s[0:1], 0
.LBB111_3176:
	s_andn2_b64 vcc, exec, s[0:1]
	s_cbranch_vccnz .LBB111_3185
; %bb.3177:
	s_cmp_lt_i32 s24, 6
	s_mov_b64 s[0:1], -1
	s_cbranch_scc1 .LBB111_3183
; %bb.3178:
	s_cmp_gt_i32 s24, 6
	s_cbranch_scc0 .LBB111_3180
; %bb.3179:
	v_cndmask_b32_e64 v3, 0, 1, s[18:19]
	v_cvt_f64_u32_e32 v[3:4], v3
	s_mov_b64 s[0:1], 0
	global_store_dwordx2 v[1:2], v[3:4], off
.LBB111_3180:
	s_andn2_b64 vcc, exec, s[0:1]
	s_cbranch_vccnz .LBB111_3182
; %bb.3181:
	v_cndmask_b32_e64 v3, 0, 1.0, s[18:19]
	global_store_dword v[1:2], v3, off
.LBB111_3182:
	s_mov_b64 s[0:1], 0
.LBB111_3183:
	s_andn2_b64 vcc, exec, s[0:1]
	s_cbranch_vccnz .LBB111_3185
; %bb.3184:
	v_cndmask_b32_e64 v3, 0, 1.0, s[18:19]
	v_cvt_f16_f32_e32 v3, v3
	global_store_short v[1:2], v3, off
.LBB111_3185:
	s_mov_b64 s[0:1], 0
.LBB111_3186:
	s_andn2_b64 vcc, exec, s[0:1]
	s_cbranch_vccnz .LBB111_3202
; %bb.3187:
	s_cmp_lt_i32 s24, 2
	s_mov_b64 s[0:1], -1
	s_cbranch_scc1 .LBB111_3197
; %bb.3188:
	s_cmp_lt_i32 s24, 3
	s_cbranch_scc1 .LBB111_3194
; %bb.3189:
	s_cmp_gt_i32 s24, 3
	s_cbranch_scc0 .LBB111_3191
; %bb.3190:
	s_mov_b32 s0, 0
	v_cndmask_b32_e64 v3, 0, 1, s[18:19]
	v_mov_b32_e32 v4, s0
	global_store_dwordx2 v[1:2], v[3:4], off
	s_mov_b64 s[0:1], 0
.LBB111_3191:
	s_andn2_b64 vcc, exec, s[0:1]
	s_cbranch_vccnz .LBB111_3193
; %bb.3192:
	v_cndmask_b32_e64 v3, 0, 1, s[18:19]
	global_store_dword v[1:2], v3, off
.LBB111_3193:
	s_mov_b64 s[0:1], 0
.LBB111_3194:
	s_andn2_b64 vcc, exec, s[0:1]
	s_cbranch_vccnz .LBB111_3196
; %bb.3195:
	v_cndmask_b32_e64 v3, 0, 1, s[18:19]
	global_store_short v[1:2], v3, off
.LBB111_3196:
	s_mov_b64 s[0:1], 0
.LBB111_3197:
	s_andn2_b64 vcc, exec, s[0:1]
	s_cbranch_vccnz .LBB111_3202
; %bb.3198:
	s_cmp_gt_i32 s24, 0
	s_mov_b64 s[0:1], -1
	s_cbranch_scc0 .LBB111_3200
; %bb.3199:
	v_cndmask_b32_e64 v3, 0, 1, s[18:19]
	global_store_byte v[1:2], v3, off
	s_mov_b64 s[0:1], 0
.LBB111_3200:
	s_andn2_b64 vcc, exec, s[0:1]
	s_cbranch_vccnz .LBB111_3202
; %bb.3201:
	v_cndmask_b32_e64 v3, 0, 1, s[18:19]
	global_store_byte v[1:2], v3, off
.LBB111_3202:
	s_mov_b64 s[6:7], -1
.LBB111_3203:
	s_andn2_b64 vcc, exec, s[6:7]
	s_cbranch_vccnz .LBB111_3280
; %bb.3204:
	v_mov_b32_e32 v1, s9
	v_add_co_u32_e32 v0, vcc, s8, v0
	s_cmp_lt_i32 s24, 11
	v_addc_co_u32_e32 v1, vcc, 0, v1, vcc
	s_cbranch_scc1 .LBB111_3281
; %bb.3205:
	s_mov_b64 s[6:7], -1
	s_mov_b64 s[2:3], 0
	s_cmp_gt_i32 s24, 25
	s_mov_b64 s[0:1], 0
	s_cbranch_scc0 .LBB111_3238
; %bb.3206:
	s_cmp_gt_i32 s24, 28
	s_cbranch_scc0 .LBB111_3222
; %bb.3207:
	s_cmp_gt_i32 s24, 43
	;; [unrolled: 3-line block ×3, first 2 shown]
	s_cbranch_scc0 .LBB111_3212
; %bb.3209:
	s_cmp_eq_u32 s24, 46
	s_mov_b64 s[0:1], -1
	s_cbranch_scc0 .LBB111_3211
; %bb.3210:
	v_cndmask_b32_e64 v2, 0, 1.0, s[10:11]
	v_bfe_u32 v3, v2, 16, 1
	s_movk_i32 s0, 0x7fff
	v_add3_u32 v2, v2, v3, s0
	v_lshrrev_b32_e32 v2, 16, v2
	global_store_dword v[0:1], v2, off
	s_mov_b64 s[0:1], 0
.LBB111_3211:
	s_mov_b64 s[6:7], 0
.LBB111_3212:
	s_and_b64 vcc, exec, s[6:7]
	s_cbranch_vccz .LBB111_3217
; %bb.3213:
	s_cmp_eq_u32 s24, 44
	s_mov_b64 s[0:1], -1
	s_cbranch_scc0 .LBB111_3217
; %bb.3214:
	v_cndmask_b32_e64 v3, 0, 1.0, s[10:11]
	v_lshrrev_b32_e32 v2, 23, v3
	s_movk_i32 s0, 0xff
	v_cmp_ne_u32_e32 vcc, s0, v2
	v_mov_b32_e32 v4, 0xff
	s_and_saveexec_b64 s[6:7], vcc
; %bb.3215:
	s_mov_b32 s0, 0x3fffff
	v_and_b32_e32 v4, 0x400000, v3
	v_and_or_b32 v3, v3, s0, v2
	v_cmp_ne_u32_e32 vcc, 0, v4
	v_cmp_ne_u32_e64 s[0:1], 0, v3
	s_and_b64 s[0:1], vcc, s[0:1]
	v_cndmask_b32_e64 v3, 0, 1, s[0:1]
	v_add_u32_e32 v4, v2, v3
; %bb.3216:
	s_or_b64 exec, exec, s[6:7]
	s_mov_b64 s[0:1], 0
	global_store_byte v[0:1], v4, off
.LBB111_3217:
	s_mov_b64 s[6:7], 0
.LBB111_3218:
	s_and_b64 vcc, exec, s[6:7]
	s_cbranch_vccz .LBB111_3221
; %bb.3219:
	s_cmp_eq_u32 s24, 29
	s_mov_b64 s[0:1], -1
	s_cbranch_scc0 .LBB111_3221
; %bb.3220:
	s_mov_b32 s0, 0
	v_cndmask_b32_e64 v2, 0, 1, s[10:11]
	v_mov_b32_e32 v3, s0
	global_store_dwordx2 v[0:1], v[2:3], off
	s_mov_b64 s[0:1], 0
.LBB111_3221:
	s_mov_b64 s[6:7], 0
.LBB111_3222:
	s_and_b64 vcc, exec, s[6:7]
	s_cbranch_vccz .LBB111_3237
; %bb.3223:
	s_cmp_lt_i32 s24, 27
	s_mov_b64 s[6:7], -1
	s_cbranch_scc1 .LBB111_3229
; %bb.3224:
	s_cmp_gt_i32 s24, 27
	v_cndmask_b32_e64 v2, 0, 1, s[10:11]
	s_cbranch_scc0 .LBB111_3226
; %bb.3225:
	global_store_dword v[0:1], v2, off
	s_mov_b64 s[6:7], 0
.LBB111_3226:
	s_andn2_b64 vcc, exec, s[6:7]
	s_cbranch_vccnz .LBB111_3228
; %bb.3227:
	global_store_short v[0:1], v2, off
.LBB111_3228:
	s_mov_b64 s[6:7], 0
.LBB111_3229:
	s_andn2_b64 vcc, exec, s[6:7]
	s_cbranch_vccnz .LBB111_3237
; %bb.3230:
	v_cndmask_b32_e64 v3, 0, 1.0, s[10:11]
	s_mov_b32 s6, 0x43800000
	v_cmp_gt_u32_e32 vcc, s6, v3
	v_mov_b32_e32 v4, 0x80
	s_and_saveexec_b64 s[6:7], vcc
	s_cbranch_execz .LBB111_3236
; %bb.3231:
	s_mov_b32 s8, 0x3bffffff
	v_cmp_lt_u32_e32 vcc, s8, v3
	s_mov_b64 s[8:9], 0
                                        ; implicit-def: $vgpr2
	s_and_saveexec_b64 s[16:17], vcc
	s_xor_b64 s[16:17], exec, s[16:17]
	s_cbranch_execz .LBB111_3298
; %bb.3232:
	v_bfe_u32 v2, v3, 20, 1
	s_mov_b32 s18, 0x487ffff
	v_add3_u32 v2, v3, v2, s18
	s_mov_b64 s[8:9], exec
	v_lshrrev_b32_e32 v2, 20, v2
                                        ; implicit-def: $vgpr3
	s_andn2_saveexec_b64 s[16:17], s[16:17]
	s_cbranch_execnz .LBB111_3299
.LBB111_3233:
	s_or_b64 exec, exec, s[16:17]
	v_mov_b32_e32 v4, 0
	s_and_saveexec_b64 s[16:17], s[8:9]
.LBB111_3234:
	v_mov_b32_e32 v4, v2
.LBB111_3235:
	s_or_b64 exec, exec, s[16:17]
.LBB111_3236:
	s_or_b64 exec, exec, s[6:7]
	global_store_byte v[0:1], v4, off
.LBB111_3237:
	s_mov_b64 s[6:7], 0
.LBB111_3238:
	s_and_b64 vcc, exec, s[6:7]
	s_cbranch_vccz .LBB111_3278
; %bb.3239:
	s_cmp_gt_i32 s24, 22
	s_mov_b64 s[2:3], -1
	s_cbranch_scc0 .LBB111_3271
; %bb.3240:
	s_cmp_lt_i32 s24, 24
	s_cbranch_scc1 .LBB111_3260
; %bb.3241:
	s_cmp_gt_i32 s24, 24
	s_cbranch_scc0 .LBB111_3249
; %bb.3242:
	v_cndmask_b32_e64 v3, 0, 1.0, s[10:11]
	s_mov_b32 s2, 0x47800000
	v_cmp_gt_u32_e32 vcc, s2, v3
	v_mov_b32_e32 v4, 0x80
	s_and_saveexec_b64 s[2:3], vcc
	s_cbranch_execz .LBB111_3248
; %bb.3243:
	s_mov_b32 s6, 0x37ffffff
	v_cmp_lt_u32_e32 vcc, s6, v3
	s_mov_b64 s[6:7], 0
                                        ; implicit-def: $vgpr2
	s_and_saveexec_b64 s[8:9], vcc
	s_xor_b64 s[8:9], exec, s[8:9]
	s_cbranch_execz .LBB111_3301
; %bb.3244:
	v_bfe_u32 v2, v3, 21, 1
	s_mov_b32 s16, 0x88fffff
	v_add3_u32 v2, v3, v2, s16
	s_mov_b64 s[6:7], exec
	v_lshrrev_b32_e32 v2, 21, v2
                                        ; implicit-def: $vgpr3
	s_andn2_saveexec_b64 s[8:9], s[8:9]
	s_cbranch_execnz .LBB111_3302
.LBB111_3245:
	s_or_b64 exec, exec, s[8:9]
	v_mov_b32_e32 v4, 0
	s_and_saveexec_b64 s[8:9], s[6:7]
.LBB111_3246:
	v_mov_b32_e32 v4, v2
.LBB111_3247:
	s_or_b64 exec, exec, s[8:9]
.LBB111_3248:
	s_or_b64 exec, exec, s[2:3]
	s_mov_b64 s[2:3], 0
	global_store_byte v[0:1], v4, off
.LBB111_3249:
	s_and_b64 vcc, exec, s[2:3]
	s_cbranch_vccz .LBB111_3259
; %bb.3250:
	v_cndmask_b32_e64 v2, 0, 1.0, s[10:11]
	s_mov_b32 s2, 0x43f00000
	v_cmp_gt_u32_e32 vcc, s2, v2
                                        ; implicit-def: $vgpr3
	s_and_saveexec_b64 s[2:3], vcc
	s_xor_b64 s[2:3], exec, s[2:3]
	s_cbranch_execz .LBB111_3256
; %bb.3251:
	s_mov_b32 s6, 0x3c7fffff
	v_cmp_lt_u32_e32 vcc, s6, v2
                                        ; implicit-def: $vgpr3
	s_and_saveexec_b64 s[6:7], vcc
	s_xor_b64 s[6:7], exec, s[6:7]
; %bb.3252:
	v_bfe_u32 v3, v2, 20, 1
	s_mov_b32 s8, 0x407ffff
	v_add3_u32 v2, v2, v3, s8
	v_lshrrev_b32_e32 v3, 20, v2
	v_and_b32_e32 v2, 0xff00000, v2
	s_mov_b32 s8, 0x7f00000
	v_mov_b32_e32 v4, 0x7e
	v_cmp_ne_u32_e32 vcc, s8, v2
	v_cndmask_b32_e32 v3, v4, v3, vcc
                                        ; implicit-def: $vgpr2
; %bb.3253:
	s_andn2_saveexec_b64 s[6:7], s[6:7]
; %bb.3254:
	v_add_f32_e32 v3, 0x46800000, v2
; %bb.3255:
	s_or_b64 exec, exec, s[6:7]
                                        ; implicit-def: $vgpr2
.LBB111_3256:
	s_andn2_saveexec_b64 s[2:3], s[2:3]
; %bb.3257:
	s_mov_b32 s6, 0x7f800000
	v_mov_b32_e32 v3, 0x7e
	v_mov_b32_e32 v4, 0x7f
	v_cmp_lt_u32_e32 vcc, s6, v2
	v_cndmask_b32_e32 v3, v3, v4, vcc
; %bb.3258:
	s_or_b64 exec, exec, s[2:3]
	global_store_byte v[0:1], v3, off
.LBB111_3259:
	s_mov_b64 s[2:3], 0
.LBB111_3260:
	s_andn2_b64 vcc, exec, s[2:3]
	s_cbranch_vccnz .LBB111_3270
; %bb.3261:
	v_cndmask_b32_e64 v2, 0, 1.0, s[10:11]
	s_mov_b32 s2, 0x47800000
	v_cmp_gt_u32_e32 vcc, s2, v2
                                        ; implicit-def: $vgpr3
	s_and_saveexec_b64 s[2:3], vcc
	s_xor_b64 s[2:3], exec, s[2:3]
	s_cbranch_execz .LBB111_3267
; %bb.3262:
	s_mov_b32 s6, 0x387fffff
	v_cmp_lt_u32_e32 vcc, s6, v2
                                        ; implicit-def: $vgpr3
	s_and_saveexec_b64 s[6:7], vcc
	s_xor_b64 s[6:7], exec, s[6:7]
; %bb.3263:
	v_bfe_u32 v3, v2, 21, 1
	s_mov_b32 s8, 0x80fffff
	v_add3_u32 v2, v2, v3, s8
	v_lshrrev_b32_e32 v3, 21, v2
                                        ; implicit-def: $vgpr2
; %bb.3264:
	s_andn2_saveexec_b64 s[6:7], s[6:7]
; %bb.3265:
	v_add_f32_e32 v3, 0x43000000, v2
; %bb.3266:
	s_or_b64 exec, exec, s[6:7]
                                        ; implicit-def: $vgpr2
.LBB111_3267:
	s_andn2_saveexec_b64 s[2:3], s[2:3]
; %bb.3268:
	s_mov_b32 s6, 0x7f800000
	v_mov_b32_e32 v3, 0x7c
	v_mov_b32_e32 v4, 0x7f
	v_cmp_lt_u32_e32 vcc, s6, v2
	v_cndmask_b32_e32 v3, v3, v4, vcc
; %bb.3269:
	s_or_b64 exec, exec, s[2:3]
	global_store_byte v[0:1], v3, off
.LBB111_3270:
	s_mov_b64 s[2:3], 0
.LBB111_3271:
	s_andn2_b64 vcc, exec, s[2:3]
	s_mov_b64 s[2:3], 0
	s_cbranch_vccnz .LBB111_3278
; %bb.3272:
	s_cmp_gt_i32 s24, 14
	s_mov_b64 s[6:7], -1
	s_cbranch_scc0 .LBB111_3276
; %bb.3273:
	s_cmp_eq_u32 s24, 15
	s_mov_b64 s[0:1], -1
	s_cbranch_scc0 .LBB111_3275
; %bb.3274:
	v_cndmask_b32_e64 v2, 0, 1.0, s[10:11]
	v_bfe_u32 v3, v2, 16, 1
	s_movk_i32 s0, 0x7fff
	v_add3_u32 v2, v2, v3, s0
	global_store_short_d16_hi v[0:1], v2, off
	s_mov_b64 s[0:1], 0
.LBB111_3275:
	s_mov_b64 s[6:7], 0
.LBB111_3276:
	s_and_b64 vcc, exec, s[6:7]
	s_cbranch_vccz .LBB111_3278
; %bb.3277:
	s_cmp_lg_u32 s24, 11
	s_mov_b64 s[2:3], -1
	s_cselect_b64 s[0:1], -1, 0
.LBB111_3278:
	s_and_b64 vcc, exec, s[0:1]
	s_cbranch_vccnz .LBB111_3300
.LBB111_3279:
	s_mov_b64 s[0:1], 0
	s_branch .LBB111_2790
.LBB111_3280:
	s_mov_b64 s[0:1], 0
	s_branch .LBB111_2789
.LBB111_3281:
	s_mov_b64 s[2:3], 0
	s_mov_b64 s[0:1], -1
	s_branch .LBB111_2790
.LBB111_3282:
	s_trap 2
	s_or_b64 s[4:5], s[4:5], exec
	s_cbranch_execz .LBB111_2732
	s_branch .LBB111_2733
.LBB111_3283:
	s_andn2_saveexec_b64 s[24:25], s[24:25]
	s_cbranch_execz .LBB111_2873
.LBB111_3284:
	v_add_f32_e32 v1, 0x46000000, v3
	v_and_b32_e32 v1, 0xff, v1
	v_cmp_ne_u32_e32 vcc, 0, v1
	s_andn2_b64 s[22:23], s[22:23], exec
	s_and_b64 s[28:29], vcc, exec
	s_or_b64 s[22:23], s[22:23], s[28:29]
	s_or_b64 exec, exec, s[24:25]
	v_mov_b32_e32 v7, 0
	s_and_saveexec_b64 s[24:25], s[22:23]
	s_cbranch_execnz .LBB111_2874
	s_branch .LBB111_2875
.LBB111_3285:
	s_trap 2
	s_or_b64 s[4:5], s[4:5], exec
	s_cbranch_execz .LBB111_2921
	s_branch .LBB111_2922
.LBB111_3286:
	s_andn2_saveexec_b64 s[22:23], s[22:23]
	s_cbranch_execz .LBB111_2886
.LBB111_3287:
	v_add_f32_e32 v1, 0x42800000, v3
	v_and_b32_e32 v1, 0xff, v1
	v_cmp_ne_u32_e32 vcc, 0, v1
	s_andn2_b64 s[20:21], s[20:21], exec
	s_and_b64 s[24:25], vcc, exec
	s_or_b64 s[20:21], s[20:21], s[24:25]
	s_or_b64 exec, exec, s[22:23]
	v_mov_b32_e32 v7, 0
	s_and_saveexec_b64 s[22:23], s[20:21]
	s_cbranch_execnz .LBB111_2887
	s_branch .LBB111_2888
.LBB111_3288:
	s_andn2_saveexec_b64 s[22:23], s[22:23]
	s_cbranch_execz .LBB111_2994
.LBB111_3289:
	v_add_f32_e32 v1, 0x46000000, v5
	v_and_b32_e32 v1, 0xff, v1
	v_cmp_ne_u32_e32 vcc, 0, v1
	s_andn2_b64 s[20:21], s[20:21], exec
	s_and_b64 s[28:29], vcc, exec
	s_or_b64 s[20:21], s[20:21], s[28:29]
	s_or_b64 exec, exec, s[22:23]
	v_mov_b32_e32 v6, 0
	s_and_saveexec_b64 s[22:23], s[20:21]
	s_cbranch_execnz .LBB111_2995
	s_branch .LBB111_2996
.LBB111_3290:
	s_trap 2
	s_or_b64 s[4:5], s[4:5], exec
	s_cbranch_execz .LBB111_3042
	s_branch .LBB111_3043
.LBB111_3291:
	s_andn2_saveexec_b64 s[20:21], s[20:21]
	s_cbranch_execz .LBB111_3007
.LBB111_3292:
	v_add_f32_e32 v1, 0x42800000, v5
	v_and_b32_e32 v1, 0xff, v1
	v_cmp_ne_u32_e32 vcc, 0, v1
	s_andn2_b64 s[6:7], s[6:7], exec
	s_and_b64 s[22:23], vcc, exec
	s_or_b64 s[6:7], s[6:7], s[22:23]
	s_or_b64 exec, exec, s[20:21]
	v_mov_b32_e32 v6, 0
	s_and_saveexec_b64 s[20:21], s[6:7]
	s_cbranch_execnz .LBB111_3008
	s_branch .LBB111_3009
.LBB111_3293:
	s_andn2_saveexec_b64 s[20:21], s[20:21]
	s_cbranch_execz .LBB111_3113
.LBB111_3294:
	v_add_f32_e32 v3, 0x46000000, v4
	v_and_b32_e32 v3, 0xff, v3
	v_cmp_ne_u32_e32 vcc, 0, v3
	s_andn2_b64 s[16:17], s[16:17], exec
	s_and_b64 s[22:23], vcc, exec
	s_or_b64 s[16:17], s[16:17], s[22:23]
	s_or_b64 exec, exec, s[20:21]
	v_mov_b32_e32 v5, 0
	s_and_saveexec_b64 s[20:21], s[16:17]
	s_cbranch_execnz .LBB111_3114
	s_branch .LBB111_3115
.LBB111_3295:
	s_trap 2
	s_or_b64 s[4:5], s[4:5], exec
	s_cbranch_execz .LBB111_3161
	s_branch .LBB111_3162
.LBB111_3296:
	s_andn2_saveexec_b64 s[16:17], s[16:17]
	s_cbranch_execz .LBB111_3126
.LBB111_3297:
	v_add_f32_e32 v3, 0x42800000, v4
	v_and_b32_e32 v3, 0xff, v3
	v_cmp_ne_u32_e32 vcc, 0, v3
	s_andn2_b64 s[6:7], s[6:7], exec
	s_and_b64 s[20:21], vcc, exec
	s_or_b64 s[6:7], s[6:7], s[20:21]
	s_or_b64 exec, exec, s[16:17]
	v_mov_b32_e32 v5, 0
	s_and_saveexec_b64 s[16:17], s[6:7]
	s_cbranch_execnz .LBB111_3127
	s_branch .LBB111_3128
.LBB111_3298:
	s_andn2_saveexec_b64 s[16:17], s[16:17]
	s_cbranch_execz .LBB111_3233
.LBB111_3299:
	v_add_f32_e32 v2, 0x46000000, v3
	v_and_b32_e32 v2, 0xff, v2
	v_cmp_ne_u32_e32 vcc, 0, v2
	s_andn2_b64 s[8:9], s[8:9], exec
	s_and_b64 s[18:19], vcc, exec
	s_or_b64 s[8:9], s[8:9], s[18:19]
	s_or_b64 exec, exec, s[16:17]
	v_mov_b32_e32 v4, 0
	s_and_saveexec_b64 s[16:17], s[8:9]
	s_cbranch_execnz .LBB111_3234
	s_branch .LBB111_3235
.LBB111_3300:
	s_mov_b64 s[2:3], 0
	s_or_b64 s[4:5], s[4:5], exec
	s_trap 2
	s_branch .LBB111_3279
.LBB111_3301:
	s_andn2_saveexec_b64 s[8:9], s[8:9]
	s_cbranch_execz .LBB111_3245
.LBB111_3302:
	v_add_f32_e32 v2, 0x42800000, v3
	v_and_b32_e32 v2, 0xff, v2
	v_cmp_ne_u32_e32 vcc, 0, v2
	s_andn2_b64 s[6:7], s[6:7], exec
	s_and_b64 s[16:17], vcc, exec
	s_or_b64 s[6:7], s[6:7], s[16:17]
	s_or_b64 exec, exec, s[8:9]
	v_mov_b32_e32 v4, 0
	s_and_saveexec_b64 s[8:9], s[6:7]
	s_cbranch_execnz .LBB111_3246
	s_branch .LBB111_3247
	.section	.rodata,"a",@progbits
	.p2align	6, 0x0
	.amdhsa_kernel _ZN2at6native32elementwise_kernel_manual_unrollILi128ELi4EZNS0_15gpu_kernel_implINS0_12_GLOBAL__N_114CompareFunctorIfEEEEvRNS_18TensorIteratorBaseERKT_EUlibE0_EEviT1_
		.amdhsa_group_segment_fixed_size 0
		.amdhsa_private_segment_fixed_size 0
		.amdhsa_kernarg_size 432
		.amdhsa_user_sgpr_count 6
		.amdhsa_user_sgpr_private_segment_buffer 1
		.amdhsa_user_sgpr_dispatch_ptr 0
		.amdhsa_user_sgpr_queue_ptr 0
		.amdhsa_user_sgpr_kernarg_segment_ptr 1
		.amdhsa_user_sgpr_dispatch_id 0
		.amdhsa_user_sgpr_flat_scratch_init 0
		.amdhsa_user_sgpr_private_segment_size 0
		.amdhsa_uses_dynamic_stack 0
		.amdhsa_system_sgpr_private_segment_wavefront_offset 0
		.amdhsa_system_sgpr_workgroup_id_x 1
		.amdhsa_system_sgpr_workgroup_id_y 0
		.amdhsa_system_sgpr_workgroup_id_z 0
		.amdhsa_system_sgpr_workgroup_info 0
		.amdhsa_system_vgpr_workitem_id 0
		.amdhsa_next_free_vgpr 24
		.amdhsa_next_free_sgpr 80
		.amdhsa_reserve_vcc 1
		.amdhsa_reserve_flat_scratch 0
		.amdhsa_float_round_mode_32 0
		.amdhsa_float_round_mode_16_64 0
		.amdhsa_float_denorm_mode_32 3
		.amdhsa_float_denorm_mode_16_64 3
		.amdhsa_dx10_clamp 1
		.amdhsa_ieee_mode 1
		.amdhsa_fp16_overflow 0
		.amdhsa_exception_fp_ieee_invalid_op 0
		.amdhsa_exception_fp_denorm_src 0
		.amdhsa_exception_fp_ieee_div_zero 0
		.amdhsa_exception_fp_ieee_overflow 0
		.amdhsa_exception_fp_ieee_underflow 0
		.amdhsa_exception_fp_ieee_inexact 0
		.amdhsa_exception_int_div_zero 0
	.end_amdhsa_kernel
	.section	.text._ZN2at6native32elementwise_kernel_manual_unrollILi128ELi4EZNS0_15gpu_kernel_implINS0_12_GLOBAL__N_114CompareFunctorIfEEEEvRNS_18TensorIteratorBaseERKT_EUlibE0_EEviT1_,"axG",@progbits,_ZN2at6native32elementwise_kernel_manual_unrollILi128ELi4EZNS0_15gpu_kernel_implINS0_12_GLOBAL__N_114CompareFunctorIfEEEEvRNS_18TensorIteratorBaseERKT_EUlibE0_EEviT1_,comdat
.Lfunc_end111:
	.size	_ZN2at6native32elementwise_kernel_manual_unrollILi128ELi4EZNS0_15gpu_kernel_implINS0_12_GLOBAL__N_114CompareFunctorIfEEEEvRNS_18TensorIteratorBaseERKT_EUlibE0_EEviT1_, .Lfunc_end111-_ZN2at6native32elementwise_kernel_manual_unrollILi128ELi4EZNS0_15gpu_kernel_implINS0_12_GLOBAL__N_114CompareFunctorIfEEEEvRNS_18TensorIteratorBaseERKT_EUlibE0_EEviT1_
                                        ; -- End function
	.set _ZN2at6native32elementwise_kernel_manual_unrollILi128ELi4EZNS0_15gpu_kernel_implINS0_12_GLOBAL__N_114CompareFunctorIfEEEEvRNS_18TensorIteratorBaseERKT_EUlibE0_EEviT1_.num_vgpr, 24
	.set _ZN2at6native32elementwise_kernel_manual_unrollILi128ELi4EZNS0_15gpu_kernel_implINS0_12_GLOBAL__N_114CompareFunctorIfEEEEvRNS_18TensorIteratorBaseERKT_EUlibE0_EEviT1_.num_agpr, 0
	.set _ZN2at6native32elementwise_kernel_manual_unrollILi128ELi4EZNS0_15gpu_kernel_implINS0_12_GLOBAL__N_114CompareFunctorIfEEEEvRNS_18TensorIteratorBaseERKT_EUlibE0_EEviT1_.numbered_sgpr, 80
	.set _ZN2at6native32elementwise_kernel_manual_unrollILi128ELi4EZNS0_15gpu_kernel_implINS0_12_GLOBAL__N_114CompareFunctorIfEEEEvRNS_18TensorIteratorBaseERKT_EUlibE0_EEviT1_.num_named_barrier, 0
	.set _ZN2at6native32elementwise_kernel_manual_unrollILi128ELi4EZNS0_15gpu_kernel_implINS0_12_GLOBAL__N_114CompareFunctorIfEEEEvRNS_18TensorIteratorBaseERKT_EUlibE0_EEviT1_.private_seg_size, 0
	.set _ZN2at6native32elementwise_kernel_manual_unrollILi128ELi4EZNS0_15gpu_kernel_implINS0_12_GLOBAL__N_114CompareFunctorIfEEEEvRNS_18TensorIteratorBaseERKT_EUlibE0_EEviT1_.uses_vcc, 1
	.set _ZN2at6native32elementwise_kernel_manual_unrollILi128ELi4EZNS0_15gpu_kernel_implINS0_12_GLOBAL__N_114CompareFunctorIfEEEEvRNS_18TensorIteratorBaseERKT_EUlibE0_EEviT1_.uses_flat_scratch, 0
	.set _ZN2at6native32elementwise_kernel_manual_unrollILi128ELi4EZNS0_15gpu_kernel_implINS0_12_GLOBAL__N_114CompareFunctorIfEEEEvRNS_18TensorIteratorBaseERKT_EUlibE0_EEviT1_.has_dyn_sized_stack, 0
	.set _ZN2at6native32elementwise_kernel_manual_unrollILi128ELi4EZNS0_15gpu_kernel_implINS0_12_GLOBAL__N_114CompareFunctorIfEEEEvRNS_18TensorIteratorBaseERKT_EUlibE0_EEviT1_.has_recursion, 0
	.set _ZN2at6native32elementwise_kernel_manual_unrollILi128ELi4EZNS0_15gpu_kernel_implINS0_12_GLOBAL__N_114CompareFunctorIfEEEEvRNS_18TensorIteratorBaseERKT_EUlibE0_EEviT1_.has_indirect_call, 0
	.section	.AMDGPU.csdata,"",@progbits
; Kernel info:
; codeLenInByte = 52888
; TotalNumSgprs: 84
; NumVgprs: 24
; ScratchSize: 0
; MemoryBound: 1
; FloatMode: 240
; IeeeMode: 1
; LDSByteSize: 0 bytes/workgroup (compile time only)
; SGPRBlocks: 10
; VGPRBlocks: 5
; NumSGPRsForWavesPerEU: 84
; NumVGPRsForWavesPerEU: 24
; Occupancy: 9
; WaveLimiterHint : 1
; COMPUTE_PGM_RSRC2:SCRATCH_EN: 0
; COMPUTE_PGM_RSRC2:USER_SGPR: 6
; COMPUTE_PGM_RSRC2:TRAP_HANDLER: 0
; COMPUTE_PGM_RSRC2:TGID_X_EN: 1
; COMPUTE_PGM_RSRC2:TGID_Y_EN: 0
; COMPUTE_PGM_RSRC2:TGID_Z_EN: 0
; COMPUTE_PGM_RSRC2:TIDIG_COMP_CNT: 0
	.section	.text._ZN2at6native29vectorized_elementwise_kernelILi16EZNS0_21compare_scalar_kernelIN3c104HalfEEEvRNS_18TensorIteratorBaseENS0_12_GLOBAL__N_16OpTypeET_EUlS4_E_St5arrayIPcLm2EEEEviT0_T1_,"axG",@progbits,_ZN2at6native29vectorized_elementwise_kernelILi16EZNS0_21compare_scalar_kernelIN3c104HalfEEEvRNS_18TensorIteratorBaseENS0_12_GLOBAL__N_16OpTypeET_EUlS4_E_St5arrayIPcLm2EEEEviT0_T1_,comdat
	.globl	_ZN2at6native29vectorized_elementwise_kernelILi16EZNS0_21compare_scalar_kernelIN3c104HalfEEEvRNS_18TensorIteratorBaseENS0_12_GLOBAL__N_16OpTypeET_EUlS4_E_St5arrayIPcLm2EEEEviT0_T1_ ; -- Begin function _ZN2at6native29vectorized_elementwise_kernelILi16EZNS0_21compare_scalar_kernelIN3c104HalfEEEvRNS_18TensorIteratorBaseENS0_12_GLOBAL__N_16OpTypeET_EUlS4_E_St5arrayIPcLm2EEEEviT0_T1_
	.p2align	8
	.type	_ZN2at6native29vectorized_elementwise_kernelILi16EZNS0_21compare_scalar_kernelIN3c104HalfEEEvRNS_18TensorIteratorBaseENS0_12_GLOBAL__N_16OpTypeET_EUlS4_E_St5arrayIPcLm2EEEEviT0_T1_,@function
_ZN2at6native29vectorized_elementwise_kernelILi16EZNS0_21compare_scalar_kernelIN3c104HalfEEEvRNS_18TensorIteratorBaseENS0_12_GLOBAL__N_16OpTypeET_EUlS4_E_St5arrayIPcLm2EEEEviT0_T1_: ; @_ZN2at6native29vectorized_elementwise_kernelILi16EZNS0_21compare_scalar_kernelIN3c104HalfEEEvRNS_18TensorIteratorBaseENS0_12_GLOBAL__N_16OpTypeET_EUlS4_E_St5arrayIPcLm2EEEEviT0_T1_
; %bb.0:
	s_load_dwordx8 s[8:15], s[4:5], 0x0
	s_lshl_b32 s2, s6, 12
	s_mov_b64 s[0:1], -1
	s_waitcnt lgkmcnt(0)
	s_sub_i32 s8, s8, s2
	s_cmpk_gt_i32 s8, 0xfff
	s_cbranch_scc0 .LBB112_211
; %bb.1:
	s_ashr_i32 s3, s2, 31
	s_lshl_b64 s[0:1], s[2:3], 1
	s_add_u32 s0, s14, s0
	s_addc_u32 s1, s15, s1
	v_lshlrev_b32_e32 v9, 5, v0
	global_load_dwordx4 v[5:8], v9, s[0:1]
	global_load_dwordx4 v[1:4], v9, s[0:1] offset:16
	s_cmp_lt_i32 s9, 1
	s_mov_b64 s[4:5], 0
	s_cbranch_scc1 .LBB112_5
; %bb.2:
	s_cmp_gt_i32 s9, 1
	s_cbranch_scc0 .LBB112_6
; %bb.3:
	s_cmp_eq_u32 s9, 2
	s_cbranch_scc0 .LBB112_7
; %bb.4:
	s_waitcnt vmcnt(1)
	v_cmp_ge_f16_e64 s[0:1], s10, v5
	s_mov_b64 s[6:7], 0
	s_branch .LBB112_8
.LBB112_5:
                                        ; implicit-def: $sgpr0_sgpr1
	s_mov_b64 s[6:7], 0
	s_cbranch_execnz .LBB112_11
	s_branch .LBB112_12
.LBB112_6:
	s_mov_b64 s[6:7], 0
                                        ; implicit-def: $sgpr0_sgpr1
	s_cbranch_execnz .LBB112_9
	s_branch .LBB112_10
.LBB112_7:
	s_mov_b64 s[6:7], -1
                                        ; implicit-def: $sgpr0_sgpr1
.LBB112_8:
	s_branch .LBB112_10
.LBB112_9:
	s_waitcnt vmcnt(1)
	v_cmp_lt_f16_e32 vcc, s10, v5
	s_andn2_b64 s[0:1], s[0:1], exec
	s_and_b64 s[16:17], vcc, exec
	s_or_b64 s[0:1], s[0:1], s[16:17]
.LBB112_10:
	s_branch .LBB112_12
.LBB112_11:
	s_cmp_lg_u32 s9, 0
	s_mov_b64 s[4:5], -1
	s_cselect_b64 s[6:7], -1, 0
.LBB112_12:
	s_andn2_b64 vcc, exec, s[6:7]
	s_cbranch_vccz .LBB112_18
; %bb.13:
	s_andn2_b64 vcc, exec, s[4:5]
	s_cbranch_vccz .LBB112_19
.LBB112_14:
	s_cmp_lt_i32 s9, 1
	s_mov_b64 s[6:7], 0
	s_cbranch_scc1 .LBB112_20
.LBB112_15:
	s_cmp_gt_i32 s9, 1
	s_cbranch_scc0 .LBB112_21
; %bb.16:
	s_cmp_eq_u32 s9, 2
	s_cbranch_scc0 .LBB112_251
; %bb.17:
	s_waitcnt vmcnt(1)
	v_cmp_le_f16_sdwa s[4:5], v5, s10 src0_sel:WORD_1 src1_sel:DWORD
	s_mov_b64 s[16:17], 0
	s_branch .LBB112_23
.LBB112_18:
	s_waitcnt vmcnt(1)
	v_cmp_gt_f16_e32 vcc, s10, v5
	s_andn2_b64 s[0:1], s[0:1], exec
	s_and_b64 s[6:7], vcc, exec
	s_or_b64 s[0:1], s[0:1], s[6:7]
	s_cbranch_execnz .LBB112_14
.LBB112_19:
	s_waitcnt vmcnt(1)
	v_cmp_le_f16_e32 vcc, s10, v5
	s_andn2_b64 s[0:1], s[0:1], exec
	s_and_b64 s[4:5], vcc, exec
	s_or_b64 s[0:1], s[0:1], s[4:5]
	s_cmp_lt_i32 s9, 1
	s_mov_b64 s[6:7], 0
	s_cbranch_scc0 .LBB112_15
.LBB112_20:
                                        ; implicit-def: $sgpr4_sgpr5
	s_mov_b64 s[16:17], 0
	s_cbranch_execnz .LBB112_24
	s_branch .LBB112_25
.LBB112_21:
	s_mov_b64 s[16:17], 0
                                        ; implicit-def: $sgpr4_sgpr5
	s_cbranch_execz .LBB112_23
; %bb.22:
	s_waitcnt vmcnt(1)
	v_cmp_gt_f16_sdwa s[18:19], v5, s10 src0_sel:WORD_1 src1_sel:DWORD
	s_andn2_b64 s[4:5], s[4:5], exec
	s_and_b64 s[18:19], s[18:19], exec
	s_or_b64 s[4:5], s[4:5], s[18:19]
.LBB112_23:
	s_branch .LBB112_25
.LBB112_24:
	s_cmp_lg_u32 s9, 0
	s_mov_b64 s[6:7], -1
	s_cselect_b64 s[16:17], -1, 0
.LBB112_25:
	s_andn2_b64 vcc, exec, s[16:17]
	s_cbranch_vccz .LBB112_31
; %bb.26:
	s_andn2_b64 vcc, exec, s[6:7]
	s_cbranch_vccz .LBB112_32
.LBB112_27:
	s_cmp_lt_i32 s9, 1
	s_mov_b64 s[16:17], 0
	s_cbranch_scc1 .LBB112_33
.LBB112_28:
	s_cmp_gt_i32 s9, 1
	s_cbranch_scc0 .LBB112_34
; %bb.29:
	s_cmp_eq_u32 s9, 2
	s_cbranch_scc0 .LBB112_252
; %bb.30:
	s_waitcnt vmcnt(1)
	v_cmp_ge_f16_e64 s[6:7], s10, v6
	s_mov_b64 s[18:19], 0
	s_branch .LBB112_36
.LBB112_31:
	s_waitcnt vmcnt(1)
	v_cmp_lt_f16_sdwa s[16:17], v5, s10 src0_sel:WORD_1 src1_sel:DWORD
	s_andn2_b64 s[4:5], s[4:5], exec
	s_and_b64 s[16:17], s[16:17], exec
	s_or_b64 s[4:5], s[4:5], s[16:17]
	s_cbranch_execnz .LBB112_27
.LBB112_32:
	s_waitcnt vmcnt(1)
	v_cmp_ge_f16_sdwa s[6:7], v5, s10 src0_sel:WORD_1 src1_sel:DWORD
	s_andn2_b64 s[4:5], s[4:5], exec
	s_and_b64 s[6:7], s[6:7], exec
	s_or_b64 s[4:5], s[4:5], s[6:7]
	s_cmp_lt_i32 s9, 1
	s_mov_b64 s[16:17], 0
	s_cbranch_scc0 .LBB112_28
.LBB112_33:
                                        ; implicit-def: $sgpr6_sgpr7
	s_mov_b64 s[18:19], 0
	s_cbranch_execnz .LBB112_37
	s_branch .LBB112_38
.LBB112_34:
	s_mov_b64 s[18:19], 0
                                        ; implicit-def: $sgpr6_sgpr7
	s_cbranch_execz .LBB112_36
; %bb.35:
	s_waitcnt vmcnt(1)
	v_cmp_lt_f16_e32 vcc, s10, v6
	s_andn2_b64 s[6:7], s[6:7], exec
	s_and_b64 s[20:21], vcc, exec
	s_or_b64 s[6:7], s[6:7], s[20:21]
.LBB112_36:
	s_branch .LBB112_38
.LBB112_37:
	s_cmp_lg_u32 s9, 0
	s_mov_b64 s[16:17], -1
	s_cselect_b64 s[18:19], -1, 0
.LBB112_38:
	s_andn2_b64 vcc, exec, s[18:19]
	s_cbranch_vccz .LBB112_44
; %bb.39:
	s_andn2_b64 vcc, exec, s[16:17]
	s_cbranch_vccz .LBB112_45
.LBB112_40:
	s_cmp_lt_i32 s9, 1
	s_mov_b64 s[18:19], 0
	s_cbranch_scc1 .LBB112_46
.LBB112_41:
	s_cmp_gt_i32 s9, 1
	s_cbranch_scc0 .LBB112_47
; %bb.42:
	s_cmp_eq_u32 s9, 2
	s_cbranch_scc0 .LBB112_253
; %bb.43:
	s_waitcnt vmcnt(1)
	v_cmp_le_f16_sdwa s[16:17], v6, s10 src0_sel:WORD_1 src1_sel:DWORD
	s_mov_b64 s[20:21], 0
	s_branch .LBB112_49
.LBB112_44:
	s_waitcnt vmcnt(1)
	v_cmp_gt_f16_e32 vcc, s10, v6
	s_andn2_b64 s[6:7], s[6:7], exec
	s_and_b64 s[18:19], vcc, exec
	s_or_b64 s[6:7], s[6:7], s[18:19]
	s_cbranch_execnz .LBB112_40
.LBB112_45:
	s_waitcnt vmcnt(1)
	v_cmp_le_f16_e32 vcc, s10, v6
	s_andn2_b64 s[6:7], s[6:7], exec
	s_and_b64 s[16:17], vcc, exec
	s_or_b64 s[6:7], s[6:7], s[16:17]
	s_cmp_lt_i32 s9, 1
	s_mov_b64 s[18:19], 0
	s_cbranch_scc0 .LBB112_41
.LBB112_46:
                                        ; implicit-def: $sgpr16_sgpr17
	s_mov_b64 s[20:21], 0
	s_cbranch_execnz .LBB112_50
	s_branch .LBB112_51
.LBB112_47:
	s_mov_b64 s[20:21], 0
                                        ; implicit-def: $sgpr16_sgpr17
	s_cbranch_execz .LBB112_49
; %bb.48:
	s_waitcnt vmcnt(1)
	v_cmp_gt_f16_sdwa s[22:23], v6, s10 src0_sel:WORD_1 src1_sel:DWORD
	s_andn2_b64 s[16:17], s[16:17], exec
	s_and_b64 s[22:23], s[22:23], exec
	s_or_b64 s[16:17], s[16:17], s[22:23]
.LBB112_49:
	s_branch .LBB112_51
.LBB112_50:
	s_cmp_lg_u32 s9, 0
	s_mov_b64 s[18:19], -1
	s_cselect_b64 s[20:21], -1, 0
.LBB112_51:
	s_andn2_b64 vcc, exec, s[20:21]
	s_cbranch_vccz .LBB112_57
; %bb.52:
	s_andn2_b64 vcc, exec, s[18:19]
	s_cbranch_vccz .LBB112_58
.LBB112_53:
	s_cmp_lt_i32 s9, 1
	s_mov_b64 s[20:21], 0
	s_cbranch_scc1 .LBB112_59
.LBB112_54:
	s_cmp_gt_i32 s9, 1
	s_cbranch_scc0 .LBB112_60
; %bb.55:
	s_cmp_eq_u32 s9, 2
	s_cbranch_scc0 .LBB112_254
; %bb.56:
	s_waitcnt vmcnt(1)
	v_cmp_ge_f16_e64 s[18:19], s10, v7
	s_mov_b64 s[22:23], 0
	s_branch .LBB112_62
.LBB112_57:
	s_waitcnt vmcnt(1)
	v_cmp_lt_f16_sdwa s[20:21], v6, s10 src0_sel:WORD_1 src1_sel:DWORD
	s_andn2_b64 s[16:17], s[16:17], exec
	s_and_b64 s[20:21], s[20:21], exec
	s_or_b64 s[16:17], s[16:17], s[20:21]
	s_cbranch_execnz .LBB112_53
.LBB112_58:
	s_waitcnt vmcnt(1)
	v_cmp_ge_f16_sdwa s[18:19], v6, s10 src0_sel:WORD_1 src1_sel:DWORD
	s_andn2_b64 s[16:17], s[16:17], exec
	s_and_b64 s[18:19], s[18:19], exec
	s_or_b64 s[16:17], s[16:17], s[18:19]
	s_cmp_lt_i32 s9, 1
	s_mov_b64 s[20:21], 0
	s_cbranch_scc0 .LBB112_54
.LBB112_59:
                                        ; implicit-def: $sgpr18_sgpr19
	s_mov_b64 s[22:23], 0
	s_cbranch_execnz .LBB112_63
	s_branch .LBB112_64
.LBB112_60:
	s_mov_b64 s[22:23], 0
                                        ; implicit-def: $sgpr18_sgpr19
	s_cbranch_execz .LBB112_62
; %bb.61:
	s_waitcnt vmcnt(1)
	v_cmp_lt_f16_e32 vcc, s10, v7
	s_andn2_b64 s[18:19], s[18:19], exec
	s_and_b64 s[24:25], vcc, exec
	s_or_b64 s[18:19], s[18:19], s[24:25]
.LBB112_62:
	s_branch .LBB112_64
.LBB112_63:
	s_cmp_lg_u32 s9, 0
	s_mov_b64 s[20:21], -1
	s_cselect_b64 s[22:23], -1, 0
.LBB112_64:
	s_andn2_b64 vcc, exec, s[22:23]
	s_cbranch_vccz .LBB112_70
; %bb.65:
	s_andn2_b64 vcc, exec, s[20:21]
	s_cbranch_vccz .LBB112_71
.LBB112_66:
	s_cmp_lt_i32 s9, 1
	s_mov_b64 s[22:23], 0
	s_cbranch_scc1 .LBB112_72
.LBB112_67:
	s_cmp_gt_i32 s9, 1
	s_cbranch_scc0 .LBB112_73
; %bb.68:
	s_cmp_eq_u32 s9, 2
	s_cbranch_scc0 .LBB112_255
; %bb.69:
	s_waitcnt vmcnt(1)
	v_cmp_le_f16_sdwa s[20:21], v7, s10 src0_sel:WORD_1 src1_sel:DWORD
	s_mov_b64 s[24:25], 0
	s_branch .LBB112_75
.LBB112_70:
	s_waitcnt vmcnt(1)
	v_cmp_gt_f16_e32 vcc, s10, v7
	s_andn2_b64 s[18:19], s[18:19], exec
	s_and_b64 s[22:23], vcc, exec
	s_or_b64 s[18:19], s[18:19], s[22:23]
	s_cbranch_execnz .LBB112_66
.LBB112_71:
	s_waitcnt vmcnt(1)
	v_cmp_le_f16_e32 vcc, s10, v7
	s_andn2_b64 s[18:19], s[18:19], exec
	s_and_b64 s[20:21], vcc, exec
	s_or_b64 s[18:19], s[18:19], s[20:21]
	s_cmp_lt_i32 s9, 1
	s_mov_b64 s[22:23], 0
	s_cbranch_scc0 .LBB112_67
.LBB112_72:
                                        ; implicit-def: $sgpr20_sgpr21
	s_mov_b64 s[24:25], 0
	s_cbranch_execnz .LBB112_76
	s_branch .LBB112_77
.LBB112_73:
	s_mov_b64 s[24:25], 0
                                        ; implicit-def: $sgpr20_sgpr21
	s_cbranch_execz .LBB112_75
; %bb.74:
	s_waitcnt vmcnt(1)
	v_cmp_gt_f16_sdwa s[26:27], v7, s10 src0_sel:WORD_1 src1_sel:DWORD
	s_andn2_b64 s[20:21], s[20:21], exec
	s_and_b64 s[26:27], s[26:27], exec
	s_or_b64 s[20:21], s[20:21], s[26:27]
.LBB112_75:
	s_branch .LBB112_77
.LBB112_76:
	s_cmp_lg_u32 s9, 0
	s_mov_b64 s[22:23], -1
	s_cselect_b64 s[24:25], -1, 0
.LBB112_77:
	s_andn2_b64 vcc, exec, s[24:25]
	s_cbranch_vccz .LBB112_83
; %bb.78:
	s_andn2_b64 vcc, exec, s[22:23]
	s_cbranch_vccz .LBB112_84
.LBB112_79:
	s_cmp_lt_i32 s9, 1
	s_mov_b64 s[24:25], 0
	s_cbranch_scc1 .LBB112_85
.LBB112_80:
	s_cmp_gt_i32 s9, 1
	s_cbranch_scc0 .LBB112_86
; %bb.81:
	s_cmp_eq_u32 s9, 2
	s_cbranch_scc0 .LBB112_256
; %bb.82:
	s_waitcnt vmcnt(1)
	v_cmp_ge_f16_e64 s[22:23], s10, v8
	s_mov_b64 s[26:27], 0
	s_branch .LBB112_88
.LBB112_83:
	s_waitcnt vmcnt(1)
	v_cmp_lt_f16_sdwa s[24:25], v7, s10 src0_sel:WORD_1 src1_sel:DWORD
	s_andn2_b64 s[20:21], s[20:21], exec
	s_and_b64 s[24:25], s[24:25], exec
	s_or_b64 s[20:21], s[20:21], s[24:25]
	s_cbranch_execnz .LBB112_79
.LBB112_84:
	s_waitcnt vmcnt(1)
	v_cmp_ge_f16_sdwa s[22:23], v7, s10 src0_sel:WORD_1 src1_sel:DWORD
	s_andn2_b64 s[20:21], s[20:21], exec
	s_and_b64 s[22:23], s[22:23], exec
	s_or_b64 s[20:21], s[20:21], s[22:23]
	s_cmp_lt_i32 s9, 1
	s_mov_b64 s[24:25], 0
	s_cbranch_scc0 .LBB112_80
.LBB112_85:
                                        ; implicit-def: $sgpr22_sgpr23
	s_mov_b64 s[26:27], 0
	s_cbranch_execnz .LBB112_89
	s_branch .LBB112_90
.LBB112_86:
	s_mov_b64 s[26:27], 0
                                        ; implicit-def: $sgpr22_sgpr23
	s_cbranch_execz .LBB112_88
; %bb.87:
	s_waitcnt vmcnt(1)
	v_cmp_lt_f16_e32 vcc, s10, v8
	s_andn2_b64 s[22:23], s[22:23], exec
	s_and_b64 s[28:29], vcc, exec
	s_or_b64 s[22:23], s[22:23], s[28:29]
.LBB112_88:
	s_branch .LBB112_90
.LBB112_89:
	s_cmp_lg_u32 s9, 0
	s_mov_b64 s[24:25], -1
	s_cselect_b64 s[26:27], -1, 0
.LBB112_90:
	s_andn2_b64 vcc, exec, s[26:27]
	s_cbranch_vccz .LBB112_96
; %bb.91:
	s_andn2_b64 vcc, exec, s[24:25]
	s_cbranch_vccz .LBB112_97
.LBB112_92:
	s_cmp_lt_i32 s9, 1
	s_mov_b64 s[26:27], 0
	s_cbranch_scc1 .LBB112_98
.LBB112_93:
	s_cmp_gt_i32 s9, 1
	s_cbranch_scc0 .LBB112_99
; %bb.94:
	s_cmp_eq_u32 s9, 2
	s_cbranch_scc0 .LBB112_257
; %bb.95:
	s_waitcnt vmcnt(1)
	v_cmp_le_f16_sdwa s[24:25], v8, s10 src0_sel:WORD_1 src1_sel:DWORD
	s_mov_b64 s[28:29], 0
	s_branch .LBB112_101
.LBB112_96:
	s_waitcnt vmcnt(1)
	v_cmp_gt_f16_e32 vcc, s10, v8
	s_andn2_b64 s[22:23], s[22:23], exec
	s_and_b64 s[26:27], vcc, exec
	s_or_b64 s[22:23], s[22:23], s[26:27]
	s_cbranch_execnz .LBB112_92
.LBB112_97:
	s_waitcnt vmcnt(1)
	v_cmp_le_f16_e32 vcc, s10, v8
	s_andn2_b64 s[22:23], s[22:23], exec
	s_and_b64 s[24:25], vcc, exec
	s_or_b64 s[22:23], s[22:23], s[24:25]
	s_cmp_lt_i32 s9, 1
	s_mov_b64 s[26:27], 0
	s_cbranch_scc0 .LBB112_93
.LBB112_98:
                                        ; implicit-def: $sgpr24_sgpr25
	s_mov_b64 s[28:29], 0
	s_cbranch_execnz .LBB112_102
	s_branch .LBB112_103
.LBB112_99:
	s_mov_b64 s[28:29], 0
                                        ; implicit-def: $sgpr24_sgpr25
	s_cbranch_execz .LBB112_101
; %bb.100:
	s_waitcnt vmcnt(1)
	v_cmp_gt_f16_sdwa s[30:31], v8, s10 src0_sel:WORD_1 src1_sel:DWORD
	s_andn2_b64 s[24:25], s[24:25], exec
	s_and_b64 s[30:31], s[30:31], exec
	s_or_b64 s[24:25], s[24:25], s[30:31]
.LBB112_101:
	s_branch .LBB112_103
.LBB112_102:
	s_cmp_lg_u32 s9, 0
	s_mov_b64 s[26:27], -1
	s_cselect_b64 s[28:29], -1, 0
.LBB112_103:
	s_andn2_b64 vcc, exec, s[28:29]
	s_cbranch_vccz .LBB112_109
; %bb.104:
	s_andn2_b64 vcc, exec, s[26:27]
	s_cbranch_vccz .LBB112_110
.LBB112_105:
	s_cmp_lt_i32 s9, 1
	s_mov_b64 s[28:29], 0
	s_cbranch_scc1 .LBB112_111
.LBB112_106:
	s_cmp_gt_i32 s9, 1
	s_cbranch_scc0 .LBB112_112
; %bb.107:
	s_cmp_eq_u32 s9, 2
	s_cbranch_scc0 .LBB112_258
; %bb.108:
	s_waitcnt vmcnt(0)
	v_cmp_ge_f16_e64 s[26:27], s10, v1
	s_mov_b64 s[30:31], 0
	s_branch .LBB112_114
.LBB112_109:
	s_waitcnt vmcnt(1)
	v_cmp_lt_f16_sdwa s[28:29], v8, s10 src0_sel:WORD_1 src1_sel:DWORD
	s_andn2_b64 s[24:25], s[24:25], exec
	s_and_b64 s[28:29], s[28:29], exec
	s_or_b64 s[24:25], s[24:25], s[28:29]
	s_cbranch_execnz .LBB112_105
.LBB112_110:
	s_waitcnt vmcnt(1)
	v_cmp_ge_f16_sdwa s[26:27], v8, s10 src0_sel:WORD_1 src1_sel:DWORD
	s_andn2_b64 s[24:25], s[24:25], exec
	s_and_b64 s[26:27], s[26:27], exec
	s_or_b64 s[24:25], s[24:25], s[26:27]
	s_cmp_lt_i32 s9, 1
	s_mov_b64 s[28:29], 0
	s_cbranch_scc0 .LBB112_106
.LBB112_111:
                                        ; implicit-def: $sgpr26_sgpr27
	s_mov_b64 s[30:31], 0
	s_cbranch_execnz .LBB112_115
	s_branch .LBB112_116
.LBB112_112:
	s_mov_b64 s[30:31], 0
                                        ; implicit-def: $sgpr26_sgpr27
	s_cbranch_execz .LBB112_114
; %bb.113:
	s_waitcnt vmcnt(0)
	v_cmp_lt_f16_e32 vcc, s10, v1
	s_andn2_b64 s[26:27], s[26:27], exec
	s_and_b64 s[34:35], vcc, exec
	s_or_b64 s[26:27], s[26:27], s[34:35]
.LBB112_114:
	s_branch .LBB112_116
.LBB112_115:
	s_cmp_lg_u32 s9, 0
	s_mov_b64 s[28:29], -1
	s_cselect_b64 s[30:31], -1, 0
.LBB112_116:
	s_andn2_b64 vcc, exec, s[30:31]
	s_cbranch_vccz .LBB112_122
; %bb.117:
	s_andn2_b64 vcc, exec, s[28:29]
	s_cbranch_vccz .LBB112_123
.LBB112_118:
	s_cmp_lt_i32 s9, 1
	s_mov_b64 s[30:31], 0
	s_cbranch_scc1 .LBB112_124
.LBB112_119:
	s_cmp_gt_i32 s9, 1
	s_cbranch_scc0 .LBB112_125
; %bb.120:
	s_cmp_eq_u32 s9, 2
	s_cbranch_scc0 .LBB112_259
; %bb.121:
	s_waitcnt vmcnt(0)
	v_cmp_le_f16_sdwa s[28:29], v1, s10 src0_sel:WORD_1 src1_sel:DWORD
	s_mov_b64 s[34:35], 0
	s_branch .LBB112_127
.LBB112_122:
	s_waitcnt vmcnt(0)
	v_cmp_gt_f16_e32 vcc, s10, v1
	s_andn2_b64 s[26:27], s[26:27], exec
	s_and_b64 s[30:31], vcc, exec
	s_or_b64 s[26:27], s[26:27], s[30:31]
	s_cbranch_execnz .LBB112_118
.LBB112_123:
	s_waitcnt vmcnt(0)
	v_cmp_le_f16_e32 vcc, s10, v1
	s_andn2_b64 s[26:27], s[26:27], exec
	s_and_b64 s[28:29], vcc, exec
	s_or_b64 s[26:27], s[26:27], s[28:29]
	s_cmp_lt_i32 s9, 1
	s_mov_b64 s[30:31], 0
	s_cbranch_scc0 .LBB112_119
.LBB112_124:
                                        ; implicit-def: $sgpr28_sgpr29
	s_mov_b64 s[34:35], 0
	s_cbranch_execnz .LBB112_128
	s_branch .LBB112_129
.LBB112_125:
	s_mov_b64 s[34:35], 0
                                        ; implicit-def: $sgpr28_sgpr29
	s_cbranch_execz .LBB112_127
; %bb.126:
	s_waitcnt vmcnt(0)
	v_cmp_gt_f16_sdwa s[36:37], v1, s10 src0_sel:WORD_1 src1_sel:DWORD
	s_andn2_b64 s[28:29], s[28:29], exec
	s_and_b64 s[36:37], s[36:37], exec
	s_or_b64 s[28:29], s[28:29], s[36:37]
.LBB112_127:
	s_branch .LBB112_129
.LBB112_128:
	s_cmp_lg_u32 s9, 0
	s_mov_b64 s[30:31], -1
	s_cselect_b64 s[34:35], -1, 0
.LBB112_129:
	s_andn2_b64 vcc, exec, s[34:35]
	s_cbranch_vccz .LBB112_135
; %bb.130:
	s_andn2_b64 vcc, exec, s[30:31]
	s_cbranch_vccz .LBB112_136
.LBB112_131:
	s_cmp_lt_i32 s9, 1
	s_mov_b64 s[34:35], 0
	s_cbranch_scc1 .LBB112_137
.LBB112_132:
	s_cmp_gt_i32 s9, 1
	s_cbranch_scc0 .LBB112_138
; %bb.133:
	s_cmp_eq_u32 s9, 2
	s_cbranch_scc0 .LBB112_260
; %bb.134:
	s_waitcnt vmcnt(0)
	v_cmp_ge_f16_e64 s[30:31], s10, v2
	s_mov_b64 s[36:37], 0
	s_branch .LBB112_140
.LBB112_135:
	s_waitcnt vmcnt(0)
	v_cmp_lt_f16_sdwa s[34:35], v1, s10 src0_sel:WORD_1 src1_sel:DWORD
	s_andn2_b64 s[28:29], s[28:29], exec
	s_and_b64 s[34:35], s[34:35], exec
	s_or_b64 s[28:29], s[28:29], s[34:35]
	s_cbranch_execnz .LBB112_131
.LBB112_136:
	s_waitcnt vmcnt(0)
	v_cmp_ge_f16_sdwa s[30:31], v1, s10 src0_sel:WORD_1 src1_sel:DWORD
	s_andn2_b64 s[28:29], s[28:29], exec
	s_and_b64 s[30:31], s[30:31], exec
	s_or_b64 s[28:29], s[28:29], s[30:31]
	s_cmp_lt_i32 s9, 1
	s_mov_b64 s[34:35], 0
	s_cbranch_scc0 .LBB112_132
.LBB112_137:
                                        ; implicit-def: $sgpr30_sgpr31
	s_mov_b64 s[36:37], 0
	s_cbranch_execnz .LBB112_141
	s_branch .LBB112_142
.LBB112_138:
	s_mov_b64 s[36:37], 0
                                        ; implicit-def: $sgpr30_sgpr31
	s_cbranch_execz .LBB112_140
; %bb.139:
	s_waitcnt vmcnt(0)
	v_cmp_lt_f16_e32 vcc, s10, v2
	s_andn2_b64 s[30:31], s[30:31], exec
	s_and_b64 s[38:39], vcc, exec
	s_or_b64 s[30:31], s[30:31], s[38:39]
.LBB112_140:
	s_branch .LBB112_142
.LBB112_141:
	s_cmp_lg_u32 s9, 0
	s_mov_b64 s[34:35], -1
	s_cselect_b64 s[36:37], -1, 0
.LBB112_142:
	s_andn2_b64 vcc, exec, s[36:37]
	s_cbranch_vccz .LBB112_148
; %bb.143:
	s_andn2_b64 vcc, exec, s[34:35]
	s_cbranch_vccz .LBB112_149
.LBB112_144:
	s_cmp_lt_i32 s9, 1
	s_mov_b64 s[36:37], 0
	s_cbranch_scc1 .LBB112_150
.LBB112_145:
	s_cmp_gt_i32 s9, 1
	s_cbranch_scc0 .LBB112_151
; %bb.146:
	s_cmp_eq_u32 s9, 2
	s_cbranch_scc0 .LBB112_261
; %bb.147:
	s_waitcnt vmcnt(0)
	v_cmp_le_f16_sdwa s[34:35], v2, s10 src0_sel:WORD_1 src1_sel:DWORD
	s_mov_b64 s[38:39], 0
	s_branch .LBB112_153
.LBB112_148:
	s_waitcnt vmcnt(0)
	v_cmp_gt_f16_e32 vcc, s10, v2
	s_andn2_b64 s[30:31], s[30:31], exec
	s_and_b64 s[36:37], vcc, exec
	s_or_b64 s[30:31], s[30:31], s[36:37]
	s_cbranch_execnz .LBB112_144
.LBB112_149:
	s_waitcnt vmcnt(0)
	v_cmp_le_f16_e32 vcc, s10, v2
	s_andn2_b64 s[30:31], s[30:31], exec
	s_and_b64 s[34:35], vcc, exec
	s_or_b64 s[30:31], s[30:31], s[34:35]
	s_cmp_lt_i32 s9, 1
	s_mov_b64 s[36:37], 0
	s_cbranch_scc0 .LBB112_145
.LBB112_150:
                                        ; implicit-def: $sgpr34_sgpr35
	s_mov_b64 s[38:39], 0
	s_cbranch_execnz .LBB112_154
	s_branch .LBB112_155
.LBB112_151:
	s_mov_b64 s[38:39], 0
                                        ; implicit-def: $sgpr34_sgpr35
	s_cbranch_execz .LBB112_153
; %bb.152:
	s_waitcnt vmcnt(0)
	v_cmp_gt_f16_sdwa s[40:41], v2, s10 src0_sel:WORD_1 src1_sel:DWORD
	s_andn2_b64 s[34:35], s[34:35], exec
	s_and_b64 s[40:41], s[40:41], exec
	s_or_b64 s[34:35], s[34:35], s[40:41]
.LBB112_153:
	s_branch .LBB112_155
.LBB112_154:
	s_cmp_lg_u32 s9, 0
	s_mov_b64 s[36:37], -1
	s_cselect_b64 s[38:39], -1, 0
.LBB112_155:
	s_andn2_b64 vcc, exec, s[38:39]
	s_cbranch_vccz .LBB112_161
; %bb.156:
	s_andn2_b64 vcc, exec, s[36:37]
	s_cbranch_vccz .LBB112_162
.LBB112_157:
	s_cmp_lt_i32 s9, 1
	s_mov_b64 s[38:39], 0
	s_cbranch_scc1 .LBB112_163
.LBB112_158:
	s_cmp_gt_i32 s9, 1
	s_cbranch_scc0 .LBB112_164
; %bb.159:
	s_cmp_eq_u32 s9, 2
	s_cbranch_scc0 .LBB112_262
; %bb.160:
	s_waitcnt vmcnt(0)
	v_cmp_ge_f16_e64 s[36:37], s10, v3
	s_mov_b64 s[40:41], 0
	s_branch .LBB112_166
.LBB112_161:
	s_waitcnt vmcnt(0)
	v_cmp_lt_f16_sdwa s[38:39], v2, s10 src0_sel:WORD_1 src1_sel:DWORD
	s_andn2_b64 s[34:35], s[34:35], exec
	s_and_b64 s[38:39], s[38:39], exec
	s_or_b64 s[34:35], s[34:35], s[38:39]
	s_cbranch_execnz .LBB112_157
.LBB112_162:
	s_waitcnt vmcnt(0)
	v_cmp_ge_f16_sdwa s[36:37], v2, s10 src0_sel:WORD_1 src1_sel:DWORD
	s_andn2_b64 s[34:35], s[34:35], exec
	s_and_b64 s[36:37], s[36:37], exec
	s_or_b64 s[34:35], s[34:35], s[36:37]
	s_cmp_lt_i32 s9, 1
	s_mov_b64 s[38:39], 0
	s_cbranch_scc0 .LBB112_158
.LBB112_163:
                                        ; implicit-def: $sgpr36_sgpr37
	s_mov_b64 s[40:41], 0
	s_cbranch_execnz .LBB112_167
	s_branch .LBB112_168
.LBB112_164:
	s_mov_b64 s[40:41], 0
                                        ; implicit-def: $sgpr36_sgpr37
	s_cbranch_execz .LBB112_166
; %bb.165:
	s_waitcnt vmcnt(0)
	v_cmp_lt_f16_e32 vcc, s10, v3
	s_andn2_b64 s[36:37], s[36:37], exec
	s_and_b64 s[42:43], vcc, exec
	s_or_b64 s[36:37], s[36:37], s[42:43]
.LBB112_166:
	s_branch .LBB112_168
.LBB112_167:
	s_cmp_lg_u32 s9, 0
	s_mov_b64 s[38:39], -1
	s_cselect_b64 s[40:41], -1, 0
.LBB112_168:
	s_andn2_b64 vcc, exec, s[40:41]
	s_cbranch_vccz .LBB112_174
; %bb.169:
	s_andn2_b64 vcc, exec, s[38:39]
	s_cbranch_vccz .LBB112_175
.LBB112_170:
	s_cmp_lt_i32 s9, 1
	s_mov_b64 s[40:41], 0
	s_cbranch_scc1 .LBB112_176
.LBB112_171:
	s_cmp_gt_i32 s9, 1
	s_cbranch_scc0 .LBB112_177
; %bb.172:
	s_cmp_eq_u32 s9, 2
	s_cbranch_scc0 .LBB112_263
; %bb.173:
	s_waitcnt vmcnt(0)
	v_cmp_le_f16_sdwa s[38:39], v3, s10 src0_sel:WORD_1 src1_sel:DWORD
	s_mov_b64 s[42:43], 0
	s_branch .LBB112_179
.LBB112_174:
	s_waitcnt vmcnt(0)
	v_cmp_gt_f16_e32 vcc, s10, v3
	s_andn2_b64 s[36:37], s[36:37], exec
	s_and_b64 s[40:41], vcc, exec
	s_or_b64 s[36:37], s[36:37], s[40:41]
	s_cbranch_execnz .LBB112_170
.LBB112_175:
	s_waitcnt vmcnt(0)
	v_cmp_le_f16_e32 vcc, s10, v3
	s_andn2_b64 s[36:37], s[36:37], exec
	s_and_b64 s[38:39], vcc, exec
	s_or_b64 s[36:37], s[36:37], s[38:39]
	s_cmp_lt_i32 s9, 1
	s_mov_b64 s[40:41], 0
	s_cbranch_scc0 .LBB112_171
.LBB112_176:
                                        ; implicit-def: $sgpr38_sgpr39
	s_mov_b64 s[42:43], 0
	s_cbranch_execnz .LBB112_180
	s_branch .LBB112_181
.LBB112_177:
	s_mov_b64 s[42:43], 0
                                        ; implicit-def: $sgpr38_sgpr39
	s_cbranch_execz .LBB112_179
; %bb.178:
	s_waitcnt vmcnt(0)
	v_cmp_gt_f16_sdwa s[44:45], v3, s10 src0_sel:WORD_1 src1_sel:DWORD
	s_andn2_b64 s[38:39], s[38:39], exec
	s_and_b64 s[44:45], s[44:45], exec
	s_or_b64 s[38:39], s[38:39], s[44:45]
.LBB112_179:
	s_branch .LBB112_181
.LBB112_180:
	s_cmp_lg_u32 s9, 0
	s_mov_b64 s[40:41], -1
	s_cselect_b64 s[42:43], -1, 0
.LBB112_181:
	s_andn2_b64 vcc, exec, s[42:43]
	s_cbranch_vccz .LBB112_187
; %bb.182:
	s_andn2_b64 vcc, exec, s[40:41]
	s_cbranch_vccz .LBB112_188
.LBB112_183:
	s_cmp_lt_i32 s9, 1
	s_mov_b64 s[42:43], 0
	s_cbranch_scc1 .LBB112_189
.LBB112_184:
	s_cmp_gt_i32 s9, 1
	s_cbranch_scc0 .LBB112_190
; %bb.185:
	s_cmp_eq_u32 s9, 2
	s_cbranch_scc0 .LBB112_264
; %bb.186:
	s_waitcnt vmcnt(0)
	v_cmp_ge_f16_e64 s[40:41], s10, v4
	s_mov_b64 s[44:45], 0
	s_branch .LBB112_192
.LBB112_187:
	s_waitcnt vmcnt(0)
	v_cmp_lt_f16_sdwa s[42:43], v3, s10 src0_sel:WORD_1 src1_sel:DWORD
	s_andn2_b64 s[38:39], s[38:39], exec
	s_and_b64 s[42:43], s[42:43], exec
	s_or_b64 s[38:39], s[38:39], s[42:43]
	s_cbranch_execnz .LBB112_183
.LBB112_188:
	s_waitcnt vmcnt(0)
	v_cmp_ge_f16_sdwa s[40:41], v3, s10 src0_sel:WORD_1 src1_sel:DWORD
	s_andn2_b64 s[38:39], s[38:39], exec
	s_and_b64 s[40:41], s[40:41], exec
	s_or_b64 s[38:39], s[38:39], s[40:41]
	s_cmp_lt_i32 s9, 1
	s_mov_b64 s[42:43], 0
	s_cbranch_scc0 .LBB112_184
.LBB112_189:
                                        ; implicit-def: $sgpr40_sgpr41
	s_mov_b64 s[44:45], 0
	s_cbranch_execnz .LBB112_193
	s_branch .LBB112_194
.LBB112_190:
	s_mov_b64 s[44:45], 0
                                        ; implicit-def: $sgpr40_sgpr41
	s_cbranch_execz .LBB112_192
; %bb.191:
	s_waitcnt vmcnt(0)
	v_cmp_lt_f16_e32 vcc, s10, v4
	s_andn2_b64 s[40:41], s[40:41], exec
	s_and_b64 s[46:47], vcc, exec
	s_or_b64 s[40:41], s[40:41], s[46:47]
.LBB112_192:
	s_branch .LBB112_194
.LBB112_193:
	s_cmp_lg_u32 s9, 0
	s_mov_b64 s[42:43], -1
	s_cselect_b64 s[44:45], -1, 0
.LBB112_194:
	s_andn2_b64 vcc, exec, s[44:45]
	s_cbranch_vccz .LBB112_200
; %bb.195:
	s_andn2_b64 vcc, exec, s[42:43]
	s_cbranch_vccz .LBB112_201
.LBB112_196:
	s_cmp_lt_i32 s9, 1
	s_mov_b64 s[44:45], 0
	s_cbranch_scc1 .LBB112_202
.LBB112_197:
	s_cmp_gt_i32 s9, 1
	s_cbranch_scc0 .LBB112_203
; %bb.198:
	s_cmp_eq_u32 s9, 2
	s_cbranch_scc0 .LBB112_265
; %bb.199:
	s_waitcnt vmcnt(0)
	v_cmp_le_f16_sdwa s[42:43], v4, s10 src0_sel:WORD_1 src1_sel:DWORD
	s_mov_b64 s[46:47], 0
	s_branch .LBB112_205
.LBB112_200:
	s_waitcnt vmcnt(0)
	v_cmp_gt_f16_e32 vcc, s10, v4
	s_andn2_b64 s[40:41], s[40:41], exec
	s_and_b64 s[44:45], vcc, exec
	s_or_b64 s[40:41], s[40:41], s[44:45]
	s_cbranch_execnz .LBB112_196
.LBB112_201:
	s_waitcnt vmcnt(0)
	v_cmp_le_f16_e32 vcc, s10, v4
	s_andn2_b64 s[40:41], s[40:41], exec
	s_and_b64 s[42:43], vcc, exec
	s_or_b64 s[40:41], s[40:41], s[42:43]
	s_cmp_lt_i32 s9, 1
	s_mov_b64 s[44:45], 0
	s_cbranch_scc0 .LBB112_197
.LBB112_202:
                                        ; implicit-def: $sgpr42_sgpr43
	s_mov_b64 s[46:47], 0
	s_cbranch_execnz .LBB112_206
	s_branch .LBB112_207
.LBB112_203:
	s_mov_b64 s[46:47], 0
                                        ; implicit-def: $sgpr42_sgpr43
	s_cbranch_execz .LBB112_205
; %bb.204:
	s_waitcnt vmcnt(0)
	v_cmp_gt_f16_sdwa s[48:49], v4, s10 src0_sel:WORD_1 src1_sel:DWORD
	s_andn2_b64 s[42:43], s[42:43], exec
	s_and_b64 s[48:49], s[48:49], exec
	s_or_b64 s[42:43], s[42:43], s[48:49]
.LBB112_205:
	s_branch .LBB112_207
.LBB112_206:
	s_cmp_lg_u32 s9, 0
	s_mov_b64 s[44:45], -1
	s_cselect_b64 s[46:47], -1, 0
.LBB112_207:
	s_andn2_b64 vcc, exec, s[46:47]
	s_cbranch_vccz .LBB112_249
; %bb.208:
	s_andn2_b64 vcc, exec, s[44:45]
	s_cbranch_vccnz .LBB112_210
.LBB112_209:
	s_waitcnt vmcnt(0)
	v_cmp_ge_f16_sdwa s[44:45], v4, s10 src0_sel:WORD_1 src1_sel:DWORD
	s_andn2_b64 s[42:43], s[42:43], exec
	s_and_b64 s[44:45], s[44:45], exec
	s_or_b64 s[42:43], s[42:43], s[44:45]
.LBB112_210:
	s_waitcnt vmcnt(0)
	v_cndmask_b32_e64 v1, 0, 1, s[4:5]
	v_lshlrev_b16_e32 v1, 8, v1
	v_cndmask_b32_e64 v2, 0, 1, s[0:1]
	v_or_b32_e32 v1, v2, v1
	v_cndmask_b32_e64 v2, 0, 1, s[16:17]
	v_lshlrev_b16_e32 v2, 8, v2
	v_cndmask_b32_e64 v3, 0, 1, s[6:7]
	v_or_b32_sdwa v2, v3, v2 dst_sel:WORD_1 dst_unused:UNUSED_PAD src0_sel:DWORD src1_sel:DWORD
	v_or_b32_sdwa v1, v1, v2 dst_sel:DWORD dst_unused:UNUSED_PAD src0_sel:WORD_0 src1_sel:DWORD
	v_cndmask_b32_e64 v2, 0, 1, s[20:21]
	v_lshlrev_b16_e32 v2, 8, v2
	v_cndmask_b32_e64 v3, 0, 1, s[18:19]
	v_or_b32_e32 v2, v3, v2
	v_cndmask_b32_e64 v3, 0, 1, s[24:25]
	v_lshlrev_b16_e32 v3, 8, v3
	v_cndmask_b32_e64 v4, 0, 1, s[22:23]
	v_or_b32_sdwa v3, v4, v3 dst_sel:WORD_1 dst_unused:UNUSED_PAD src0_sel:DWORD src1_sel:DWORD
	v_or_b32_sdwa v2, v2, v3 dst_sel:DWORD dst_unused:UNUSED_PAD src0_sel:WORD_0 src1_sel:DWORD
	;; [unrolled: 9-line block ×3, first 2 shown]
	v_cndmask_b32_e64 v4, 0, 1, s[38:39]
	v_lshlrev_b16_e32 v4, 8, v4
	v_cndmask_b32_e64 v6, 0, 1, s[36:37]
	v_or_b32_e32 v4, v6, v4
	v_cndmask_b32_e64 v6, 0, 1, s[42:43]
	v_lshlrev_b16_e32 v6, 8, v6
	v_cndmask_b32_e64 v7, 0, 1, s[40:41]
	s_add_u32 s44, s12, s2
	v_or_b32_sdwa v6, v7, v6 dst_sel:WORD_1 dst_unused:UNUSED_PAD src0_sel:DWORD src1_sel:DWORD
	s_addc_u32 s45, s13, s3
	v_lshlrev_b32_e32 v5, 4, v0
	v_or_b32_sdwa v4, v4, v6 dst_sel:DWORD dst_unused:UNUSED_PAD src0_sel:WORD_0 src1_sel:DWORD
	global_store_dwordx4 v5, v[1:4], s[44:45]
	s_mov_b64 s[0:1], 0
.LBB112_211:
	s_and_b64 vcc, exec, s[0:1]
	s_cbranch_vccz .LBB112_519
; %bb.212:
	v_cmp_gt_i32_e64 s[0:1], s8, v0
	v_mov_b32_e32 v21, 0
	v_or_b32_e32 v1, s2, v0
	v_mov_b32_e32 v7, 0
	v_mov_b32_e32 v2, v0
	s_and_saveexec_b64 s[4:5], s[0:1]
	s_cbranch_execz .LBB112_214
; %bb.213:
	v_mov_b32_e32 v2, 0
	v_lshlrev_b64 v[2:3], 1, v[1:2]
	v_mov_b32_e32 v4, s15
	v_add_co_u32_e32 v2, vcc, s14, v2
	v_addc_co_u32_e32 v3, vcc, v4, v3, vcc
	global_load_ushort v7, v[2:3], off
	v_or_b32_e32 v2, 0x100, v0
.LBB112_214:
	s_or_b64 exec, exec, s[4:5]
	v_cmp_gt_i32_e32 vcc, s8, v2
	s_and_saveexec_b64 s[4:5], vcc
	s_cbranch_execz .LBB112_216
; %bb.215:
	v_add_u32_e32 v3, s2, v2
	v_mov_b32_e32 v4, 0
	v_lshlrev_b64 v[3:4], 1, v[3:4]
	v_mov_b32_e32 v5, s15
	v_add_co_u32_e32 v3, vcc, s14, v3
	v_addc_co_u32_e32 v4, vcc, v5, v4, vcc
	global_load_ushort v21, v[3:4], off
	v_add_u32_e32 v2, 0x100, v2
.LBB112_216:
	s_or_b64 exec, exec, s[4:5]
	v_cmp_gt_i32_e32 vcc, s8, v2
	v_mov_b32_e32 v19, 0
	v_mov_b32_e32 v20, 0
	s_and_saveexec_b64 s[4:5], vcc
	s_cbranch_execz .LBB112_218
; %bb.217:
	v_add_u32_e32 v3, s2, v2
	v_mov_b32_e32 v4, 0
	v_lshlrev_b64 v[3:4], 1, v[3:4]
	v_mov_b32_e32 v5, s15
	v_add_co_u32_e32 v3, vcc, s14, v3
	v_addc_co_u32_e32 v4, vcc, v5, v4, vcc
	global_load_ushort v20, v[3:4], off
	v_add_u32_e32 v2, 0x100, v2
.LBB112_218:
	s_or_b64 exec, exec, s[4:5]
	v_cmp_gt_i32_e32 vcc, s8, v2
	s_and_saveexec_b64 s[4:5], vcc
	s_cbranch_execz .LBB112_220
; %bb.219:
	v_add_u32_e32 v3, s2, v2
	v_mov_b32_e32 v4, 0
	v_lshlrev_b64 v[3:4], 1, v[3:4]
	v_mov_b32_e32 v5, s15
	v_add_co_u32_e32 v3, vcc, s14, v3
	v_addc_co_u32_e32 v4, vcc, v5, v4, vcc
	global_load_ushort v19, v[3:4], off
	v_add_u32_e32 v2, 0x100, v2
.LBB112_220:
	s_or_b64 exec, exec, s[4:5]
	v_cmp_gt_i32_e32 vcc, s8, v2
	v_mov_b32_e32 v17, 0
	v_mov_b32_e32 v18, 0
	s_and_saveexec_b64 s[4:5], vcc
	s_cbranch_execz .LBB112_222
; %bb.221:
	v_add_u32_e32 v3, s2, v2
	v_mov_b32_e32 v4, 0
	v_lshlrev_b64 v[3:4], 1, v[3:4]
	v_mov_b32_e32 v5, s15
	v_add_co_u32_e32 v3, vcc, s14, v3
	v_addc_co_u32_e32 v4, vcc, v5, v4, vcc
	global_load_ushort v18, v[3:4], off
	v_add_u32_e32 v2, 0x100, v2
.LBB112_222:
	;; [unrolled: 30-line block ×7, first 2 shown]
	s_or_b64 exec, exec, s[4:5]
	v_cmp_gt_i32_e32 vcc, s8, v2
	s_and_saveexec_b64 s[4:5], vcc
	s_cbranch_execz .LBB112_244
; %bb.243:
	v_add_u32_e32 v2, s2, v2
	v_mov_b32_e32 v3, 0
	v_lshlrev_b64 v[2:3], 1, v[2:3]
	v_mov_b32_e32 v4, s15
	v_add_co_u32_e32 v2, vcc, s14, v2
	v_addc_co_u32_e32 v3, vcc, v4, v3, vcc
	global_load_ushort v4, v[2:3], off
.LBB112_244:
	s_or_b64 exec, exec, s[4:5]
	v_mov_b32_e32 v6, 0
	v_mov_b32_e32 v5, v6
	;; [unrolled: 1-line block ×4, first 2 shown]
	s_and_saveexec_b64 s[4:5], s[0:1]
	s_cbranch_execz .LBB112_276
; %bb.245:
	s_cmp_lt_i32 s9, 1
	s_mov_b64 s[6:7], 0
	s_cbranch_scc1 .LBB112_250
; %bb.246:
	s_cmp_gt_i32 s9, 1
	s_cbranch_scc0 .LBB112_266
; %bb.247:
	s_cmp_eq_u32 s9, 2
	s_cbranch_scc0 .LBB112_267
; %bb.248:
	s_waitcnt vmcnt(0)
	v_cmp_ge_f16_e64 s[14:15], s10, v7
	s_mov_b64 s[16:17], 0
	s_branch .LBB112_268
.LBB112_249:
	s_waitcnt vmcnt(0)
	v_cmp_lt_f16_sdwa s[46:47], v4, s10 src0_sel:WORD_1 src1_sel:DWORD
	s_andn2_b64 s[42:43], s[42:43], exec
	s_and_b64 s[46:47], s[46:47], exec
	s_or_b64 s[42:43], s[42:43], s[46:47]
	s_cbranch_execz .LBB112_209
	s_branch .LBB112_210
.LBB112_250:
                                        ; implicit-def: $sgpr14_sgpr15
	s_mov_b64 s[16:17], 0
	s_cbranch_execnz .LBB112_271
	s_branch .LBB112_272
.LBB112_251:
	s_mov_b64 s[16:17], -1
                                        ; implicit-def: $sgpr4_sgpr5
	s_branch .LBB112_23
.LBB112_252:
	s_mov_b64 s[18:19], -1
                                        ; implicit-def: $sgpr6_sgpr7
	s_branch .LBB112_36
.LBB112_253:
	s_mov_b64 s[20:21], -1
                                        ; implicit-def: $sgpr16_sgpr17
	s_branch .LBB112_49
.LBB112_254:
	s_mov_b64 s[22:23], -1
                                        ; implicit-def: $sgpr18_sgpr19
	s_branch .LBB112_62
.LBB112_255:
	s_mov_b64 s[24:25], -1
                                        ; implicit-def: $sgpr20_sgpr21
	s_branch .LBB112_75
.LBB112_256:
	s_mov_b64 s[26:27], -1
                                        ; implicit-def: $sgpr22_sgpr23
	s_branch .LBB112_88
.LBB112_257:
	s_mov_b64 s[28:29], -1
                                        ; implicit-def: $sgpr24_sgpr25
	s_branch .LBB112_101
.LBB112_258:
	s_mov_b64 s[30:31], -1
                                        ; implicit-def: $sgpr26_sgpr27
	s_branch .LBB112_114
.LBB112_259:
	s_mov_b64 s[34:35], -1
                                        ; implicit-def: $sgpr28_sgpr29
	s_branch .LBB112_127
.LBB112_260:
	s_mov_b64 s[36:37], -1
                                        ; implicit-def: $sgpr30_sgpr31
	s_branch .LBB112_140
.LBB112_261:
	s_mov_b64 s[38:39], -1
                                        ; implicit-def: $sgpr34_sgpr35
	s_branch .LBB112_153
.LBB112_262:
	s_mov_b64 s[40:41], -1
                                        ; implicit-def: $sgpr36_sgpr37
	s_branch .LBB112_166
.LBB112_263:
	s_mov_b64 s[42:43], -1
                                        ; implicit-def: $sgpr38_sgpr39
	s_branch .LBB112_179
.LBB112_264:
	s_mov_b64 s[44:45], -1
                                        ; implicit-def: $sgpr40_sgpr41
	s_branch .LBB112_192
.LBB112_265:
	s_mov_b64 s[46:47], -1
                                        ; implicit-def: $sgpr42_sgpr43
	s_branch .LBB112_205
.LBB112_266:
	s_mov_b64 s[16:17], 0
                                        ; implicit-def: $sgpr14_sgpr15
	s_cbranch_execnz .LBB112_269
	s_branch .LBB112_270
.LBB112_267:
	s_mov_b64 s[16:17], -1
                                        ; implicit-def: $sgpr14_sgpr15
.LBB112_268:
	s_branch .LBB112_270
.LBB112_269:
	s_waitcnt vmcnt(0)
	v_cmp_lt_f16_e32 vcc, s10, v7
	s_andn2_b64 s[14:15], s[14:15], exec
	s_and_b64 s[18:19], vcc, exec
	s_or_b64 s[14:15], s[14:15], s[18:19]
.LBB112_270:
	s_branch .LBB112_272
.LBB112_271:
	s_cmp_lg_u32 s9, 0
	s_mov_b64 s[6:7], -1
	s_cselect_b64 s[16:17], -1, 0
.LBB112_272:
	s_andn2_b64 vcc, exec, s[16:17]
	s_cbranch_vccz .LBB112_281
; %bb.273:
	s_andn2_b64 vcc, exec, s[6:7]
	s_cbranch_vccnz .LBB112_275
.LBB112_274:
	s_waitcnt vmcnt(0)
	v_cmp_le_f16_e32 vcc, s10, v7
	s_andn2_b64 s[6:7], s[14:15], exec
	s_and_b64 s[14:15], vcc, exec
	s_or_b64 s[14:15], s[6:7], s[14:15]
.LBB112_275:
	v_cndmask_b32_e64 v2, 0, 1, s[14:15]
	v_mov_b32_e32 v5, 0
	v_and_b32_e32 v6, 0xffff, v2
	v_mov_b32_e32 v3, v5
	v_mov_b32_e32 v2, v5
.LBB112_276:
	s_or_b64 exec, exec, s[4:5]
	s_waitcnt vmcnt(0)
	v_or_b32_e32 v7, 0x100, v0
	v_cmp_gt_i32_e32 vcc, s8, v7
	s_and_saveexec_b64 s[4:5], vcc
	s_cbranch_execz .LBB112_291
; %bb.277:
	s_cmp_lt_i32 s9, 1
	s_mov_b64 s[6:7], 0
	s_cbranch_scc1 .LBB112_282
; %bb.278:
	s_cmp_gt_i32 s9, 1
	s_cbranch_scc0 .LBB112_283
; %bb.279:
	s_cmp_eq_u32 s9, 2
	s_cbranch_scc0 .LBB112_535
; %bb.280:
	v_cmp_ge_f16_e64 s[14:15], s10, v21
	s_mov_b64 s[16:17], 0
	s_branch .LBB112_285
.LBB112_281:
	s_waitcnt vmcnt(0)
	v_cmp_gt_f16_e32 vcc, s10, v7
	s_andn2_b64 s[14:15], s[14:15], exec
	s_and_b64 s[16:17], vcc, exec
	s_or_b64 s[14:15], s[14:15], s[16:17]
	s_cbranch_execz .LBB112_274
	s_branch .LBB112_275
.LBB112_282:
                                        ; implicit-def: $sgpr14_sgpr15
	s_mov_b64 s[16:17], 0
	s_cbranch_execnz .LBB112_286
	s_branch .LBB112_287
.LBB112_283:
	s_mov_b64 s[16:17], 0
                                        ; implicit-def: $sgpr14_sgpr15
	s_cbranch_execz .LBB112_285
; %bb.284:
	v_cmp_lt_f16_e32 vcc, s10, v21
	s_andn2_b64 s[14:15], s[14:15], exec
	s_and_b64 s[18:19], vcc, exec
	s_or_b64 s[14:15], s[14:15], s[18:19]
.LBB112_285:
	s_branch .LBB112_287
.LBB112_286:
	s_cmp_lg_u32 s9, 0
	s_mov_b64 s[6:7], -1
	s_cselect_b64 s[16:17], -1, 0
.LBB112_287:
	s_andn2_b64 vcc, exec, s[16:17]
	s_cbranch_vccz .LBB112_296
; %bb.288:
	s_andn2_b64 vcc, exec, s[6:7]
	s_cbranch_vccnz .LBB112_290
.LBB112_289:
	v_cmp_le_f16_e32 vcc, s10, v21
	s_andn2_b64 s[6:7], s[14:15], exec
	s_and_b64 s[14:15], vcc, exec
	s_or_b64 s[14:15], s[6:7], s[14:15]
.LBB112_290:
	v_cndmask_b32_e64 v21, 0, 1, s[14:15]
	v_lshlrev_b16_e32 v21, 8, v21
	v_or_b32_sdwa v21, v6, v21 dst_sel:DWORD dst_unused:UNUSED_PAD src0_sel:BYTE_0 src1_sel:DWORD
	v_and_b32_e32 v21, 0xffff, v21
	s_mov_b32 s3, 0xffff0000
	v_and_or_b32 v6, v6, s3, v21
.LBB112_291:
	s_or_b64 exec, exec, s[4:5]
	v_or_b32_e32 v21, 0x200, v0
	v_cmp_gt_i32_e32 vcc, s8, v21
	s_and_saveexec_b64 s[4:5], vcc
	s_cbranch_execz .LBB112_306
; %bb.292:
	s_cmp_lt_i32 s9, 1
	s_mov_b64 s[6:7], 0
	s_cbranch_scc1 .LBB112_297
; %bb.293:
	s_cmp_gt_i32 s9, 1
	s_cbranch_scc0 .LBB112_298
; %bb.294:
	s_cmp_eq_u32 s9, 2
	s_cbranch_scc0 .LBB112_536
; %bb.295:
	v_cmp_ge_f16_e64 s[14:15], s10, v20
	s_mov_b64 s[16:17], 0
	s_branch .LBB112_300
.LBB112_296:
	v_cmp_gt_f16_e32 vcc, s10, v21
	s_andn2_b64 s[14:15], s[14:15], exec
	s_and_b64 s[16:17], vcc, exec
	s_or_b64 s[14:15], s[14:15], s[16:17]
	s_cbranch_execz .LBB112_289
	s_branch .LBB112_290
.LBB112_297:
                                        ; implicit-def: $sgpr14_sgpr15
	s_mov_b64 s[16:17], 0
	s_cbranch_execnz .LBB112_301
	s_branch .LBB112_302
.LBB112_298:
	s_mov_b64 s[16:17], 0
                                        ; implicit-def: $sgpr14_sgpr15
	s_cbranch_execz .LBB112_300
; %bb.299:
	v_cmp_lt_f16_e32 vcc, s10, v20
	s_andn2_b64 s[14:15], s[14:15], exec
	s_and_b64 s[18:19], vcc, exec
	s_or_b64 s[14:15], s[14:15], s[18:19]
.LBB112_300:
	s_branch .LBB112_302
.LBB112_301:
	s_cmp_lg_u32 s9, 0
	s_mov_b64 s[6:7], -1
	s_cselect_b64 s[16:17], -1, 0
.LBB112_302:
	s_andn2_b64 vcc, exec, s[16:17]
	s_cbranch_vccz .LBB112_311
; %bb.303:
	s_andn2_b64 vcc, exec, s[6:7]
	s_cbranch_vccnz .LBB112_305
.LBB112_304:
	v_cmp_le_f16_e32 vcc, s10, v20
	s_andn2_b64 s[6:7], s[14:15], exec
	s_and_b64 s[14:15], vcc, exec
	s_or_b64 s[14:15], s[6:7], s[14:15]
.LBB112_305:
	s_movk_i32 s3, 0xff00
	v_and_b32_sdwa v20, v6, s3 dst_sel:DWORD dst_unused:UNUSED_PAD src0_sel:WORD_1 src1_sel:DWORD
	v_cndmask_b32_e64 v21, 0, 1, s[14:15]
	v_or_b32_sdwa v20, v21, v20 dst_sel:WORD_1 dst_unused:UNUSED_PAD src0_sel:DWORD src1_sel:DWORD
	s_mov_b32 s3, 0xffff
	v_and_or_b32 v6, v6, s3, v20
.LBB112_306:
	s_or_b64 exec, exec, s[4:5]
	v_or_b32_e32 v20, 0x300, v0
	v_cmp_gt_i32_e32 vcc, s8, v20
	s_and_saveexec_b64 s[4:5], vcc
	s_cbranch_execz .LBB112_321
; %bb.307:
	s_cmp_lt_i32 s9, 1
	s_mov_b64 s[6:7], 0
	s_cbranch_scc1 .LBB112_312
; %bb.308:
	s_cmp_gt_i32 s9, 1
	s_cbranch_scc0 .LBB112_313
; %bb.309:
	s_cmp_eq_u32 s9, 2
	s_cbranch_scc0 .LBB112_537
; %bb.310:
	v_cmp_ge_f16_e64 s[14:15], s10, v19
	s_mov_b64 s[16:17], 0
	s_branch .LBB112_315
.LBB112_311:
	v_cmp_gt_f16_e32 vcc, s10, v20
	s_andn2_b64 s[14:15], s[14:15], exec
	s_and_b64 s[16:17], vcc, exec
	s_or_b64 s[14:15], s[14:15], s[16:17]
	s_cbranch_execz .LBB112_304
	s_branch .LBB112_305
.LBB112_312:
                                        ; implicit-def: $sgpr14_sgpr15
	s_mov_b64 s[16:17], 0
	s_cbranch_execnz .LBB112_316
	s_branch .LBB112_317
.LBB112_313:
	s_mov_b64 s[16:17], 0
                                        ; implicit-def: $sgpr14_sgpr15
	s_cbranch_execz .LBB112_315
; %bb.314:
	v_cmp_lt_f16_e32 vcc, s10, v19
	s_andn2_b64 s[14:15], s[14:15], exec
	s_and_b64 s[18:19], vcc, exec
	s_or_b64 s[14:15], s[14:15], s[18:19]
.LBB112_315:
	s_branch .LBB112_317
.LBB112_316:
	s_cmp_lg_u32 s9, 0
	s_mov_b64 s[6:7], -1
	s_cselect_b64 s[16:17], -1, 0
.LBB112_317:
	s_andn2_b64 vcc, exec, s[16:17]
	s_cbranch_vccz .LBB112_326
; %bb.318:
	s_andn2_b64 vcc, exec, s[6:7]
	s_cbranch_vccnz .LBB112_320
.LBB112_319:
	v_cmp_le_f16_e32 vcc, s10, v19
	s_andn2_b64 s[6:7], s[14:15], exec
	s_and_b64 s[14:15], vcc, exec
	s_or_b64 s[14:15], s[6:7], s[14:15]
.LBB112_320:
	s_movk_i32 s3, 0xff
	v_cndmask_b32_e64 v20, 0, 1, s[14:15]
	v_and_b32_sdwa v19, v6, s3 dst_sel:DWORD dst_unused:UNUSED_PAD src0_sel:WORD_1 src1_sel:DWORD
	v_lshlrev_b16_e32 v20, 8, v20
	v_or_b32_sdwa v19, v19, v20 dst_sel:WORD_1 dst_unused:UNUSED_PAD src0_sel:DWORD src1_sel:DWORD
	s_mov_b32 s3, 0xffff
	v_and_or_b32 v6, v6, s3, v19
.LBB112_321:
	s_or_b64 exec, exec, s[4:5]
	v_or_b32_e32 v19, 0x400, v0
	v_cmp_gt_i32_e32 vcc, s8, v19
	s_and_saveexec_b64 s[4:5], vcc
	s_cbranch_execz .LBB112_336
; %bb.322:
	s_cmp_lt_i32 s9, 1
	s_mov_b64 s[6:7], 0
	s_cbranch_scc1 .LBB112_327
; %bb.323:
	s_cmp_gt_i32 s9, 1
	s_cbranch_scc0 .LBB112_328
; %bb.324:
	s_cmp_eq_u32 s9, 2
	s_cbranch_scc0 .LBB112_538
; %bb.325:
	v_cmp_ge_f16_e64 s[14:15], s10, v18
	s_mov_b64 s[16:17], 0
	s_branch .LBB112_330
.LBB112_326:
	v_cmp_gt_f16_e32 vcc, s10, v19
	s_andn2_b64 s[14:15], s[14:15], exec
	s_and_b64 s[16:17], vcc, exec
	s_or_b64 s[14:15], s[14:15], s[16:17]
	s_cbranch_execz .LBB112_319
	s_branch .LBB112_320
.LBB112_327:
                                        ; implicit-def: $sgpr14_sgpr15
	s_mov_b64 s[16:17], 0
	s_cbranch_execnz .LBB112_331
	s_branch .LBB112_332
.LBB112_328:
	s_mov_b64 s[16:17], 0
                                        ; implicit-def: $sgpr14_sgpr15
	s_cbranch_execz .LBB112_330
; %bb.329:
	v_cmp_lt_f16_e32 vcc, s10, v18
	s_andn2_b64 s[14:15], s[14:15], exec
	s_and_b64 s[18:19], vcc, exec
	s_or_b64 s[14:15], s[14:15], s[18:19]
.LBB112_330:
	s_branch .LBB112_332
.LBB112_331:
	s_cmp_lg_u32 s9, 0
	s_mov_b64 s[6:7], -1
	s_cselect_b64 s[16:17], -1, 0
.LBB112_332:
	s_andn2_b64 vcc, exec, s[16:17]
	s_cbranch_vccz .LBB112_341
; %bb.333:
	s_andn2_b64 vcc, exec, s[6:7]
	s_cbranch_vccnz .LBB112_335
.LBB112_334:
	v_cmp_le_f16_e32 vcc, s10, v18
	s_andn2_b64 s[6:7], s[14:15], exec
	s_and_b64 s[14:15], vcc, exec
	s_or_b64 s[14:15], s[6:7], s[14:15]
.LBB112_335:
	v_and_b32_e32 v18, 0xffffff00, v5
	v_cndmask_b32_e64 v19, 0, 1, s[14:15]
	v_or_b32_e32 v18, v19, v18
	v_and_b32_e32 v18, 0xffff, v18
	s_mov_b32 s3, 0xffff0000
	v_and_or_b32 v5, v5, s3, v18
.LBB112_336:
	s_or_b64 exec, exec, s[4:5]
	v_or_b32_e32 v18, 0x500, v0
	v_cmp_gt_i32_e32 vcc, s8, v18
	s_and_saveexec_b64 s[4:5], vcc
	s_cbranch_execz .LBB112_351
; %bb.337:
	s_cmp_lt_i32 s9, 1
	s_mov_b64 s[6:7], 0
	s_cbranch_scc1 .LBB112_342
; %bb.338:
	s_cmp_gt_i32 s9, 1
	s_cbranch_scc0 .LBB112_343
; %bb.339:
	s_cmp_eq_u32 s9, 2
	s_cbranch_scc0 .LBB112_539
; %bb.340:
	v_cmp_ge_f16_e64 s[14:15], s10, v17
	s_mov_b64 s[16:17], 0
	s_branch .LBB112_345
.LBB112_341:
	v_cmp_gt_f16_e32 vcc, s10, v18
	s_andn2_b64 s[14:15], s[14:15], exec
	s_and_b64 s[16:17], vcc, exec
	s_or_b64 s[14:15], s[14:15], s[16:17]
	s_cbranch_execz .LBB112_334
	s_branch .LBB112_335
.LBB112_342:
                                        ; implicit-def: $sgpr14_sgpr15
	s_mov_b64 s[16:17], 0
	s_cbranch_execnz .LBB112_346
	s_branch .LBB112_347
.LBB112_343:
	s_mov_b64 s[16:17], 0
                                        ; implicit-def: $sgpr14_sgpr15
	s_cbranch_execz .LBB112_345
; %bb.344:
	v_cmp_lt_f16_e32 vcc, s10, v17
	s_andn2_b64 s[14:15], s[14:15], exec
	s_and_b64 s[18:19], vcc, exec
	s_or_b64 s[14:15], s[14:15], s[18:19]
.LBB112_345:
	s_branch .LBB112_347
.LBB112_346:
	s_cmp_lg_u32 s9, 0
	s_mov_b64 s[6:7], -1
	s_cselect_b64 s[16:17], -1, 0
.LBB112_347:
	s_andn2_b64 vcc, exec, s[16:17]
	s_cbranch_vccz .LBB112_356
; %bb.348:
	s_andn2_b64 vcc, exec, s[6:7]
	s_cbranch_vccnz .LBB112_350
.LBB112_349:
	v_cmp_le_f16_e32 vcc, s10, v17
	s_andn2_b64 s[6:7], s[14:15], exec
	s_and_b64 s[14:15], vcc, exec
	s_or_b64 s[14:15], s[6:7], s[14:15]
.LBB112_350:
	v_cndmask_b32_e64 v17, 0, 1, s[14:15]
	v_lshlrev_b16_e32 v17, 8, v17
	v_or_b32_sdwa v17, v5, v17 dst_sel:DWORD dst_unused:UNUSED_PAD src0_sel:BYTE_0 src1_sel:DWORD
	v_and_b32_e32 v17, 0xffff, v17
	s_mov_b32 s3, 0xffff0000
	v_and_or_b32 v5, v5, s3, v17
.LBB112_351:
	s_or_b64 exec, exec, s[4:5]
	v_or_b32_e32 v17, 0x600, v0
	v_cmp_gt_i32_e32 vcc, s8, v17
	s_and_saveexec_b64 s[4:5], vcc
	s_cbranch_execz .LBB112_366
; %bb.352:
	s_cmp_lt_i32 s9, 1
	s_mov_b64 s[6:7], 0
	s_cbranch_scc1 .LBB112_357
; %bb.353:
	s_cmp_gt_i32 s9, 1
	s_cbranch_scc0 .LBB112_358
; %bb.354:
	s_cmp_eq_u32 s9, 2
	s_cbranch_scc0 .LBB112_540
; %bb.355:
	v_cmp_ge_f16_e64 s[14:15], s10, v16
	s_mov_b64 s[16:17], 0
	s_branch .LBB112_360
.LBB112_356:
	v_cmp_gt_f16_e32 vcc, s10, v17
	s_andn2_b64 s[14:15], s[14:15], exec
	s_and_b64 s[16:17], vcc, exec
	s_or_b64 s[14:15], s[14:15], s[16:17]
	s_cbranch_execz .LBB112_349
	s_branch .LBB112_350
.LBB112_357:
                                        ; implicit-def: $sgpr14_sgpr15
	s_mov_b64 s[16:17], 0
	s_cbranch_execnz .LBB112_361
	s_branch .LBB112_362
.LBB112_358:
	s_mov_b64 s[16:17], 0
                                        ; implicit-def: $sgpr14_sgpr15
	s_cbranch_execz .LBB112_360
; %bb.359:
	v_cmp_lt_f16_e32 vcc, s10, v16
	s_andn2_b64 s[14:15], s[14:15], exec
	s_and_b64 s[18:19], vcc, exec
	s_or_b64 s[14:15], s[14:15], s[18:19]
.LBB112_360:
	s_branch .LBB112_362
.LBB112_361:
	s_cmp_lg_u32 s9, 0
	s_mov_b64 s[6:7], -1
	s_cselect_b64 s[16:17], -1, 0
.LBB112_362:
	s_andn2_b64 vcc, exec, s[16:17]
	s_cbranch_vccz .LBB112_371
; %bb.363:
	s_andn2_b64 vcc, exec, s[6:7]
	s_cbranch_vccnz .LBB112_365
.LBB112_364:
	v_cmp_le_f16_e32 vcc, s10, v16
	s_andn2_b64 s[6:7], s[14:15], exec
	s_and_b64 s[14:15], vcc, exec
	s_or_b64 s[14:15], s[6:7], s[14:15]
.LBB112_365:
	s_movk_i32 s3, 0xff00
	v_and_b32_sdwa v16, v5, s3 dst_sel:DWORD dst_unused:UNUSED_PAD src0_sel:WORD_1 src1_sel:DWORD
	v_cndmask_b32_e64 v17, 0, 1, s[14:15]
	v_or_b32_sdwa v16, v17, v16 dst_sel:WORD_1 dst_unused:UNUSED_PAD src0_sel:DWORD src1_sel:DWORD
	s_mov_b32 s3, 0xffff
	v_and_or_b32 v5, v5, s3, v16
.LBB112_366:
	s_or_b64 exec, exec, s[4:5]
	v_or_b32_e32 v16, 0x700, v0
	v_cmp_gt_i32_e32 vcc, s8, v16
	s_and_saveexec_b64 s[4:5], vcc
	s_cbranch_execz .LBB112_381
; %bb.367:
	s_cmp_lt_i32 s9, 1
	s_mov_b64 s[6:7], 0
	s_cbranch_scc1 .LBB112_372
; %bb.368:
	s_cmp_gt_i32 s9, 1
	s_cbranch_scc0 .LBB112_373
; %bb.369:
	s_cmp_eq_u32 s9, 2
	s_cbranch_scc0 .LBB112_541
; %bb.370:
	v_cmp_ge_f16_e64 s[14:15], s10, v15
	s_mov_b64 s[16:17], 0
	s_branch .LBB112_375
.LBB112_371:
	v_cmp_gt_f16_e32 vcc, s10, v16
	s_andn2_b64 s[14:15], s[14:15], exec
	s_and_b64 s[16:17], vcc, exec
	s_or_b64 s[14:15], s[14:15], s[16:17]
	s_cbranch_execz .LBB112_364
	s_branch .LBB112_365
.LBB112_372:
                                        ; implicit-def: $sgpr14_sgpr15
	s_mov_b64 s[16:17], 0
	s_cbranch_execnz .LBB112_376
	s_branch .LBB112_377
.LBB112_373:
	s_mov_b64 s[16:17], 0
                                        ; implicit-def: $sgpr14_sgpr15
	s_cbranch_execz .LBB112_375
; %bb.374:
	v_cmp_lt_f16_e32 vcc, s10, v15
	s_andn2_b64 s[14:15], s[14:15], exec
	s_and_b64 s[18:19], vcc, exec
	s_or_b64 s[14:15], s[14:15], s[18:19]
.LBB112_375:
	s_branch .LBB112_377
.LBB112_376:
	s_cmp_lg_u32 s9, 0
	s_mov_b64 s[6:7], -1
	s_cselect_b64 s[16:17], -1, 0
.LBB112_377:
	s_andn2_b64 vcc, exec, s[16:17]
	s_cbranch_vccz .LBB112_386
; %bb.378:
	s_andn2_b64 vcc, exec, s[6:7]
	s_cbranch_vccnz .LBB112_380
.LBB112_379:
	v_cmp_le_f16_e32 vcc, s10, v15
	s_andn2_b64 s[6:7], s[14:15], exec
	s_and_b64 s[14:15], vcc, exec
	s_or_b64 s[14:15], s[6:7], s[14:15]
.LBB112_380:
	s_movk_i32 s3, 0xff
	v_cndmask_b32_e64 v16, 0, 1, s[14:15]
	v_and_b32_sdwa v15, v5, s3 dst_sel:DWORD dst_unused:UNUSED_PAD src0_sel:WORD_1 src1_sel:DWORD
	v_lshlrev_b16_e32 v16, 8, v16
	v_or_b32_sdwa v15, v15, v16 dst_sel:WORD_1 dst_unused:UNUSED_PAD src0_sel:DWORD src1_sel:DWORD
	s_mov_b32 s3, 0xffff
	v_and_or_b32 v5, v5, s3, v15
.LBB112_381:
	s_or_b64 exec, exec, s[4:5]
	v_or_b32_e32 v15, 0x800, v0
	v_cmp_gt_i32_e32 vcc, s8, v15
	s_and_saveexec_b64 s[4:5], vcc
	s_cbranch_execz .LBB112_396
; %bb.382:
	s_cmp_lt_i32 s9, 1
	s_mov_b64 s[6:7], 0
	s_cbranch_scc1 .LBB112_387
; %bb.383:
	s_cmp_gt_i32 s9, 1
	s_cbranch_scc0 .LBB112_388
; %bb.384:
	s_cmp_eq_u32 s9, 2
	s_cbranch_scc0 .LBB112_542
; %bb.385:
	v_cmp_ge_f16_e64 s[14:15], s10, v14
	s_mov_b64 s[16:17], 0
	s_branch .LBB112_390
.LBB112_386:
	v_cmp_gt_f16_e32 vcc, s10, v15
	s_andn2_b64 s[14:15], s[14:15], exec
	s_and_b64 s[16:17], vcc, exec
	s_or_b64 s[14:15], s[14:15], s[16:17]
	s_cbranch_execz .LBB112_379
	s_branch .LBB112_380
.LBB112_387:
                                        ; implicit-def: $sgpr14_sgpr15
	s_mov_b64 s[16:17], 0
	s_cbranch_execnz .LBB112_391
	s_branch .LBB112_392
.LBB112_388:
	s_mov_b64 s[16:17], 0
                                        ; implicit-def: $sgpr14_sgpr15
	s_cbranch_execz .LBB112_390
; %bb.389:
	v_cmp_lt_f16_e32 vcc, s10, v14
	s_andn2_b64 s[14:15], s[14:15], exec
	s_and_b64 s[18:19], vcc, exec
	s_or_b64 s[14:15], s[14:15], s[18:19]
.LBB112_390:
	s_branch .LBB112_392
.LBB112_391:
	s_cmp_lg_u32 s9, 0
	s_mov_b64 s[6:7], -1
	s_cselect_b64 s[16:17], -1, 0
.LBB112_392:
	s_andn2_b64 vcc, exec, s[16:17]
	s_cbranch_vccz .LBB112_401
; %bb.393:
	s_andn2_b64 vcc, exec, s[6:7]
	s_cbranch_vccnz .LBB112_395
.LBB112_394:
	v_cmp_le_f16_e32 vcc, s10, v14
	s_andn2_b64 s[6:7], s[14:15], exec
	s_and_b64 s[14:15], vcc, exec
	s_or_b64 s[14:15], s[6:7], s[14:15]
.LBB112_395:
	v_and_b32_e32 v14, 0xffffff00, v3
	v_cndmask_b32_e64 v15, 0, 1, s[14:15]
	v_or_b32_e32 v14, v15, v14
	v_and_b32_e32 v14, 0xffff, v14
	s_mov_b32 s3, 0xffff0000
	v_and_or_b32 v3, v3, s3, v14
.LBB112_396:
	s_or_b64 exec, exec, s[4:5]
	v_or_b32_e32 v14, 0x900, v0
	v_cmp_gt_i32_e32 vcc, s8, v14
	s_and_saveexec_b64 s[4:5], vcc
	s_cbranch_execz .LBB112_411
; %bb.397:
	s_cmp_lt_i32 s9, 1
	s_mov_b64 s[6:7], 0
	s_cbranch_scc1 .LBB112_402
; %bb.398:
	s_cmp_gt_i32 s9, 1
	s_cbranch_scc0 .LBB112_403
; %bb.399:
	s_cmp_eq_u32 s9, 2
	s_cbranch_scc0 .LBB112_543
; %bb.400:
	v_cmp_ge_f16_e64 s[14:15], s10, v13
	s_mov_b64 s[16:17], 0
	s_branch .LBB112_405
.LBB112_401:
	v_cmp_gt_f16_e32 vcc, s10, v14
	s_andn2_b64 s[14:15], s[14:15], exec
	s_and_b64 s[16:17], vcc, exec
	s_or_b64 s[14:15], s[14:15], s[16:17]
	s_cbranch_execz .LBB112_394
	s_branch .LBB112_395
.LBB112_402:
                                        ; implicit-def: $sgpr14_sgpr15
	s_mov_b64 s[16:17], 0
	s_cbranch_execnz .LBB112_406
	s_branch .LBB112_407
.LBB112_403:
	s_mov_b64 s[16:17], 0
                                        ; implicit-def: $sgpr14_sgpr15
	s_cbranch_execz .LBB112_405
; %bb.404:
	v_cmp_lt_f16_e32 vcc, s10, v13
	s_andn2_b64 s[14:15], s[14:15], exec
	s_and_b64 s[18:19], vcc, exec
	s_or_b64 s[14:15], s[14:15], s[18:19]
.LBB112_405:
	s_branch .LBB112_407
.LBB112_406:
	s_cmp_lg_u32 s9, 0
	s_mov_b64 s[6:7], -1
	s_cselect_b64 s[16:17], -1, 0
.LBB112_407:
	s_andn2_b64 vcc, exec, s[16:17]
	s_cbranch_vccz .LBB112_416
; %bb.408:
	s_andn2_b64 vcc, exec, s[6:7]
	s_cbranch_vccnz .LBB112_410
.LBB112_409:
	v_cmp_le_f16_e32 vcc, s10, v13
	s_andn2_b64 s[6:7], s[14:15], exec
	s_and_b64 s[14:15], vcc, exec
	s_or_b64 s[14:15], s[6:7], s[14:15]
.LBB112_410:
	v_cndmask_b32_e64 v13, 0, 1, s[14:15]
	v_lshlrev_b16_e32 v13, 8, v13
	v_or_b32_sdwa v13, v3, v13 dst_sel:DWORD dst_unused:UNUSED_PAD src0_sel:BYTE_0 src1_sel:DWORD
	v_and_b32_e32 v13, 0xffff, v13
	s_mov_b32 s3, 0xffff0000
	v_and_or_b32 v3, v3, s3, v13
.LBB112_411:
	s_or_b64 exec, exec, s[4:5]
	v_or_b32_e32 v13, 0xa00, v0
	v_cmp_gt_i32_e32 vcc, s8, v13
	s_and_saveexec_b64 s[4:5], vcc
	s_cbranch_execz .LBB112_426
; %bb.412:
	s_cmp_lt_i32 s9, 1
	s_mov_b64 s[6:7], 0
	s_cbranch_scc1 .LBB112_417
; %bb.413:
	s_cmp_gt_i32 s9, 1
	s_cbranch_scc0 .LBB112_418
; %bb.414:
	s_cmp_eq_u32 s9, 2
	s_cbranch_scc0 .LBB112_544
; %bb.415:
	v_cmp_ge_f16_e64 s[14:15], s10, v12
	s_mov_b64 s[16:17], 0
	s_branch .LBB112_420
.LBB112_416:
	v_cmp_gt_f16_e32 vcc, s10, v13
	s_andn2_b64 s[14:15], s[14:15], exec
	s_and_b64 s[16:17], vcc, exec
	s_or_b64 s[14:15], s[14:15], s[16:17]
	s_cbranch_execz .LBB112_409
	s_branch .LBB112_410
.LBB112_417:
                                        ; implicit-def: $sgpr14_sgpr15
	s_mov_b64 s[16:17], 0
	s_cbranch_execnz .LBB112_421
	s_branch .LBB112_422
.LBB112_418:
	s_mov_b64 s[16:17], 0
                                        ; implicit-def: $sgpr14_sgpr15
	s_cbranch_execz .LBB112_420
; %bb.419:
	v_cmp_lt_f16_e32 vcc, s10, v12
	s_andn2_b64 s[14:15], s[14:15], exec
	s_and_b64 s[18:19], vcc, exec
	s_or_b64 s[14:15], s[14:15], s[18:19]
.LBB112_420:
	s_branch .LBB112_422
.LBB112_421:
	s_cmp_lg_u32 s9, 0
	s_mov_b64 s[6:7], -1
	s_cselect_b64 s[16:17], -1, 0
.LBB112_422:
	s_andn2_b64 vcc, exec, s[16:17]
	s_cbranch_vccz .LBB112_431
; %bb.423:
	s_andn2_b64 vcc, exec, s[6:7]
	s_cbranch_vccnz .LBB112_425
.LBB112_424:
	v_cmp_le_f16_e32 vcc, s10, v12
	s_andn2_b64 s[6:7], s[14:15], exec
	s_and_b64 s[14:15], vcc, exec
	s_or_b64 s[14:15], s[6:7], s[14:15]
.LBB112_425:
	s_movk_i32 s3, 0xff00
	v_and_b32_sdwa v12, v3, s3 dst_sel:DWORD dst_unused:UNUSED_PAD src0_sel:WORD_1 src1_sel:DWORD
	v_cndmask_b32_e64 v13, 0, 1, s[14:15]
	v_or_b32_sdwa v12, v13, v12 dst_sel:WORD_1 dst_unused:UNUSED_PAD src0_sel:DWORD src1_sel:DWORD
	s_mov_b32 s3, 0xffff
	v_and_or_b32 v3, v3, s3, v12
.LBB112_426:
	s_or_b64 exec, exec, s[4:5]
	v_or_b32_e32 v12, 0xb00, v0
	v_cmp_gt_i32_e32 vcc, s8, v12
	s_and_saveexec_b64 s[4:5], vcc
	s_cbranch_execz .LBB112_441
; %bb.427:
	s_cmp_lt_i32 s9, 1
	s_mov_b64 s[6:7], 0
	s_cbranch_scc1 .LBB112_432
; %bb.428:
	s_cmp_gt_i32 s9, 1
	s_cbranch_scc0 .LBB112_433
; %bb.429:
	s_cmp_eq_u32 s9, 2
	s_cbranch_scc0 .LBB112_545
; %bb.430:
	v_cmp_ge_f16_e64 s[14:15], s10, v11
	s_mov_b64 s[16:17], 0
	s_branch .LBB112_435
.LBB112_431:
	v_cmp_gt_f16_e32 vcc, s10, v12
	s_andn2_b64 s[14:15], s[14:15], exec
	s_and_b64 s[16:17], vcc, exec
	s_or_b64 s[14:15], s[14:15], s[16:17]
	s_cbranch_execz .LBB112_424
	s_branch .LBB112_425
.LBB112_432:
                                        ; implicit-def: $sgpr14_sgpr15
	s_mov_b64 s[16:17], 0
	s_cbranch_execnz .LBB112_436
	s_branch .LBB112_437
.LBB112_433:
	s_mov_b64 s[16:17], 0
                                        ; implicit-def: $sgpr14_sgpr15
	s_cbranch_execz .LBB112_435
; %bb.434:
	v_cmp_lt_f16_e32 vcc, s10, v11
	s_andn2_b64 s[14:15], s[14:15], exec
	s_and_b64 s[18:19], vcc, exec
	s_or_b64 s[14:15], s[14:15], s[18:19]
.LBB112_435:
	s_branch .LBB112_437
.LBB112_436:
	s_cmp_lg_u32 s9, 0
	s_mov_b64 s[6:7], -1
	s_cselect_b64 s[16:17], -1, 0
.LBB112_437:
	s_andn2_b64 vcc, exec, s[16:17]
	s_cbranch_vccz .LBB112_446
; %bb.438:
	s_andn2_b64 vcc, exec, s[6:7]
	s_cbranch_vccnz .LBB112_440
.LBB112_439:
	v_cmp_le_f16_e32 vcc, s10, v11
	s_andn2_b64 s[6:7], s[14:15], exec
	s_and_b64 s[14:15], vcc, exec
	s_or_b64 s[14:15], s[6:7], s[14:15]
.LBB112_440:
	s_movk_i32 s3, 0xff
	v_cndmask_b32_e64 v12, 0, 1, s[14:15]
	v_and_b32_sdwa v11, v3, s3 dst_sel:DWORD dst_unused:UNUSED_PAD src0_sel:WORD_1 src1_sel:DWORD
	v_lshlrev_b16_e32 v12, 8, v12
	v_or_b32_sdwa v11, v11, v12 dst_sel:WORD_1 dst_unused:UNUSED_PAD src0_sel:DWORD src1_sel:DWORD
	s_mov_b32 s3, 0xffff
	v_and_or_b32 v3, v3, s3, v11
.LBB112_441:
	s_or_b64 exec, exec, s[4:5]
	v_or_b32_e32 v11, 0xc00, v0
	v_cmp_gt_i32_e32 vcc, s8, v11
	s_and_saveexec_b64 s[4:5], vcc
	s_cbranch_execz .LBB112_456
; %bb.442:
	s_cmp_lt_i32 s9, 1
	s_mov_b64 s[6:7], 0
	s_cbranch_scc1 .LBB112_447
; %bb.443:
	s_cmp_gt_i32 s9, 1
	s_cbranch_scc0 .LBB112_448
; %bb.444:
	s_cmp_eq_u32 s9, 2
	s_cbranch_scc0 .LBB112_546
; %bb.445:
	v_cmp_ge_f16_e64 s[14:15], s10, v10
	s_mov_b64 s[16:17], 0
	s_branch .LBB112_450
.LBB112_446:
	v_cmp_gt_f16_e32 vcc, s10, v11
	s_andn2_b64 s[14:15], s[14:15], exec
	s_and_b64 s[16:17], vcc, exec
	s_or_b64 s[14:15], s[14:15], s[16:17]
	s_cbranch_execz .LBB112_439
	s_branch .LBB112_440
.LBB112_447:
                                        ; implicit-def: $sgpr14_sgpr15
	s_mov_b64 s[16:17], 0
	s_cbranch_execnz .LBB112_451
	s_branch .LBB112_452
.LBB112_448:
	s_mov_b64 s[16:17], 0
                                        ; implicit-def: $sgpr14_sgpr15
	s_cbranch_execz .LBB112_450
; %bb.449:
	v_cmp_lt_f16_e32 vcc, s10, v10
	s_andn2_b64 s[14:15], s[14:15], exec
	s_and_b64 s[18:19], vcc, exec
	s_or_b64 s[14:15], s[14:15], s[18:19]
.LBB112_450:
	s_branch .LBB112_452
.LBB112_451:
	s_cmp_lg_u32 s9, 0
	s_mov_b64 s[6:7], -1
	s_cselect_b64 s[16:17], -1, 0
.LBB112_452:
	s_andn2_b64 vcc, exec, s[16:17]
	s_cbranch_vccz .LBB112_461
; %bb.453:
	s_andn2_b64 vcc, exec, s[6:7]
	s_cbranch_vccnz .LBB112_455
.LBB112_454:
	v_cmp_le_f16_e32 vcc, s10, v10
	s_andn2_b64 s[6:7], s[14:15], exec
	s_and_b64 s[14:15], vcc, exec
	s_or_b64 s[14:15], s[6:7], s[14:15]
.LBB112_455:
	v_and_b32_e32 v10, 0xffffff00, v2
	v_cndmask_b32_e64 v11, 0, 1, s[14:15]
	v_or_b32_e32 v10, v11, v10
	v_and_b32_e32 v10, 0xffff, v10
	s_mov_b32 s3, 0xffff0000
	v_and_or_b32 v2, v2, s3, v10
.LBB112_456:
	s_or_b64 exec, exec, s[4:5]
	v_or_b32_e32 v10, 0xd00, v0
	v_cmp_gt_i32_e32 vcc, s8, v10
	s_and_saveexec_b64 s[4:5], vcc
	s_cbranch_execz .LBB112_471
; %bb.457:
	s_cmp_lt_i32 s9, 1
	s_mov_b64 s[6:7], 0
	s_cbranch_scc1 .LBB112_462
; %bb.458:
	s_cmp_gt_i32 s9, 1
	s_cbranch_scc0 .LBB112_463
; %bb.459:
	s_cmp_eq_u32 s9, 2
	s_cbranch_scc0 .LBB112_547
; %bb.460:
	v_cmp_ge_f16_e64 s[14:15], s10, v9
	s_mov_b64 s[16:17], 0
	s_branch .LBB112_465
.LBB112_461:
	v_cmp_gt_f16_e32 vcc, s10, v10
	s_andn2_b64 s[14:15], s[14:15], exec
	s_and_b64 s[16:17], vcc, exec
	s_or_b64 s[14:15], s[14:15], s[16:17]
	s_cbranch_execz .LBB112_454
	s_branch .LBB112_455
.LBB112_462:
                                        ; implicit-def: $sgpr14_sgpr15
	s_mov_b64 s[16:17], 0
	s_cbranch_execnz .LBB112_466
	s_branch .LBB112_467
.LBB112_463:
	s_mov_b64 s[16:17], 0
                                        ; implicit-def: $sgpr14_sgpr15
	s_cbranch_execz .LBB112_465
; %bb.464:
	v_cmp_lt_f16_e32 vcc, s10, v9
	s_andn2_b64 s[14:15], s[14:15], exec
	s_and_b64 s[18:19], vcc, exec
	s_or_b64 s[14:15], s[14:15], s[18:19]
.LBB112_465:
	s_branch .LBB112_467
.LBB112_466:
	s_cmp_lg_u32 s9, 0
	s_mov_b64 s[6:7], -1
	s_cselect_b64 s[16:17], -1, 0
.LBB112_467:
	s_andn2_b64 vcc, exec, s[16:17]
	s_cbranch_vccz .LBB112_476
; %bb.468:
	s_andn2_b64 vcc, exec, s[6:7]
	s_cbranch_vccnz .LBB112_470
.LBB112_469:
	v_cmp_le_f16_e32 vcc, s10, v9
	s_andn2_b64 s[6:7], s[14:15], exec
	s_and_b64 s[14:15], vcc, exec
	s_or_b64 s[14:15], s[6:7], s[14:15]
.LBB112_470:
	v_cndmask_b32_e64 v9, 0, 1, s[14:15]
	v_lshlrev_b16_e32 v9, 8, v9
	v_or_b32_sdwa v9, v2, v9 dst_sel:DWORD dst_unused:UNUSED_PAD src0_sel:BYTE_0 src1_sel:DWORD
	v_and_b32_e32 v9, 0xffff, v9
	s_mov_b32 s3, 0xffff0000
	v_and_or_b32 v2, v2, s3, v9
.LBB112_471:
	s_or_b64 exec, exec, s[4:5]
	v_or_b32_e32 v9, 0xe00, v0
	v_cmp_gt_i32_e32 vcc, s8, v9
	s_and_saveexec_b64 s[4:5], vcc
	s_cbranch_execz .LBB112_486
; %bb.472:
	s_cmp_lt_i32 s9, 1
	s_mov_b64 s[6:7], 0
	s_cbranch_scc1 .LBB112_477
; %bb.473:
	s_cmp_gt_i32 s9, 1
	s_cbranch_scc0 .LBB112_478
; %bb.474:
	s_cmp_eq_u32 s9, 2
	s_cbranch_scc0 .LBB112_548
; %bb.475:
	v_cmp_ge_f16_e64 s[14:15], s10, v8
	s_mov_b64 s[16:17], 0
	s_branch .LBB112_480
.LBB112_476:
	v_cmp_gt_f16_e32 vcc, s10, v9
	s_andn2_b64 s[14:15], s[14:15], exec
	s_and_b64 s[16:17], vcc, exec
	s_or_b64 s[14:15], s[14:15], s[16:17]
	s_cbranch_execz .LBB112_469
	s_branch .LBB112_470
.LBB112_477:
                                        ; implicit-def: $sgpr14_sgpr15
	s_mov_b64 s[16:17], 0
	s_cbranch_execnz .LBB112_481
	s_branch .LBB112_482
.LBB112_478:
	s_mov_b64 s[16:17], 0
                                        ; implicit-def: $sgpr14_sgpr15
	s_cbranch_execz .LBB112_480
; %bb.479:
	v_cmp_lt_f16_e32 vcc, s10, v8
	s_andn2_b64 s[14:15], s[14:15], exec
	s_and_b64 s[18:19], vcc, exec
	s_or_b64 s[14:15], s[14:15], s[18:19]
.LBB112_480:
	s_branch .LBB112_482
.LBB112_481:
	s_cmp_lg_u32 s9, 0
	s_mov_b64 s[6:7], -1
	s_cselect_b64 s[16:17], -1, 0
.LBB112_482:
	s_andn2_b64 vcc, exec, s[16:17]
	s_cbranch_vccz .LBB112_491
; %bb.483:
	s_andn2_b64 vcc, exec, s[6:7]
	s_cbranch_vccnz .LBB112_485
.LBB112_484:
	v_cmp_le_f16_e32 vcc, s10, v8
	s_andn2_b64 s[6:7], s[14:15], exec
	s_and_b64 s[14:15], vcc, exec
	s_or_b64 s[14:15], s[6:7], s[14:15]
.LBB112_485:
	s_movk_i32 s3, 0xff00
	v_and_b32_sdwa v8, v2, s3 dst_sel:DWORD dst_unused:UNUSED_PAD src0_sel:WORD_1 src1_sel:DWORD
	v_cndmask_b32_e64 v9, 0, 1, s[14:15]
	v_or_b32_sdwa v8, v9, v8 dst_sel:WORD_1 dst_unused:UNUSED_PAD src0_sel:DWORD src1_sel:DWORD
	s_mov_b32 s3, 0xffff
	v_and_or_b32 v2, v2, s3, v8
.LBB112_486:
	s_or_b64 exec, exec, s[4:5]
	v_or_b32_e32 v8, 0xf00, v0
	v_cmp_gt_i32_e32 vcc, s8, v8
	s_and_saveexec_b64 s[4:5], vcc
	s_cbranch_execz .LBB112_501
; %bb.487:
	s_cmp_lt_i32 s9, 1
	s_mov_b64 s[6:7], 0
	s_cbranch_scc1 .LBB112_492
; %bb.488:
	s_cmp_gt_i32 s9, 1
	s_cbranch_scc0 .LBB112_493
; %bb.489:
	s_cmp_eq_u32 s9, 2
	s_cbranch_scc0 .LBB112_549
; %bb.490:
	v_cmp_ge_f16_e64 s[14:15], s10, v4
	s_mov_b64 s[16:17], 0
	s_branch .LBB112_495
.LBB112_491:
	v_cmp_gt_f16_e32 vcc, s10, v8
	s_andn2_b64 s[14:15], s[14:15], exec
	s_and_b64 s[16:17], vcc, exec
	s_or_b64 s[14:15], s[14:15], s[16:17]
	s_cbranch_execz .LBB112_484
	s_branch .LBB112_485
.LBB112_492:
                                        ; implicit-def: $sgpr14_sgpr15
	s_mov_b64 s[16:17], 0
	s_cbranch_execnz .LBB112_496
	s_branch .LBB112_497
.LBB112_493:
	s_mov_b64 s[16:17], 0
                                        ; implicit-def: $sgpr14_sgpr15
	s_cbranch_execz .LBB112_495
; %bb.494:
	v_cmp_lt_f16_e32 vcc, s10, v4
	s_andn2_b64 s[14:15], s[14:15], exec
	s_and_b64 s[18:19], vcc, exec
	s_or_b64 s[14:15], s[14:15], s[18:19]
.LBB112_495:
	s_branch .LBB112_497
.LBB112_496:
	s_cmp_lg_u32 s9, 0
	s_mov_b64 s[6:7], -1
	s_cselect_b64 s[16:17], -1, 0
.LBB112_497:
	s_andn2_b64 vcc, exec, s[16:17]
	s_cbranch_vccz .LBB112_534
; %bb.498:
	s_andn2_b64 vcc, exec, s[6:7]
	s_cbranch_vccnz .LBB112_500
.LBB112_499:
	v_cmp_le_f16_e32 vcc, s10, v4
	s_andn2_b64 s[6:7], s[14:15], exec
	s_and_b64 s[10:11], vcc, exec
	s_or_b64 s[14:15], s[6:7], s[10:11]
.LBB112_500:
	s_movk_i32 s3, 0xff
	v_cndmask_b32_e64 v8, 0, 1, s[14:15]
	v_and_b32_sdwa v4, v2, s3 dst_sel:DWORD dst_unused:UNUSED_PAD src0_sel:WORD_1 src1_sel:DWORD
	v_lshlrev_b16_e32 v8, 8, v8
	v_or_b32_sdwa v4, v4, v8 dst_sel:WORD_1 dst_unused:UNUSED_PAD src0_sel:DWORD src1_sel:DWORD
	s_mov_b32 s3, 0xffff
	v_and_or_b32 v2, v2, s3, v4
.LBB112_501:
	s_or_b64 exec, exec, s[4:5]
	s_and_saveexec_b64 s[4:5], s[0:1]
	s_xor_b64 s[0:1], exec, s[4:5]
	s_cbranch_execz .LBB112_503
; %bb.502:
	v_mov_b32_e32 v0, v7
	global_store_byte v1, v6, s[12:13]
.LBB112_503:
	s_or_b64 exec, exec, s[0:1]
	v_cmp_gt_i32_e32 vcc, s8, v0
	s_and_saveexec_b64 s[0:1], vcc
	s_cbranch_execnz .LBB112_520
; %bb.504:
	s_or_b64 exec, exec, s[0:1]
	v_cmp_gt_i32_e32 vcc, s8, v0
	s_and_saveexec_b64 s[0:1], vcc
	s_cbranch_execnz .LBB112_521
.LBB112_505:
	s_or_b64 exec, exec, s[0:1]
	v_cmp_gt_i32_e32 vcc, s8, v0
	s_and_saveexec_b64 s[0:1], vcc
	s_cbranch_execnz .LBB112_522
.LBB112_506:
	s_or_b64 exec, exec, s[0:1]
	v_cmp_gt_i32_e32 vcc, s8, v0
	s_and_saveexec_b64 s[0:1], vcc
	s_cbranch_execnz .LBB112_523
.LBB112_507:
	s_or_b64 exec, exec, s[0:1]
	v_cmp_gt_i32_e32 vcc, s8, v0
	s_and_saveexec_b64 s[0:1], vcc
	s_cbranch_execnz .LBB112_524
.LBB112_508:
	s_or_b64 exec, exec, s[0:1]
	v_cmp_gt_i32_e32 vcc, s8, v0
	s_and_saveexec_b64 s[0:1], vcc
	s_cbranch_execnz .LBB112_525
.LBB112_509:
	s_or_b64 exec, exec, s[0:1]
	v_cmp_gt_i32_e32 vcc, s8, v0
	s_and_saveexec_b64 s[0:1], vcc
	s_cbranch_execnz .LBB112_526
.LBB112_510:
	s_or_b64 exec, exec, s[0:1]
	v_cmp_gt_i32_e32 vcc, s8, v0
	s_and_saveexec_b64 s[0:1], vcc
	s_cbranch_execnz .LBB112_527
.LBB112_511:
	s_or_b64 exec, exec, s[0:1]
	v_cmp_gt_i32_e32 vcc, s8, v0
	s_and_saveexec_b64 s[0:1], vcc
	s_cbranch_execnz .LBB112_528
.LBB112_512:
	s_or_b64 exec, exec, s[0:1]
	v_cmp_gt_i32_e32 vcc, s8, v0
	s_and_saveexec_b64 s[0:1], vcc
	s_cbranch_execnz .LBB112_529
.LBB112_513:
	s_or_b64 exec, exec, s[0:1]
	v_cmp_gt_i32_e32 vcc, s8, v0
	s_and_saveexec_b64 s[0:1], vcc
	s_cbranch_execnz .LBB112_530
.LBB112_514:
	s_or_b64 exec, exec, s[0:1]
	v_cmp_gt_i32_e32 vcc, s8, v0
	s_and_saveexec_b64 s[0:1], vcc
	s_cbranch_execnz .LBB112_531
.LBB112_515:
	s_or_b64 exec, exec, s[0:1]
	v_cmp_gt_i32_e32 vcc, s8, v0
	s_and_saveexec_b64 s[0:1], vcc
	s_cbranch_execnz .LBB112_532
.LBB112_516:
	s_or_b64 exec, exec, s[0:1]
	v_cmp_gt_i32_e32 vcc, s8, v0
	s_and_saveexec_b64 s[0:1], vcc
	s_cbranch_execnz .LBB112_533
.LBB112_517:
	s_or_b64 exec, exec, s[0:1]
	v_cmp_gt_i32_e32 vcc, s8, v0
	s_and_saveexec_b64 s[0:1], vcc
	s_cbranch_execz .LBB112_519
.LBB112_518:
	v_lshrrev_b32_e32 v1, 24, v2
	v_add_u32_e32 v0, s2, v0
	global_store_byte v0, v1, s[12:13]
.LBB112_519:
	s_endpgm
.LBB112_520:
	v_lshrrev_b32_e32 v1, 8, v6
	v_add_u32_e32 v4, s2, v0
	v_add_u32_e32 v0, 0x100, v0
	global_store_byte v4, v1, s[12:13]
	s_or_b64 exec, exec, s[0:1]
	v_cmp_gt_i32_e32 vcc, s8, v0
	s_and_saveexec_b64 s[0:1], vcc
	s_cbranch_execz .LBB112_505
.LBB112_521:
	v_add_u32_e32 v1, s2, v0
	v_add_u32_e32 v0, 0x100, v0
	global_store_byte_d16_hi v1, v6, s[12:13]
	s_or_b64 exec, exec, s[0:1]
	v_cmp_gt_i32_e32 vcc, s8, v0
	s_and_saveexec_b64 s[0:1], vcc
	s_cbranch_execz .LBB112_506
.LBB112_522:
	v_lshrrev_b32_e32 v1, 24, v6
	v_add_u32_e32 v4, s2, v0
	v_add_u32_e32 v0, 0x100, v0
	global_store_byte v4, v1, s[12:13]
	s_or_b64 exec, exec, s[0:1]
	v_cmp_gt_i32_e32 vcc, s8, v0
	s_and_saveexec_b64 s[0:1], vcc
	s_cbranch_execz .LBB112_507
.LBB112_523:
	v_add_u32_e32 v1, s2, v0
	v_add_u32_e32 v0, 0x100, v0
	global_store_byte v1, v5, s[12:13]
	s_or_b64 exec, exec, s[0:1]
	v_cmp_gt_i32_e32 vcc, s8, v0
	s_and_saveexec_b64 s[0:1], vcc
	s_cbranch_execz .LBB112_508
.LBB112_524:
	v_lshrrev_b32_e32 v1, 8, v5
	v_add_u32_e32 v4, s2, v0
	v_add_u32_e32 v0, 0x100, v0
	global_store_byte v4, v1, s[12:13]
	s_or_b64 exec, exec, s[0:1]
	v_cmp_gt_i32_e32 vcc, s8, v0
	s_and_saveexec_b64 s[0:1], vcc
	s_cbranch_execz .LBB112_509
.LBB112_525:
	v_add_u32_e32 v1, s2, v0
	v_add_u32_e32 v0, 0x100, v0
	global_store_byte_d16_hi v1, v5, s[12:13]
	s_or_b64 exec, exec, s[0:1]
	v_cmp_gt_i32_e32 vcc, s8, v0
	s_and_saveexec_b64 s[0:1], vcc
	s_cbranch_execz .LBB112_510
.LBB112_526:
	v_lshrrev_b32_e32 v1, 24, v5
	v_add_u32_e32 v4, s2, v0
	v_add_u32_e32 v0, 0x100, v0
	global_store_byte v4, v1, s[12:13]
	s_or_b64 exec, exec, s[0:1]
	v_cmp_gt_i32_e32 vcc, s8, v0
	s_and_saveexec_b64 s[0:1], vcc
	s_cbranch_execz .LBB112_511
.LBB112_527:
	v_add_u32_e32 v1, s2, v0
	v_add_u32_e32 v0, 0x100, v0
	global_store_byte v1, v3, s[12:13]
	s_or_b64 exec, exec, s[0:1]
	v_cmp_gt_i32_e32 vcc, s8, v0
	s_and_saveexec_b64 s[0:1], vcc
	s_cbranch_execz .LBB112_512
.LBB112_528:
	v_lshrrev_b32_e32 v1, 8, v3
	v_add_u32_e32 v4, s2, v0
	v_add_u32_e32 v0, 0x100, v0
	global_store_byte v4, v1, s[12:13]
	s_or_b64 exec, exec, s[0:1]
	v_cmp_gt_i32_e32 vcc, s8, v0
	s_and_saveexec_b64 s[0:1], vcc
	s_cbranch_execz .LBB112_513
.LBB112_529:
	v_add_u32_e32 v1, s2, v0
	v_add_u32_e32 v0, 0x100, v0
	global_store_byte_d16_hi v1, v3, s[12:13]
	s_or_b64 exec, exec, s[0:1]
	v_cmp_gt_i32_e32 vcc, s8, v0
	s_and_saveexec_b64 s[0:1], vcc
	s_cbranch_execz .LBB112_514
.LBB112_530:
	v_lshrrev_b32_e32 v1, 24, v3
	v_add_u32_e32 v3, s2, v0
	v_add_u32_e32 v0, 0x100, v0
	global_store_byte v3, v1, s[12:13]
	s_or_b64 exec, exec, s[0:1]
	v_cmp_gt_i32_e32 vcc, s8, v0
	s_and_saveexec_b64 s[0:1], vcc
	s_cbranch_execz .LBB112_515
.LBB112_531:
	v_add_u32_e32 v1, s2, v0
	v_add_u32_e32 v0, 0x100, v0
	global_store_byte v1, v2, s[12:13]
	s_or_b64 exec, exec, s[0:1]
	v_cmp_gt_i32_e32 vcc, s8, v0
	s_and_saveexec_b64 s[0:1], vcc
	s_cbranch_execz .LBB112_516
.LBB112_532:
	v_lshrrev_b32_e32 v1, 8, v2
	v_add_u32_e32 v3, s2, v0
	v_add_u32_e32 v0, 0x100, v0
	global_store_byte v3, v1, s[12:13]
	s_or_b64 exec, exec, s[0:1]
	v_cmp_gt_i32_e32 vcc, s8, v0
	s_and_saveexec_b64 s[0:1], vcc
	s_cbranch_execz .LBB112_517
.LBB112_533:
	v_add_u32_e32 v1, s2, v0
	v_add_u32_e32 v0, 0x100, v0
	global_store_byte_d16_hi v1, v2, s[12:13]
	s_or_b64 exec, exec, s[0:1]
	v_cmp_gt_i32_e32 vcc, s8, v0
	s_and_saveexec_b64 s[0:1], vcc
	s_cbranch_execnz .LBB112_518
	s_branch .LBB112_519
.LBB112_534:
	v_cmp_gt_f16_e32 vcc, s10, v4
	s_andn2_b64 s[14:15], s[14:15], exec
	s_and_b64 s[16:17], vcc, exec
	s_or_b64 s[14:15], s[14:15], s[16:17]
	s_cbranch_execz .LBB112_499
	s_branch .LBB112_500
.LBB112_535:
	s_mov_b64 s[16:17], -1
                                        ; implicit-def: $sgpr14_sgpr15
	s_branch .LBB112_285
.LBB112_536:
	s_mov_b64 s[16:17], -1
                                        ; implicit-def: $sgpr14_sgpr15
	s_branch .LBB112_300
.LBB112_537:
	s_mov_b64 s[16:17], -1
                                        ; implicit-def: $sgpr14_sgpr15
	s_branch .LBB112_315
.LBB112_538:
	s_mov_b64 s[16:17], -1
                                        ; implicit-def: $sgpr14_sgpr15
	s_branch .LBB112_330
.LBB112_539:
	s_mov_b64 s[16:17], -1
                                        ; implicit-def: $sgpr14_sgpr15
	s_branch .LBB112_345
.LBB112_540:
	s_mov_b64 s[16:17], -1
                                        ; implicit-def: $sgpr14_sgpr15
	s_branch .LBB112_360
.LBB112_541:
	s_mov_b64 s[16:17], -1
                                        ; implicit-def: $sgpr14_sgpr15
	s_branch .LBB112_375
.LBB112_542:
	s_mov_b64 s[16:17], -1
                                        ; implicit-def: $sgpr14_sgpr15
	s_branch .LBB112_390
.LBB112_543:
	s_mov_b64 s[16:17], -1
                                        ; implicit-def: $sgpr14_sgpr15
	s_branch .LBB112_405
.LBB112_544:
	s_mov_b64 s[16:17], -1
                                        ; implicit-def: $sgpr14_sgpr15
	s_branch .LBB112_420
.LBB112_545:
	s_mov_b64 s[16:17], -1
                                        ; implicit-def: $sgpr14_sgpr15
	s_branch .LBB112_435
.LBB112_546:
	s_mov_b64 s[16:17], -1
                                        ; implicit-def: $sgpr14_sgpr15
	s_branch .LBB112_450
.LBB112_547:
	s_mov_b64 s[16:17], -1
                                        ; implicit-def: $sgpr14_sgpr15
	s_branch .LBB112_465
.LBB112_548:
	s_mov_b64 s[16:17], -1
                                        ; implicit-def: $sgpr14_sgpr15
	s_branch .LBB112_480
.LBB112_549:
	s_mov_b64 s[16:17], -1
                                        ; implicit-def: $sgpr14_sgpr15
	s_branch .LBB112_495
	.section	.rodata,"a",@progbits
	.p2align	6, 0x0
	.amdhsa_kernel _ZN2at6native29vectorized_elementwise_kernelILi16EZNS0_21compare_scalar_kernelIN3c104HalfEEEvRNS_18TensorIteratorBaseENS0_12_GLOBAL__N_16OpTypeET_EUlS4_E_St5arrayIPcLm2EEEEviT0_T1_
		.amdhsa_group_segment_fixed_size 0
		.amdhsa_private_segment_fixed_size 0
		.amdhsa_kernarg_size 32
		.amdhsa_user_sgpr_count 6
		.amdhsa_user_sgpr_private_segment_buffer 1
		.amdhsa_user_sgpr_dispatch_ptr 0
		.amdhsa_user_sgpr_queue_ptr 0
		.amdhsa_user_sgpr_kernarg_segment_ptr 1
		.amdhsa_user_sgpr_dispatch_id 0
		.amdhsa_user_sgpr_flat_scratch_init 0
		.amdhsa_user_sgpr_private_segment_size 0
		.amdhsa_uses_dynamic_stack 0
		.amdhsa_system_sgpr_private_segment_wavefront_offset 0
		.amdhsa_system_sgpr_workgroup_id_x 1
		.amdhsa_system_sgpr_workgroup_id_y 0
		.amdhsa_system_sgpr_workgroup_id_z 0
		.amdhsa_system_sgpr_workgroup_info 0
		.amdhsa_system_vgpr_workitem_id 0
		.amdhsa_next_free_vgpr 22
		.amdhsa_next_free_sgpr 50
		.amdhsa_reserve_vcc 1
		.amdhsa_reserve_flat_scratch 0
		.amdhsa_float_round_mode_32 0
		.amdhsa_float_round_mode_16_64 0
		.amdhsa_float_denorm_mode_32 3
		.amdhsa_float_denorm_mode_16_64 3
		.amdhsa_dx10_clamp 1
		.amdhsa_ieee_mode 1
		.amdhsa_fp16_overflow 0
		.amdhsa_exception_fp_ieee_invalid_op 0
		.amdhsa_exception_fp_denorm_src 0
		.amdhsa_exception_fp_ieee_div_zero 0
		.amdhsa_exception_fp_ieee_overflow 0
		.amdhsa_exception_fp_ieee_underflow 0
		.amdhsa_exception_fp_ieee_inexact 0
		.amdhsa_exception_int_div_zero 0
	.end_amdhsa_kernel
	.section	.text._ZN2at6native29vectorized_elementwise_kernelILi16EZNS0_21compare_scalar_kernelIN3c104HalfEEEvRNS_18TensorIteratorBaseENS0_12_GLOBAL__N_16OpTypeET_EUlS4_E_St5arrayIPcLm2EEEEviT0_T1_,"axG",@progbits,_ZN2at6native29vectorized_elementwise_kernelILi16EZNS0_21compare_scalar_kernelIN3c104HalfEEEvRNS_18TensorIteratorBaseENS0_12_GLOBAL__N_16OpTypeET_EUlS4_E_St5arrayIPcLm2EEEEviT0_T1_,comdat
.Lfunc_end112:
	.size	_ZN2at6native29vectorized_elementwise_kernelILi16EZNS0_21compare_scalar_kernelIN3c104HalfEEEvRNS_18TensorIteratorBaseENS0_12_GLOBAL__N_16OpTypeET_EUlS4_E_St5arrayIPcLm2EEEEviT0_T1_, .Lfunc_end112-_ZN2at6native29vectorized_elementwise_kernelILi16EZNS0_21compare_scalar_kernelIN3c104HalfEEEvRNS_18TensorIteratorBaseENS0_12_GLOBAL__N_16OpTypeET_EUlS4_E_St5arrayIPcLm2EEEEviT0_T1_
                                        ; -- End function
	.set _ZN2at6native29vectorized_elementwise_kernelILi16EZNS0_21compare_scalar_kernelIN3c104HalfEEEvRNS_18TensorIteratorBaseENS0_12_GLOBAL__N_16OpTypeET_EUlS4_E_St5arrayIPcLm2EEEEviT0_T1_.num_vgpr, 22
	.set _ZN2at6native29vectorized_elementwise_kernelILi16EZNS0_21compare_scalar_kernelIN3c104HalfEEEvRNS_18TensorIteratorBaseENS0_12_GLOBAL__N_16OpTypeET_EUlS4_E_St5arrayIPcLm2EEEEviT0_T1_.num_agpr, 0
	.set _ZN2at6native29vectorized_elementwise_kernelILi16EZNS0_21compare_scalar_kernelIN3c104HalfEEEvRNS_18TensorIteratorBaseENS0_12_GLOBAL__N_16OpTypeET_EUlS4_E_St5arrayIPcLm2EEEEviT0_T1_.numbered_sgpr, 50
	.set _ZN2at6native29vectorized_elementwise_kernelILi16EZNS0_21compare_scalar_kernelIN3c104HalfEEEvRNS_18TensorIteratorBaseENS0_12_GLOBAL__N_16OpTypeET_EUlS4_E_St5arrayIPcLm2EEEEviT0_T1_.num_named_barrier, 0
	.set _ZN2at6native29vectorized_elementwise_kernelILi16EZNS0_21compare_scalar_kernelIN3c104HalfEEEvRNS_18TensorIteratorBaseENS0_12_GLOBAL__N_16OpTypeET_EUlS4_E_St5arrayIPcLm2EEEEviT0_T1_.private_seg_size, 0
	.set _ZN2at6native29vectorized_elementwise_kernelILi16EZNS0_21compare_scalar_kernelIN3c104HalfEEEvRNS_18TensorIteratorBaseENS0_12_GLOBAL__N_16OpTypeET_EUlS4_E_St5arrayIPcLm2EEEEviT0_T1_.uses_vcc, 1
	.set _ZN2at6native29vectorized_elementwise_kernelILi16EZNS0_21compare_scalar_kernelIN3c104HalfEEEvRNS_18TensorIteratorBaseENS0_12_GLOBAL__N_16OpTypeET_EUlS4_E_St5arrayIPcLm2EEEEviT0_T1_.uses_flat_scratch, 0
	.set _ZN2at6native29vectorized_elementwise_kernelILi16EZNS0_21compare_scalar_kernelIN3c104HalfEEEvRNS_18TensorIteratorBaseENS0_12_GLOBAL__N_16OpTypeET_EUlS4_E_St5arrayIPcLm2EEEEviT0_T1_.has_dyn_sized_stack, 0
	.set _ZN2at6native29vectorized_elementwise_kernelILi16EZNS0_21compare_scalar_kernelIN3c104HalfEEEvRNS_18TensorIteratorBaseENS0_12_GLOBAL__N_16OpTypeET_EUlS4_E_St5arrayIPcLm2EEEEviT0_T1_.has_recursion, 0
	.set _ZN2at6native29vectorized_elementwise_kernelILi16EZNS0_21compare_scalar_kernelIN3c104HalfEEEvRNS_18TensorIteratorBaseENS0_12_GLOBAL__N_16OpTypeET_EUlS4_E_St5arrayIPcLm2EEEEviT0_T1_.has_indirect_call, 0
	.section	.AMDGPU.csdata,"",@progbits
; Kernel info:
; codeLenInByte = 8900
; TotalNumSgprs: 54
; NumVgprs: 22
; ScratchSize: 0
; MemoryBound: 0
; FloatMode: 240
; IeeeMode: 1
; LDSByteSize: 0 bytes/workgroup (compile time only)
; SGPRBlocks: 6
; VGPRBlocks: 5
; NumSGPRsForWavesPerEU: 54
; NumVGPRsForWavesPerEU: 22
; Occupancy: 10
; WaveLimiterHint : 0
; COMPUTE_PGM_RSRC2:SCRATCH_EN: 0
; COMPUTE_PGM_RSRC2:USER_SGPR: 6
; COMPUTE_PGM_RSRC2:TRAP_HANDLER: 0
; COMPUTE_PGM_RSRC2:TGID_X_EN: 1
; COMPUTE_PGM_RSRC2:TGID_Y_EN: 0
; COMPUTE_PGM_RSRC2:TGID_Z_EN: 0
; COMPUTE_PGM_RSRC2:TIDIG_COMP_CNT: 0
	.section	.text._ZN2at6native29vectorized_elementwise_kernelILi8EZNS0_21compare_scalar_kernelIN3c104HalfEEEvRNS_18TensorIteratorBaseENS0_12_GLOBAL__N_16OpTypeET_EUlS4_E_St5arrayIPcLm2EEEEviT0_T1_,"axG",@progbits,_ZN2at6native29vectorized_elementwise_kernelILi8EZNS0_21compare_scalar_kernelIN3c104HalfEEEvRNS_18TensorIteratorBaseENS0_12_GLOBAL__N_16OpTypeET_EUlS4_E_St5arrayIPcLm2EEEEviT0_T1_,comdat
	.globl	_ZN2at6native29vectorized_elementwise_kernelILi8EZNS0_21compare_scalar_kernelIN3c104HalfEEEvRNS_18TensorIteratorBaseENS0_12_GLOBAL__N_16OpTypeET_EUlS4_E_St5arrayIPcLm2EEEEviT0_T1_ ; -- Begin function _ZN2at6native29vectorized_elementwise_kernelILi8EZNS0_21compare_scalar_kernelIN3c104HalfEEEvRNS_18TensorIteratorBaseENS0_12_GLOBAL__N_16OpTypeET_EUlS4_E_St5arrayIPcLm2EEEEviT0_T1_
	.p2align	8
	.type	_ZN2at6native29vectorized_elementwise_kernelILi8EZNS0_21compare_scalar_kernelIN3c104HalfEEEvRNS_18TensorIteratorBaseENS0_12_GLOBAL__N_16OpTypeET_EUlS4_E_St5arrayIPcLm2EEEEviT0_T1_,@function
_ZN2at6native29vectorized_elementwise_kernelILi8EZNS0_21compare_scalar_kernelIN3c104HalfEEEvRNS_18TensorIteratorBaseENS0_12_GLOBAL__N_16OpTypeET_EUlS4_E_St5arrayIPcLm2EEEEviT0_T1_: ; @_ZN2at6native29vectorized_elementwise_kernelILi8EZNS0_21compare_scalar_kernelIN3c104HalfEEEvRNS_18TensorIteratorBaseENS0_12_GLOBAL__N_16OpTypeET_EUlS4_E_St5arrayIPcLm2EEEEviT0_T1_
; %bb.0:
	s_load_dwordx8 s[8:15], s[4:5], 0x0
	s_lshl_b32 s2, s6, 12
	s_mov_b64 s[0:1], -1
	s_waitcnt lgkmcnt(0)
	s_sub_i32 s8, s8, s2
	s_cmpk_gt_i32 s8, 0xfff
	s_cbranch_scc0 .LBB113_211
; %bb.1:
	s_ashr_i32 s3, s2, 31
	s_lshl_b64 s[0:1], s[2:3], 1
	s_add_u32 s0, s14, s0
	s_addc_u32 s1, s15, s1
	v_lshlrev_b32_e32 v11, 4, v0
	v_mov_b32_e32 v1, s1
	v_add_co_u32_e32 v2, vcc, s0, v11
	v_addc_co_u32_e32 v1, vcc, 0, v1, vcc
	v_add_co_u32_e32 v9, vcc, 0x1000, v2
	v_addc_co_u32_e32 v10, vcc, 0, v1, vcc
	global_load_dwordx4 v[5:8], v11, s[0:1]
	global_load_dwordx4 v[1:4], v[9:10], off
	s_cmp_lt_i32 s9, 1
	s_mov_b64 s[4:5], 0
	s_cbranch_scc1 .LBB113_5
; %bb.2:
	s_cmp_gt_i32 s9, 1
	s_cbranch_scc0 .LBB113_6
; %bb.3:
	s_cmp_eq_u32 s9, 2
	s_cbranch_scc0 .LBB113_7
; %bb.4:
	s_waitcnt vmcnt(1)
	v_cmp_ge_f16_e64 s[0:1], s10, v5
	s_mov_b64 s[6:7], 0
	s_branch .LBB113_8
.LBB113_5:
                                        ; implicit-def: $sgpr0_sgpr1
	s_mov_b64 s[6:7], 0
	s_cbranch_execnz .LBB113_11
	s_branch .LBB113_12
.LBB113_6:
	s_mov_b64 s[6:7], 0
                                        ; implicit-def: $sgpr0_sgpr1
	s_cbranch_execnz .LBB113_9
	s_branch .LBB113_10
.LBB113_7:
	s_mov_b64 s[6:7], -1
                                        ; implicit-def: $sgpr0_sgpr1
.LBB113_8:
	s_branch .LBB113_10
.LBB113_9:
	s_waitcnt vmcnt(1)
	v_cmp_lt_f16_e32 vcc, s10, v5
	s_andn2_b64 s[0:1], s[0:1], exec
	s_and_b64 s[16:17], vcc, exec
	s_or_b64 s[0:1], s[0:1], s[16:17]
.LBB113_10:
	s_branch .LBB113_12
.LBB113_11:
	s_cmp_lg_u32 s9, 0
	s_mov_b64 s[4:5], -1
	s_cselect_b64 s[6:7], -1, 0
.LBB113_12:
	s_andn2_b64 vcc, exec, s[6:7]
	s_cbranch_vccz .LBB113_18
; %bb.13:
	s_andn2_b64 vcc, exec, s[4:5]
	s_cbranch_vccz .LBB113_19
.LBB113_14:
	s_cmp_lt_i32 s9, 1
	s_mov_b64 s[6:7], 0
	s_cbranch_scc1 .LBB113_20
.LBB113_15:
	s_cmp_gt_i32 s9, 1
	s_cbranch_scc0 .LBB113_21
; %bb.16:
	s_cmp_eq_u32 s9, 2
	s_cbranch_scc0 .LBB113_251
; %bb.17:
	s_waitcnt vmcnt(1)
	v_cmp_le_f16_sdwa s[4:5], v5, s10 src0_sel:WORD_1 src1_sel:DWORD
	s_mov_b64 s[16:17], 0
	s_branch .LBB113_23
.LBB113_18:
	s_waitcnt vmcnt(1)
	v_cmp_gt_f16_e32 vcc, s10, v5
	s_andn2_b64 s[0:1], s[0:1], exec
	s_and_b64 s[6:7], vcc, exec
	s_or_b64 s[0:1], s[0:1], s[6:7]
	s_cbranch_execnz .LBB113_14
.LBB113_19:
	s_waitcnt vmcnt(1)
	v_cmp_le_f16_e32 vcc, s10, v5
	s_andn2_b64 s[0:1], s[0:1], exec
	s_and_b64 s[4:5], vcc, exec
	s_or_b64 s[0:1], s[0:1], s[4:5]
	s_cmp_lt_i32 s9, 1
	s_mov_b64 s[6:7], 0
	s_cbranch_scc0 .LBB113_15
.LBB113_20:
                                        ; implicit-def: $sgpr4_sgpr5
	s_mov_b64 s[16:17], 0
	s_cbranch_execnz .LBB113_24
	s_branch .LBB113_25
.LBB113_21:
	s_mov_b64 s[16:17], 0
                                        ; implicit-def: $sgpr4_sgpr5
	s_cbranch_execz .LBB113_23
; %bb.22:
	s_waitcnt vmcnt(1)
	v_cmp_gt_f16_sdwa s[18:19], v5, s10 src0_sel:WORD_1 src1_sel:DWORD
	s_andn2_b64 s[4:5], s[4:5], exec
	s_and_b64 s[18:19], s[18:19], exec
	s_or_b64 s[4:5], s[4:5], s[18:19]
.LBB113_23:
	s_branch .LBB113_25
.LBB113_24:
	s_cmp_lg_u32 s9, 0
	s_mov_b64 s[6:7], -1
	s_cselect_b64 s[16:17], -1, 0
.LBB113_25:
	s_andn2_b64 vcc, exec, s[16:17]
	s_cbranch_vccz .LBB113_31
; %bb.26:
	s_andn2_b64 vcc, exec, s[6:7]
	s_cbranch_vccz .LBB113_32
.LBB113_27:
	s_cmp_lt_i32 s9, 1
	s_mov_b64 s[16:17], 0
	s_cbranch_scc1 .LBB113_33
.LBB113_28:
	s_cmp_gt_i32 s9, 1
	s_cbranch_scc0 .LBB113_34
; %bb.29:
	s_cmp_eq_u32 s9, 2
	s_cbranch_scc0 .LBB113_252
; %bb.30:
	s_waitcnt vmcnt(1)
	v_cmp_ge_f16_e64 s[6:7], s10, v6
	s_mov_b64 s[18:19], 0
	s_branch .LBB113_36
.LBB113_31:
	s_waitcnt vmcnt(1)
	v_cmp_lt_f16_sdwa s[16:17], v5, s10 src0_sel:WORD_1 src1_sel:DWORD
	s_andn2_b64 s[4:5], s[4:5], exec
	s_and_b64 s[16:17], s[16:17], exec
	s_or_b64 s[4:5], s[4:5], s[16:17]
	s_cbranch_execnz .LBB113_27
.LBB113_32:
	s_waitcnt vmcnt(1)
	v_cmp_ge_f16_sdwa s[6:7], v5, s10 src0_sel:WORD_1 src1_sel:DWORD
	s_andn2_b64 s[4:5], s[4:5], exec
	s_and_b64 s[6:7], s[6:7], exec
	s_or_b64 s[4:5], s[4:5], s[6:7]
	s_cmp_lt_i32 s9, 1
	s_mov_b64 s[16:17], 0
	s_cbranch_scc0 .LBB113_28
.LBB113_33:
                                        ; implicit-def: $sgpr6_sgpr7
	s_mov_b64 s[18:19], 0
	s_cbranch_execnz .LBB113_37
	s_branch .LBB113_38
.LBB113_34:
	s_mov_b64 s[18:19], 0
                                        ; implicit-def: $sgpr6_sgpr7
	s_cbranch_execz .LBB113_36
; %bb.35:
	s_waitcnt vmcnt(1)
	v_cmp_lt_f16_e32 vcc, s10, v6
	s_andn2_b64 s[6:7], s[6:7], exec
	s_and_b64 s[20:21], vcc, exec
	s_or_b64 s[6:7], s[6:7], s[20:21]
.LBB113_36:
	s_branch .LBB113_38
.LBB113_37:
	s_cmp_lg_u32 s9, 0
	s_mov_b64 s[16:17], -1
	s_cselect_b64 s[18:19], -1, 0
.LBB113_38:
	s_andn2_b64 vcc, exec, s[18:19]
	s_cbranch_vccz .LBB113_44
; %bb.39:
	s_andn2_b64 vcc, exec, s[16:17]
	s_cbranch_vccz .LBB113_45
.LBB113_40:
	s_cmp_lt_i32 s9, 1
	s_mov_b64 s[18:19], 0
	s_cbranch_scc1 .LBB113_46
.LBB113_41:
	s_cmp_gt_i32 s9, 1
	s_cbranch_scc0 .LBB113_47
; %bb.42:
	s_cmp_eq_u32 s9, 2
	s_cbranch_scc0 .LBB113_253
; %bb.43:
	s_waitcnt vmcnt(1)
	v_cmp_le_f16_sdwa s[16:17], v6, s10 src0_sel:WORD_1 src1_sel:DWORD
	s_mov_b64 s[20:21], 0
	s_branch .LBB113_49
.LBB113_44:
	s_waitcnt vmcnt(1)
	v_cmp_gt_f16_e32 vcc, s10, v6
	s_andn2_b64 s[6:7], s[6:7], exec
	s_and_b64 s[18:19], vcc, exec
	s_or_b64 s[6:7], s[6:7], s[18:19]
	s_cbranch_execnz .LBB113_40
.LBB113_45:
	s_waitcnt vmcnt(1)
	v_cmp_le_f16_e32 vcc, s10, v6
	s_andn2_b64 s[6:7], s[6:7], exec
	s_and_b64 s[16:17], vcc, exec
	s_or_b64 s[6:7], s[6:7], s[16:17]
	s_cmp_lt_i32 s9, 1
	s_mov_b64 s[18:19], 0
	s_cbranch_scc0 .LBB113_41
.LBB113_46:
                                        ; implicit-def: $sgpr16_sgpr17
	s_mov_b64 s[20:21], 0
	s_cbranch_execnz .LBB113_50
	s_branch .LBB113_51
.LBB113_47:
	s_mov_b64 s[20:21], 0
                                        ; implicit-def: $sgpr16_sgpr17
	s_cbranch_execz .LBB113_49
; %bb.48:
	s_waitcnt vmcnt(1)
	v_cmp_gt_f16_sdwa s[22:23], v6, s10 src0_sel:WORD_1 src1_sel:DWORD
	s_andn2_b64 s[16:17], s[16:17], exec
	s_and_b64 s[22:23], s[22:23], exec
	s_or_b64 s[16:17], s[16:17], s[22:23]
.LBB113_49:
	s_branch .LBB113_51
.LBB113_50:
	s_cmp_lg_u32 s9, 0
	s_mov_b64 s[18:19], -1
	s_cselect_b64 s[20:21], -1, 0
.LBB113_51:
	s_andn2_b64 vcc, exec, s[20:21]
	s_cbranch_vccz .LBB113_57
; %bb.52:
	s_andn2_b64 vcc, exec, s[18:19]
	s_cbranch_vccz .LBB113_58
.LBB113_53:
	s_cmp_lt_i32 s9, 1
	s_mov_b64 s[20:21], 0
	s_cbranch_scc1 .LBB113_59
.LBB113_54:
	s_cmp_gt_i32 s9, 1
	s_cbranch_scc0 .LBB113_60
; %bb.55:
	s_cmp_eq_u32 s9, 2
	s_cbranch_scc0 .LBB113_254
; %bb.56:
	s_waitcnt vmcnt(1)
	v_cmp_ge_f16_e64 s[18:19], s10, v7
	s_mov_b64 s[22:23], 0
	s_branch .LBB113_62
.LBB113_57:
	s_waitcnt vmcnt(1)
	v_cmp_lt_f16_sdwa s[20:21], v6, s10 src0_sel:WORD_1 src1_sel:DWORD
	s_andn2_b64 s[16:17], s[16:17], exec
	s_and_b64 s[20:21], s[20:21], exec
	s_or_b64 s[16:17], s[16:17], s[20:21]
	s_cbranch_execnz .LBB113_53
.LBB113_58:
	s_waitcnt vmcnt(1)
	v_cmp_ge_f16_sdwa s[18:19], v6, s10 src0_sel:WORD_1 src1_sel:DWORD
	s_andn2_b64 s[16:17], s[16:17], exec
	s_and_b64 s[18:19], s[18:19], exec
	s_or_b64 s[16:17], s[16:17], s[18:19]
	s_cmp_lt_i32 s9, 1
	s_mov_b64 s[20:21], 0
	s_cbranch_scc0 .LBB113_54
.LBB113_59:
                                        ; implicit-def: $sgpr18_sgpr19
	s_mov_b64 s[22:23], 0
	s_cbranch_execnz .LBB113_63
	s_branch .LBB113_64
.LBB113_60:
	s_mov_b64 s[22:23], 0
                                        ; implicit-def: $sgpr18_sgpr19
	s_cbranch_execz .LBB113_62
; %bb.61:
	s_waitcnt vmcnt(1)
	v_cmp_lt_f16_e32 vcc, s10, v7
	s_andn2_b64 s[18:19], s[18:19], exec
	s_and_b64 s[24:25], vcc, exec
	s_or_b64 s[18:19], s[18:19], s[24:25]
.LBB113_62:
	s_branch .LBB113_64
.LBB113_63:
	s_cmp_lg_u32 s9, 0
	s_mov_b64 s[20:21], -1
	s_cselect_b64 s[22:23], -1, 0
.LBB113_64:
	s_andn2_b64 vcc, exec, s[22:23]
	s_cbranch_vccz .LBB113_70
; %bb.65:
	s_andn2_b64 vcc, exec, s[20:21]
	s_cbranch_vccz .LBB113_71
.LBB113_66:
	s_cmp_lt_i32 s9, 1
	s_mov_b64 s[22:23], 0
	s_cbranch_scc1 .LBB113_72
.LBB113_67:
	s_cmp_gt_i32 s9, 1
	s_cbranch_scc0 .LBB113_73
; %bb.68:
	s_cmp_eq_u32 s9, 2
	s_cbranch_scc0 .LBB113_255
; %bb.69:
	s_waitcnt vmcnt(1)
	v_cmp_le_f16_sdwa s[20:21], v7, s10 src0_sel:WORD_1 src1_sel:DWORD
	s_mov_b64 s[24:25], 0
	s_branch .LBB113_75
.LBB113_70:
	s_waitcnt vmcnt(1)
	v_cmp_gt_f16_e32 vcc, s10, v7
	s_andn2_b64 s[18:19], s[18:19], exec
	s_and_b64 s[22:23], vcc, exec
	s_or_b64 s[18:19], s[18:19], s[22:23]
	s_cbranch_execnz .LBB113_66
.LBB113_71:
	s_waitcnt vmcnt(1)
	v_cmp_le_f16_e32 vcc, s10, v7
	s_andn2_b64 s[18:19], s[18:19], exec
	s_and_b64 s[20:21], vcc, exec
	s_or_b64 s[18:19], s[18:19], s[20:21]
	s_cmp_lt_i32 s9, 1
	s_mov_b64 s[22:23], 0
	s_cbranch_scc0 .LBB113_67
.LBB113_72:
                                        ; implicit-def: $sgpr20_sgpr21
	s_mov_b64 s[24:25], 0
	s_cbranch_execnz .LBB113_76
	s_branch .LBB113_77
.LBB113_73:
	s_mov_b64 s[24:25], 0
                                        ; implicit-def: $sgpr20_sgpr21
	s_cbranch_execz .LBB113_75
; %bb.74:
	s_waitcnt vmcnt(1)
	v_cmp_gt_f16_sdwa s[26:27], v7, s10 src0_sel:WORD_1 src1_sel:DWORD
	s_andn2_b64 s[20:21], s[20:21], exec
	s_and_b64 s[26:27], s[26:27], exec
	s_or_b64 s[20:21], s[20:21], s[26:27]
.LBB113_75:
	s_branch .LBB113_77
.LBB113_76:
	s_cmp_lg_u32 s9, 0
	s_mov_b64 s[22:23], -1
	s_cselect_b64 s[24:25], -1, 0
.LBB113_77:
	s_andn2_b64 vcc, exec, s[24:25]
	s_cbranch_vccz .LBB113_83
; %bb.78:
	s_andn2_b64 vcc, exec, s[22:23]
	s_cbranch_vccz .LBB113_84
.LBB113_79:
	s_cmp_lt_i32 s9, 1
	s_mov_b64 s[24:25], 0
	s_cbranch_scc1 .LBB113_85
.LBB113_80:
	s_cmp_gt_i32 s9, 1
	s_cbranch_scc0 .LBB113_86
; %bb.81:
	s_cmp_eq_u32 s9, 2
	s_cbranch_scc0 .LBB113_256
; %bb.82:
	s_waitcnt vmcnt(1)
	v_cmp_ge_f16_e64 s[22:23], s10, v8
	s_mov_b64 s[26:27], 0
	s_branch .LBB113_88
.LBB113_83:
	s_waitcnt vmcnt(1)
	v_cmp_lt_f16_sdwa s[24:25], v7, s10 src0_sel:WORD_1 src1_sel:DWORD
	s_andn2_b64 s[20:21], s[20:21], exec
	s_and_b64 s[24:25], s[24:25], exec
	s_or_b64 s[20:21], s[20:21], s[24:25]
	s_cbranch_execnz .LBB113_79
.LBB113_84:
	s_waitcnt vmcnt(1)
	v_cmp_ge_f16_sdwa s[22:23], v7, s10 src0_sel:WORD_1 src1_sel:DWORD
	s_andn2_b64 s[20:21], s[20:21], exec
	s_and_b64 s[22:23], s[22:23], exec
	s_or_b64 s[20:21], s[20:21], s[22:23]
	s_cmp_lt_i32 s9, 1
	s_mov_b64 s[24:25], 0
	s_cbranch_scc0 .LBB113_80
.LBB113_85:
                                        ; implicit-def: $sgpr22_sgpr23
	s_mov_b64 s[26:27], 0
	s_cbranch_execnz .LBB113_89
	s_branch .LBB113_90
.LBB113_86:
	s_mov_b64 s[26:27], 0
                                        ; implicit-def: $sgpr22_sgpr23
	s_cbranch_execz .LBB113_88
; %bb.87:
	s_waitcnt vmcnt(1)
	v_cmp_lt_f16_e32 vcc, s10, v8
	s_andn2_b64 s[22:23], s[22:23], exec
	s_and_b64 s[28:29], vcc, exec
	s_or_b64 s[22:23], s[22:23], s[28:29]
.LBB113_88:
	s_branch .LBB113_90
.LBB113_89:
	s_cmp_lg_u32 s9, 0
	s_mov_b64 s[24:25], -1
	s_cselect_b64 s[26:27], -1, 0
.LBB113_90:
	s_andn2_b64 vcc, exec, s[26:27]
	s_cbranch_vccz .LBB113_96
; %bb.91:
	s_andn2_b64 vcc, exec, s[24:25]
	s_cbranch_vccz .LBB113_97
.LBB113_92:
	s_cmp_lt_i32 s9, 1
	s_mov_b64 s[26:27], 0
	s_cbranch_scc1 .LBB113_98
.LBB113_93:
	s_cmp_gt_i32 s9, 1
	s_cbranch_scc0 .LBB113_99
; %bb.94:
	s_cmp_eq_u32 s9, 2
	s_cbranch_scc0 .LBB113_257
; %bb.95:
	s_waitcnt vmcnt(1)
	v_cmp_le_f16_sdwa s[24:25], v8, s10 src0_sel:WORD_1 src1_sel:DWORD
	s_mov_b64 s[28:29], 0
	s_branch .LBB113_101
.LBB113_96:
	s_waitcnt vmcnt(1)
	v_cmp_gt_f16_e32 vcc, s10, v8
	s_andn2_b64 s[22:23], s[22:23], exec
	s_and_b64 s[26:27], vcc, exec
	s_or_b64 s[22:23], s[22:23], s[26:27]
	s_cbranch_execnz .LBB113_92
.LBB113_97:
	s_waitcnt vmcnt(1)
	v_cmp_le_f16_e32 vcc, s10, v8
	s_andn2_b64 s[22:23], s[22:23], exec
	s_and_b64 s[24:25], vcc, exec
	s_or_b64 s[22:23], s[22:23], s[24:25]
	s_cmp_lt_i32 s9, 1
	s_mov_b64 s[26:27], 0
	s_cbranch_scc0 .LBB113_93
.LBB113_98:
                                        ; implicit-def: $sgpr24_sgpr25
	s_mov_b64 s[28:29], 0
	s_cbranch_execnz .LBB113_102
	s_branch .LBB113_103
.LBB113_99:
	s_mov_b64 s[28:29], 0
                                        ; implicit-def: $sgpr24_sgpr25
	s_cbranch_execz .LBB113_101
; %bb.100:
	s_waitcnt vmcnt(1)
	v_cmp_gt_f16_sdwa s[30:31], v8, s10 src0_sel:WORD_1 src1_sel:DWORD
	s_andn2_b64 s[24:25], s[24:25], exec
	s_and_b64 s[30:31], s[30:31], exec
	s_or_b64 s[24:25], s[24:25], s[30:31]
.LBB113_101:
	s_branch .LBB113_103
.LBB113_102:
	s_cmp_lg_u32 s9, 0
	s_mov_b64 s[26:27], -1
	s_cselect_b64 s[28:29], -1, 0
.LBB113_103:
	s_andn2_b64 vcc, exec, s[28:29]
	s_cbranch_vccz .LBB113_109
; %bb.104:
	s_andn2_b64 vcc, exec, s[26:27]
	s_cbranch_vccz .LBB113_110
.LBB113_105:
	s_cmp_lt_i32 s9, 1
	s_mov_b64 s[28:29], 0
	s_cbranch_scc1 .LBB113_111
.LBB113_106:
	s_cmp_gt_i32 s9, 1
	s_cbranch_scc0 .LBB113_112
; %bb.107:
	s_cmp_eq_u32 s9, 2
	s_cbranch_scc0 .LBB113_258
; %bb.108:
	s_waitcnt vmcnt(0)
	v_cmp_ge_f16_e64 s[26:27], s10, v1
	s_mov_b64 s[30:31], 0
	s_branch .LBB113_114
.LBB113_109:
	s_waitcnt vmcnt(1)
	v_cmp_lt_f16_sdwa s[28:29], v8, s10 src0_sel:WORD_1 src1_sel:DWORD
	s_andn2_b64 s[24:25], s[24:25], exec
	s_and_b64 s[28:29], s[28:29], exec
	s_or_b64 s[24:25], s[24:25], s[28:29]
	s_cbranch_execnz .LBB113_105
.LBB113_110:
	s_waitcnt vmcnt(1)
	v_cmp_ge_f16_sdwa s[26:27], v8, s10 src0_sel:WORD_1 src1_sel:DWORD
	s_andn2_b64 s[24:25], s[24:25], exec
	s_and_b64 s[26:27], s[26:27], exec
	s_or_b64 s[24:25], s[24:25], s[26:27]
	s_cmp_lt_i32 s9, 1
	s_mov_b64 s[28:29], 0
	s_cbranch_scc0 .LBB113_106
.LBB113_111:
                                        ; implicit-def: $sgpr26_sgpr27
	s_mov_b64 s[30:31], 0
	s_cbranch_execnz .LBB113_115
	s_branch .LBB113_116
.LBB113_112:
	s_mov_b64 s[30:31], 0
                                        ; implicit-def: $sgpr26_sgpr27
	s_cbranch_execz .LBB113_114
; %bb.113:
	s_waitcnt vmcnt(0)
	v_cmp_lt_f16_e32 vcc, s10, v1
	s_andn2_b64 s[26:27], s[26:27], exec
	s_and_b64 s[34:35], vcc, exec
	s_or_b64 s[26:27], s[26:27], s[34:35]
.LBB113_114:
	s_branch .LBB113_116
.LBB113_115:
	s_cmp_lg_u32 s9, 0
	s_mov_b64 s[28:29], -1
	s_cselect_b64 s[30:31], -1, 0
.LBB113_116:
	s_andn2_b64 vcc, exec, s[30:31]
	s_cbranch_vccz .LBB113_122
; %bb.117:
	s_andn2_b64 vcc, exec, s[28:29]
	s_cbranch_vccz .LBB113_123
.LBB113_118:
	s_cmp_lt_i32 s9, 1
	s_mov_b64 s[30:31], 0
	s_cbranch_scc1 .LBB113_124
.LBB113_119:
	s_cmp_gt_i32 s9, 1
	s_cbranch_scc0 .LBB113_125
; %bb.120:
	s_cmp_eq_u32 s9, 2
	s_cbranch_scc0 .LBB113_259
; %bb.121:
	s_waitcnt vmcnt(0)
	v_cmp_le_f16_sdwa s[28:29], v1, s10 src0_sel:WORD_1 src1_sel:DWORD
	s_mov_b64 s[34:35], 0
	s_branch .LBB113_127
.LBB113_122:
	s_waitcnt vmcnt(0)
	v_cmp_gt_f16_e32 vcc, s10, v1
	s_andn2_b64 s[26:27], s[26:27], exec
	s_and_b64 s[30:31], vcc, exec
	s_or_b64 s[26:27], s[26:27], s[30:31]
	s_cbranch_execnz .LBB113_118
.LBB113_123:
	s_waitcnt vmcnt(0)
	v_cmp_le_f16_e32 vcc, s10, v1
	s_andn2_b64 s[26:27], s[26:27], exec
	s_and_b64 s[28:29], vcc, exec
	s_or_b64 s[26:27], s[26:27], s[28:29]
	s_cmp_lt_i32 s9, 1
	s_mov_b64 s[30:31], 0
	s_cbranch_scc0 .LBB113_119
.LBB113_124:
                                        ; implicit-def: $sgpr28_sgpr29
	s_mov_b64 s[34:35], 0
	s_cbranch_execnz .LBB113_128
	s_branch .LBB113_129
.LBB113_125:
	s_mov_b64 s[34:35], 0
                                        ; implicit-def: $sgpr28_sgpr29
	s_cbranch_execz .LBB113_127
; %bb.126:
	s_waitcnt vmcnt(0)
	v_cmp_gt_f16_sdwa s[36:37], v1, s10 src0_sel:WORD_1 src1_sel:DWORD
	s_andn2_b64 s[28:29], s[28:29], exec
	s_and_b64 s[36:37], s[36:37], exec
	s_or_b64 s[28:29], s[28:29], s[36:37]
.LBB113_127:
	s_branch .LBB113_129
.LBB113_128:
	s_cmp_lg_u32 s9, 0
	s_mov_b64 s[30:31], -1
	s_cselect_b64 s[34:35], -1, 0
.LBB113_129:
	s_andn2_b64 vcc, exec, s[34:35]
	s_cbranch_vccz .LBB113_135
; %bb.130:
	s_andn2_b64 vcc, exec, s[30:31]
	s_cbranch_vccz .LBB113_136
.LBB113_131:
	s_cmp_lt_i32 s9, 1
	s_mov_b64 s[34:35], 0
	s_cbranch_scc1 .LBB113_137
.LBB113_132:
	s_cmp_gt_i32 s9, 1
	s_cbranch_scc0 .LBB113_138
; %bb.133:
	s_cmp_eq_u32 s9, 2
	s_cbranch_scc0 .LBB113_260
; %bb.134:
	s_waitcnt vmcnt(0)
	v_cmp_ge_f16_e64 s[30:31], s10, v2
	s_mov_b64 s[36:37], 0
	s_branch .LBB113_140
.LBB113_135:
	s_waitcnt vmcnt(0)
	v_cmp_lt_f16_sdwa s[34:35], v1, s10 src0_sel:WORD_1 src1_sel:DWORD
	s_andn2_b64 s[28:29], s[28:29], exec
	s_and_b64 s[34:35], s[34:35], exec
	s_or_b64 s[28:29], s[28:29], s[34:35]
	s_cbranch_execnz .LBB113_131
.LBB113_136:
	s_waitcnt vmcnt(0)
	v_cmp_ge_f16_sdwa s[30:31], v1, s10 src0_sel:WORD_1 src1_sel:DWORD
	s_andn2_b64 s[28:29], s[28:29], exec
	s_and_b64 s[30:31], s[30:31], exec
	s_or_b64 s[28:29], s[28:29], s[30:31]
	s_cmp_lt_i32 s9, 1
	s_mov_b64 s[34:35], 0
	s_cbranch_scc0 .LBB113_132
.LBB113_137:
                                        ; implicit-def: $sgpr30_sgpr31
	s_mov_b64 s[36:37], 0
	s_cbranch_execnz .LBB113_141
	s_branch .LBB113_142
.LBB113_138:
	s_mov_b64 s[36:37], 0
                                        ; implicit-def: $sgpr30_sgpr31
	s_cbranch_execz .LBB113_140
; %bb.139:
	s_waitcnt vmcnt(0)
	v_cmp_lt_f16_e32 vcc, s10, v2
	s_andn2_b64 s[30:31], s[30:31], exec
	s_and_b64 s[38:39], vcc, exec
	s_or_b64 s[30:31], s[30:31], s[38:39]
.LBB113_140:
	s_branch .LBB113_142
.LBB113_141:
	s_cmp_lg_u32 s9, 0
	s_mov_b64 s[34:35], -1
	s_cselect_b64 s[36:37], -1, 0
.LBB113_142:
	s_andn2_b64 vcc, exec, s[36:37]
	s_cbranch_vccz .LBB113_148
; %bb.143:
	s_andn2_b64 vcc, exec, s[34:35]
	s_cbranch_vccz .LBB113_149
.LBB113_144:
	s_cmp_lt_i32 s9, 1
	s_mov_b64 s[36:37], 0
	s_cbranch_scc1 .LBB113_150
.LBB113_145:
	s_cmp_gt_i32 s9, 1
	s_cbranch_scc0 .LBB113_151
; %bb.146:
	s_cmp_eq_u32 s9, 2
	s_cbranch_scc0 .LBB113_261
; %bb.147:
	s_waitcnt vmcnt(0)
	v_cmp_le_f16_sdwa s[34:35], v2, s10 src0_sel:WORD_1 src1_sel:DWORD
	s_mov_b64 s[38:39], 0
	s_branch .LBB113_153
.LBB113_148:
	s_waitcnt vmcnt(0)
	v_cmp_gt_f16_e32 vcc, s10, v2
	s_andn2_b64 s[30:31], s[30:31], exec
	s_and_b64 s[36:37], vcc, exec
	s_or_b64 s[30:31], s[30:31], s[36:37]
	s_cbranch_execnz .LBB113_144
.LBB113_149:
	s_waitcnt vmcnt(0)
	v_cmp_le_f16_e32 vcc, s10, v2
	s_andn2_b64 s[30:31], s[30:31], exec
	s_and_b64 s[34:35], vcc, exec
	s_or_b64 s[30:31], s[30:31], s[34:35]
	s_cmp_lt_i32 s9, 1
	s_mov_b64 s[36:37], 0
	s_cbranch_scc0 .LBB113_145
.LBB113_150:
                                        ; implicit-def: $sgpr34_sgpr35
	s_mov_b64 s[38:39], 0
	s_cbranch_execnz .LBB113_154
	s_branch .LBB113_155
.LBB113_151:
	s_mov_b64 s[38:39], 0
                                        ; implicit-def: $sgpr34_sgpr35
	s_cbranch_execz .LBB113_153
; %bb.152:
	s_waitcnt vmcnt(0)
	v_cmp_gt_f16_sdwa s[40:41], v2, s10 src0_sel:WORD_1 src1_sel:DWORD
	s_andn2_b64 s[34:35], s[34:35], exec
	s_and_b64 s[40:41], s[40:41], exec
	s_or_b64 s[34:35], s[34:35], s[40:41]
.LBB113_153:
	s_branch .LBB113_155
.LBB113_154:
	s_cmp_lg_u32 s9, 0
	s_mov_b64 s[36:37], -1
	s_cselect_b64 s[38:39], -1, 0
.LBB113_155:
	s_andn2_b64 vcc, exec, s[38:39]
	s_cbranch_vccz .LBB113_161
; %bb.156:
	s_andn2_b64 vcc, exec, s[36:37]
	s_cbranch_vccz .LBB113_162
.LBB113_157:
	s_cmp_lt_i32 s9, 1
	s_mov_b64 s[38:39], 0
	s_cbranch_scc1 .LBB113_163
.LBB113_158:
	s_cmp_gt_i32 s9, 1
	s_cbranch_scc0 .LBB113_164
; %bb.159:
	s_cmp_eq_u32 s9, 2
	s_cbranch_scc0 .LBB113_262
; %bb.160:
	s_waitcnt vmcnt(0)
	v_cmp_ge_f16_e64 s[36:37], s10, v3
	s_mov_b64 s[40:41], 0
	s_branch .LBB113_166
.LBB113_161:
	s_waitcnt vmcnt(0)
	v_cmp_lt_f16_sdwa s[38:39], v2, s10 src0_sel:WORD_1 src1_sel:DWORD
	s_andn2_b64 s[34:35], s[34:35], exec
	s_and_b64 s[38:39], s[38:39], exec
	s_or_b64 s[34:35], s[34:35], s[38:39]
	s_cbranch_execnz .LBB113_157
.LBB113_162:
	s_waitcnt vmcnt(0)
	v_cmp_ge_f16_sdwa s[36:37], v2, s10 src0_sel:WORD_1 src1_sel:DWORD
	s_andn2_b64 s[34:35], s[34:35], exec
	s_and_b64 s[36:37], s[36:37], exec
	s_or_b64 s[34:35], s[34:35], s[36:37]
	s_cmp_lt_i32 s9, 1
	s_mov_b64 s[38:39], 0
	s_cbranch_scc0 .LBB113_158
.LBB113_163:
                                        ; implicit-def: $sgpr36_sgpr37
	s_mov_b64 s[40:41], 0
	s_cbranch_execnz .LBB113_167
	s_branch .LBB113_168
.LBB113_164:
	s_mov_b64 s[40:41], 0
                                        ; implicit-def: $sgpr36_sgpr37
	s_cbranch_execz .LBB113_166
; %bb.165:
	s_waitcnt vmcnt(0)
	v_cmp_lt_f16_e32 vcc, s10, v3
	s_andn2_b64 s[36:37], s[36:37], exec
	s_and_b64 s[42:43], vcc, exec
	s_or_b64 s[36:37], s[36:37], s[42:43]
.LBB113_166:
	s_branch .LBB113_168
.LBB113_167:
	s_cmp_lg_u32 s9, 0
	s_mov_b64 s[38:39], -1
	s_cselect_b64 s[40:41], -1, 0
.LBB113_168:
	s_andn2_b64 vcc, exec, s[40:41]
	s_cbranch_vccz .LBB113_174
; %bb.169:
	s_andn2_b64 vcc, exec, s[38:39]
	s_cbranch_vccz .LBB113_175
.LBB113_170:
	s_cmp_lt_i32 s9, 1
	s_mov_b64 s[40:41], 0
	s_cbranch_scc1 .LBB113_176
.LBB113_171:
	s_cmp_gt_i32 s9, 1
	s_cbranch_scc0 .LBB113_177
; %bb.172:
	s_cmp_eq_u32 s9, 2
	s_cbranch_scc0 .LBB113_263
; %bb.173:
	s_waitcnt vmcnt(0)
	v_cmp_le_f16_sdwa s[38:39], v3, s10 src0_sel:WORD_1 src1_sel:DWORD
	s_mov_b64 s[42:43], 0
	s_branch .LBB113_179
.LBB113_174:
	s_waitcnt vmcnt(0)
	v_cmp_gt_f16_e32 vcc, s10, v3
	s_andn2_b64 s[36:37], s[36:37], exec
	s_and_b64 s[40:41], vcc, exec
	s_or_b64 s[36:37], s[36:37], s[40:41]
	s_cbranch_execnz .LBB113_170
.LBB113_175:
	s_waitcnt vmcnt(0)
	v_cmp_le_f16_e32 vcc, s10, v3
	s_andn2_b64 s[36:37], s[36:37], exec
	s_and_b64 s[38:39], vcc, exec
	s_or_b64 s[36:37], s[36:37], s[38:39]
	s_cmp_lt_i32 s9, 1
	s_mov_b64 s[40:41], 0
	s_cbranch_scc0 .LBB113_171
.LBB113_176:
                                        ; implicit-def: $sgpr38_sgpr39
	s_mov_b64 s[42:43], 0
	s_cbranch_execnz .LBB113_180
	s_branch .LBB113_181
.LBB113_177:
	s_mov_b64 s[42:43], 0
                                        ; implicit-def: $sgpr38_sgpr39
	s_cbranch_execz .LBB113_179
; %bb.178:
	s_waitcnt vmcnt(0)
	v_cmp_gt_f16_sdwa s[44:45], v3, s10 src0_sel:WORD_1 src1_sel:DWORD
	s_andn2_b64 s[38:39], s[38:39], exec
	s_and_b64 s[44:45], s[44:45], exec
	s_or_b64 s[38:39], s[38:39], s[44:45]
.LBB113_179:
	s_branch .LBB113_181
.LBB113_180:
	s_cmp_lg_u32 s9, 0
	s_mov_b64 s[40:41], -1
	s_cselect_b64 s[42:43], -1, 0
.LBB113_181:
	s_andn2_b64 vcc, exec, s[42:43]
	s_cbranch_vccz .LBB113_187
; %bb.182:
	s_andn2_b64 vcc, exec, s[40:41]
	s_cbranch_vccz .LBB113_188
.LBB113_183:
	s_cmp_lt_i32 s9, 1
	s_mov_b64 s[42:43], 0
	s_cbranch_scc1 .LBB113_189
.LBB113_184:
	s_cmp_gt_i32 s9, 1
	s_cbranch_scc0 .LBB113_190
; %bb.185:
	s_cmp_eq_u32 s9, 2
	s_cbranch_scc0 .LBB113_264
; %bb.186:
	s_waitcnt vmcnt(0)
	v_cmp_ge_f16_e64 s[40:41], s10, v4
	s_mov_b64 s[44:45], 0
	s_branch .LBB113_192
.LBB113_187:
	s_waitcnt vmcnt(0)
	v_cmp_lt_f16_sdwa s[42:43], v3, s10 src0_sel:WORD_1 src1_sel:DWORD
	s_andn2_b64 s[38:39], s[38:39], exec
	s_and_b64 s[42:43], s[42:43], exec
	s_or_b64 s[38:39], s[38:39], s[42:43]
	s_cbranch_execnz .LBB113_183
.LBB113_188:
	s_waitcnt vmcnt(0)
	v_cmp_ge_f16_sdwa s[40:41], v3, s10 src0_sel:WORD_1 src1_sel:DWORD
	s_andn2_b64 s[38:39], s[38:39], exec
	s_and_b64 s[40:41], s[40:41], exec
	s_or_b64 s[38:39], s[38:39], s[40:41]
	s_cmp_lt_i32 s9, 1
	s_mov_b64 s[42:43], 0
	s_cbranch_scc0 .LBB113_184
.LBB113_189:
                                        ; implicit-def: $sgpr40_sgpr41
	s_mov_b64 s[44:45], 0
	s_cbranch_execnz .LBB113_193
	s_branch .LBB113_194
.LBB113_190:
	s_mov_b64 s[44:45], 0
                                        ; implicit-def: $sgpr40_sgpr41
	s_cbranch_execz .LBB113_192
; %bb.191:
	s_waitcnt vmcnt(0)
	v_cmp_lt_f16_e32 vcc, s10, v4
	s_andn2_b64 s[40:41], s[40:41], exec
	s_and_b64 s[46:47], vcc, exec
	s_or_b64 s[40:41], s[40:41], s[46:47]
.LBB113_192:
	s_branch .LBB113_194
.LBB113_193:
	s_cmp_lg_u32 s9, 0
	s_mov_b64 s[42:43], -1
	s_cselect_b64 s[44:45], -1, 0
.LBB113_194:
	s_andn2_b64 vcc, exec, s[44:45]
	s_cbranch_vccz .LBB113_200
; %bb.195:
	s_andn2_b64 vcc, exec, s[42:43]
	s_cbranch_vccz .LBB113_201
.LBB113_196:
	s_cmp_lt_i32 s9, 1
	s_mov_b64 s[44:45], 0
	s_cbranch_scc1 .LBB113_202
.LBB113_197:
	s_cmp_gt_i32 s9, 1
	s_cbranch_scc0 .LBB113_203
; %bb.198:
	s_cmp_eq_u32 s9, 2
	s_cbranch_scc0 .LBB113_265
; %bb.199:
	s_waitcnt vmcnt(0)
	v_cmp_le_f16_sdwa s[42:43], v4, s10 src0_sel:WORD_1 src1_sel:DWORD
	s_mov_b64 s[46:47], 0
	s_branch .LBB113_205
.LBB113_200:
	s_waitcnt vmcnt(0)
	v_cmp_gt_f16_e32 vcc, s10, v4
	s_andn2_b64 s[40:41], s[40:41], exec
	s_and_b64 s[44:45], vcc, exec
	s_or_b64 s[40:41], s[40:41], s[44:45]
	s_cbranch_execnz .LBB113_196
.LBB113_201:
	s_waitcnt vmcnt(0)
	v_cmp_le_f16_e32 vcc, s10, v4
	s_andn2_b64 s[40:41], s[40:41], exec
	s_and_b64 s[42:43], vcc, exec
	s_or_b64 s[40:41], s[40:41], s[42:43]
	s_cmp_lt_i32 s9, 1
	s_mov_b64 s[44:45], 0
	s_cbranch_scc0 .LBB113_197
.LBB113_202:
                                        ; implicit-def: $sgpr42_sgpr43
	s_mov_b64 s[46:47], 0
	s_cbranch_execnz .LBB113_206
	s_branch .LBB113_207
.LBB113_203:
	s_mov_b64 s[46:47], 0
                                        ; implicit-def: $sgpr42_sgpr43
	s_cbranch_execz .LBB113_205
; %bb.204:
	s_waitcnt vmcnt(0)
	v_cmp_gt_f16_sdwa s[48:49], v4, s10 src0_sel:WORD_1 src1_sel:DWORD
	s_andn2_b64 s[42:43], s[42:43], exec
	s_and_b64 s[48:49], s[48:49], exec
	s_or_b64 s[42:43], s[42:43], s[48:49]
.LBB113_205:
	s_branch .LBB113_207
.LBB113_206:
	s_cmp_lg_u32 s9, 0
	s_mov_b64 s[44:45], -1
	s_cselect_b64 s[46:47], -1, 0
.LBB113_207:
	s_andn2_b64 vcc, exec, s[46:47]
	s_cbranch_vccz .LBB113_249
; %bb.208:
	s_andn2_b64 vcc, exec, s[44:45]
	s_cbranch_vccnz .LBB113_210
.LBB113_209:
	s_waitcnt vmcnt(0)
	v_cmp_ge_f16_sdwa s[44:45], v4, s10 src0_sel:WORD_1 src1_sel:DWORD
	s_andn2_b64 s[42:43], s[42:43], exec
	s_and_b64 s[44:45], s[44:45], exec
	s_or_b64 s[42:43], s[42:43], s[44:45]
.LBB113_210:
	s_waitcnt vmcnt(0)
	v_cndmask_b32_e64 v1, 0, 1, s[4:5]
	v_lshlrev_b16_e32 v1, 8, v1
	v_cndmask_b32_e64 v2, 0, 1, s[0:1]
	v_or_b32_e32 v1, v2, v1
	v_cndmask_b32_e64 v2, 0, 1, s[16:17]
	v_lshlrev_b16_e32 v2, 8, v2
	v_cndmask_b32_e64 v3, 0, 1, s[6:7]
	v_or_b32_sdwa v2, v3, v2 dst_sel:WORD_1 dst_unused:UNUSED_PAD src0_sel:DWORD src1_sel:DWORD
	v_or_b32_sdwa v1, v1, v2 dst_sel:DWORD dst_unused:UNUSED_PAD src0_sel:WORD_0 src1_sel:DWORD
	v_cndmask_b32_e64 v2, 0, 1, s[20:21]
	v_lshlrev_b16_e32 v2, 8, v2
	v_cndmask_b32_e64 v3, 0, 1, s[18:19]
	v_or_b32_e32 v2, v3, v2
	v_cndmask_b32_e64 v3, 0, 1, s[24:25]
	v_lshlrev_b16_e32 v3, 8, v3
	v_cndmask_b32_e64 v4, 0, 1, s[22:23]
	v_or_b32_sdwa v3, v4, v3 dst_sel:WORD_1 dst_unused:UNUSED_PAD src0_sel:DWORD src1_sel:DWORD
	v_or_b32_sdwa v2, v2, v3 dst_sel:DWORD dst_unused:UNUSED_PAD src0_sel:WORD_0 src1_sel:DWORD
	;; [unrolled: 9-line block ×3, first 2 shown]
	v_cndmask_b32_e64 v4, 0, 1, s[38:39]
	v_lshlrev_b16_e32 v4, 8, v4
	v_cndmask_b32_e64 v5, 0, 1, s[36:37]
	v_or_b32_e32 v4, v5, v4
	v_cndmask_b32_e64 v5, 0, 1, s[42:43]
	v_lshlrev_b16_e32 v5, 8, v5
	v_cndmask_b32_e64 v6, 0, 1, s[40:41]
	v_or_b32_sdwa v5, v6, v5 dst_sel:WORD_1 dst_unused:UNUSED_PAD src0_sel:DWORD src1_sel:DWORD
	s_add_u32 s0, s12, s2
	v_or_b32_sdwa v4, v4, v5 dst_sel:DWORD dst_unused:UNUSED_PAD src0_sel:WORD_0 src1_sel:DWORD
	s_addc_u32 s1, s13, s3
	v_lshlrev_b32_e32 v5, 3, v0
	global_store_dwordx2 v5, v[1:2], s[0:1]
	global_store_dwordx2 v5, v[3:4], s[0:1] offset:2048
	s_mov_b64 s[0:1], 0
.LBB113_211:
	s_and_b64 vcc, exec, s[0:1]
	s_cbranch_vccz .LBB113_519
; %bb.212:
	v_cmp_gt_i32_e64 s[0:1], s8, v0
	v_mov_b32_e32 v21, 0
	v_or_b32_e32 v1, s2, v0
	v_mov_b32_e32 v7, 0
	v_mov_b32_e32 v2, v0
	s_and_saveexec_b64 s[4:5], s[0:1]
	s_cbranch_execz .LBB113_214
; %bb.213:
	v_mov_b32_e32 v2, 0
	v_lshlrev_b64 v[2:3], 1, v[1:2]
	v_mov_b32_e32 v4, s15
	v_add_co_u32_e32 v2, vcc, s14, v2
	v_addc_co_u32_e32 v3, vcc, v4, v3, vcc
	global_load_ushort v7, v[2:3], off
	v_or_b32_e32 v2, 0x100, v0
.LBB113_214:
	s_or_b64 exec, exec, s[4:5]
	v_cmp_gt_i32_e32 vcc, s8, v2
	s_and_saveexec_b64 s[4:5], vcc
	s_cbranch_execz .LBB113_216
; %bb.215:
	v_add_u32_e32 v3, s2, v2
	v_mov_b32_e32 v4, 0
	v_lshlrev_b64 v[3:4], 1, v[3:4]
	v_mov_b32_e32 v5, s15
	v_add_co_u32_e32 v3, vcc, s14, v3
	v_addc_co_u32_e32 v4, vcc, v5, v4, vcc
	global_load_ushort v21, v[3:4], off
	v_add_u32_e32 v2, 0x100, v2
.LBB113_216:
	s_or_b64 exec, exec, s[4:5]
	v_cmp_gt_i32_e32 vcc, s8, v2
	v_mov_b32_e32 v19, 0
	v_mov_b32_e32 v20, 0
	s_and_saveexec_b64 s[4:5], vcc
	s_cbranch_execz .LBB113_218
; %bb.217:
	v_add_u32_e32 v3, s2, v2
	v_mov_b32_e32 v4, 0
	v_lshlrev_b64 v[3:4], 1, v[3:4]
	v_mov_b32_e32 v5, s15
	v_add_co_u32_e32 v3, vcc, s14, v3
	v_addc_co_u32_e32 v4, vcc, v5, v4, vcc
	global_load_ushort v20, v[3:4], off
	v_add_u32_e32 v2, 0x100, v2
.LBB113_218:
	s_or_b64 exec, exec, s[4:5]
	v_cmp_gt_i32_e32 vcc, s8, v2
	s_and_saveexec_b64 s[4:5], vcc
	s_cbranch_execz .LBB113_220
; %bb.219:
	v_add_u32_e32 v3, s2, v2
	v_mov_b32_e32 v4, 0
	v_lshlrev_b64 v[3:4], 1, v[3:4]
	v_mov_b32_e32 v5, s15
	v_add_co_u32_e32 v3, vcc, s14, v3
	v_addc_co_u32_e32 v4, vcc, v5, v4, vcc
	global_load_ushort v19, v[3:4], off
	v_add_u32_e32 v2, 0x100, v2
.LBB113_220:
	s_or_b64 exec, exec, s[4:5]
	v_cmp_gt_i32_e32 vcc, s8, v2
	v_mov_b32_e32 v17, 0
	v_mov_b32_e32 v18, 0
	s_and_saveexec_b64 s[4:5], vcc
	s_cbranch_execz .LBB113_222
; %bb.221:
	v_add_u32_e32 v3, s2, v2
	v_mov_b32_e32 v4, 0
	v_lshlrev_b64 v[3:4], 1, v[3:4]
	v_mov_b32_e32 v5, s15
	v_add_co_u32_e32 v3, vcc, s14, v3
	v_addc_co_u32_e32 v4, vcc, v5, v4, vcc
	global_load_ushort v18, v[3:4], off
	v_add_u32_e32 v2, 0x100, v2
.LBB113_222:
	;; [unrolled: 30-line block ×7, first 2 shown]
	s_or_b64 exec, exec, s[4:5]
	v_cmp_gt_i32_e32 vcc, s8, v2
	s_and_saveexec_b64 s[4:5], vcc
	s_cbranch_execz .LBB113_244
; %bb.243:
	v_add_u32_e32 v2, s2, v2
	v_mov_b32_e32 v3, 0
	v_lshlrev_b64 v[2:3], 1, v[2:3]
	v_mov_b32_e32 v4, s15
	v_add_co_u32_e32 v2, vcc, s14, v2
	v_addc_co_u32_e32 v3, vcc, v4, v3, vcc
	global_load_ushort v4, v[2:3], off
.LBB113_244:
	s_or_b64 exec, exec, s[4:5]
	v_mov_b32_e32 v6, 0
	v_mov_b32_e32 v5, v6
	;; [unrolled: 1-line block ×4, first 2 shown]
	s_and_saveexec_b64 s[4:5], s[0:1]
	s_cbranch_execz .LBB113_276
; %bb.245:
	s_cmp_lt_i32 s9, 1
	s_mov_b64 s[6:7], 0
	s_cbranch_scc1 .LBB113_250
; %bb.246:
	s_cmp_gt_i32 s9, 1
	s_cbranch_scc0 .LBB113_266
; %bb.247:
	s_cmp_eq_u32 s9, 2
	s_cbranch_scc0 .LBB113_267
; %bb.248:
	s_waitcnt vmcnt(0)
	v_cmp_ge_f16_e64 s[14:15], s10, v7
	s_mov_b64 s[16:17], 0
	s_branch .LBB113_268
.LBB113_249:
	s_waitcnt vmcnt(0)
	v_cmp_lt_f16_sdwa s[46:47], v4, s10 src0_sel:WORD_1 src1_sel:DWORD
	s_andn2_b64 s[42:43], s[42:43], exec
	s_and_b64 s[46:47], s[46:47], exec
	s_or_b64 s[42:43], s[42:43], s[46:47]
	s_cbranch_execz .LBB113_209
	s_branch .LBB113_210
.LBB113_250:
                                        ; implicit-def: $sgpr14_sgpr15
	s_mov_b64 s[16:17], 0
	s_cbranch_execnz .LBB113_271
	s_branch .LBB113_272
.LBB113_251:
	s_mov_b64 s[16:17], -1
                                        ; implicit-def: $sgpr4_sgpr5
	s_branch .LBB113_23
.LBB113_252:
	s_mov_b64 s[18:19], -1
                                        ; implicit-def: $sgpr6_sgpr7
	s_branch .LBB113_36
.LBB113_253:
	s_mov_b64 s[20:21], -1
                                        ; implicit-def: $sgpr16_sgpr17
	s_branch .LBB113_49
.LBB113_254:
	s_mov_b64 s[22:23], -1
                                        ; implicit-def: $sgpr18_sgpr19
	s_branch .LBB113_62
.LBB113_255:
	s_mov_b64 s[24:25], -1
                                        ; implicit-def: $sgpr20_sgpr21
	s_branch .LBB113_75
.LBB113_256:
	s_mov_b64 s[26:27], -1
                                        ; implicit-def: $sgpr22_sgpr23
	s_branch .LBB113_88
.LBB113_257:
	s_mov_b64 s[28:29], -1
                                        ; implicit-def: $sgpr24_sgpr25
	s_branch .LBB113_101
.LBB113_258:
	s_mov_b64 s[30:31], -1
                                        ; implicit-def: $sgpr26_sgpr27
	s_branch .LBB113_114
.LBB113_259:
	s_mov_b64 s[34:35], -1
                                        ; implicit-def: $sgpr28_sgpr29
	s_branch .LBB113_127
.LBB113_260:
	s_mov_b64 s[36:37], -1
                                        ; implicit-def: $sgpr30_sgpr31
	s_branch .LBB113_140
.LBB113_261:
	s_mov_b64 s[38:39], -1
                                        ; implicit-def: $sgpr34_sgpr35
	s_branch .LBB113_153
.LBB113_262:
	s_mov_b64 s[40:41], -1
                                        ; implicit-def: $sgpr36_sgpr37
	s_branch .LBB113_166
.LBB113_263:
	s_mov_b64 s[42:43], -1
                                        ; implicit-def: $sgpr38_sgpr39
	s_branch .LBB113_179
.LBB113_264:
	s_mov_b64 s[44:45], -1
                                        ; implicit-def: $sgpr40_sgpr41
	s_branch .LBB113_192
.LBB113_265:
	s_mov_b64 s[46:47], -1
                                        ; implicit-def: $sgpr42_sgpr43
	s_branch .LBB113_205
.LBB113_266:
	s_mov_b64 s[16:17], 0
                                        ; implicit-def: $sgpr14_sgpr15
	s_cbranch_execnz .LBB113_269
	s_branch .LBB113_270
.LBB113_267:
	s_mov_b64 s[16:17], -1
                                        ; implicit-def: $sgpr14_sgpr15
.LBB113_268:
	s_branch .LBB113_270
.LBB113_269:
	s_waitcnt vmcnt(0)
	v_cmp_lt_f16_e32 vcc, s10, v7
	s_andn2_b64 s[14:15], s[14:15], exec
	s_and_b64 s[18:19], vcc, exec
	s_or_b64 s[14:15], s[14:15], s[18:19]
.LBB113_270:
	s_branch .LBB113_272
.LBB113_271:
	s_cmp_lg_u32 s9, 0
	s_mov_b64 s[6:7], -1
	s_cselect_b64 s[16:17], -1, 0
.LBB113_272:
	s_andn2_b64 vcc, exec, s[16:17]
	s_cbranch_vccz .LBB113_281
; %bb.273:
	s_andn2_b64 vcc, exec, s[6:7]
	s_cbranch_vccnz .LBB113_275
.LBB113_274:
	s_waitcnt vmcnt(0)
	v_cmp_le_f16_e32 vcc, s10, v7
	s_andn2_b64 s[6:7], s[14:15], exec
	s_and_b64 s[14:15], vcc, exec
	s_or_b64 s[14:15], s[6:7], s[14:15]
.LBB113_275:
	v_cndmask_b32_e64 v2, 0, 1, s[14:15]
	v_mov_b32_e32 v5, 0
	v_and_b32_e32 v6, 0xffff, v2
	v_mov_b32_e32 v3, v5
	v_mov_b32_e32 v2, v5
.LBB113_276:
	s_or_b64 exec, exec, s[4:5]
	s_waitcnt vmcnt(0)
	v_or_b32_e32 v7, 0x100, v0
	v_cmp_gt_i32_e32 vcc, s8, v7
	s_and_saveexec_b64 s[4:5], vcc
	s_cbranch_execz .LBB113_291
; %bb.277:
	s_cmp_lt_i32 s9, 1
	s_mov_b64 s[6:7], 0
	s_cbranch_scc1 .LBB113_282
; %bb.278:
	s_cmp_gt_i32 s9, 1
	s_cbranch_scc0 .LBB113_283
; %bb.279:
	s_cmp_eq_u32 s9, 2
	s_cbranch_scc0 .LBB113_535
; %bb.280:
	v_cmp_ge_f16_e64 s[14:15], s10, v21
	s_mov_b64 s[16:17], 0
	s_branch .LBB113_285
.LBB113_281:
	s_waitcnt vmcnt(0)
	v_cmp_gt_f16_e32 vcc, s10, v7
	s_andn2_b64 s[14:15], s[14:15], exec
	s_and_b64 s[16:17], vcc, exec
	s_or_b64 s[14:15], s[14:15], s[16:17]
	s_cbranch_execz .LBB113_274
	s_branch .LBB113_275
.LBB113_282:
                                        ; implicit-def: $sgpr14_sgpr15
	s_mov_b64 s[16:17], 0
	s_cbranch_execnz .LBB113_286
	s_branch .LBB113_287
.LBB113_283:
	s_mov_b64 s[16:17], 0
                                        ; implicit-def: $sgpr14_sgpr15
	s_cbranch_execz .LBB113_285
; %bb.284:
	v_cmp_lt_f16_e32 vcc, s10, v21
	s_andn2_b64 s[14:15], s[14:15], exec
	s_and_b64 s[18:19], vcc, exec
	s_or_b64 s[14:15], s[14:15], s[18:19]
.LBB113_285:
	s_branch .LBB113_287
.LBB113_286:
	s_cmp_lg_u32 s9, 0
	s_mov_b64 s[6:7], -1
	s_cselect_b64 s[16:17], -1, 0
.LBB113_287:
	s_andn2_b64 vcc, exec, s[16:17]
	s_cbranch_vccz .LBB113_296
; %bb.288:
	s_andn2_b64 vcc, exec, s[6:7]
	s_cbranch_vccnz .LBB113_290
.LBB113_289:
	v_cmp_le_f16_e32 vcc, s10, v21
	s_andn2_b64 s[6:7], s[14:15], exec
	s_and_b64 s[14:15], vcc, exec
	s_or_b64 s[14:15], s[6:7], s[14:15]
.LBB113_290:
	v_cndmask_b32_e64 v21, 0, 1, s[14:15]
	v_lshlrev_b16_e32 v21, 8, v21
	v_or_b32_sdwa v21, v6, v21 dst_sel:DWORD dst_unused:UNUSED_PAD src0_sel:BYTE_0 src1_sel:DWORD
	v_and_b32_e32 v21, 0xffff, v21
	s_mov_b32 s3, 0xffff0000
	v_and_or_b32 v6, v6, s3, v21
.LBB113_291:
	s_or_b64 exec, exec, s[4:5]
	v_or_b32_e32 v21, 0x200, v0
	v_cmp_gt_i32_e32 vcc, s8, v21
	s_and_saveexec_b64 s[4:5], vcc
	s_cbranch_execz .LBB113_306
; %bb.292:
	s_cmp_lt_i32 s9, 1
	s_mov_b64 s[6:7], 0
	s_cbranch_scc1 .LBB113_297
; %bb.293:
	s_cmp_gt_i32 s9, 1
	s_cbranch_scc0 .LBB113_298
; %bb.294:
	s_cmp_eq_u32 s9, 2
	s_cbranch_scc0 .LBB113_536
; %bb.295:
	v_cmp_ge_f16_e64 s[14:15], s10, v20
	s_mov_b64 s[16:17], 0
	s_branch .LBB113_300
.LBB113_296:
	v_cmp_gt_f16_e32 vcc, s10, v21
	s_andn2_b64 s[14:15], s[14:15], exec
	s_and_b64 s[16:17], vcc, exec
	s_or_b64 s[14:15], s[14:15], s[16:17]
	s_cbranch_execz .LBB113_289
	s_branch .LBB113_290
.LBB113_297:
                                        ; implicit-def: $sgpr14_sgpr15
	s_mov_b64 s[16:17], 0
	s_cbranch_execnz .LBB113_301
	s_branch .LBB113_302
.LBB113_298:
	s_mov_b64 s[16:17], 0
                                        ; implicit-def: $sgpr14_sgpr15
	s_cbranch_execz .LBB113_300
; %bb.299:
	v_cmp_lt_f16_e32 vcc, s10, v20
	s_andn2_b64 s[14:15], s[14:15], exec
	s_and_b64 s[18:19], vcc, exec
	s_or_b64 s[14:15], s[14:15], s[18:19]
.LBB113_300:
	s_branch .LBB113_302
.LBB113_301:
	s_cmp_lg_u32 s9, 0
	s_mov_b64 s[6:7], -1
	s_cselect_b64 s[16:17], -1, 0
.LBB113_302:
	s_andn2_b64 vcc, exec, s[16:17]
	s_cbranch_vccz .LBB113_311
; %bb.303:
	s_andn2_b64 vcc, exec, s[6:7]
	s_cbranch_vccnz .LBB113_305
.LBB113_304:
	v_cmp_le_f16_e32 vcc, s10, v20
	s_andn2_b64 s[6:7], s[14:15], exec
	s_and_b64 s[14:15], vcc, exec
	s_or_b64 s[14:15], s[6:7], s[14:15]
.LBB113_305:
	s_movk_i32 s3, 0xff00
	v_and_b32_sdwa v20, v6, s3 dst_sel:DWORD dst_unused:UNUSED_PAD src0_sel:WORD_1 src1_sel:DWORD
	v_cndmask_b32_e64 v21, 0, 1, s[14:15]
	v_or_b32_sdwa v20, v21, v20 dst_sel:WORD_1 dst_unused:UNUSED_PAD src0_sel:DWORD src1_sel:DWORD
	s_mov_b32 s3, 0xffff
	v_and_or_b32 v6, v6, s3, v20
.LBB113_306:
	s_or_b64 exec, exec, s[4:5]
	v_or_b32_e32 v20, 0x300, v0
	v_cmp_gt_i32_e32 vcc, s8, v20
	s_and_saveexec_b64 s[4:5], vcc
	s_cbranch_execz .LBB113_321
; %bb.307:
	s_cmp_lt_i32 s9, 1
	s_mov_b64 s[6:7], 0
	s_cbranch_scc1 .LBB113_312
; %bb.308:
	s_cmp_gt_i32 s9, 1
	s_cbranch_scc0 .LBB113_313
; %bb.309:
	s_cmp_eq_u32 s9, 2
	s_cbranch_scc0 .LBB113_537
; %bb.310:
	v_cmp_ge_f16_e64 s[14:15], s10, v19
	s_mov_b64 s[16:17], 0
	s_branch .LBB113_315
.LBB113_311:
	v_cmp_gt_f16_e32 vcc, s10, v20
	s_andn2_b64 s[14:15], s[14:15], exec
	s_and_b64 s[16:17], vcc, exec
	s_or_b64 s[14:15], s[14:15], s[16:17]
	s_cbranch_execz .LBB113_304
	s_branch .LBB113_305
.LBB113_312:
                                        ; implicit-def: $sgpr14_sgpr15
	s_mov_b64 s[16:17], 0
	s_cbranch_execnz .LBB113_316
	s_branch .LBB113_317
.LBB113_313:
	s_mov_b64 s[16:17], 0
                                        ; implicit-def: $sgpr14_sgpr15
	s_cbranch_execz .LBB113_315
; %bb.314:
	v_cmp_lt_f16_e32 vcc, s10, v19
	s_andn2_b64 s[14:15], s[14:15], exec
	s_and_b64 s[18:19], vcc, exec
	s_or_b64 s[14:15], s[14:15], s[18:19]
.LBB113_315:
	s_branch .LBB113_317
.LBB113_316:
	s_cmp_lg_u32 s9, 0
	s_mov_b64 s[6:7], -1
	s_cselect_b64 s[16:17], -1, 0
.LBB113_317:
	s_andn2_b64 vcc, exec, s[16:17]
	s_cbranch_vccz .LBB113_326
; %bb.318:
	s_andn2_b64 vcc, exec, s[6:7]
	s_cbranch_vccnz .LBB113_320
.LBB113_319:
	v_cmp_le_f16_e32 vcc, s10, v19
	s_andn2_b64 s[6:7], s[14:15], exec
	s_and_b64 s[14:15], vcc, exec
	s_or_b64 s[14:15], s[6:7], s[14:15]
.LBB113_320:
	s_movk_i32 s3, 0xff
	v_cndmask_b32_e64 v20, 0, 1, s[14:15]
	v_and_b32_sdwa v19, v6, s3 dst_sel:DWORD dst_unused:UNUSED_PAD src0_sel:WORD_1 src1_sel:DWORD
	v_lshlrev_b16_e32 v20, 8, v20
	v_or_b32_sdwa v19, v19, v20 dst_sel:WORD_1 dst_unused:UNUSED_PAD src0_sel:DWORD src1_sel:DWORD
	s_mov_b32 s3, 0xffff
	v_and_or_b32 v6, v6, s3, v19
.LBB113_321:
	s_or_b64 exec, exec, s[4:5]
	v_or_b32_e32 v19, 0x400, v0
	v_cmp_gt_i32_e32 vcc, s8, v19
	s_and_saveexec_b64 s[4:5], vcc
	s_cbranch_execz .LBB113_336
; %bb.322:
	s_cmp_lt_i32 s9, 1
	s_mov_b64 s[6:7], 0
	s_cbranch_scc1 .LBB113_327
; %bb.323:
	s_cmp_gt_i32 s9, 1
	s_cbranch_scc0 .LBB113_328
; %bb.324:
	s_cmp_eq_u32 s9, 2
	s_cbranch_scc0 .LBB113_538
; %bb.325:
	v_cmp_ge_f16_e64 s[14:15], s10, v18
	s_mov_b64 s[16:17], 0
	s_branch .LBB113_330
.LBB113_326:
	v_cmp_gt_f16_e32 vcc, s10, v19
	s_andn2_b64 s[14:15], s[14:15], exec
	s_and_b64 s[16:17], vcc, exec
	s_or_b64 s[14:15], s[14:15], s[16:17]
	s_cbranch_execz .LBB113_319
	s_branch .LBB113_320
.LBB113_327:
                                        ; implicit-def: $sgpr14_sgpr15
	s_mov_b64 s[16:17], 0
	s_cbranch_execnz .LBB113_331
	s_branch .LBB113_332
.LBB113_328:
	s_mov_b64 s[16:17], 0
                                        ; implicit-def: $sgpr14_sgpr15
	s_cbranch_execz .LBB113_330
; %bb.329:
	v_cmp_lt_f16_e32 vcc, s10, v18
	s_andn2_b64 s[14:15], s[14:15], exec
	s_and_b64 s[18:19], vcc, exec
	s_or_b64 s[14:15], s[14:15], s[18:19]
.LBB113_330:
	s_branch .LBB113_332
.LBB113_331:
	s_cmp_lg_u32 s9, 0
	s_mov_b64 s[6:7], -1
	s_cselect_b64 s[16:17], -1, 0
.LBB113_332:
	s_andn2_b64 vcc, exec, s[16:17]
	s_cbranch_vccz .LBB113_341
; %bb.333:
	s_andn2_b64 vcc, exec, s[6:7]
	s_cbranch_vccnz .LBB113_335
.LBB113_334:
	v_cmp_le_f16_e32 vcc, s10, v18
	s_andn2_b64 s[6:7], s[14:15], exec
	s_and_b64 s[14:15], vcc, exec
	s_or_b64 s[14:15], s[6:7], s[14:15]
.LBB113_335:
	v_and_b32_e32 v18, 0xffffff00, v5
	v_cndmask_b32_e64 v19, 0, 1, s[14:15]
	v_or_b32_e32 v18, v19, v18
	v_and_b32_e32 v18, 0xffff, v18
	s_mov_b32 s3, 0xffff0000
	v_and_or_b32 v5, v5, s3, v18
.LBB113_336:
	s_or_b64 exec, exec, s[4:5]
	v_or_b32_e32 v18, 0x500, v0
	v_cmp_gt_i32_e32 vcc, s8, v18
	s_and_saveexec_b64 s[4:5], vcc
	s_cbranch_execz .LBB113_351
; %bb.337:
	s_cmp_lt_i32 s9, 1
	s_mov_b64 s[6:7], 0
	s_cbranch_scc1 .LBB113_342
; %bb.338:
	s_cmp_gt_i32 s9, 1
	s_cbranch_scc0 .LBB113_343
; %bb.339:
	s_cmp_eq_u32 s9, 2
	s_cbranch_scc0 .LBB113_539
; %bb.340:
	v_cmp_ge_f16_e64 s[14:15], s10, v17
	s_mov_b64 s[16:17], 0
	s_branch .LBB113_345
.LBB113_341:
	v_cmp_gt_f16_e32 vcc, s10, v18
	s_andn2_b64 s[14:15], s[14:15], exec
	s_and_b64 s[16:17], vcc, exec
	s_or_b64 s[14:15], s[14:15], s[16:17]
	s_cbranch_execz .LBB113_334
	s_branch .LBB113_335
.LBB113_342:
                                        ; implicit-def: $sgpr14_sgpr15
	s_mov_b64 s[16:17], 0
	s_cbranch_execnz .LBB113_346
	s_branch .LBB113_347
.LBB113_343:
	s_mov_b64 s[16:17], 0
                                        ; implicit-def: $sgpr14_sgpr15
	s_cbranch_execz .LBB113_345
; %bb.344:
	v_cmp_lt_f16_e32 vcc, s10, v17
	s_andn2_b64 s[14:15], s[14:15], exec
	s_and_b64 s[18:19], vcc, exec
	s_or_b64 s[14:15], s[14:15], s[18:19]
.LBB113_345:
	s_branch .LBB113_347
.LBB113_346:
	s_cmp_lg_u32 s9, 0
	s_mov_b64 s[6:7], -1
	s_cselect_b64 s[16:17], -1, 0
.LBB113_347:
	s_andn2_b64 vcc, exec, s[16:17]
	s_cbranch_vccz .LBB113_356
; %bb.348:
	s_andn2_b64 vcc, exec, s[6:7]
	s_cbranch_vccnz .LBB113_350
.LBB113_349:
	v_cmp_le_f16_e32 vcc, s10, v17
	s_andn2_b64 s[6:7], s[14:15], exec
	s_and_b64 s[14:15], vcc, exec
	s_or_b64 s[14:15], s[6:7], s[14:15]
.LBB113_350:
	v_cndmask_b32_e64 v17, 0, 1, s[14:15]
	v_lshlrev_b16_e32 v17, 8, v17
	v_or_b32_sdwa v17, v5, v17 dst_sel:DWORD dst_unused:UNUSED_PAD src0_sel:BYTE_0 src1_sel:DWORD
	v_and_b32_e32 v17, 0xffff, v17
	s_mov_b32 s3, 0xffff0000
	v_and_or_b32 v5, v5, s3, v17
.LBB113_351:
	s_or_b64 exec, exec, s[4:5]
	v_or_b32_e32 v17, 0x600, v0
	v_cmp_gt_i32_e32 vcc, s8, v17
	s_and_saveexec_b64 s[4:5], vcc
	s_cbranch_execz .LBB113_366
; %bb.352:
	s_cmp_lt_i32 s9, 1
	s_mov_b64 s[6:7], 0
	s_cbranch_scc1 .LBB113_357
; %bb.353:
	s_cmp_gt_i32 s9, 1
	s_cbranch_scc0 .LBB113_358
; %bb.354:
	s_cmp_eq_u32 s9, 2
	s_cbranch_scc0 .LBB113_540
; %bb.355:
	v_cmp_ge_f16_e64 s[14:15], s10, v16
	s_mov_b64 s[16:17], 0
	s_branch .LBB113_360
.LBB113_356:
	v_cmp_gt_f16_e32 vcc, s10, v17
	s_andn2_b64 s[14:15], s[14:15], exec
	s_and_b64 s[16:17], vcc, exec
	s_or_b64 s[14:15], s[14:15], s[16:17]
	s_cbranch_execz .LBB113_349
	s_branch .LBB113_350
.LBB113_357:
                                        ; implicit-def: $sgpr14_sgpr15
	s_mov_b64 s[16:17], 0
	s_cbranch_execnz .LBB113_361
	s_branch .LBB113_362
.LBB113_358:
	s_mov_b64 s[16:17], 0
                                        ; implicit-def: $sgpr14_sgpr15
	s_cbranch_execz .LBB113_360
; %bb.359:
	v_cmp_lt_f16_e32 vcc, s10, v16
	s_andn2_b64 s[14:15], s[14:15], exec
	s_and_b64 s[18:19], vcc, exec
	s_or_b64 s[14:15], s[14:15], s[18:19]
.LBB113_360:
	s_branch .LBB113_362
.LBB113_361:
	s_cmp_lg_u32 s9, 0
	s_mov_b64 s[6:7], -1
	s_cselect_b64 s[16:17], -1, 0
.LBB113_362:
	s_andn2_b64 vcc, exec, s[16:17]
	s_cbranch_vccz .LBB113_371
; %bb.363:
	s_andn2_b64 vcc, exec, s[6:7]
	s_cbranch_vccnz .LBB113_365
.LBB113_364:
	v_cmp_le_f16_e32 vcc, s10, v16
	s_andn2_b64 s[6:7], s[14:15], exec
	s_and_b64 s[14:15], vcc, exec
	s_or_b64 s[14:15], s[6:7], s[14:15]
.LBB113_365:
	s_movk_i32 s3, 0xff00
	v_and_b32_sdwa v16, v5, s3 dst_sel:DWORD dst_unused:UNUSED_PAD src0_sel:WORD_1 src1_sel:DWORD
	v_cndmask_b32_e64 v17, 0, 1, s[14:15]
	v_or_b32_sdwa v16, v17, v16 dst_sel:WORD_1 dst_unused:UNUSED_PAD src0_sel:DWORD src1_sel:DWORD
	s_mov_b32 s3, 0xffff
	v_and_or_b32 v5, v5, s3, v16
.LBB113_366:
	s_or_b64 exec, exec, s[4:5]
	v_or_b32_e32 v16, 0x700, v0
	v_cmp_gt_i32_e32 vcc, s8, v16
	s_and_saveexec_b64 s[4:5], vcc
	s_cbranch_execz .LBB113_381
; %bb.367:
	s_cmp_lt_i32 s9, 1
	s_mov_b64 s[6:7], 0
	s_cbranch_scc1 .LBB113_372
; %bb.368:
	s_cmp_gt_i32 s9, 1
	s_cbranch_scc0 .LBB113_373
; %bb.369:
	s_cmp_eq_u32 s9, 2
	s_cbranch_scc0 .LBB113_541
; %bb.370:
	v_cmp_ge_f16_e64 s[14:15], s10, v15
	s_mov_b64 s[16:17], 0
	s_branch .LBB113_375
.LBB113_371:
	v_cmp_gt_f16_e32 vcc, s10, v16
	s_andn2_b64 s[14:15], s[14:15], exec
	s_and_b64 s[16:17], vcc, exec
	s_or_b64 s[14:15], s[14:15], s[16:17]
	s_cbranch_execz .LBB113_364
	s_branch .LBB113_365
.LBB113_372:
                                        ; implicit-def: $sgpr14_sgpr15
	s_mov_b64 s[16:17], 0
	s_cbranch_execnz .LBB113_376
	s_branch .LBB113_377
.LBB113_373:
	s_mov_b64 s[16:17], 0
                                        ; implicit-def: $sgpr14_sgpr15
	s_cbranch_execz .LBB113_375
; %bb.374:
	v_cmp_lt_f16_e32 vcc, s10, v15
	s_andn2_b64 s[14:15], s[14:15], exec
	s_and_b64 s[18:19], vcc, exec
	s_or_b64 s[14:15], s[14:15], s[18:19]
.LBB113_375:
	s_branch .LBB113_377
.LBB113_376:
	s_cmp_lg_u32 s9, 0
	s_mov_b64 s[6:7], -1
	s_cselect_b64 s[16:17], -1, 0
.LBB113_377:
	s_andn2_b64 vcc, exec, s[16:17]
	s_cbranch_vccz .LBB113_386
; %bb.378:
	s_andn2_b64 vcc, exec, s[6:7]
	s_cbranch_vccnz .LBB113_380
.LBB113_379:
	v_cmp_le_f16_e32 vcc, s10, v15
	s_andn2_b64 s[6:7], s[14:15], exec
	s_and_b64 s[14:15], vcc, exec
	s_or_b64 s[14:15], s[6:7], s[14:15]
.LBB113_380:
	s_movk_i32 s3, 0xff
	v_cndmask_b32_e64 v16, 0, 1, s[14:15]
	v_and_b32_sdwa v15, v5, s3 dst_sel:DWORD dst_unused:UNUSED_PAD src0_sel:WORD_1 src1_sel:DWORD
	v_lshlrev_b16_e32 v16, 8, v16
	v_or_b32_sdwa v15, v15, v16 dst_sel:WORD_1 dst_unused:UNUSED_PAD src0_sel:DWORD src1_sel:DWORD
	s_mov_b32 s3, 0xffff
	v_and_or_b32 v5, v5, s3, v15
.LBB113_381:
	s_or_b64 exec, exec, s[4:5]
	v_or_b32_e32 v15, 0x800, v0
	v_cmp_gt_i32_e32 vcc, s8, v15
	s_and_saveexec_b64 s[4:5], vcc
	s_cbranch_execz .LBB113_396
; %bb.382:
	s_cmp_lt_i32 s9, 1
	s_mov_b64 s[6:7], 0
	s_cbranch_scc1 .LBB113_387
; %bb.383:
	s_cmp_gt_i32 s9, 1
	s_cbranch_scc0 .LBB113_388
; %bb.384:
	s_cmp_eq_u32 s9, 2
	s_cbranch_scc0 .LBB113_542
; %bb.385:
	v_cmp_ge_f16_e64 s[14:15], s10, v14
	s_mov_b64 s[16:17], 0
	s_branch .LBB113_390
.LBB113_386:
	v_cmp_gt_f16_e32 vcc, s10, v15
	s_andn2_b64 s[14:15], s[14:15], exec
	s_and_b64 s[16:17], vcc, exec
	s_or_b64 s[14:15], s[14:15], s[16:17]
	s_cbranch_execz .LBB113_379
	s_branch .LBB113_380
.LBB113_387:
                                        ; implicit-def: $sgpr14_sgpr15
	s_mov_b64 s[16:17], 0
	s_cbranch_execnz .LBB113_391
	s_branch .LBB113_392
.LBB113_388:
	s_mov_b64 s[16:17], 0
                                        ; implicit-def: $sgpr14_sgpr15
	s_cbranch_execz .LBB113_390
; %bb.389:
	v_cmp_lt_f16_e32 vcc, s10, v14
	s_andn2_b64 s[14:15], s[14:15], exec
	s_and_b64 s[18:19], vcc, exec
	s_or_b64 s[14:15], s[14:15], s[18:19]
.LBB113_390:
	s_branch .LBB113_392
.LBB113_391:
	s_cmp_lg_u32 s9, 0
	s_mov_b64 s[6:7], -1
	s_cselect_b64 s[16:17], -1, 0
.LBB113_392:
	s_andn2_b64 vcc, exec, s[16:17]
	s_cbranch_vccz .LBB113_401
; %bb.393:
	s_andn2_b64 vcc, exec, s[6:7]
	s_cbranch_vccnz .LBB113_395
.LBB113_394:
	v_cmp_le_f16_e32 vcc, s10, v14
	s_andn2_b64 s[6:7], s[14:15], exec
	s_and_b64 s[14:15], vcc, exec
	s_or_b64 s[14:15], s[6:7], s[14:15]
.LBB113_395:
	v_and_b32_e32 v14, 0xffffff00, v3
	v_cndmask_b32_e64 v15, 0, 1, s[14:15]
	v_or_b32_e32 v14, v15, v14
	v_and_b32_e32 v14, 0xffff, v14
	s_mov_b32 s3, 0xffff0000
	v_and_or_b32 v3, v3, s3, v14
.LBB113_396:
	s_or_b64 exec, exec, s[4:5]
	v_or_b32_e32 v14, 0x900, v0
	v_cmp_gt_i32_e32 vcc, s8, v14
	s_and_saveexec_b64 s[4:5], vcc
	s_cbranch_execz .LBB113_411
; %bb.397:
	s_cmp_lt_i32 s9, 1
	s_mov_b64 s[6:7], 0
	s_cbranch_scc1 .LBB113_402
; %bb.398:
	s_cmp_gt_i32 s9, 1
	s_cbranch_scc0 .LBB113_403
; %bb.399:
	s_cmp_eq_u32 s9, 2
	s_cbranch_scc0 .LBB113_543
; %bb.400:
	v_cmp_ge_f16_e64 s[14:15], s10, v13
	s_mov_b64 s[16:17], 0
	s_branch .LBB113_405
.LBB113_401:
	v_cmp_gt_f16_e32 vcc, s10, v14
	s_andn2_b64 s[14:15], s[14:15], exec
	s_and_b64 s[16:17], vcc, exec
	s_or_b64 s[14:15], s[14:15], s[16:17]
	s_cbranch_execz .LBB113_394
	s_branch .LBB113_395
.LBB113_402:
                                        ; implicit-def: $sgpr14_sgpr15
	s_mov_b64 s[16:17], 0
	s_cbranch_execnz .LBB113_406
	s_branch .LBB113_407
.LBB113_403:
	s_mov_b64 s[16:17], 0
                                        ; implicit-def: $sgpr14_sgpr15
	s_cbranch_execz .LBB113_405
; %bb.404:
	v_cmp_lt_f16_e32 vcc, s10, v13
	s_andn2_b64 s[14:15], s[14:15], exec
	s_and_b64 s[18:19], vcc, exec
	s_or_b64 s[14:15], s[14:15], s[18:19]
.LBB113_405:
	s_branch .LBB113_407
.LBB113_406:
	s_cmp_lg_u32 s9, 0
	s_mov_b64 s[6:7], -1
	s_cselect_b64 s[16:17], -1, 0
.LBB113_407:
	s_andn2_b64 vcc, exec, s[16:17]
	s_cbranch_vccz .LBB113_416
; %bb.408:
	s_andn2_b64 vcc, exec, s[6:7]
	s_cbranch_vccnz .LBB113_410
.LBB113_409:
	v_cmp_le_f16_e32 vcc, s10, v13
	s_andn2_b64 s[6:7], s[14:15], exec
	s_and_b64 s[14:15], vcc, exec
	s_or_b64 s[14:15], s[6:7], s[14:15]
.LBB113_410:
	v_cndmask_b32_e64 v13, 0, 1, s[14:15]
	v_lshlrev_b16_e32 v13, 8, v13
	v_or_b32_sdwa v13, v3, v13 dst_sel:DWORD dst_unused:UNUSED_PAD src0_sel:BYTE_0 src1_sel:DWORD
	v_and_b32_e32 v13, 0xffff, v13
	s_mov_b32 s3, 0xffff0000
	v_and_or_b32 v3, v3, s3, v13
.LBB113_411:
	s_or_b64 exec, exec, s[4:5]
	v_or_b32_e32 v13, 0xa00, v0
	v_cmp_gt_i32_e32 vcc, s8, v13
	s_and_saveexec_b64 s[4:5], vcc
	s_cbranch_execz .LBB113_426
; %bb.412:
	s_cmp_lt_i32 s9, 1
	s_mov_b64 s[6:7], 0
	s_cbranch_scc1 .LBB113_417
; %bb.413:
	s_cmp_gt_i32 s9, 1
	s_cbranch_scc0 .LBB113_418
; %bb.414:
	s_cmp_eq_u32 s9, 2
	s_cbranch_scc0 .LBB113_544
; %bb.415:
	v_cmp_ge_f16_e64 s[14:15], s10, v12
	s_mov_b64 s[16:17], 0
	s_branch .LBB113_420
.LBB113_416:
	v_cmp_gt_f16_e32 vcc, s10, v13
	s_andn2_b64 s[14:15], s[14:15], exec
	s_and_b64 s[16:17], vcc, exec
	s_or_b64 s[14:15], s[14:15], s[16:17]
	s_cbranch_execz .LBB113_409
	s_branch .LBB113_410
.LBB113_417:
                                        ; implicit-def: $sgpr14_sgpr15
	s_mov_b64 s[16:17], 0
	s_cbranch_execnz .LBB113_421
	s_branch .LBB113_422
.LBB113_418:
	s_mov_b64 s[16:17], 0
                                        ; implicit-def: $sgpr14_sgpr15
	s_cbranch_execz .LBB113_420
; %bb.419:
	v_cmp_lt_f16_e32 vcc, s10, v12
	s_andn2_b64 s[14:15], s[14:15], exec
	s_and_b64 s[18:19], vcc, exec
	s_or_b64 s[14:15], s[14:15], s[18:19]
.LBB113_420:
	s_branch .LBB113_422
.LBB113_421:
	s_cmp_lg_u32 s9, 0
	s_mov_b64 s[6:7], -1
	s_cselect_b64 s[16:17], -1, 0
.LBB113_422:
	s_andn2_b64 vcc, exec, s[16:17]
	s_cbranch_vccz .LBB113_431
; %bb.423:
	s_andn2_b64 vcc, exec, s[6:7]
	s_cbranch_vccnz .LBB113_425
.LBB113_424:
	v_cmp_le_f16_e32 vcc, s10, v12
	s_andn2_b64 s[6:7], s[14:15], exec
	s_and_b64 s[14:15], vcc, exec
	s_or_b64 s[14:15], s[6:7], s[14:15]
.LBB113_425:
	s_movk_i32 s3, 0xff00
	v_and_b32_sdwa v12, v3, s3 dst_sel:DWORD dst_unused:UNUSED_PAD src0_sel:WORD_1 src1_sel:DWORD
	v_cndmask_b32_e64 v13, 0, 1, s[14:15]
	v_or_b32_sdwa v12, v13, v12 dst_sel:WORD_1 dst_unused:UNUSED_PAD src0_sel:DWORD src1_sel:DWORD
	s_mov_b32 s3, 0xffff
	v_and_or_b32 v3, v3, s3, v12
.LBB113_426:
	s_or_b64 exec, exec, s[4:5]
	v_or_b32_e32 v12, 0xb00, v0
	v_cmp_gt_i32_e32 vcc, s8, v12
	s_and_saveexec_b64 s[4:5], vcc
	s_cbranch_execz .LBB113_441
; %bb.427:
	s_cmp_lt_i32 s9, 1
	s_mov_b64 s[6:7], 0
	s_cbranch_scc1 .LBB113_432
; %bb.428:
	s_cmp_gt_i32 s9, 1
	s_cbranch_scc0 .LBB113_433
; %bb.429:
	s_cmp_eq_u32 s9, 2
	s_cbranch_scc0 .LBB113_545
; %bb.430:
	v_cmp_ge_f16_e64 s[14:15], s10, v11
	s_mov_b64 s[16:17], 0
	s_branch .LBB113_435
.LBB113_431:
	v_cmp_gt_f16_e32 vcc, s10, v12
	s_andn2_b64 s[14:15], s[14:15], exec
	s_and_b64 s[16:17], vcc, exec
	s_or_b64 s[14:15], s[14:15], s[16:17]
	s_cbranch_execz .LBB113_424
	s_branch .LBB113_425
.LBB113_432:
                                        ; implicit-def: $sgpr14_sgpr15
	s_mov_b64 s[16:17], 0
	s_cbranch_execnz .LBB113_436
	s_branch .LBB113_437
.LBB113_433:
	s_mov_b64 s[16:17], 0
                                        ; implicit-def: $sgpr14_sgpr15
	s_cbranch_execz .LBB113_435
; %bb.434:
	v_cmp_lt_f16_e32 vcc, s10, v11
	s_andn2_b64 s[14:15], s[14:15], exec
	s_and_b64 s[18:19], vcc, exec
	s_or_b64 s[14:15], s[14:15], s[18:19]
.LBB113_435:
	s_branch .LBB113_437
.LBB113_436:
	s_cmp_lg_u32 s9, 0
	s_mov_b64 s[6:7], -1
	s_cselect_b64 s[16:17], -1, 0
.LBB113_437:
	s_andn2_b64 vcc, exec, s[16:17]
	s_cbranch_vccz .LBB113_446
; %bb.438:
	s_andn2_b64 vcc, exec, s[6:7]
	s_cbranch_vccnz .LBB113_440
.LBB113_439:
	v_cmp_le_f16_e32 vcc, s10, v11
	s_andn2_b64 s[6:7], s[14:15], exec
	s_and_b64 s[14:15], vcc, exec
	s_or_b64 s[14:15], s[6:7], s[14:15]
.LBB113_440:
	s_movk_i32 s3, 0xff
	v_cndmask_b32_e64 v12, 0, 1, s[14:15]
	v_and_b32_sdwa v11, v3, s3 dst_sel:DWORD dst_unused:UNUSED_PAD src0_sel:WORD_1 src1_sel:DWORD
	v_lshlrev_b16_e32 v12, 8, v12
	v_or_b32_sdwa v11, v11, v12 dst_sel:WORD_1 dst_unused:UNUSED_PAD src0_sel:DWORD src1_sel:DWORD
	s_mov_b32 s3, 0xffff
	v_and_or_b32 v3, v3, s3, v11
.LBB113_441:
	s_or_b64 exec, exec, s[4:5]
	v_or_b32_e32 v11, 0xc00, v0
	v_cmp_gt_i32_e32 vcc, s8, v11
	s_and_saveexec_b64 s[4:5], vcc
	s_cbranch_execz .LBB113_456
; %bb.442:
	s_cmp_lt_i32 s9, 1
	s_mov_b64 s[6:7], 0
	s_cbranch_scc1 .LBB113_447
; %bb.443:
	s_cmp_gt_i32 s9, 1
	s_cbranch_scc0 .LBB113_448
; %bb.444:
	s_cmp_eq_u32 s9, 2
	s_cbranch_scc0 .LBB113_546
; %bb.445:
	v_cmp_ge_f16_e64 s[14:15], s10, v10
	s_mov_b64 s[16:17], 0
	s_branch .LBB113_450
.LBB113_446:
	v_cmp_gt_f16_e32 vcc, s10, v11
	s_andn2_b64 s[14:15], s[14:15], exec
	s_and_b64 s[16:17], vcc, exec
	s_or_b64 s[14:15], s[14:15], s[16:17]
	s_cbranch_execz .LBB113_439
	s_branch .LBB113_440
.LBB113_447:
                                        ; implicit-def: $sgpr14_sgpr15
	s_mov_b64 s[16:17], 0
	s_cbranch_execnz .LBB113_451
	s_branch .LBB113_452
.LBB113_448:
	s_mov_b64 s[16:17], 0
                                        ; implicit-def: $sgpr14_sgpr15
	s_cbranch_execz .LBB113_450
; %bb.449:
	v_cmp_lt_f16_e32 vcc, s10, v10
	s_andn2_b64 s[14:15], s[14:15], exec
	s_and_b64 s[18:19], vcc, exec
	s_or_b64 s[14:15], s[14:15], s[18:19]
.LBB113_450:
	s_branch .LBB113_452
.LBB113_451:
	s_cmp_lg_u32 s9, 0
	s_mov_b64 s[6:7], -1
	s_cselect_b64 s[16:17], -1, 0
.LBB113_452:
	s_andn2_b64 vcc, exec, s[16:17]
	s_cbranch_vccz .LBB113_461
; %bb.453:
	s_andn2_b64 vcc, exec, s[6:7]
	s_cbranch_vccnz .LBB113_455
.LBB113_454:
	v_cmp_le_f16_e32 vcc, s10, v10
	s_andn2_b64 s[6:7], s[14:15], exec
	s_and_b64 s[14:15], vcc, exec
	s_or_b64 s[14:15], s[6:7], s[14:15]
.LBB113_455:
	v_and_b32_e32 v10, 0xffffff00, v2
	v_cndmask_b32_e64 v11, 0, 1, s[14:15]
	v_or_b32_e32 v10, v11, v10
	v_and_b32_e32 v10, 0xffff, v10
	s_mov_b32 s3, 0xffff0000
	v_and_or_b32 v2, v2, s3, v10
.LBB113_456:
	s_or_b64 exec, exec, s[4:5]
	v_or_b32_e32 v10, 0xd00, v0
	v_cmp_gt_i32_e32 vcc, s8, v10
	s_and_saveexec_b64 s[4:5], vcc
	s_cbranch_execz .LBB113_471
; %bb.457:
	s_cmp_lt_i32 s9, 1
	s_mov_b64 s[6:7], 0
	s_cbranch_scc1 .LBB113_462
; %bb.458:
	s_cmp_gt_i32 s9, 1
	s_cbranch_scc0 .LBB113_463
; %bb.459:
	s_cmp_eq_u32 s9, 2
	s_cbranch_scc0 .LBB113_547
; %bb.460:
	v_cmp_ge_f16_e64 s[14:15], s10, v9
	s_mov_b64 s[16:17], 0
	s_branch .LBB113_465
.LBB113_461:
	v_cmp_gt_f16_e32 vcc, s10, v10
	s_andn2_b64 s[14:15], s[14:15], exec
	s_and_b64 s[16:17], vcc, exec
	s_or_b64 s[14:15], s[14:15], s[16:17]
	s_cbranch_execz .LBB113_454
	s_branch .LBB113_455
.LBB113_462:
                                        ; implicit-def: $sgpr14_sgpr15
	s_mov_b64 s[16:17], 0
	s_cbranch_execnz .LBB113_466
	s_branch .LBB113_467
.LBB113_463:
	s_mov_b64 s[16:17], 0
                                        ; implicit-def: $sgpr14_sgpr15
	s_cbranch_execz .LBB113_465
; %bb.464:
	v_cmp_lt_f16_e32 vcc, s10, v9
	s_andn2_b64 s[14:15], s[14:15], exec
	s_and_b64 s[18:19], vcc, exec
	s_or_b64 s[14:15], s[14:15], s[18:19]
.LBB113_465:
	s_branch .LBB113_467
.LBB113_466:
	s_cmp_lg_u32 s9, 0
	s_mov_b64 s[6:7], -1
	s_cselect_b64 s[16:17], -1, 0
.LBB113_467:
	s_andn2_b64 vcc, exec, s[16:17]
	s_cbranch_vccz .LBB113_476
; %bb.468:
	s_andn2_b64 vcc, exec, s[6:7]
	s_cbranch_vccnz .LBB113_470
.LBB113_469:
	v_cmp_le_f16_e32 vcc, s10, v9
	s_andn2_b64 s[6:7], s[14:15], exec
	s_and_b64 s[14:15], vcc, exec
	s_or_b64 s[14:15], s[6:7], s[14:15]
.LBB113_470:
	v_cndmask_b32_e64 v9, 0, 1, s[14:15]
	v_lshlrev_b16_e32 v9, 8, v9
	v_or_b32_sdwa v9, v2, v9 dst_sel:DWORD dst_unused:UNUSED_PAD src0_sel:BYTE_0 src1_sel:DWORD
	v_and_b32_e32 v9, 0xffff, v9
	s_mov_b32 s3, 0xffff0000
	v_and_or_b32 v2, v2, s3, v9
.LBB113_471:
	s_or_b64 exec, exec, s[4:5]
	v_or_b32_e32 v9, 0xe00, v0
	v_cmp_gt_i32_e32 vcc, s8, v9
	s_and_saveexec_b64 s[4:5], vcc
	s_cbranch_execz .LBB113_486
; %bb.472:
	s_cmp_lt_i32 s9, 1
	s_mov_b64 s[6:7], 0
	s_cbranch_scc1 .LBB113_477
; %bb.473:
	s_cmp_gt_i32 s9, 1
	s_cbranch_scc0 .LBB113_478
; %bb.474:
	s_cmp_eq_u32 s9, 2
	s_cbranch_scc0 .LBB113_548
; %bb.475:
	v_cmp_ge_f16_e64 s[14:15], s10, v8
	s_mov_b64 s[16:17], 0
	s_branch .LBB113_480
.LBB113_476:
	v_cmp_gt_f16_e32 vcc, s10, v9
	s_andn2_b64 s[14:15], s[14:15], exec
	s_and_b64 s[16:17], vcc, exec
	s_or_b64 s[14:15], s[14:15], s[16:17]
	s_cbranch_execz .LBB113_469
	s_branch .LBB113_470
.LBB113_477:
                                        ; implicit-def: $sgpr14_sgpr15
	s_mov_b64 s[16:17], 0
	s_cbranch_execnz .LBB113_481
	s_branch .LBB113_482
.LBB113_478:
	s_mov_b64 s[16:17], 0
                                        ; implicit-def: $sgpr14_sgpr15
	s_cbranch_execz .LBB113_480
; %bb.479:
	v_cmp_lt_f16_e32 vcc, s10, v8
	s_andn2_b64 s[14:15], s[14:15], exec
	s_and_b64 s[18:19], vcc, exec
	s_or_b64 s[14:15], s[14:15], s[18:19]
.LBB113_480:
	s_branch .LBB113_482
.LBB113_481:
	s_cmp_lg_u32 s9, 0
	s_mov_b64 s[6:7], -1
	s_cselect_b64 s[16:17], -1, 0
.LBB113_482:
	s_andn2_b64 vcc, exec, s[16:17]
	s_cbranch_vccz .LBB113_491
; %bb.483:
	s_andn2_b64 vcc, exec, s[6:7]
	s_cbranch_vccnz .LBB113_485
.LBB113_484:
	v_cmp_le_f16_e32 vcc, s10, v8
	s_andn2_b64 s[6:7], s[14:15], exec
	s_and_b64 s[14:15], vcc, exec
	s_or_b64 s[14:15], s[6:7], s[14:15]
.LBB113_485:
	s_movk_i32 s3, 0xff00
	v_and_b32_sdwa v8, v2, s3 dst_sel:DWORD dst_unused:UNUSED_PAD src0_sel:WORD_1 src1_sel:DWORD
	v_cndmask_b32_e64 v9, 0, 1, s[14:15]
	v_or_b32_sdwa v8, v9, v8 dst_sel:WORD_1 dst_unused:UNUSED_PAD src0_sel:DWORD src1_sel:DWORD
	s_mov_b32 s3, 0xffff
	v_and_or_b32 v2, v2, s3, v8
.LBB113_486:
	s_or_b64 exec, exec, s[4:5]
	v_or_b32_e32 v8, 0xf00, v0
	v_cmp_gt_i32_e32 vcc, s8, v8
	s_and_saveexec_b64 s[4:5], vcc
	s_cbranch_execz .LBB113_501
; %bb.487:
	s_cmp_lt_i32 s9, 1
	s_mov_b64 s[6:7], 0
	s_cbranch_scc1 .LBB113_492
; %bb.488:
	s_cmp_gt_i32 s9, 1
	s_cbranch_scc0 .LBB113_493
; %bb.489:
	s_cmp_eq_u32 s9, 2
	s_cbranch_scc0 .LBB113_549
; %bb.490:
	v_cmp_ge_f16_e64 s[14:15], s10, v4
	s_mov_b64 s[16:17], 0
	s_branch .LBB113_495
.LBB113_491:
	v_cmp_gt_f16_e32 vcc, s10, v8
	s_andn2_b64 s[14:15], s[14:15], exec
	s_and_b64 s[16:17], vcc, exec
	s_or_b64 s[14:15], s[14:15], s[16:17]
	s_cbranch_execz .LBB113_484
	s_branch .LBB113_485
.LBB113_492:
                                        ; implicit-def: $sgpr14_sgpr15
	s_mov_b64 s[16:17], 0
	s_cbranch_execnz .LBB113_496
	s_branch .LBB113_497
.LBB113_493:
	s_mov_b64 s[16:17], 0
                                        ; implicit-def: $sgpr14_sgpr15
	s_cbranch_execz .LBB113_495
; %bb.494:
	v_cmp_lt_f16_e32 vcc, s10, v4
	s_andn2_b64 s[14:15], s[14:15], exec
	s_and_b64 s[18:19], vcc, exec
	s_or_b64 s[14:15], s[14:15], s[18:19]
.LBB113_495:
	s_branch .LBB113_497
.LBB113_496:
	s_cmp_lg_u32 s9, 0
	s_mov_b64 s[6:7], -1
	s_cselect_b64 s[16:17], -1, 0
.LBB113_497:
	s_andn2_b64 vcc, exec, s[16:17]
	s_cbranch_vccz .LBB113_534
; %bb.498:
	s_andn2_b64 vcc, exec, s[6:7]
	s_cbranch_vccnz .LBB113_500
.LBB113_499:
	v_cmp_le_f16_e32 vcc, s10, v4
	s_andn2_b64 s[6:7], s[14:15], exec
	s_and_b64 s[10:11], vcc, exec
	s_or_b64 s[14:15], s[6:7], s[10:11]
.LBB113_500:
	s_movk_i32 s3, 0xff
	v_cndmask_b32_e64 v8, 0, 1, s[14:15]
	v_and_b32_sdwa v4, v2, s3 dst_sel:DWORD dst_unused:UNUSED_PAD src0_sel:WORD_1 src1_sel:DWORD
	v_lshlrev_b16_e32 v8, 8, v8
	v_or_b32_sdwa v4, v4, v8 dst_sel:WORD_1 dst_unused:UNUSED_PAD src0_sel:DWORD src1_sel:DWORD
	s_mov_b32 s3, 0xffff
	v_and_or_b32 v2, v2, s3, v4
.LBB113_501:
	s_or_b64 exec, exec, s[4:5]
	s_and_saveexec_b64 s[4:5], s[0:1]
	s_xor_b64 s[0:1], exec, s[4:5]
	s_cbranch_execz .LBB113_503
; %bb.502:
	v_mov_b32_e32 v0, v7
	global_store_byte v1, v6, s[12:13]
.LBB113_503:
	s_or_b64 exec, exec, s[0:1]
	v_cmp_gt_i32_e32 vcc, s8, v0
	s_and_saveexec_b64 s[0:1], vcc
	s_cbranch_execnz .LBB113_520
; %bb.504:
	s_or_b64 exec, exec, s[0:1]
	v_cmp_gt_i32_e32 vcc, s8, v0
	s_and_saveexec_b64 s[0:1], vcc
	s_cbranch_execnz .LBB113_521
.LBB113_505:
	s_or_b64 exec, exec, s[0:1]
	v_cmp_gt_i32_e32 vcc, s8, v0
	s_and_saveexec_b64 s[0:1], vcc
	s_cbranch_execnz .LBB113_522
.LBB113_506:
	s_or_b64 exec, exec, s[0:1]
	v_cmp_gt_i32_e32 vcc, s8, v0
	s_and_saveexec_b64 s[0:1], vcc
	s_cbranch_execnz .LBB113_523
.LBB113_507:
	s_or_b64 exec, exec, s[0:1]
	v_cmp_gt_i32_e32 vcc, s8, v0
	s_and_saveexec_b64 s[0:1], vcc
	s_cbranch_execnz .LBB113_524
.LBB113_508:
	s_or_b64 exec, exec, s[0:1]
	v_cmp_gt_i32_e32 vcc, s8, v0
	s_and_saveexec_b64 s[0:1], vcc
	s_cbranch_execnz .LBB113_525
.LBB113_509:
	s_or_b64 exec, exec, s[0:1]
	v_cmp_gt_i32_e32 vcc, s8, v0
	s_and_saveexec_b64 s[0:1], vcc
	s_cbranch_execnz .LBB113_526
.LBB113_510:
	s_or_b64 exec, exec, s[0:1]
	v_cmp_gt_i32_e32 vcc, s8, v0
	s_and_saveexec_b64 s[0:1], vcc
	s_cbranch_execnz .LBB113_527
.LBB113_511:
	s_or_b64 exec, exec, s[0:1]
	v_cmp_gt_i32_e32 vcc, s8, v0
	s_and_saveexec_b64 s[0:1], vcc
	s_cbranch_execnz .LBB113_528
.LBB113_512:
	s_or_b64 exec, exec, s[0:1]
	v_cmp_gt_i32_e32 vcc, s8, v0
	s_and_saveexec_b64 s[0:1], vcc
	s_cbranch_execnz .LBB113_529
.LBB113_513:
	s_or_b64 exec, exec, s[0:1]
	v_cmp_gt_i32_e32 vcc, s8, v0
	s_and_saveexec_b64 s[0:1], vcc
	s_cbranch_execnz .LBB113_530
.LBB113_514:
	s_or_b64 exec, exec, s[0:1]
	v_cmp_gt_i32_e32 vcc, s8, v0
	s_and_saveexec_b64 s[0:1], vcc
	s_cbranch_execnz .LBB113_531
.LBB113_515:
	s_or_b64 exec, exec, s[0:1]
	v_cmp_gt_i32_e32 vcc, s8, v0
	s_and_saveexec_b64 s[0:1], vcc
	s_cbranch_execnz .LBB113_532
.LBB113_516:
	s_or_b64 exec, exec, s[0:1]
	v_cmp_gt_i32_e32 vcc, s8, v0
	s_and_saveexec_b64 s[0:1], vcc
	s_cbranch_execnz .LBB113_533
.LBB113_517:
	s_or_b64 exec, exec, s[0:1]
	v_cmp_gt_i32_e32 vcc, s8, v0
	s_and_saveexec_b64 s[0:1], vcc
	s_cbranch_execz .LBB113_519
.LBB113_518:
	v_lshrrev_b32_e32 v1, 24, v2
	v_add_u32_e32 v0, s2, v0
	global_store_byte v0, v1, s[12:13]
.LBB113_519:
	s_endpgm
.LBB113_520:
	v_lshrrev_b32_e32 v1, 8, v6
	v_add_u32_e32 v4, s2, v0
	v_add_u32_e32 v0, 0x100, v0
	global_store_byte v4, v1, s[12:13]
	s_or_b64 exec, exec, s[0:1]
	v_cmp_gt_i32_e32 vcc, s8, v0
	s_and_saveexec_b64 s[0:1], vcc
	s_cbranch_execz .LBB113_505
.LBB113_521:
	v_add_u32_e32 v1, s2, v0
	v_add_u32_e32 v0, 0x100, v0
	global_store_byte_d16_hi v1, v6, s[12:13]
	s_or_b64 exec, exec, s[0:1]
	v_cmp_gt_i32_e32 vcc, s8, v0
	s_and_saveexec_b64 s[0:1], vcc
	s_cbranch_execz .LBB113_506
.LBB113_522:
	v_lshrrev_b32_e32 v1, 24, v6
	v_add_u32_e32 v4, s2, v0
	v_add_u32_e32 v0, 0x100, v0
	global_store_byte v4, v1, s[12:13]
	s_or_b64 exec, exec, s[0:1]
	v_cmp_gt_i32_e32 vcc, s8, v0
	s_and_saveexec_b64 s[0:1], vcc
	s_cbranch_execz .LBB113_507
.LBB113_523:
	v_add_u32_e32 v1, s2, v0
	v_add_u32_e32 v0, 0x100, v0
	global_store_byte v1, v5, s[12:13]
	s_or_b64 exec, exec, s[0:1]
	v_cmp_gt_i32_e32 vcc, s8, v0
	s_and_saveexec_b64 s[0:1], vcc
	s_cbranch_execz .LBB113_508
.LBB113_524:
	v_lshrrev_b32_e32 v1, 8, v5
	v_add_u32_e32 v4, s2, v0
	v_add_u32_e32 v0, 0x100, v0
	global_store_byte v4, v1, s[12:13]
	s_or_b64 exec, exec, s[0:1]
	v_cmp_gt_i32_e32 vcc, s8, v0
	s_and_saveexec_b64 s[0:1], vcc
	s_cbranch_execz .LBB113_509
.LBB113_525:
	v_add_u32_e32 v1, s2, v0
	v_add_u32_e32 v0, 0x100, v0
	global_store_byte_d16_hi v1, v5, s[12:13]
	s_or_b64 exec, exec, s[0:1]
	v_cmp_gt_i32_e32 vcc, s8, v0
	s_and_saveexec_b64 s[0:1], vcc
	s_cbranch_execz .LBB113_510
.LBB113_526:
	v_lshrrev_b32_e32 v1, 24, v5
	v_add_u32_e32 v4, s2, v0
	v_add_u32_e32 v0, 0x100, v0
	global_store_byte v4, v1, s[12:13]
	s_or_b64 exec, exec, s[0:1]
	v_cmp_gt_i32_e32 vcc, s8, v0
	s_and_saveexec_b64 s[0:1], vcc
	s_cbranch_execz .LBB113_511
.LBB113_527:
	v_add_u32_e32 v1, s2, v0
	v_add_u32_e32 v0, 0x100, v0
	global_store_byte v1, v3, s[12:13]
	s_or_b64 exec, exec, s[0:1]
	v_cmp_gt_i32_e32 vcc, s8, v0
	s_and_saveexec_b64 s[0:1], vcc
	s_cbranch_execz .LBB113_512
.LBB113_528:
	v_lshrrev_b32_e32 v1, 8, v3
	v_add_u32_e32 v4, s2, v0
	v_add_u32_e32 v0, 0x100, v0
	global_store_byte v4, v1, s[12:13]
	s_or_b64 exec, exec, s[0:1]
	v_cmp_gt_i32_e32 vcc, s8, v0
	s_and_saveexec_b64 s[0:1], vcc
	s_cbranch_execz .LBB113_513
.LBB113_529:
	v_add_u32_e32 v1, s2, v0
	v_add_u32_e32 v0, 0x100, v0
	global_store_byte_d16_hi v1, v3, s[12:13]
	s_or_b64 exec, exec, s[0:1]
	v_cmp_gt_i32_e32 vcc, s8, v0
	s_and_saveexec_b64 s[0:1], vcc
	s_cbranch_execz .LBB113_514
.LBB113_530:
	v_lshrrev_b32_e32 v1, 24, v3
	v_add_u32_e32 v3, s2, v0
	v_add_u32_e32 v0, 0x100, v0
	global_store_byte v3, v1, s[12:13]
	s_or_b64 exec, exec, s[0:1]
	v_cmp_gt_i32_e32 vcc, s8, v0
	s_and_saveexec_b64 s[0:1], vcc
	s_cbranch_execz .LBB113_515
.LBB113_531:
	v_add_u32_e32 v1, s2, v0
	v_add_u32_e32 v0, 0x100, v0
	global_store_byte v1, v2, s[12:13]
	s_or_b64 exec, exec, s[0:1]
	v_cmp_gt_i32_e32 vcc, s8, v0
	s_and_saveexec_b64 s[0:1], vcc
	s_cbranch_execz .LBB113_516
.LBB113_532:
	v_lshrrev_b32_e32 v1, 8, v2
	v_add_u32_e32 v3, s2, v0
	v_add_u32_e32 v0, 0x100, v0
	global_store_byte v3, v1, s[12:13]
	s_or_b64 exec, exec, s[0:1]
	v_cmp_gt_i32_e32 vcc, s8, v0
	s_and_saveexec_b64 s[0:1], vcc
	s_cbranch_execz .LBB113_517
.LBB113_533:
	v_add_u32_e32 v1, s2, v0
	v_add_u32_e32 v0, 0x100, v0
	global_store_byte_d16_hi v1, v2, s[12:13]
	s_or_b64 exec, exec, s[0:1]
	v_cmp_gt_i32_e32 vcc, s8, v0
	s_and_saveexec_b64 s[0:1], vcc
	s_cbranch_execnz .LBB113_518
	s_branch .LBB113_519
.LBB113_534:
	v_cmp_gt_f16_e32 vcc, s10, v4
	s_andn2_b64 s[14:15], s[14:15], exec
	s_and_b64 s[16:17], vcc, exec
	s_or_b64 s[14:15], s[14:15], s[16:17]
	s_cbranch_execz .LBB113_499
	s_branch .LBB113_500
.LBB113_535:
	s_mov_b64 s[16:17], -1
                                        ; implicit-def: $sgpr14_sgpr15
	s_branch .LBB113_285
.LBB113_536:
	s_mov_b64 s[16:17], -1
                                        ; implicit-def: $sgpr14_sgpr15
	s_branch .LBB113_300
.LBB113_537:
	s_mov_b64 s[16:17], -1
                                        ; implicit-def: $sgpr14_sgpr15
	s_branch .LBB113_315
.LBB113_538:
	s_mov_b64 s[16:17], -1
                                        ; implicit-def: $sgpr14_sgpr15
	s_branch .LBB113_330
.LBB113_539:
	s_mov_b64 s[16:17], -1
                                        ; implicit-def: $sgpr14_sgpr15
	s_branch .LBB113_345
.LBB113_540:
	s_mov_b64 s[16:17], -1
                                        ; implicit-def: $sgpr14_sgpr15
	s_branch .LBB113_360
.LBB113_541:
	s_mov_b64 s[16:17], -1
                                        ; implicit-def: $sgpr14_sgpr15
	s_branch .LBB113_375
.LBB113_542:
	s_mov_b64 s[16:17], -1
                                        ; implicit-def: $sgpr14_sgpr15
	s_branch .LBB113_390
.LBB113_543:
	s_mov_b64 s[16:17], -1
                                        ; implicit-def: $sgpr14_sgpr15
	s_branch .LBB113_405
.LBB113_544:
	s_mov_b64 s[16:17], -1
                                        ; implicit-def: $sgpr14_sgpr15
	s_branch .LBB113_420
.LBB113_545:
	s_mov_b64 s[16:17], -1
                                        ; implicit-def: $sgpr14_sgpr15
	s_branch .LBB113_435
.LBB113_546:
	s_mov_b64 s[16:17], -1
                                        ; implicit-def: $sgpr14_sgpr15
	s_branch .LBB113_450
.LBB113_547:
	s_mov_b64 s[16:17], -1
                                        ; implicit-def: $sgpr14_sgpr15
	s_branch .LBB113_465
.LBB113_548:
	s_mov_b64 s[16:17], -1
                                        ; implicit-def: $sgpr14_sgpr15
	s_branch .LBB113_480
.LBB113_549:
	s_mov_b64 s[16:17], -1
                                        ; implicit-def: $sgpr14_sgpr15
	s_branch .LBB113_495
	.section	.rodata,"a",@progbits
	.p2align	6, 0x0
	.amdhsa_kernel _ZN2at6native29vectorized_elementwise_kernelILi8EZNS0_21compare_scalar_kernelIN3c104HalfEEEvRNS_18TensorIteratorBaseENS0_12_GLOBAL__N_16OpTypeET_EUlS4_E_St5arrayIPcLm2EEEEviT0_T1_
		.amdhsa_group_segment_fixed_size 0
		.amdhsa_private_segment_fixed_size 0
		.amdhsa_kernarg_size 32
		.amdhsa_user_sgpr_count 6
		.amdhsa_user_sgpr_private_segment_buffer 1
		.amdhsa_user_sgpr_dispatch_ptr 0
		.amdhsa_user_sgpr_queue_ptr 0
		.amdhsa_user_sgpr_kernarg_segment_ptr 1
		.amdhsa_user_sgpr_dispatch_id 0
		.amdhsa_user_sgpr_flat_scratch_init 0
		.amdhsa_user_sgpr_private_segment_size 0
		.amdhsa_uses_dynamic_stack 0
		.amdhsa_system_sgpr_private_segment_wavefront_offset 0
		.amdhsa_system_sgpr_workgroup_id_x 1
		.amdhsa_system_sgpr_workgroup_id_y 0
		.amdhsa_system_sgpr_workgroup_id_z 0
		.amdhsa_system_sgpr_workgroup_info 0
		.amdhsa_system_vgpr_workitem_id 0
		.amdhsa_next_free_vgpr 22
		.amdhsa_next_free_sgpr 50
		.amdhsa_reserve_vcc 1
		.amdhsa_reserve_flat_scratch 0
		.amdhsa_float_round_mode_32 0
		.amdhsa_float_round_mode_16_64 0
		.amdhsa_float_denorm_mode_32 3
		.amdhsa_float_denorm_mode_16_64 3
		.amdhsa_dx10_clamp 1
		.amdhsa_ieee_mode 1
		.amdhsa_fp16_overflow 0
		.amdhsa_exception_fp_ieee_invalid_op 0
		.amdhsa_exception_fp_denorm_src 0
		.amdhsa_exception_fp_ieee_div_zero 0
		.amdhsa_exception_fp_ieee_overflow 0
		.amdhsa_exception_fp_ieee_underflow 0
		.amdhsa_exception_fp_ieee_inexact 0
		.amdhsa_exception_int_div_zero 0
	.end_amdhsa_kernel
	.section	.text._ZN2at6native29vectorized_elementwise_kernelILi8EZNS0_21compare_scalar_kernelIN3c104HalfEEEvRNS_18TensorIteratorBaseENS0_12_GLOBAL__N_16OpTypeET_EUlS4_E_St5arrayIPcLm2EEEEviT0_T1_,"axG",@progbits,_ZN2at6native29vectorized_elementwise_kernelILi8EZNS0_21compare_scalar_kernelIN3c104HalfEEEvRNS_18TensorIteratorBaseENS0_12_GLOBAL__N_16OpTypeET_EUlS4_E_St5arrayIPcLm2EEEEviT0_T1_,comdat
.Lfunc_end113:
	.size	_ZN2at6native29vectorized_elementwise_kernelILi8EZNS0_21compare_scalar_kernelIN3c104HalfEEEvRNS_18TensorIteratorBaseENS0_12_GLOBAL__N_16OpTypeET_EUlS4_E_St5arrayIPcLm2EEEEviT0_T1_, .Lfunc_end113-_ZN2at6native29vectorized_elementwise_kernelILi8EZNS0_21compare_scalar_kernelIN3c104HalfEEEvRNS_18TensorIteratorBaseENS0_12_GLOBAL__N_16OpTypeET_EUlS4_E_St5arrayIPcLm2EEEEviT0_T1_
                                        ; -- End function
	.set _ZN2at6native29vectorized_elementwise_kernelILi8EZNS0_21compare_scalar_kernelIN3c104HalfEEEvRNS_18TensorIteratorBaseENS0_12_GLOBAL__N_16OpTypeET_EUlS4_E_St5arrayIPcLm2EEEEviT0_T1_.num_vgpr, 22
	.set _ZN2at6native29vectorized_elementwise_kernelILi8EZNS0_21compare_scalar_kernelIN3c104HalfEEEvRNS_18TensorIteratorBaseENS0_12_GLOBAL__N_16OpTypeET_EUlS4_E_St5arrayIPcLm2EEEEviT0_T1_.num_agpr, 0
	.set _ZN2at6native29vectorized_elementwise_kernelILi8EZNS0_21compare_scalar_kernelIN3c104HalfEEEvRNS_18TensorIteratorBaseENS0_12_GLOBAL__N_16OpTypeET_EUlS4_E_St5arrayIPcLm2EEEEviT0_T1_.numbered_sgpr, 50
	.set _ZN2at6native29vectorized_elementwise_kernelILi8EZNS0_21compare_scalar_kernelIN3c104HalfEEEvRNS_18TensorIteratorBaseENS0_12_GLOBAL__N_16OpTypeET_EUlS4_E_St5arrayIPcLm2EEEEviT0_T1_.num_named_barrier, 0
	.set _ZN2at6native29vectorized_elementwise_kernelILi8EZNS0_21compare_scalar_kernelIN3c104HalfEEEvRNS_18TensorIteratorBaseENS0_12_GLOBAL__N_16OpTypeET_EUlS4_E_St5arrayIPcLm2EEEEviT0_T1_.private_seg_size, 0
	.set _ZN2at6native29vectorized_elementwise_kernelILi8EZNS0_21compare_scalar_kernelIN3c104HalfEEEvRNS_18TensorIteratorBaseENS0_12_GLOBAL__N_16OpTypeET_EUlS4_E_St5arrayIPcLm2EEEEviT0_T1_.uses_vcc, 1
	.set _ZN2at6native29vectorized_elementwise_kernelILi8EZNS0_21compare_scalar_kernelIN3c104HalfEEEvRNS_18TensorIteratorBaseENS0_12_GLOBAL__N_16OpTypeET_EUlS4_E_St5arrayIPcLm2EEEEviT0_T1_.uses_flat_scratch, 0
	.set _ZN2at6native29vectorized_elementwise_kernelILi8EZNS0_21compare_scalar_kernelIN3c104HalfEEEvRNS_18TensorIteratorBaseENS0_12_GLOBAL__N_16OpTypeET_EUlS4_E_St5arrayIPcLm2EEEEviT0_T1_.has_dyn_sized_stack, 0
	.set _ZN2at6native29vectorized_elementwise_kernelILi8EZNS0_21compare_scalar_kernelIN3c104HalfEEEvRNS_18TensorIteratorBaseENS0_12_GLOBAL__N_16OpTypeET_EUlS4_E_St5arrayIPcLm2EEEEviT0_T1_.has_recursion, 0
	.set _ZN2at6native29vectorized_elementwise_kernelILi8EZNS0_21compare_scalar_kernelIN3c104HalfEEEvRNS_18TensorIteratorBaseENS0_12_GLOBAL__N_16OpTypeET_EUlS4_E_St5arrayIPcLm2EEEEviT0_T1_.has_indirect_call, 0
	.section	.AMDGPU.csdata,"",@progbits
; Kernel info:
; codeLenInByte = 8932
; TotalNumSgprs: 54
; NumVgprs: 22
; ScratchSize: 0
; MemoryBound: 0
; FloatMode: 240
; IeeeMode: 1
; LDSByteSize: 0 bytes/workgroup (compile time only)
; SGPRBlocks: 6
; VGPRBlocks: 5
; NumSGPRsForWavesPerEU: 54
; NumVGPRsForWavesPerEU: 22
; Occupancy: 10
; WaveLimiterHint : 1
; COMPUTE_PGM_RSRC2:SCRATCH_EN: 0
; COMPUTE_PGM_RSRC2:USER_SGPR: 6
; COMPUTE_PGM_RSRC2:TRAP_HANDLER: 0
; COMPUTE_PGM_RSRC2:TGID_X_EN: 1
; COMPUTE_PGM_RSRC2:TGID_Y_EN: 0
; COMPUTE_PGM_RSRC2:TGID_Z_EN: 0
; COMPUTE_PGM_RSRC2:TIDIG_COMP_CNT: 0
	.section	.text._ZN2at6native29vectorized_elementwise_kernelILi4EZNS0_21compare_scalar_kernelIN3c104HalfEEEvRNS_18TensorIteratorBaseENS0_12_GLOBAL__N_16OpTypeET_EUlS4_E_St5arrayIPcLm2EEEEviT0_T1_,"axG",@progbits,_ZN2at6native29vectorized_elementwise_kernelILi4EZNS0_21compare_scalar_kernelIN3c104HalfEEEvRNS_18TensorIteratorBaseENS0_12_GLOBAL__N_16OpTypeET_EUlS4_E_St5arrayIPcLm2EEEEviT0_T1_,comdat
	.globl	_ZN2at6native29vectorized_elementwise_kernelILi4EZNS0_21compare_scalar_kernelIN3c104HalfEEEvRNS_18TensorIteratorBaseENS0_12_GLOBAL__N_16OpTypeET_EUlS4_E_St5arrayIPcLm2EEEEviT0_T1_ ; -- Begin function _ZN2at6native29vectorized_elementwise_kernelILi4EZNS0_21compare_scalar_kernelIN3c104HalfEEEvRNS_18TensorIteratorBaseENS0_12_GLOBAL__N_16OpTypeET_EUlS4_E_St5arrayIPcLm2EEEEviT0_T1_
	.p2align	8
	.type	_ZN2at6native29vectorized_elementwise_kernelILi4EZNS0_21compare_scalar_kernelIN3c104HalfEEEvRNS_18TensorIteratorBaseENS0_12_GLOBAL__N_16OpTypeET_EUlS4_E_St5arrayIPcLm2EEEEviT0_T1_,@function
_ZN2at6native29vectorized_elementwise_kernelILi4EZNS0_21compare_scalar_kernelIN3c104HalfEEEvRNS_18TensorIteratorBaseENS0_12_GLOBAL__N_16OpTypeET_EUlS4_E_St5arrayIPcLm2EEEEviT0_T1_: ; @_ZN2at6native29vectorized_elementwise_kernelILi4EZNS0_21compare_scalar_kernelIN3c104HalfEEEvRNS_18TensorIteratorBaseENS0_12_GLOBAL__N_16OpTypeET_EUlS4_E_St5arrayIPcLm2EEEEviT0_T1_
; %bb.0:
	s_load_dwordx8 s[8:15], s[4:5], 0x0
	s_lshl_b32 s2, s6, 12
	s_mov_b64 s[0:1], -1
	s_waitcnt lgkmcnt(0)
	s_sub_i32 s8, s8, s2
	s_cmpk_gt_i32 s8, 0xfff
	s_cbranch_scc0 .LBB114_211
; %bb.1:
	s_ashr_i32 s3, s2, 31
	s_lshl_b64 s[0:1], s[2:3], 1
	s_add_u32 s0, s14, s0
	s_addc_u32 s1, s15, s1
	v_lshlrev_b32_e32 v11, 3, v0
	v_mov_b32_e32 v1, s1
	v_add_co_u32_e32 v2, vcc, s0, v11
	v_addc_co_u32_e32 v1, vcc, 0, v1, vcc
	v_add_co_u32_e32 v9, vcc, 0x1000, v2
	v_addc_co_u32_e32 v10, vcc, 0, v1, vcc
	global_load_dwordx2 v[7:8], v11, s[0:1]
	global_load_dwordx2 v[5:6], v11, s[0:1] offset:2048
	global_load_dwordx2 v[3:4], v[9:10], off
	global_load_dwordx2 v[1:2], v[9:10], off offset:2048
	s_cmp_lt_i32 s9, 1
	s_mov_b64 s[4:5], 0
	s_cbranch_scc1 .LBB114_5
; %bb.2:
	s_cmp_gt_i32 s9, 1
	s_cbranch_scc0 .LBB114_6
; %bb.3:
	s_cmp_eq_u32 s9, 2
	s_cbranch_scc0 .LBB114_7
; %bb.4:
	s_waitcnt vmcnt(3)
	v_cmp_ge_f16_e64 s[0:1], s10, v7
	s_mov_b64 s[6:7], 0
	s_branch .LBB114_8
.LBB114_5:
                                        ; implicit-def: $sgpr0_sgpr1
	s_mov_b64 s[6:7], 0
	s_cbranch_execnz .LBB114_11
	s_branch .LBB114_12
.LBB114_6:
	s_mov_b64 s[6:7], 0
                                        ; implicit-def: $sgpr0_sgpr1
	s_cbranch_execnz .LBB114_9
	s_branch .LBB114_10
.LBB114_7:
	s_mov_b64 s[6:7], -1
                                        ; implicit-def: $sgpr0_sgpr1
.LBB114_8:
	s_branch .LBB114_10
.LBB114_9:
	s_waitcnt vmcnt(3)
	v_cmp_lt_f16_e32 vcc, s10, v7
	s_andn2_b64 s[0:1], s[0:1], exec
	s_and_b64 s[16:17], vcc, exec
	s_or_b64 s[0:1], s[0:1], s[16:17]
.LBB114_10:
	s_branch .LBB114_12
.LBB114_11:
	s_cmp_lg_u32 s9, 0
	s_mov_b64 s[4:5], -1
	s_cselect_b64 s[6:7], -1, 0
.LBB114_12:
	s_andn2_b64 vcc, exec, s[6:7]
	s_cbranch_vccz .LBB114_18
; %bb.13:
	s_andn2_b64 vcc, exec, s[4:5]
	s_cbranch_vccz .LBB114_19
.LBB114_14:
	s_cmp_lt_i32 s9, 1
	s_mov_b64 s[6:7], 0
	s_cbranch_scc1 .LBB114_20
.LBB114_15:
	s_cmp_gt_i32 s9, 1
	s_cbranch_scc0 .LBB114_21
; %bb.16:
	s_cmp_eq_u32 s9, 2
	s_cbranch_scc0 .LBB114_251
; %bb.17:
	s_waitcnt vmcnt(3)
	v_cmp_le_f16_sdwa s[4:5], v7, s10 src0_sel:WORD_1 src1_sel:DWORD
	s_mov_b64 s[16:17], 0
	s_branch .LBB114_23
.LBB114_18:
	s_waitcnt vmcnt(3)
	v_cmp_gt_f16_e32 vcc, s10, v7
	s_andn2_b64 s[0:1], s[0:1], exec
	s_and_b64 s[6:7], vcc, exec
	s_or_b64 s[0:1], s[0:1], s[6:7]
	s_cbranch_execnz .LBB114_14
.LBB114_19:
	s_waitcnt vmcnt(3)
	v_cmp_le_f16_e32 vcc, s10, v7
	s_andn2_b64 s[0:1], s[0:1], exec
	s_and_b64 s[4:5], vcc, exec
	s_or_b64 s[0:1], s[0:1], s[4:5]
	s_cmp_lt_i32 s9, 1
	s_mov_b64 s[6:7], 0
	s_cbranch_scc0 .LBB114_15
.LBB114_20:
                                        ; implicit-def: $sgpr4_sgpr5
	s_mov_b64 s[16:17], 0
	s_cbranch_execnz .LBB114_24
	s_branch .LBB114_25
.LBB114_21:
	s_mov_b64 s[16:17], 0
                                        ; implicit-def: $sgpr4_sgpr5
	s_cbranch_execz .LBB114_23
; %bb.22:
	s_waitcnt vmcnt(3)
	v_cmp_gt_f16_sdwa s[18:19], v7, s10 src0_sel:WORD_1 src1_sel:DWORD
	s_andn2_b64 s[4:5], s[4:5], exec
	s_and_b64 s[18:19], s[18:19], exec
	s_or_b64 s[4:5], s[4:5], s[18:19]
.LBB114_23:
	s_branch .LBB114_25
.LBB114_24:
	s_cmp_lg_u32 s9, 0
	s_mov_b64 s[6:7], -1
	s_cselect_b64 s[16:17], -1, 0
.LBB114_25:
	s_andn2_b64 vcc, exec, s[16:17]
	s_cbranch_vccz .LBB114_31
; %bb.26:
	s_andn2_b64 vcc, exec, s[6:7]
	s_cbranch_vccz .LBB114_32
.LBB114_27:
	s_cmp_lt_i32 s9, 1
	s_mov_b64 s[16:17], 0
	s_cbranch_scc1 .LBB114_33
.LBB114_28:
	s_cmp_gt_i32 s9, 1
	s_cbranch_scc0 .LBB114_34
; %bb.29:
	s_cmp_eq_u32 s9, 2
	s_cbranch_scc0 .LBB114_252
; %bb.30:
	s_waitcnt vmcnt(3)
	v_cmp_ge_f16_e64 s[6:7], s10, v8
	s_mov_b64 s[18:19], 0
	s_branch .LBB114_36
.LBB114_31:
	s_waitcnt vmcnt(3)
	v_cmp_lt_f16_sdwa s[16:17], v7, s10 src0_sel:WORD_1 src1_sel:DWORD
	s_andn2_b64 s[4:5], s[4:5], exec
	s_and_b64 s[16:17], s[16:17], exec
	s_or_b64 s[4:5], s[4:5], s[16:17]
	s_cbranch_execnz .LBB114_27
.LBB114_32:
	s_waitcnt vmcnt(3)
	v_cmp_ge_f16_sdwa s[6:7], v7, s10 src0_sel:WORD_1 src1_sel:DWORD
	s_andn2_b64 s[4:5], s[4:5], exec
	s_and_b64 s[6:7], s[6:7], exec
	s_or_b64 s[4:5], s[4:5], s[6:7]
	s_cmp_lt_i32 s9, 1
	s_mov_b64 s[16:17], 0
	s_cbranch_scc0 .LBB114_28
.LBB114_33:
                                        ; implicit-def: $sgpr6_sgpr7
	s_mov_b64 s[18:19], 0
	s_cbranch_execnz .LBB114_37
	s_branch .LBB114_38
.LBB114_34:
	s_mov_b64 s[18:19], 0
                                        ; implicit-def: $sgpr6_sgpr7
	s_cbranch_execz .LBB114_36
; %bb.35:
	s_waitcnt vmcnt(3)
	v_cmp_lt_f16_e32 vcc, s10, v8
	s_andn2_b64 s[6:7], s[6:7], exec
	s_and_b64 s[20:21], vcc, exec
	s_or_b64 s[6:7], s[6:7], s[20:21]
.LBB114_36:
	s_branch .LBB114_38
.LBB114_37:
	s_cmp_lg_u32 s9, 0
	s_mov_b64 s[16:17], -1
	s_cselect_b64 s[18:19], -1, 0
.LBB114_38:
	s_andn2_b64 vcc, exec, s[18:19]
	s_cbranch_vccz .LBB114_44
; %bb.39:
	s_andn2_b64 vcc, exec, s[16:17]
	s_cbranch_vccz .LBB114_45
.LBB114_40:
	s_cmp_lt_i32 s9, 1
	s_mov_b64 s[18:19], 0
	s_cbranch_scc1 .LBB114_46
.LBB114_41:
	s_cmp_gt_i32 s9, 1
	s_cbranch_scc0 .LBB114_47
; %bb.42:
	s_cmp_eq_u32 s9, 2
	s_cbranch_scc0 .LBB114_253
; %bb.43:
	s_waitcnt vmcnt(3)
	v_cmp_le_f16_sdwa s[16:17], v8, s10 src0_sel:WORD_1 src1_sel:DWORD
	s_mov_b64 s[20:21], 0
	s_branch .LBB114_49
.LBB114_44:
	s_waitcnt vmcnt(3)
	v_cmp_gt_f16_e32 vcc, s10, v8
	s_andn2_b64 s[6:7], s[6:7], exec
	s_and_b64 s[18:19], vcc, exec
	s_or_b64 s[6:7], s[6:7], s[18:19]
	s_cbranch_execnz .LBB114_40
.LBB114_45:
	s_waitcnt vmcnt(3)
	v_cmp_le_f16_e32 vcc, s10, v8
	s_andn2_b64 s[6:7], s[6:7], exec
	s_and_b64 s[16:17], vcc, exec
	s_or_b64 s[6:7], s[6:7], s[16:17]
	s_cmp_lt_i32 s9, 1
	s_mov_b64 s[18:19], 0
	s_cbranch_scc0 .LBB114_41
.LBB114_46:
                                        ; implicit-def: $sgpr16_sgpr17
	s_mov_b64 s[20:21], 0
	s_cbranch_execnz .LBB114_50
	s_branch .LBB114_51
.LBB114_47:
	s_mov_b64 s[20:21], 0
                                        ; implicit-def: $sgpr16_sgpr17
	s_cbranch_execz .LBB114_49
; %bb.48:
	s_waitcnt vmcnt(3)
	v_cmp_gt_f16_sdwa s[22:23], v8, s10 src0_sel:WORD_1 src1_sel:DWORD
	s_andn2_b64 s[16:17], s[16:17], exec
	s_and_b64 s[22:23], s[22:23], exec
	s_or_b64 s[16:17], s[16:17], s[22:23]
.LBB114_49:
	s_branch .LBB114_51
.LBB114_50:
	s_cmp_lg_u32 s9, 0
	s_mov_b64 s[18:19], -1
	s_cselect_b64 s[20:21], -1, 0
.LBB114_51:
	s_andn2_b64 vcc, exec, s[20:21]
	s_cbranch_vccz .LBB114_57
; %bb.52:
	s_andn2_b64 vcc, exec, s[18:19]
	s_cbranch_vccz .LBB114_58
.LBB114_53:
	s_cmp_lt_i32 s9, 1
	s_mov_b64 s[20:21], 0
	s_cbranch_scc1 .LBB114_59
.LBB114_54:
	s_cmp_gt_i32 s9, 1
	s_cbranch_scc0 .LBB114_60
; %bb.55:
	s_cmp_eq_u32 s9, 2
	s_cbranch_scc0 .LBB114_254
; %bb.56:
	s_waitcnt vmcnt(2)
	v_cmp_ge_f16_e64 s[18:19], s10, v5
	s_mov_b64 s[22:23], 0
	s_branch .LBB114_62
.LBB114_57:
	s_waitcnt vmcnt(3)
	v_cmp_lt_f16_sdwa s[20:21], v8, s10 src0_sel:WORD_1 src1_sel:DWORD
	s_andn2_b64 s[16:17], s[16:17], exec
	s_and_b64 s[20:21], s[20:21], exec
	s_or_b64 s[16:17], s[16:17], s[20:21]
	s_cbranch_execnz .LBB114_53
.LBB114_58:
	s_waitcnt vmcnt(3)
	v_cmp_ge_f16_sdwa s[18:19], v8, s10 src0_sel:WORD_1 src1_sel:DWORD
	s_andn2_b64 s[16:17], s[16:17], exec
	s_and_b64 s[18:19], s[18:19], exec
	s_or_b64 s[16:17], s[16:17], s[18:19]
	s_cmp_lt_i32 s9, 1
	s_mov_b64 s[20:21], 0
	s_cbranch_scc0 .LBB114_54
.LBB114_59:
                                        ; implicit-def: $sgpr18_sgpr19
	s_mov_b64 s[22:23], 0
	s_cbranch_execnz .LBB114_63
	s_branch .LBB114_64
.LBB114_60:
	s_mov_b64 s[22:23], 0
                                        ; implicit-def: $sgpr18_sgpr19
	s_cbranch_execz .LBB114_62
; %bb.61:
	s_waitcnt vmcnt(2)
	v_cmp_lt_f16_e32 vcc, s10, v5
	s_andn2_b64 s[18:19], s[18:19], exec
	s_and_b64 s[24:25], vcc, exec
	s_or_b64 s[18:19], s[18:19], s[24:25]
.LBB114_62:
	s_branch .LBB114_64
.LBB114_63:
	s_cmp_lg_u32 s9, 0
	s_mov_b64 s[20:21], -1
	s_cselect_b64 s[22:23], -1, 0
.LBB114_64:
	s_andn2_b64 vcc, exec, s[22:23]
	s_cbranch_vccz .LBB114_70
; %bb.65:
	s_andn2_b64 vcc, exec, s[20:21]
	s_cbranch_vccz .LBB114_71
.LBB114_66:
	s_cmp_lt_i32 s9, 1
	s_mov_b64 s[22:23], 0
	s_cbranch_scc1 .LBB114_72
.LBB114_67:
	s_cmp_gt_i32 s9, 1
	s_cbranch_scc0 .LBB114_73
; %bb.68:
	s_cmp_eq_u32 s9, 2
	s_cbranch_scc0 .LBB114_255
; %bb.69:
	s_waitcnt vmcnt(2)
	v_cmp_le_f16_sdwa s[20:21], v5, s10 src0_sel:WORD_1 src1_sel:DWORD
	s_mov_b64 s[24:25], 0
	s_branch .LBB114_75
.LBB114_70:
	s_waitcnt vmcnt(2)
	v_cmp_gt_f16_e32 vcc, s10, v5
	s_andn2_b64 s[18:19], s[18:19], exec
	s_and_b64 s[22:23], vcc, exec
	s_or_b64 s[18:19], s[18:19], s[22:23]
	s_cbranch_execnz .LBB114_66
.LBB114_71:
	s_waitcnt vmcnt(2)
	v_cmp_le_f16_e32 vcc, s10, v5
	s_andn2_b64 s[18:19], s[18:19], exec
	s_and_b64 s[20:21], vcc, exec
	s_or_b64 s[18:19], s[18:19], s[20:21]
	s_cmp_lt_i32 s9, 1
	s_mov_b64 s[22:23], 0
	s_cbranch_scc0 .LBB114_67
.LBB114_72:
                                        ; implicit-def: $sgpr20_sgpr21
	s_mov_b64 s[24:25], 0
	s_cbranch_execnz .LBB114_76
	s_branch .LBB114_77
.LBB114_73:
	s_mov_b64 s[24:25], 0
                                        ; implicit-def: $sgpr20_sgpr21
	s_cbranch_execz .LBB114_75
; %bb.74:
	s_waitcnt vmcnt(2)
	v_cmp_gt_f16_sdwa s[26:27], v5, s10 src0_sel:WORD_1 src1_sel:DWORD
	s_andn2_b64 s[20:21], s[20:21], exec
	s_and_b64 s[26:27], s[26:27], exec
	s_or_b64 s[20:21], s[20:21], s[26:27]
.LBB114_75:
	s_branch .LBB114_77
.LBB114_76:
	s_cmp_lg_u32 s9, 0
	s_mov_b64 s[22:23], -1
	s_cselect_b64 s[24:25], -1, 0
.LBB114_77:
	s_andn2_b64 vcc, exec, s[24:25]
	s_cbranch_vccz .LBB114_83
; %bb.78:
	s_andn2_b64 vcc, exec, s[22:23]
	s_cbranch_vccz .LBB114_84
.LBB114_79:
	s_cmp_lt_i32 s9, 1
	s_mov_b64 s[24:25], 0
	s_cbranch_scc1 .LBB114_85
.LBB114_80:
	s_cmp_gt_i32 s9, 1
	s_cbranch_scc0 .LBB114_86
; %bb.81:
	s_cmp_eq_u32 s9, 2
	s_cbranch_scc0 .LBB114_256
; %bb.82:
	s_waitcnt vmcnt(2)
	v_cmp_ge_f16_e64 s[22:23], s10, v6
	s_mov_b64 s[26:27], 0
	s_branch .LBB114_88
.LBB114_83:
	s_waitcnt vmcnt(2)
	v_cmp_lt_f16_sdwa s[24:25], v5, s10 src0_sel:WORD_1 src1_sel:DWORD
	s_andn2_b64 s[20:21], s[20:21], exec
	s_and_b64 s[24:25], s[24:25], exec
	s_or_b64 s[20:21], s[20:21], s[24:25]
	s_cbranch_execnz .LBB114_79
.LBB114_84:
	s_waitcnt vmcnt(2)
	v_cmp_ge_f16_sdwa s[22:23], v5, s10 src0_sel:WORD_1 src1_sel:DWORD
	s_andn2_b64 s[20:21], s[20:21], exec
	s_and_b64 s[22:23], s[22:23], exec
	s_or_b64 s[20:21], s[20:21], s[22:23]
	s_cmp_lt_i32 s9, 1
	s_mov_b64 s[24:25], 0
	s_cbranch_scc0 .LBB114_80
.LBB114_85:
                                        ; implicit-def: $sgpr22_sgpr23
	s_mov_b64 s[26:27], 0
	s_cbranch_execnz .LBB114_89
	s_branch .LBB114_90
.LBB114_86:
	s_mov_b64 s[26:27], 0
                                        ; implicit-def: $sgpr22_sgpr23
	s_cbranch_execz .LBB114_88
; %bb.87:
	s_waitcnt vmcnt(2)
	v_cmp_lt_f16_e32 vcc, s10, v6
	s_andn2_b64 s[22:23], s[22:23], exec
	s_and_b64 s[28:29], vcc, exec
	s_or_b64 s[22:23], s[22:23], s[28:29]
.LBB114_88:
	s_branch .LBB114_90
.LBB114_89:
	s_cmp_lg_u32 s9, 0
	s_mov_b64 s[24:25], -1
	s_cselect_b64 s[26:27], -1, 0
.LBB114_90:
	s_andn2_b64 vcc, exec, s[26:27]
	s_cbranch_vccz .LBB114_96
; %bb.91:
	s_andn2_b64 vcc, exec, s[24:25]
	s_cbranch_vccz .LBB114_97
.LBB114_92:
	s_cmp_lt_i32 s9, 1
	s_mov_b64 s[26:27], 0
	s_cbranch_scc1 .LBB114_98
.LBB114_93:
	s_cmp_gt_i32 s9, 1
	s_cbranch_scc0 .LBB114_99
; %bb.94:
	s_cmp_eq_u32 s9, 2
	s_cbranch_scc0 .LBB114_257
; %bb.95:
	s_waitcnt vmcnt(2)
	v_cmp_le_f16_sdwa s[24:25], v6, s10 src0_sel:WORD_1 src1_sel:DWORD
	s_mov_b64 s[28:29], 0
	s_branch .LBB114_101
.LBB114_96:
	s_waitcnt vmcnt(2)
	v_cmp_gt_f16_e32 vcc, s10, v6
	s_andn2_b64 s[22:23], s[22:23], exec
	s_and_b64 s[26:27], vcc, exec
	s_or_b64 s[22:23], s[22:23], s[26:27]
	s_cbranch_execnz .LBB114_92
.LBB114_97:
	s_waitcnt vmcnt(2)
	v_cmp_le_f16_e32 vcc, s10, v6
	s_andn2_b64 s[22:23], s[22:23], exec
	s_and_b64 s[24:25], vcc, exec
	s_or_b64 s[22:23], s[22:23], s[24:25]
	s_cmp_lt_i32 s9, 1
	s_mov_b64 s[26:27], 0
	s_cbranch_scc0 .LBB114_93
.LBB114_98:
                                        ; implicit-def: $sgpr24_sgpr25
	s_mov_b64 s[28:29], 0
	s_cbranch_execnz .LBB114_102
	s_branch .LBB114_103
.LBB114_99:
	s_mov_b64 s[28:29], 0
                                        ; implicit-def: $sgpr24_sgpr25
	s_cbranch_execz .LBB114_101
; %bb.100:
	s_waitcnt vmcnt(2)
	v_cmp_gt_f16_sdwa s[30:31], v6, s10 src0_sel:WORD_1 src1_sel:DWORD
	s_andn2_b64 s[24:25], s[24:25], exec
	s_and_b64 s[30:31], s[30:31], exec
	s_or_b64 s[24:25], s[24:25], s[30:31]
.LBB114_101:
	s_branch .LBB114_103
.LBB114_102:
	s_cmp_lg_u32 s9, 0
	s_mov_b64 s[26:27], -1
	s_cselect_b64 s[28:29], -1, 0
.LBB114_103:
	s_andn2_b64 vcc, exec, s[28:29]
	s_cbranch_vccz .LBB114_109
; %bb.104:
	s_andn2_b64 vcc, exec, s[26:27]
	s_cbranch_vccz .LBB114_110
.LBB114_105:
	s_cmp_lt_i32 s9, 1
	s_mov_b64 s[28:29], 0
	s_cbranch_scc1 .LBB114_111
.LBB114_106:
	s_cmp_gt_i32 s9, 1
	s_cbranch_scc0 .LBB114_112
; %bb.107:
	s_cmp_eq_u32 s9, 2
	s_cbranch_scc0 .LBB114_258
; %bb.108:
	s_waitcnt vmcnt(1)
	v_cmp_ge_f16_e64 s[26:27], s10, v3
	s_mov_b64 s[30:31], 0
	s_branch .LBB114_114
.LBB114_109:
	s_waitcnt vmcnt(2)
	v_cmp_lt_f16_sdwa s[28:29], v6, s10 src0_sel:WORD_1 src1_sel:DWORD
	s_andn2_b64 s[24:25], s[24:25], exec
	s_and_b64 s[28:29], s[28:29], exec
	s_or_b64 s[24:25], s[24:25], s[28:29]
	s_cbranch_execnz .LBB114_105
.LBB114_110:
	s_waitcnt vmcnt(2)
	v_cmp_ge_f16_sdwa s[26:27], v6, s10 src0_sel:WORD_1 src1_sel:DWORD
	s_andn2_b64 s[24:25], s[24:25], exec
	s_and_b64 s[26:27], s[26:27], exec
	s_or_b64 s[24:25], s[24:25], s[26:27]
	s_cmp_lt_i32 s9, 1
	s_mov_b64 s[28:29], 0
	s_cbranch_scc0 .LBB114_106
.LBB114_111:
                                        ; implicit-def: $sgpr26_sgpr27
	s_mov_b64 s[30:31], 0
	s_cbranch_execnz .LBB114_115
	s_branch .LBB114_116
.LBB114_112:
	s_mov_b64 s[30:31], 0
                                        ; implicit-def: $sgpr26_sgpr27
	s_cbranch_execz .LBB114_114
; %bb.113:
	s_waitcnt vmcnt(1)
	v_cmp_lt_f16_e32 vcc, s10, v3
	s_andn2_b64 s[26:27], s[26:27], exec
	s_and_b64 s[34:35], vcc, exec
	s_or_b64 s[26:27], s[26:27], s[34:35]
.LBB114_114:
	s_branch .LBB114_116
.LBB114_115:
	s_cmp_lg_u32 s9, 0
	s_mov_b64 s[28:29], -1
	s_cselect_b64 s[30:31], -1, 0
.LBB114_116:
	s_andn2_b64 vcc, exec, s[30:31]
	s_cbranch_vccz .LBB114_122
; %bb.117:
	s_andn2_b64 vcc, exec, s[28:29]
	s_cbranch_vccz .LBB114_123
.LBB114_118:
	s_cmp_lt_i32 s9, 1
	s_mov_b64 s[30:31], 0
	s_cbranch_scc1 .LBB114_124
.LBB114_119:
	s_cmp_gt_i32 s9, 1
	s_cbranch_scc0 .LBB114_125
; %bb.120:
	s_cmp_eq_u32 s9, 2
	s_cbranch_scc0 .LBB114_259
; %bb.121:
	s_waitcnt vmcnt(1)
	v_cmp_le_f16_sdwa s[28:29], v3, s10 src0_sel:WORD_1 src1_sel:DWORD
	s_mov_b64 s[34:35], 0
	s_branch .LBB114_127
.LBB114_122:
	s_waitcnt vmcnt(1)
	v_cmp_gt_f16_e32 vcc, s10, v3
	s_andn2_b64 s[26:27], s[26:27], exec
	s_and_b64 s[30:31], vcc, exec
	s_or_b64 s[26:27], s[26:27], s[30:31]
	s_cbranch_execnz .LBB114_118
.LBB114_123:
	s_waitcnt vmcnt(1)
	v_cmp_le_f16_e32 vcc, s10, v3
	s_andn2_b64 s[26:27], s[26:27], exec
	s_and_b64 s[28:29], vcc, exec
	s_or_b64 s[26:27], s[26:27], s[28:29]
	s_cmp_lt_i32 s9, 1
	s_mov_b64 s[30:31], 0
	s_cbranch_scc0 .LBB114_119
.LBB114_124:
                                        ; implicit-def: $sgpr28_sgpr29
	s_mov_b64 s[34:35], 0
	s_cbranch_execnz .LBB114_128
	s_branch .LBB114_129
.LBB114_125:
	s_mov_b64 s[34:35], 0
                                        ; implicit-def: $sgpr28_sgpr29
	s_cbranch_execz .LBB114_127
; %bb.126:
	s_waitcnt vmcnt(1)
	v_cmp_gt_f16_sdwa s[36:37], v3, s10 src0_sel:WORD_1 src1_sel:DWORD
	s_andn2_b64 s[28:29], s[28:29], exec
	s_and_b64 s[36:37], s[36:37], exec
	s_or_b64 s[28:29], s[28:29], s[36:37]
.LBB114_127:
	s_branch .LBB114_129
.LBB114_128:
	s_cmp_lg_u32 s9, 0
	s_mov_b64 s[30:31], -1
	s_cselect_b64 s[34:35], -1, 0
.LBB114_129:
	s_andn2_b64 vcc, exec, s[34:35]
	s_cbranch_vccz .LBB114_135
; %bb.130:
	s_andn2_b64 vcc, exec, s[30:31]
	s_cbranch_vccz .LBB114_136
.LBB114_131:
	s_cmp_lt_i32 s9, 1
	s_mov_b64 s[34:35], 0
	s_cbranch_scc1 .LBB114_137
.LBB114_132:
	s_cmp_gt_i32 s9, 1
	s_cbranch_scc0 .LBB114_138
; %bb.133:
	s_cmp_eq_u32 s9, 2
	s_cbranch_scc0 .LBB114_260
; %bb.134:
	s_waitcnt vmcnt(1)
	v_cmp_ge_f16_e64 s[30:31], s10, v4
	s_mov_b64 s[36:37], 0
	s_branch .LBB114_140
.LBB114_135:
	s_waitcnt vmcnt(1)
	v_cmp_lt_f16_sdwa s[34:35], v3, s10 src0_sel:WORD_1 src1_sel:DWORD
	s_andn2_b64 s[28:29], s[28:29], exec
	s_and_b64 s[34:35], s[34:35], exec
	s_or_b64 s[28:29], s[28:29], s[34:35]
	s_cbranch_execnz .LBB114_131
.LBB114_136:
	s_waitcnt vmcnt(1)
	v_cmp_ge_f16_sdwa s[30:31], v3, s10 src0_sel:WORD_1 src1_sel:DWORD
	s_andn2_b64 s[28:29], s[28:29], exec
	s_and_b64 s[30:31], s[30:31], exec
	s_or_b64 s[28:29], s[28:29], s[30:31]
	s_cmp_lt_i32 s9, 1
	s_mov_b64 s[34:35], 0
	s_cbranch_scc0 .LBB114_132
.LBB114_137:
                                        ; implicit-def: $sgpr30_sgpr31
	s_mov_b64 s[36:37], 0
	s_cbranch_execnz .LBB114_141
	s_branch .LBB114_142
.LBB114_138:
	s_mov_b64 s[36:37], 0
                                        ; implicit-def: $sgpr30_sgpr31
	s_cbranch_execz .LBB114_140
; %bb.139:
	s_waitcnt vmcnt(1)
	v_cmp_lt_f16_e32 vcc, s10, v4
	s_andn2_b64 s[30:31], s[30:31], exec
	s_and_b64 s[38:39], vcc, exec
	s_or_b64 s[30:31], s[30:31], s[38:39]
.LBB114_140:
	s_branch .LBB114_142
.LBB114_141:
	s_cmp_lg_u32 s9, 0
	s_mov_b64 s[34:35], -1
	s_cselect_b64 s[36:37], -1, 0
.LBB114_142:
	s_andn2_b64 vcc, exec, s[36:37]
	s_cbranch_vccz .LBB114_148
; %bb.143:
	s_andn2_b64 vcc, exec, s[34:35]
	s_cbranch_vccz .LBB114_149
.LBB114_144:
	s_cmp_lt_i32 s9, 1
	s_mov_b64 s[36:37], 0
	s_cbranch_scc1 .LBB114_150
.LBB114_145:
	s_cmp_gt_i32 s9, 1
	s_cbranch_scc0 .LBB114_151
; %bb.146:
	s_cmp_eq_u32 s9, 2
	s_cbranch_scc0 .LBB114_261
; %bb.147:
	s_waitcnt vmcnt(1)
	v_cmp_le_f16_sdwa s[34:35], v4, s10 src0_sel:WORD_1 src1_sel:DWORD
	s_mov_b64 s[38:39], 0
	s_branch .LBB114_153
.LBB114_148:
	s_waitcnt vmcnt(1)
	v_cmp_gt_f16_e32 vcc, s10, v4
	s_andn2_b64 s[30:31], s[30:31], exec
	s_and_b64 s[36:37], vcc, exec
	s_or_b64 s[30:31], s[30:31], s[36:37]
	s_cbranch_execnz .LBB114_144
.LBB114_149:
	s_waitcnt vmcnt(1)
	v_cmp_le_f16_e32 vcc, s10, v4
	s_andn2_b64 s[30:31], s[30:31], exec
	s_and_b64 s[34:35], vcc, exec
	s_or_b64 s[30:31], s[30:31], s[34:35]
	s_cmp_lt_i32 s9, 1
	s_mov_b64 s[36:37], 0
	s_cbranch_scc0 .LBB114_145
.LBB114_150:
                                        ; implicit-def: $sgpr34_sgpr35
	s_mov_b64 s[38:39], 0
	s_cbranch_execnz .LBB114_154
	s_branch .LBB114_155
.LBB114_151:
	s_mov_b64 s[38:39], 0
                                        ; implicit-def: $sgpr34_sgpr35
	s_cbranch_execz .LBB114_153
; %bb.152:
	s_waitcnt vmcnt(1)
	v_cmp_gt_f16_sdwa s[40:41], v4, s10 src0_sel:WORD_1 src1_sel:DWORD
	s_andn2_b64 s[34:35], s[34:35], exec
	s_and_b64 s[40:41], s[40:41], exec
	s_or_b64 s[34:35], s[34:35], s[40:41]
.LBB114_153:
	s_branch .LBB114_155
.LBB114_154:
	s_cmp_lg_u32 s9, 0
	s_mov_b64 s[36:37], -1
	s_cselect_b64 s[38:39], -1, 0
.LBB114_155:
	s_andn2_b64 vcc, exec, s[38:39]
	s_cbranch_vccz .LBB114_161
; %bb.156:
	s_andn2_b64 vcc, exec, s[36:37]
	s_cbranch_vccz .LBB114_162
.LBB114_157:
	s_cmp_lt_i32 s9, 1
	s_mov_b64 s[38:39], 0
	s_cbranch_scc1 .LBB114_163
.LBB114_158:
	s_cmp_gt_i32 s9, 1
	s_cbranch_scc0 .LBB114_164
; %bb.159:
	s_cmp_eq_u32 s9, 2
	s_cbranch_scc0 .LBB114_262
; %bb.160:
	s_waitcnt vmcnt(0)
	v_cmp_ge_f16_e64 s[36:37], s10, v1
	s_mov_b64 s[40:41], 0
	s_branch .LBB114_166
.LBB114_161:
	s_waitcnt vmcnt(1)
	v_cmp_lt_f16_sdwa s[38:39], v4, s10 src0_sel:WORD_1 src1_sel:DWORD
	s_andn2_b64 s[34:35], s[34:35], exec
	s_and_b64 s[38:39], s[38:39], exec
	s_or_b64 s[34:35], s[34:35], s[38:39]
	s_cbranch_execnz .LBB114_157
.LBB114_162:
	s_waitcnt vmcnt(1)
	v_cmp_ge_f16_sdwa s[36:37], v4, s10 src0_sel:WORD_1 src1_sel:DWORD
	s_andn2_b64 s[34:35], s[34:35], exec
	s_and_b64 s[36:37], s[36:37], exec
	s_or_b64 s[34:35], s[34:35], s[36:37]
	s_cmp_lt_i32 s9, 1
	s_mov_b64 s[38:39], 0
	s_cbranch_scc0 .LBB114_158
.LBB114_163:
                                        ; implicit-def: $sgpr36_sgpr37
	s_mov_b64 s[40:41], 0
	s_cbranch_execnz .LBB114_167
	s_branch .LBB114_168
.LBB114_164:
	s_mov_b64 s[40:41], 0
                                        ; implicit-def: $sgpr36_sgpr37
	s_cbranch_execz .LBB114_166
; %bb.165:
	s_waitcnt vmcnt(0)
	v_cmp_lt_f16_e32 vcc, s10, v1
	s_andn2_b64 s[36:37], s[36:37], exec
	s_and_b64 s[42:43], vcc, exec
	s_or_b64 s[36:37], s[36:37], s[42:43]
.LBB114_166:
	s_branch .LBB114_168
.LBB114_167:
	s_cmp_lg_u32 s9, 0
	s_mov_b64 s[38:39], -1
	s_cselect_b64 s[40:41], -1, 0
.LBB114_168:
	s_andn2_b64 vcc, exec, s[40:41]
	s_cbranch_vccz .LBB114_174
; %bb.169:
	s_andn2_b64 vcc, exec, s[38:39]
	s_cbranch_vccz .LBB114_175
.LBB114_170:
	s_cmp_lt_i32 s9, 1
	s_mov_b64 s[40:41], 0
	s_cbranch_scc1 .LBB114_176
.LBB114_171:
	s_cmp_gt_i32 s9, 1
	s_cbranch_scc0 .LBB114_177
; %bb.172:
	s_cmp_eq_u32 s9, 2
	s_cbranch_scc0 .LBB114_263
; %bb.173:
	s_waitcnt vmcnt(0)
	v_cmp_le_f16_sdwa s[38:39], v1, s10 src0_sel:WORD_1 src1_sel:DWORD
	s_mov_b64 s[42:43], 0
	s_branch .LBB114_179
.LBB114_174:
	s_waitcnt vmcnt(0)
	v_cmp_gt_f16_e32 vcc, s10, v1
	s_andn2_b64 s[36:37], s[36:37], exec
	s_and_b64 s[40:41], vcc, exec
	s_or_b64 s[36:37], s[36:37], s[40:41]
	s_cbranch_execnz .LBB114_170
.LBB114_175:
	s_waitcnt vmcnt(0)
	v_cmp_le_f16_e32 vcc, s10, v1
	s_andn2_b64 s[36:37], s[36:37], exec
	s_and_b64 s[38:39], vcc, exec
	s_or_b64 s[36:37], s[36:37], s[38:39]
	s_cmp_lt_i32 s9, 1
	s_mov_b64 s[40:41], 0
	s_cbranch_scc0 .LBB114_171
.LBB114_176:
                                        ; implicit-def: $sgpr38_sgpr39
	s_mov_b64 s[42:43], 0
	s_cbranch_execnz .LBB114_180
	s_branch .LBB114_181
.LBB114_177:
	s_mov_b64 s[42:43], 0
                                        ; implicit-def: $sgpr38_sgpr39
	s_cbranch_execz .LBB114_179
; %bb.178:
	s_waitcnt vmcnt(0)
	v_cmp_gt_f16_sdwa s[44:45], v1, s10 src0_sel:WORD_1 src1_sel:DWORD
	s_andn2_b64 s[38:39], s[38:39], exec
	s_and_b64 s[44:45], s[44:45], exec
	s_or_b64 s[38:39], s[38:39], s[44:45]
.LBB114_179:
	s_branch .LBB114_181
.LBB114_180:
	s_cmp_lg_u32 s9, 0
	s_mov_b64 s[40:41], -1
	s_cselect_b64 s[42:43], -1, 0
.LBB114_181:
	s_andn2_b64 vcc, exec, s[42:43]
	s_cbranch_vccz .LBB114_187
; %bb.182:
	s_andn2_b64 vcc, exec, s[40:41]
	s_cbranch_vccz .LBB114_188
.LBB114_183:
	s_cmp_lt_i32 s9, 1
	s_mov_b64 s[42:43], 0
	s_cbranch_scc1 .LBB114_189
.LBB114_184:
	s_cmp_gt_i32 s9, 1
	s_cbranch_scc0 .LBB114_190
; %bb.185:
	s_cmp_eq_u32 s9, 2
	s_cbranch_scc0 .LBB114_264
; %bb.186:
	s_waitcnt vmcnt(0)
	v_cmp_ge_f16_e64 s[40:41], s10, v2
	s_mov_b64 s[44:45], 0
	s_branch .LBB114_192
.LBB114_187:
	s_waitcnt vmcnt(0)
	v_cmp_lt_f16_sdwa s[42:43], v1, s10 src0_sel:WORD_1 src1_sel:DWORD
	s_andn2_b64 s[38:39], s[38:39], exec
	s_and_b64 s[42:43], s[42:43], exec
	s_or_b64 s[38:39], s[38:39], s[42:43]
	s_cbranch_execnz .LBB114_183
.LBB114_188:
	s_waitcnt vmcnt(0)
	v_cmp_ge_f16_sdwa s[40:41], v1, s10 src0_sel:WORD_1 src1_sel:DWORD
	s_andn2_b64 s[38:39], s[38:39], exec
	s_and_b64 s[40:41], s[40:41], exec
	s_or_b64 s[38:39], s[38:39], s[40:41]
	s_cmp_lt_i32 s9, 1
	s_mov_b64 s[42:43], 0
	s_cbranch_scc0 .LBB114_184
.LBB114_189:
                                        ; implicit-def: $sgpr40_sgpr41
	s_mov_b64 s[44:45], 0
	s_cbranch_execnz .LBB114_193
	s_branch .LBB114_194
.LBB114_190:
	s_mov_b64 s[44:45], 0
                                        ; implicit-def: $sgpr40_sgpr41
	s_cbranch_execz .LBB114_192
; %bb.191:
	s_waitcnt vmcnt(0)
	v_cmp_lt_f16_e32 vcc, s10, v2
	s_andn2_b64 s[40:41], s[40:41], exec
	s_and_b64 s[46:47], vcc, exec
	s_or_b64 s[40:41], s[40:41], s[46:47]
.LBB114_192:
	s_branch .LBB114_194
.LBB114_193:
	s_cmp_lg_u32 s9, 0
	s_mov_b64 s[42:43], -1
	s_cselect_b64 s[44:45], -1, 0
.LBB114_194:
	s_andn2_b64 vcc, exec, s[44:45]
	s_cbranch_vccz .LBB114_200
; %bb.195:
	s_andn2_b64 vcc, exec, s[42:43]
	s_cbranch_vccz .LBB114_201
.LBB114_196:
	s_cmp_lt_i32 s9, 1
	s_mov_b64 s[44:45], 0
	s_cbranch_scc1 .LBB114_202
.LBB114_197:
	s_cmp_gt_i32 s9, 1
	s_cbranch_scc0 .LBB114_203
; %bb.198:
	s_cmp_eq_u32 s9, 2
	s_cbranch_scc0 .LBB114_265
; %bb.199:
	s_waitcnt vmcnt(0)
	v_cmp_le_f16_sdwa s[42:43], v2, s10 src0_sel:WORD_1 src1_sel:DWORD
	s_mov_b64 s[46:47], 0
	s_branch .LBB114_205
.LBB114_200:
	s_waitcnt vmcnt(0)
	v_cmp_gt_f16_e32 vcc, s10, v2
	s_andn2_b64 s[40:41], s[40:41], exec
	s_and_b64 s[44:45], vcc, exec
	s_or_b64 s[40:41], s[40:41], s[44:45]
	s_cbranch_execnz .LBB114_196
.LBB114_201:
	s_waitcnt vmcnt(0)
	v_cmp_le_f16_e32 vcc, s10, v2
	s_andn2_b64 s[40:41], s[40:41], exec
	s_and_b64 s[42:43], vcc, exec
	s_or_b64 s[40:41], s[40:41], s[42:43]
	s_cmp_lt_i32 s9, 1
	s_mov_b64 s[44:45], 0
	s_cbranch_scc0 .LBB114_197
.LBB114_202:
                                        ; implicit-def: $sgpr42_sgpr43
	s_mov_b64 s[46:47], 0
	s_cbranch_execnz .LBB114_206
	s_branch .LBB114_207
.LBB114_203:
	s_mov_b64 s[46:47], 0
                                        ; implicit-def: $sgpr42_sgpr43
	s_cbranch_execz .LBB114_205
; %bb.204:
	s_waitcnt vmcnt(0)
	v_cmp_gt_f16_sdwa s[48:49], v2, s10 src0_sel:WORD_1 src1_sel:DWORD
	s_andn2_b64 s[42:43], s[42:43], exec
	s_and_b64 s[48:49], s[48:49], exec
	s_or_b64 s[42:43], s[42:43], s[48:49]
.LBB114_205:
	s_branch .LBB114_207
.LBB114_206:
	s_cmp_lg_u32 s9, 0
	s_mov_b64 s[44:45], -1
	s_cselect_b64 s[46:47], -1, 0
.LBB114_207:
	s_andn2_b64 vcc, exec, s[46:47]
	s_cbranch_vccz .LBB114_249
; %bb.208:
	s_andn2_b64 vcc, exec, s[44:45]
	s_cbranch_vccnz .LBB114_210
.LBB114_209:
	s_waitcnt vmcnt(0)
	v_cmp_ge_f16_sdwa s[44:45], v2, s10 src0_sel:WORD_1 src1_sel:DWORD
	s_andn2_b64 s[42:43], s[42:43], exec
	s_and_b64 s[44:45], s[44:45], exec
	s_or_b64 s[42:43], s[42:43], s[44:45]
.LBB114_210:
	s_waitcnt vmcnt(0)
	v_cndmask_b32_e64 v1, 0, 1, s[4:5]
	v_lshlrev_b16_e32 v1, 8, v1
	v_cndmask_b32_e64 v2, 0, 1, s[0:1]
	v_or_b32_e32 v1, v2, v1
	v_cndmask_b32_e64 v2, 0, 1, s[16:17]
	v_lshlrev_b16_e32 v2, 8, v2
	v_cndmask_b32_e64 v3, 0, 1, s[6:7]
	v_or_b32_sdwa v2, v3, v2 dst_sel:WORD_1 dst_unused:UNUSED_PAD src0_sel:DWORD src1_sel:DWORD
	v_or_b32_sdwa v1, v1, v2 dst_sel:DWORD dst_unused:UNUSED_PAD src0_sel:WORD_0 src1_sel:DWORD
	v_cndmask_b32_e64 v2, 0, 1, s[20:21]
	v_lshlrev_b16_e32 v2, 8, v2
	v_cndmask_b32_e64 v3, 0, 1, s[18:19]
	v_or_b32_e32 v2, v3, v2
	v_cndmask_b32_e64 v3, 0, 1, s[24:25]
	v_lshlrev_b16_e32 v3, 8, v3
	v_cndmask_b32_e64 v4, 0, 1, s[22:23]
	v_or_b32_sdwa v3, v4, v3 dst_sel:WORD_1 dst_unused:UNUSED_PAD src0_sel:DWORD src1_sel:DWORD
	v_or_b32_sdwa v2, v2, v3 dst_sel:DWORD dst_unused:UNUSED_PAD src0_sel:WORD_0 src1_sel:DWORD
	;; [unrolled: 9-line block ×3, first 2 shown]
	v_cndmask_b32_e64 v4, 0, 1, s[38:39]
	v_lshlrev_b16_e32 v4, 8, v4
	v_cndmask_b32_e64 v5, 0, 1, s[36:37]
	v_or_b32_e32 v4, v5, v4
	v_cndmask_b32_e64 v5, 0, 1, s[42:43]
	v_lshlrev_b16_e32 v5, 8, v5
	v_cndmask_b32_e64 v6, 0, 1, s[40:41]
	v_or_b32_sdwa v5, v6, v5 dst_sel:WORD_1 dst_unused:UNUSED_PAD src0_sel:DWORD src1_sel:DWORD
	s_add_u32 s0, s12, s2
	v_or_b32_sdwa v4, v4, v5 dst_sel:DWORD dst_unused:UNUSED_PAD src0_sel:WORD_0 src1_sel:DWORD
	s_addc_u32 s1, s13, s3
	v_lshlrev_b32_e32 v5, 2, v0
	global_store_dword v5, v1, s[0:1]
	global_store_dword v5, v2, s[0:1] offset:1024
	global_store_dword v5, v3, s[0:1] offset:2048
	;; [unrolled: 1-line block ×3, first 2 shown]
	s_mov_b64 s[0:1], 0
.LBB114_211:
	s_and_b64 vcc, exec, s[0:1]
	s_cbranch_vccz .LBB114_519
; %bb.212:
	v_cmp_gt_i32_e64 s[0:1], s8, v0
	v_mov_b32_e32 v21, 0
	v_or_b32_e32 v1, s2, v0
	v_mov_b32_e32 v7, 0
	v_mov_b32_e32 v2, v0
	s_and_saveexec_b64 s[4:5], s[0:1]
	s_cbranch_execz .LBB114_214
; %bb.213:
	v_mov_b32_e32 v2, 0
	v_lshlrev_b64 v[2:3], 1, v[1:2]
	v_mov_b32_e32 v4, s15
	v_add_co_u32_e32 v2, vcc, s14, v2
	v_addc_co_u32_e32 v3, vcc, v4, v3, vcc
	global_load_ushort v7, v[2:3], off
	v_or_b32_e32 v2, 0x100, v0
.LBB114_214:
	s_or_b64 exec, exec, s[4:5]
	v_cmp_gt_i32_e32 vcc, s8, v2
	s_and_saveexec_b64 s[4:5], vcc
	s_cbranch_execz .LBB114_216
; %bb.215:
	v_add_u32_e32 v3, s2, v2
	v_mov_b32_e32 v4, 0
	v_lshlrev_b64 v[3:4], 1, v[3:4]
	v_mov_b32_e32 v5, s15
	v_add_co_u32_e32 v3, vcc, s14, v3
	v_addc_co_u32_e32 v4, vcc, v5, v4, vcc
	global_load_ushort v21, v[3:4], off
	v_add_u32_e32 v2, 0x100, v2
.LBB114_216:
	s_or_b64 exec, exec, s[4:5]
	v_cmp_gt_i32_e32 vcc, s8, v2
	v_mov_b32_e32 v19, 0
	v_mov_b32_e32 v20, 0
	s_and_saveexec_b64 s[4:5], vcc
	s_cbranch_execz .LBB114_218
; %bb.217:
	v_add_u32_e32 v3, s2, v2
	v_mov_b32_e32 v4, 0
	v_lshlrev_b64 v[3:4], 1, v[3:4]
	v_mov_b32_e32 v5, s15
	v_add_co_u32_e32 v3, vcc, s14, v3
	v_addc_co_u32_e32 v4, vcc, v5, v4, vcc
	global_load_ushort v20, v[3:4], off
	v_add_u32_e32 v2, 0x100, v2
.LBB114_218:
	s_or_b64 exec, exec, s[4:5]
	v_cmp_gt_i32_e32 vcc, s8, v2
	s_and_saveexec_b64 s[4:5], vcc
	s_cbranch_execz .LBB114_220
; %bb.219:
	v_add_u32_e32 v3, s2, v2
	v_mov_b32_e32 v4, 0
	v_lshlrev_b64 v[3:4], 1, v[3:4]
	v_mov_b32_e32 v5, s15
	v_add_co_u32_e32 v3, vcc, s14, v3
	v_addc_co_u32_e32 v4, vcc, v5, v4, vcc
	global_load_ushort v19, v[3:4], off
	v_add_u32_e32 v2, 0x100, v2
.LBB114_220:
	s_or_b64 exec, exec, s[4:5]
	v_cmp_gt_i32_e32 vcc, s8, v2
	v_mov_b32_e32 v17, 0
	v_mov_b32_e32 v18, 0
	s_and_saveexec_b64 s[4:5], vcc
	s_cbranch_execz .LBB114_222
; %bb.221:
	v_add_u32_e32 v3, s2, v2
	v_mov_b32_e32 v4, 0
	v_lshlrev_b64 v[3:4], 1, v[3:4]
	v_mov_b32_e32 v5, s15
	v_add_co_u32_e32 v3, vcc, s14, v3
	v_addc_co_u32_e32 v4, vcc, v5, v4, vcc
	global_load_ushort v18, v[3:4], off
	v_add_u32_e32 v2, 0x100, v2
.LBB114_222:
	;; [unrolled: 30-line block ×7, first 2 shown]
	s_or_b64 exec, exec, s[4:5]
	v_cmp_gt_i32_e32 vcc, s8, v2
	s_and_saveexec_b64 s[4:5], vcc
	s_cbranch_execz .LBB114_244
; %bb.243:
	v_add_u32_e32 v2, s2, v2
	v_mov_b32_e32 v3, 0
	v_lshlrev_b64 v[2:3], 1, v[2:3]
	v_mov_b32_e32 v4, s15
	v_add_co_u32_e32 v2, vcc, s14, v2
	v_addc_co_u32_e32 v3, vcc, v4, v3, vcc
	global_load_ushort v4, v[2:3], off
.LBB114_244:
	s_or_b64 exec, exec, s[4:5]
	v_mov_b32_e32 v6, 0
	v_mov_b32_e32 v5, v6
	;; [unrolled: 1-line block ×4, first 2 shown]
	s_and_saveexec_b64 s[4:5], s[0:1]
	s_cbranch_execz .LBB114_276
; %bb.245:
	s_cmp_lt_i32 s9, 1
	s_mov_b64 s[6:7], 0
	s_cbranch_scc1 .LBB114_250
; %bb.246:
	s_cmp_gt_i32 s9, 1
	s_cbranch_scc0 .LBB114_266
; %bb.247:
	s_cmp_eq_u32 s9, 2
	s_cbranch_scc0 .LBB114_267
; %bb.248:
	s_waitcnt vmcnt(0)
	v_cmp_ge_f16_e64 s[14:15], s10, v7
	s_mov_b64 s[16:17], 0
	s_branch .LBB114_268
.LBB114_249:
	s_waitcnt vmcnt(0)
	v_cmp_lt_f16_sdwa s[46:47], v2, s10 src0_sel:WORD_1 src1_sel:DWORD
	s_andn2_b64 s[42:43], s[42:43], exec
	s_and_b64 s[46:47], s[46:47], exec
	s_or_b64 s[42:43], s[42:43], s[46:47]
	s_cbranch_execz .LBB114_209
	s_branch .LBB114_210
.LBB114_250:
                                        ; implicit-def: $sgpr14_sgpr15
	s_mov_b64 s[16:17], 0
	s_cbranch_execnz .LBB114_271
	s_branch .LBB114_272
.LBB114_251:
	s_mov_b64 s[16:17], -1
                                        ; implicit-def: $sgpr4_sgpr5
	s_branch .LBB114_23
.LBB114_252:
	s_mov_b64 s[18:19], -1
                                        ; implicit-def: $sgpr6_sgpr7
	s_branch .LBB114_36
.LBB114_253:
	s_mov_b64 s[20:21], -1
                                        ; implicit-def: $sgpr16_sgpr17
	s_branch .LBB114_49
.LBB114_254:
	s_mov_b64 s[22:23], -1
                                        ; implicit-def: $sgpr18_sgpr19
	s_branch .LBB114_62
.LBB114_255:
	s_mov_b64 s[24:25], -1
                                        ; implicit-def: $sgpr20_sgpr21
	s_branch .LBB114_75
.LBB114_256:
	s_mov_b64 s[26:27], -1
                                        ; implicit-def: $sgpr22_sgpr23
	s_branch .LBB114_88
.LBB114_257:
	s_mov_b64 s[28:29], -1
                                        ; implicit-def: $sgpr24_sgpr25
	s_branch .LBB114_101
.LBB114_258:
	s_mov_b64 s[30:31], -1
                                        ; implicit-def: $sgpr26_sgpr27
	s_branch .LBB114_114
.LBB114_259:
	s_mov_b64 s[34:35], -1
                                        ; implicit-def: $sgpr28_sgpr29
	s_branch .LBB114_127
.LBB114_260:
	s_mov_b64 s[36:37], -1
                                        ; implicit-def: $sgpr30_sgpr31
	s_branch .LBB114_140
.LBB114_261:
	s_mov_b64 s[38:39], -1
                                        ; implicit-def: $sgpr34_sgpr35
	s_branch .LBB114_153
.LBB114_262:
	s_mov_b64 s[40:41], -1
                                        ; implicit-def: $sgpr36_sgpr37
	s_branch .LBB114_166
.LBB114_263:
	s_mov_b64 s[42:43], -1
                                        ; implicit-def: $sgpr38_sgpr39
	s_branch .LBB114_179
.LBB114_264:
	s_mov_b64 s[44:45], -1
                                        ; implicit-def: $sgpr40_sgpr41
	s_branch .LBB114_192
.LBB114_265:
	s_mov_b64 s[46:47], -1
                                        ; implicit-def: $sgpr42_sgpr43
	s_branch .LBB114_205
.LBB114_266:
	s_mov_b64 s[16:17], 0
                                        ; implicit-def: $sgpr14_sgpr15
	s_cbranch_execnz .LBB114_269
	s_branch .LBB114_270
.LBB114_267:
	s_mov_b64 s[16:17], -1
                                        ; implicit-def: $sgpr14_sgpr15
.LBB114_268:
	s_branch .LBB114_270
.LBB114_269:
	s_waitcnt vmcnt(0)
	v_cmp_lt_f16_e32 vcc, s10, v7
	s_andn2_b64 s[14:15], s[14:15], exec
	s_and_b64 s[18:19], vcc, exec
	s_or_b64 s[14:15], s[14:15], s[18:19]
.LBB114_270:
	s_branch .LBB114_272
.LBB114_271:
	s_cmp_lg_u32 s9, 0
	s_mov_b64 s[6:7], -1
	s_cselect_b64 s[16:17], -1, 0
.LBB114_272:
	s_andn2_b64 vcc, exec, s[16:17]
	s_cbranch_vccz .LBB114_281
; %bb.273:
	s_andn2_b64 vcc, exec, s[6:7]
	s_cbranch_vccnz .LBB114_275
.LBB114_274:
	s_waitcnt vmcnt(0)
	v_cmp_le_f16_e32 vcc, s10, v7
	s_andn2_b64 s[6:7], s[14:15], exec
	s_and_b64 s[14:15], vcc, exec
	s_or_b64 s[14:15], s[6:7], s[14:15]
.LBB114_275:
	v_cndmask_b32_e64 v2, 0, 1, s[14:15]
	v_mov_b32_e32 v5, 0
	v_and_b32_e32 v6, 0xffff, v2
	v_mov_b32_e32 v3, v5
	v_mov_b32_e32 v2, v5
.LBB114_276:
	s_or_b64 exec, exec, s[4:5]
	s_waitcnt vmcnt(0)
	v_or_b32_e32 v7, 0x100, v0
	v_cmp_gt_i32_e32 vcc, s8, v7
	s_and_saveexec_b64 s[4:5], vcc
	s_cbranch_execz .LBB114_291
; %bb.277:
	s_cmp_lt_i32 s9, 1
	s_mov_b64 s[6:7], 0
	s_cbranch_scc1 .LBB114_282
; %bb.278:
	s_cmp_gt_i32 s9, 1
	s_cbranch_scc0 .LBB114_283
; %bb.279:
	s_cmp_eq_u32 s9, 2
	s_cbranch_scc0 .LBB114_535
; %bb.280:
	v_cmp_ge_f16_e64 s[14:15], s10, v21
	s_mov_b64 s[16:17], 0
	s_branch .LBB114_285
.LBB114_281:
	s_waitcnt vmcnt(0)
	v_cmp_gt_f16_e32 vcc, s10, v7
	s_andn2_b64 s[14:15], s[14:15], exec
	s_and_b64 s[16:17], vcc, exec
	s_or_b64 s[14:15], s[14:15], s[16:17]
	s_cbranch_execz .LBB114_274
	s_branch .LBB114_275
.LBB114_282:
                                        ; implicit-def: $sgpr14_sgpr15
	s_mov_b64 s[16:17], 0
	s_cbranch_execnz .LBB114_286
	s_branch .LBB114_287
.LBB114_283:
	s_mov_b64 s[16:17], 0
                                        ; implicit-def: $sgpr14_sgpr15
	s_cbranch_execz .LBB114_285
; %bb.284:
	v_cmp_lt_f16_e32 vcc, s10, v21
	s_andn2_b64 s[14:15], s[14:15], exec
	s_and_b64 s[18:19], vcc, exec
	s_or_b64 s[14:15], s[14:15], s[18:19]
.LBB114_285:
	s_branch .LBB114_287
.LBB114_286:
	s_cmp_lg_u32 s9, 0
	s_mov_b64 s[6:7], -1
	s_cselect_b64 s[16:17], -1, 0
.LBB114_287:
	s_andn2_b64 vcc, exec, s[16:17]
	s_cbranch_vccz .LBB114_296
; %bb.288:
	s_andn2_b64 vcc, exec, s[6:7]
	s_cbranch_vccnz .LBB114_290
.LBB114_289:
	v_cmp_le_f16_e32 vcc, s10, v21
	s_andn2_b64 s[6:7], s[14:15], exec
	s_and_b64 s[14:15], vcc, exec
	s_or_b64 s[14:15], s[6:7], s[14:15]
.LBB114_290:
	v_cndmask_b32_e64 v21, 0, 1, s[14:15]
	v_lshlrev_b16_e32 v21, 8, v21
	v_or_b32_sdwa v21, v6, v21 dst_sel:DWORD dst_unused:UNUSED_PAD src0_sel:BYTE_0 src1_sel:DWORD
	v_and_b32_e32 v21, 0xffff, v21
	s_mov_b32 s3, 0xffff0000
	v_and_or_b32 v6, v6, s3, v21
.LBB114_291:
	s_or_b64 exec, exec, s[4:5]
	v_or_b32_e32 v21, 0x200, v0
	v_cmp_gt_i32_e32 vcc, s8, v21
	s_and_saveexec_b64 s[4:5], vcc
	s_cbranch_execz .LBB114_306
; %bb.292:
	s_cmp_lt_i32 s9, 1
	s_mov_b64 s[6:7], 0
	s_cbranch_scc1 .LBB114_297
; %bb.293:
	s_cmp_gt_i32 s9, 1
	s_cbranch_scc0 .LBB114_298
; %bb.294:
	s_cmp_eq_u32 s9, 2
	s_cbranch_scc0 .LBB114_536
; %bb.295:
	v_cmp_ge_f16_e64 s[14:15], s10, v20
	s_mov_b64 s[16:17], 0
	s_branch .LBB114_300
.LBB114_296:
	v_cmp_gt_f16_e32 vcc, s10, v21
	s_andn2_b64 s[14:15], s[14:15], exec
	s_and_b64 s[16:17], vcc, exec
	s_or_b64 s[14:15], s[14:15], s[16:17]
	s_cbranch_execz .LBB114_289
	s_branch .LBB114_290
.LBB114_297:
                                        ; implicit-def: $sgpr14_sgpr15
	s_mov_b64 s[16:17], 0
	s_cbranch_execnz .LBB114_301
	s_branch .LBB114_302
.LBB114_298:
	s_mov_b64 s[16:17], 0
                                        ; implicit-def: $sgpr14_sgpr15
	s_cbranch_execz .LBB114_300
; %bb.299:
	v_cmp_lt_f16_e32 vcc, s10, v20
	s_andn2_b64 s[14:15], s[14:15], exec
	s_and_b64 s[18:19], vcc, exec
	s_or_b64 s[14:15], s[14:15], s[18:19]
.LBB114_300:
	s_branch .LBB114_302
.LBB114_301:
	s_cmp_lg_u32 s9, 0
	s_mov_b64 s[6:7], -1
	s_cselect_b64 s[16:17], -1, 0
.LBB114_302:
	s_andn2_b64 vcc, exec, s[16:17]
	s_cbranch_vccz .LBB114_311
; %bb.303:
	s_andn2_b64 vcc, exec, s[6:7]
	s_cbranch_vccnz .LBB114_305
.LBB114_304:
	v_cmp_le_f16_e32 vcc, s10, v20
	s_andn2_b64 s[6:7], s[14:15], exec
	s_and_b64 s[14:15], vcc, exec
	s_or_b64 s[14:15], s[6:7], s[14:15]
.LBB114_305:
	s_movk_i32 s3, 0xff00
	v_and_b32_sdwa v20, v6, s3 dst_sel:DWORD dst_unused:UNUSED_PAD src0_sel:WORD_1 src1_sel:DWORD
	v_cndmask_b32_e64 v21, 0, 1, s[14:15]
	v_or_b32_sdwa v20, v21, v20 dst_sel:WORD_1 dst_unused:UNUSED_PAD src0_sel:DWORD src1_sel:DWORD
	s_mov_b32 s3, 0xffff
	v_and_or_b32 v6, v6, s3, v20
.LBB114_306:
	s_or_b64 exec, exec, s[4:5]
	v_or_b32_e32 v20, 0x300, v0
	v_cmp_gt_i32_e32 vcc, s8, v20
	s_and_saveexec_b64 s[4:5], vcc
	s_cbranch_execz .LBB114_321
; %bb.307:
	s_cmp_lt_i32 s9, 1
	s_mov_b64 s[6:7], 0
	s_cbranch_scc1 .LBB114_312
; %bb.308:
	s_cmp_gt_i32 s9, 1
	s_cbranch_scc0 .LBB114_313
; %bb.309:
	s_cmp_eq_u32 s9, 2
	s_cbranch_scc0 .LBB114_537
; %bb.310:
	v_cmp_ge_f16_e64 s[14:15], s10, v19
	s_mov_b64 s[16:17], 0
	s_branch .LBB114_315
.LBB114_311:
	v_cmp_gt_f16_e32 vcc, s10, v20
	s_andn2_b64 s[14:15], s[14:15], exec
	s_and_b64 s[16:17], vcc, exec
	s_or_b64 s[14:15], s[14:15], s[16:17]
	s_cbranch_execz .LBB114_304
	s_branch .LBB114_305
.LBB114_312:
                                        ; implicit-def: $sgpr14_sgpr15
	s_mov_b64 s[16:17], 0
	s_cbranch_execnz .LBB114_316
	s_branch .LBB114_317
.LBB114_313:
	s_mov_b64 s[16:17], 0
                                        ; implicit-def: $sgpr14_sgpr15
	s_cbranch_execz .LBB114_315
; %bb.314:
	v_cmp_lt_f16_e32 vcc, s10, v19
	s_andn2_b64 s[14:15], s[14:15], exec
	s_and_b64 s[18:19], vcc, exec
	s_or_b64 s[14:15], s[14:15], s[18:19]
.LBB114_315:
	s_branch .LBB114_317
.LBB114_316:
	s_cmp_lg_u32 s9, 0
	s_mov_b64 s[6:7], -1
	s_cselect_b64 s[16:17], -1, 0
.LBB114_317:
	s_andn2_b64 vcc, exec, s[16:17]
	s_cbranch_vccz .LBB114_326
; %bb.318:
	s_andn2_b64 vcc, exec, s[6:7]
	s_cbranch_vccnz .LBB114_320
.LBB114_319:
	v_cmp_le_f16_e32 vcc, s10, v19
	s_andn2_b64 s[6:7], s[14:15], exec
	s_and_b64 s[14:15], vcc, exec
	s_or_b64 s[14:15], s[6:7], s[14:15]
.LBB114_320:
	s_movk_i32 s3, 0xff
	v_cndmask_b32_e64 v20, 0, 1, s[14:15]
	v_and_b32_sdwa v19, v6, s3 dst_sel:DWORD dst_unused:UNUSED_PAD src0_sel:WORD_1 src1_sel:DWORD
	v_lshlrev_b16_e32 v20, 8, v20
	v_or_b32_sdwa v19, v19, v20 dst_sel:WORD_1 dst_unused:UNUSED_PAD src0_sel:DWORD src1_sel:DWORD
	s_mov_b32 s3, 0xffff
	v_and_or_b32 v6, v6, s3, v19
.LBB114_321:
	s_or_b64 exec, exec, s[4:5]
	v_or_b32_e32 v19, 0x400, v0
	v_cmp_gt_i32_e32 vcc, s8, v19
	s_and_saveexec_b64 s[4:5], vcc
	s_cbranch_execz .LBB114_336
; %bb.322:
	s_cmp_lt_i32 s9, 1
	s_mov_b64 s[6:7], 0
	s_cbranch_scc1 .LBB114_327
; %bb.323:
	s_cmp_gt_i32 s9, 1
	s_cbranch_scc0 .LBB114_328
; %bb.324:
	s_cmp_eq_u32 s9, 2
	s_cbranch_scc0 .LBB114_538
; %bb.325:
	v_cmp_ge_f16_e64 s[14:15], s10, v18
	s_mov_b64 s[16:17], 0
	s_branch .LBB114_330
.LBB114_326:
	v_cmp_gt_f16_e32 vcc, s10, v19
	s_andn2_b64 s[14:15], s[14:15], exec
	s_and_b64 s[16:17], vcc, exec
	s_or_b64 s[14:15], s[14:15], s[16:17]
	s_cbranch_execz .LBB114_319
	s_branch .LBB114_320
.LBB114_327:
                                        ; implicit-def: $sgpr14_sgpr15
	s_mov_b64 s[16:17], 0
	s_cbranch_execnz .LBB114_331
	s_branch .LBB114_332
.LBB114_328:
	s_mov_b64 s[16:17], 0
                                        ; implicit-def: $sgpr14_sgpr15
	s_cbranch_execz .LBB114_330
; %bb.329:
	v_cmp_lt_f16_e32 vcc, s10, v18
	s_andn2_b64 s[14:15], s[14:15], exec
	s_and_b64 s[18:19], vcc, exec
	s_or_b64 s[14:15], s[14:15], s[18:19]
.LBB114_330:
	s_branch .LBB114_332
.LBB114_331:
	s_cmp_lg_u32 s9, 0
	s_mov_b64 s[6:7], -1
	s_cselect_b64 s[16:17], -1, 0
.LBB114_332:
	s_andn2_b64 vcc, exec, s[16:17]
	s_cbranch_vccz .LBB114_341
; %bb.333:
	s_andn2_b64 vcc, exec, s[6:7]
	s_cbranch_vccnz .LBB114_335
.LBB114_334:
	v_cmp_le_f16_e32 vcc, s10, v18
	s_andn2_b64 s[6:7], s[14:15], exec
	s_and_b64 s[14:15], vcc, exec
	s_or_b64 s[14:15], s[6:7], s[14:15]
.LBB114_335:
	v_and_b32_e32 v18, 0xffffff00, v5
	v_cndmask_b32_e64 v19, 0, 1, s[14:15]
	v_or_b32_e32 v18, v19, v18
	v_and_b32_e32 v18, 0xffff, v18
	s_mov_b32 s3, 0xffff0000
	v_and_or_b32 v5, v5, s3, v18
.LBB114_336:
	s_or_b64 exec, exec, s[4:5]
	v_or_b32_e32 v18, 0x500, v0
	v_cmp_gt_i32_e32 vcc, s8, v18
	s_and_saveexec_b64 s[4:5], vcc
	s_cbranch_execz .LBB114_351
; %bb.337:
	s_cmp_lt_i32 s9, 1
	s_mov_b64 s[6:7], 0
	s_cbranch_scc1 .LBB114_342
; %bb.338:
	s_cmp_gt_i32 s9, 1
	s_cbranch_scc0 .LBB114_343
; %bb.339:
	s_cmp_eq_u32 s9, 2
	s_cbranch_scc0 .LBB114_539
; %bb.340:
	v_cmp_ge_f16_e64 s[14:15], s10, v17
	s_mov_b64 s[16:17], 0
	s_branch .LBB114_345
.LBB114_341:
	v_cmp_gt_f16_e32 vcc, s10, v18
	s_andn2_b64 s[14:15], s[14:15], exec
	s_and_b64 s[16:17], vcc, exec
	s_or_b64 s[14:15], s[14:15], s[16:17]
	s_cbranch_execz .LBB114_334
	s_branch .LBB114_335
.LBB114_342:
                                        ; implicit-def: $sgpr14_sgpr15
	s_mov_b64 s[16:17], 0
	s_cbranch_execnz .LBB114_346
	s_branch .LBB114_347
.LBB114_343:
	s_mov_b64 s[16:17], 0
                                        ; implicit-def: $sgpr14_sgpr15
	s_cbranch_execz .LBB114_345
; %bb.344:
	v_cmp_lt_f16_e32 vcc, s10, v17
	s_andn2_b64 s[14:15], s[14:15], exec
	s_and_b64 s[18:19], vcc, exec
	s_or_b64 s[14:15], s[14:15], s[18:19]
.LBB114_345:
	s_branch .LBB114_347
.LBB114_346:
	s_cmp_lg_u32 s9, 0
	s_mov_b64 s[6:7], -1
	s_cselect_b64 s[16:17], -1, 0
.LBB114_347:
	s_andn2_b64 vcc, exec, s[16:17]
	s_cbranch_vccz .LBB114_356
; %bb.348:
	s_andn2_b64 vcc, exec, s[6:7]
	s_cbranch_vccnz .LBB114_350
.LBB114_349:
	v_cmp_le_f16_e32 vcc, s10, v17
	s_andn2_b64 s[6:7], s[14:15], exec
	s_and_b64 s[14:15], vcc, exec
	s_or_b64 s[14:15], s[6:7], s[14:15]
.LBB114_350:
	v_cndmask_b32_e64 v17, 0, 1, s[14:15]
	v_lshlrev_b16_e32 v17, 8, v17
	v_or_b32_sdwa v17, v5, v17 dst_sel:DWORD dst_unused:UNUSED_PAD src0_sel:BYTE_0 src1_sel:DWORD
	v_and_b32_e32 v17, 0xffff, v17
	s_mov_b32 s3, 0xffff0000
	v_and_or_b32 v5, v5, s3, v17
.LBB114_351:
	s_or_b64 exec, exec, s[4:5]
	v_or_b32_e32 v17, 0x600, v0
	v_cmp_gt_i32_e32 vcc, s8, v17
	s_and_saveexec_b64 s[4:5], vcc
	s_cbranch_execz .LBB114_366
; %bb.352:
	s_cmp_lt_i32 s9, 1
	s_mov_b64 s[6:7], 0
	s_cbranch_scc1 .LBB114_357
; %bb.353:
	s_cmp_gt_i32 s9, 1
	s_cbranch_scc0 .LBB114_358
; %bb.354:
	s_cmp_eq_u32 s9, 2
	s_cbranch_scc0 .LBB114_540
; %bb.355:
	v_cmp_ge_f16_e64 s[14:15], s10, v16
	s_mov_b64 s[16:17], 0
	s_branch .LBB114_360
.LBB114_356:
	v_cmp_gt_f16_e32 vcc, s10, v17
	s_andn2_b64 s[14:15], s[14:15], exec
	s_and_b64 s[16:17], vcc, exec
	s_or_b64 s[14:15], s[14:15], s[16:17]
	s_cbranch_execz .LBB114_349
	s_branch .LBB114_350
.LBB114_357:
                                        ; implicit-def: $sgpr14_sgpr15
	s_mov_b64 s[16:17], 0
	s_cbranch_execnz .LBB114_361
	s_branch .LBB114_362
.LBB114_358:
	s_mov_b64 s[16:17], 0
                                        ; implicit-def: $sgpr14_sgpr15
	s_cbranch_execz .LBB114_360
; %bb.359:
	v_cmp_lt_f16_e32 vcc, s10, v16
	s_andn2_b64 s[14:15], s[14:15], exec
	s_and_b64 s[18:19], vcc, exec
	s_or_b64 s[14:15], s[14:15], s[18:19]
.LBB114_360:
	s_branch .LBB114_362
.LBB114_361:
	s_cmp_lg_u32 s9, 0
	s_mov_b64 s[6:7], -1
	s_cselect_b64 s[16:17], -1, 0
.LBB114_362:
	s_andn2_b64 vcc, exec, s[16:17]
	s_cbranch_vccz .LBB114_371
; %bb.363:
	s_andn2_b64 vcc, exec, s[6:7]
	s_cbranch_vccnz .LBB114_365
.LBB114_364:
	v_cmp_le_f16_e32 vcc, s10, v16
	s_andn2_b64 s[6:7], s[14:15], exec
	s_and_b64 s[14:15], vcc, exec
	s_or_b64 s[14:15], s[6:7], s[14:15]
.LBB114_365:
	s_movk_i32 s3, 0xff00
	v_and_b32_sdwa v16, v5, s3 dst_sel:DWORD dst_unused:UNUSED_PAD src0_sel:WORD_1 src1_sel:DWORD
	v_cndmask_b32_e64 v17, 0, 1, s[14:15]
	v_or_b32_sdwa v16, v17, v16 dst_sel:WORD_1 dst_unused:UNUSED_PAD src0_sel:DWORD src1_sel:DWORD
	s_mov_b32 s3, 0xffff
	v_and_or_b32 v5, v5, s3, v16
.LBB114_366:
	s_or_b64 exec, exec, s[4:5]
	v_or_b32_e32 v16, 0x700, v0
	v_cmp_gt_i32_e32 vcc, s8, v16
	s_and_saveexec_b64 s[4:5], vcc
	s_cbranch_execz .LBB114_381
; %bb.367:
	s_cmp_lt_i32 s9, 1
	s_mov_b64 s[6:7], 0
	s_cbranch_scc1 .LBB114_372
; %bb.368:
	s_cmp_gt_i32 s9, 1
	s_cbranch_scc0 .LBB114_373
; %bb.369:
	s_cmp_eq_u32 s9, 2
	s_cbranch_scc0 .LBB114_541
; %bb.370:
	v_cmp_ge_f16_e64 s[14:15], s10, v15
	s_mov_b64 s[16:17], 0
	s_branch .LBB114_375
.LBB114_371:
	v_cmp_gt_f16_e32 vcc, s10, v16
	s_andn2_b64 s[14:15], s[14:15], exec
	s_and_b64 s[16:17], vcc, exec
	s_or_b64 s[14:15], s[14:15], s[16:17]
	s_cbranch_execz .LBB114_364
	s_branch .LBB114_365
.LBB114_372:
                                        ; implicit-def: $sgpr14_sgpr15
	s_mov_b64 s[16:17], 0
	s_cbranch_execnz .LBB114_376
	s_branch .LBB114_377
.LBB114_373:
	s_mov_b64 s[16:17], 0
                                        ; implicit-def: $sgpr14_sgpr15
	s_cbranch_execz .LBB114_375
; %bb.374:
	v_cmp_lt_f16_e32 vcc, s10, v15
	s_andn2_b64 s[14:15], s[14:15], exec
	s_and_b64 s[18:19], vcc, exec
	s_or_b64 s[14:15], s[14:15], s[18:19]
.LBB114_375:
	s_branch .LBB114_377
.LBB114_376:
	s_cmp_lg_u32 s9, 0
	s_mov_b64 s[6:7], -1
	s_cselect_b64 s[16:17], -1, 0
.LBB114_377:
	s_andn2_b64 vcc, exec, s[16:17]
	s_cbranch_vccz .LBB114_386
; %bb.378:
	s_andn2_b64 vcc, exec, s[6:7]
	s_cbranch_vccnz .LBB114_380
.LBB114_379:
	v_cmp_le_f16_e32 vcc, s10, v15
	s_andn2_b64 s[6:7], s[14:15], exec
	s_and_b64 s[14:15], vcc, exec
	s_or_b64 s[14:15], s[6:7], s[14:15]
.LBB114_380:
	s_movk_i32 s3, 0xff
	v_cndmask_b32_e64 v16, 0, 1, s[14:15]
	v_and_b32_sdwa v15, v5, s3 dst_sel:DWORD dst_unused:UNUSED_PAD src0_sel:WORD_1 src1_sel:DWORD
	v_lshlrev_b16_e32 v16, 8, v16
	v_or_b32_sdwa v15, v15, v16 dst_sel:WORD_1 dst_unused:UNUSED_PAD src0_sel:DWORD src1_sel:DWORD
	s_mov_b32 s3, 0xffff
	v_and_or_b32 v5, v5, s3, v15
.LBB114_381:
	s_or_b64 exec, exec, s[4:5]
	v_or_b32_e32 v15, 0x800, v0
	v_cmp_gt_i32_e32 vcc, s8, v15
	s_and_saveexec_b64 s[4:5], vcc
	s_cbranch_execz .LBB114_396
; %bb.382:
	s_cmp_lt_i32 s9, 1
	s_mov_b64 s[6:7], 0
	s_cbranch_scc1 .LBB114_387
; %bb.383:
	s_cmp_gt_i32 s9, 1
	s_cbranch_scc0 .LBB114_388
; %bb.384:
	s_cmp_eq_u32 s9, 2
	s_cbranch_scc0 .LBB114_542
; %bb.385:
	v_cmp_ge_f16_e64 s[14:15], s10, v14
	s_mov_b64 s[16:17], 0
	s_branch .LBB114_390
.LBB114_386:
	v_cmp_gt_f16_e32 vcc, s10, v15
	s_andn2_b64 s[14:15], s[14:15], exec
	s_and_b64 s[16:17], vcc, exec
	s_or_b64 s[14:15], s[14:15], s[16:17]
	s_cbranch_execz .LBB114_379
	s_branch .LBB114_380
.LBB114_387:
                                        ; implicit-def: $sgpr14_sgpr15
	s_mov_b64 s[16:17], 0
	s_cbranch_execnz .LBB114_391
	s_branch .LBB114_392
.LBB114_388:
	s_mov_b64 s[16:17], 0
                                        ; implicit-def: $sgpr14_sgpr15
	s_cbranch_execz .LBB114_390
; %bb.389:
	v_cmp_lt_f16_e32 vcc, s10, v14
	s_andn2_b64 s[14:15], s[14:15], exec
	s_and_b64 s[18:19], vcc, exec
	s_or_b64 s[14:15], s[14:15], s[18:19]
.LBB114_390:
	s_branch .LBB114_392
.LBB114_391:
	s_cmp_lg_u32 s9, 0
	s_mov_b64 s[6:7], -1
	s_cselect_b64 s[16:17], -1, 0
.LBB114_392:
	s_andn2_b64 vcc, exec, s[16:17]
	s_cbranch_vccz .LBB114_401
; %bb.393:
	s_andn2_b64 vcc, exec, s[6:7]
	s_cbranch_vccnz .LBB114_395
.LBB114_394:
	v_cmp_le_f16_e32 vcc, s10, v14
	s_andn2_b64 s[6:7], s[14:15], exec
	s_and_b64 s[14:15], vcc, exec
	s_or_b64 s[14:15], s[6:7], s[14:15]
.LBB114_395:
	v_and_b32_e32 v14, 0xffffff00, v3
	v_cndmask_b32_e64 v15, 0, 1, s[14:15]
	v_or_b32_e32 v14, v15, v14
	v_and_b32_e32 v14, 0xffff, v14
	s_mov_b32 s3, 0xffff0000
	v_and_or_b32 v3, v3, s3, v14
.LBB114_396:
	s_or_b64 exec, exec, s[4:5]
	v_or_b32_e32 v14, 0x900, v0
	v_cmp_gt_i32_e32 vcc, s8, v14
	s_and_saveexec_b64 s[4:5], vcc
	s_cbranch_execz .LBB114_411
; %bb.397:
	s_cmp_lt_i32 s9, 1
	s_mov_b64 s[6:7], 0
	s_cbranch_scc1 .LBB114_402
; %bb.398:
	s_cmp_gt_i32 s9, 1
	s_cbranch_scc0 .LBB114_403
; %bb.399:
	s_cmp_eq_u32 s9, 2
	s_cbranch_scc0 .LBB114_543
; %bb.400:
	v_cmp_ge_f16_e64 s[14:15], s10, v13
	s_mov_b64 s[16:17], 0
	s_branch .LBB114_405
.LBB114_401:
	v_cmp_gt_f16_e32 vcc, s10, v14
	s_andn2_b64 s[14:15], s[14:15], exec
	s_and_b64 s[16:17], vcc, exec
	s_or_b64 s[14:15], s[14:15], s[16:17]
	s_cbranch_execz .LBB114_394
	s_branch .LBB114_395
.LBB114_402:
                                        ; implicit-def: $sgpr14_sgpr15
	s_mov_b64 s[16:17], 0
	s_cbranch_execnz .LBB114_406
	s_branch .LBB114_407
.LBB114_403:
	s_mov_b64 s[16:17], 0
                                        ; implicit-def: $sgpr14_sgpr15
	s_cbranch_execz .LBB114_405
; %bb.404:
	v_cmp_lt_f16_e32 vcc, s10, v13
	s_andn2_b64 s[14:15], s[14:15], exec
	s_and_b64 s[18:19], vcc, exec
	s_or_b64 s[14:15], s[14:15], s[18:19]
.LBB114_405:
	s_branch .LBB114_407
.LBB114_406:
	s_cmp_lg_u32 s9, 0
	s_mov_b64 s[6:7], -1
	s_cselect_b64 s[16:17], -1, 0
.LBB114_407:
	s_andn2_b64 vcc, exec, s[16:17]
	s_cbranch_vccz .LBB114_416
; %bb.408:
	s_andn2_b64 vcc, exec, s[6:7]
	s_cbranch_vccnz .LBB114_410
.LBB114_409:
	v_cmp_le_f16_e32 vcc, s10, v13
	s_andn2_b64 s[6:7], s[14:15], exec
	s_and_b64 s[14:15], vcc, exec
	s_or_b64 s[14:15], s[6:7], s[14:15]
.LBB114_410:
	v_cndmask_b32_e64 v13, 0, 1, s[14:15]
	v_lshlrev_b16_e32 v13, 8, v13
	v_or_b32_sdwa v13, v3, v13 dst_sel:DWORD dst_unused:UNUSED_PAD src0_sel:BYTE_0 src1_sel:DWORD
	v_and_b32_e32 v13, 0xffff, v13
	s_mov_b32 s3, 0xffff0000
	v_and_or_b32 v3, v3, s3, v13
.LBB114_411:
	s_or_b64 exec, exec, s[4:5]
	v_or_b32_e32 v13, 0xa00, v0
	v_cmp_gt_i32_e32 vcc, s8, v13
	s_and_saveexec_b64 s[4:5], vcc
	s_cbranch_execz .LBB114_426
; %bb.412:
	s_cmp_lt_i32 s9, 1
	s_mov_b64 s[6:7], 0
	s_cbranch_scc1 .LBB114_417
; %bb.413:
	s_cmp_gt_i32 s9, 1
	s_cbranch_scc0 .LBB114_418
; %bb.414:
	s_cmp_eq_u32 s9, 2
	s_cbranch_scc0 .LBB114_544
; %bb.415:
	v_cmp_ge_f16_e64 s[14:15], s10, v12
	s_mov_b64 s[16:17], 0
	s_branch .LBB114_420
.LBB114_416:
	v_cmp_gt_f16_e32 vcc, s10, v13
	s_andn2_b64 s[14:15], s[14:15], exec
	s_and_b64 s[16:17], vcc, exec
	s_or_b64 s[14:15], s[14:15], s[16:17]
	s_cbranch_execz .LBB114_409
	s_branch .LBB114_410
.LBB114_417:
                                        ; implicit-def: $sgpr14_sgpr15
	s_mov_b64 s[16:17], 0
	s_cbranch_execnz .LBB114_421
	s_branch .LBB114_422
.LBB114_418:
	s_mov_b64 s[16:17], 0
                                        ; implicit-def: $sgpr14_sgpr15
	s_cbranch_execz .LBB114_420
; %bb.419:
	v_cmp_lt_f16_e32 vcc, s10, v12
	s_andn2_b64 s[14:15], s[14:15], exec
	s_and_b64 s[18:19], vcc, exec
	s_or_b64 s[14:15], s[14:15], s[18:19]
.LBB114_420:
	s_branch .LBB114_422
.LBB114_421:
	s_cmp_lg_u32 s9, 0
	s_mov_b64 s[6:7], -1
	s_cselect_b64 s[16:17], -1, 0
.LBB114_422:
	s_andn2_b64 vcc, exec, s[16:17]
	s_cbranch_vccz .LBB114_431
; %bb.423:
	s_andn2_b64 vcc, exec, s[6:7]
	s_cbranch_vccnz .LBB114_425
.LBB114_424:
	v_cmp_le_f16_e32 vcc, s10, v12
	s_andn2_b64 s[6:7], s[14:15], exec
	s_and_b64 s[14:15], vcc, exec
	s_or_b64 s[14:15], s[6:7], s[14:15]
.LBB114_425:
	s_movk_i32 s3, 0xff00
	v_and_b32_sdwa v12, v3, s3 dst_sel:DWORD dst_unused:UNUSED_PAD src0_sel:WORD_1 src1_sel:DWORD
	v_cndmask_b32_e64 v13, 0, 1, s[14:15]
	v_or_b32_sdwa v12, v13, v12 dst_sel:WORD_1 dst_unused:UNUSED_PAD src0_sel:DWORD src1_sel:DWORD
	s_mov_b32 s3, 0xffff
	v_and_or_b32 v3, v3, s3, v12
.LBB114_426:
	s_or_b64 exec, exec, s[4:5]
	v_or_b32_e32 v12, 0xb00, v0
	v_cmp_gt_i32_e32 vcc, s8, v12
	s_and_saveexec_b64 s[4:5], vcc
	s_cbranch_execz .LBB114_441
; %bb.427:
	s_cmp_lt_i32 s9, 1
	s_mov_b64 s[6:7], 0
	s_cbranch_scc1 .LBB114_432
; %bb.428:
	s_cmp_gt_i32 s9, 1
	s_cbranch_scc0 .LBB114_433
; %bb.429:
	s_cmp_eq_u32 s9, 2
	s_cbranch_scc0 .LBB114_545
; %bb.430:
	v_cmp_ge_f16_e64 s[14:15], s10, v11
	s_mov_b64 s[16:17], 0
	s_branch .LBB114_435
.LBB114_431:
	v_cmp_gt_f16_e32 vcc, s10, v12
	s_andn2_b64 s[14:15], s[14:15], exec
	s_and_b64 s[16:17], vcc, exec
	s_or_b64 s[14:15], s[14:15], s[16:17]
	s_cbranch_execz .LBB114_424
	s_branch .LBB114_425
.LBB114_432:
                                        ; implicit-def: $sgpr14_sgpr15
	s_mov_b64 s[16:17], 0
	s_cbranch_execnz .LBB114_436
	s_branch .LBB114_437
.LBB114_433:
	s_mov_b64 s[16:17], 0
                                        ; implicit-def: $sgpr14_sgpr15
	s_cbranch_execz .LBB114_435
; %bb.434:
	v_cmp_lt_f16_e32 vcc, s10, v11
	s_andn2_b64 s[14:15], s[14:15], exec
	s_and_b64 s[18:19], vcc, exec
	s_or_b64 s[14:15], s[14:15], s[18:19]
.LBB114_435:
	s_branch .LBB114_437
.LBB114_436:
	s_cmp_lg_u32 s9, 0
	s_mov_b64 s[6:7], -1
	s_cselect_b64 s[16:17], -1, 0
.LBB114_437:
	s_andn2_b64 vcc, exec, s[16:17]
	s_cbranch_vccz .LBB114_446
; %bb.438:
	s_andn2_b64 vcc, exec, s[6:7]
	s_cbranch_vccnz .LBB114_440
.LBB114_439:
	v_cmp_le_f16_e32 vcc, s10, v11
	s_andn2_b64 s[6:7], s[14:15], exec
	s_and_b64 s[14:15], vcc, exec
	s_or_b64 s[14:15], s[6:7], s[14:15]
.LBB114_440:
	s_movk_i32 s3, 0xff
	v_cndmask_b32_e64 v12, 0, 1, s[14:15]
	v_and_b32_sdwa v11, v3, s3 dst_sel:DWORD dst_unused:UNUSED_PAD src0_sel:WORD_1 src1_sel:DWORD
	v_lshlrev_b16_e32 v12, 8, v12
	v_or_b32_sdwa v11, v11, v12 dst_sel:WORD_1 dst_unused:UNUSED_PAD src0_sel:DWORD src1_sel:DWORD
	s_mov_b32 s3, 0xffff
	v_and_or_b32 v3, v3, s3, v11
.LBB114_441:
	s_or_b64 exec, exec, s[4:5]
	v_or_b32_e32 v11, 0xc00, v0
	v_cmp_gt_i32_e32 vcc, s8, v11
	s_and_saveexec_b64 s[4:5], vcc
	s_cbranch_execz .LBB114_456
; %bb.442:
	s_cmp_lt_i32 s9, 1
	s_mov_b64 s[6:7], 0
	s_cbranch_scc1 .LBB114_447
; %bb.443:
	s_cmp_gt_i32 s9, 1
	s_cbranch_scc0 .LBB114_448
; %bb.444:
	s_cmp_eq_u32 s9, 2
	s_cbranch_scc0 .LBB114_546
; %bb.445:
	v_cmp_ge_f16_e64 s[14:15], s10, v10
	s_mov_b64 s[16:17], 0
	s_branch .LBB114_450
.LBB114_446:
	v_cmp_gt_f16_e32 vcc, s10, v11
	s_andn2_b64 s[14:15], s[14:15], exec
	s_and_b64 s[16:17], vcc, exec
	s_or_b64 s[14:15], s[14:15], s[16:17]
	s_cbranch_execz .LBB114_439
	s_branch .LBB114_440
.LBB114_447:
                                        ; implicit-def: $sgpr14_sgpr15
	s_mov_b64 s[16:17], 0
	s_cbranch_execnz .LBB114_451
	s_branch .LBB114_452
.LBB114_448:
	s_mov_b64 s[16:17], 0
                                        ; implicit-def: $sgpr14_sgpr15
	s_cbranch_execz .LBB114_450
; %bb.449:
	v_cmp_lt_f16_e32 vcc, s10, v10
	s_andn2_b64 s[14:15], s[14:15], exec
	s_and_b64 s[18:19], vcc, exec
	s_or_b64 s[14:15], s[14:15], s[18:19]
.LBB114_450:
	s_branch .LBB114_452
.LBB114_451:
	s_cmp_lg_u32 s9, 0
	s_mov_b64 s[6:7], -1
	s_cselect_b64 s[16:17], -1, 0
.LBB114_452:
	s_andn2_b64 vcc, exec, s[16:17]
	s_cbranch_vccz .LBB114_461
; %bb.453:
	s_andn2_b64 vcc, exec, s[6:7]
	s_cbranch_vccnz .LBB114_455
.LBB114_454:
	v_cmp_le_f16_e32 vcc, s10, v10
	s_andn2_b64 s[6:7], s[14:15], exec
	s_and_b64 s[14:15], vcc, exec
	s_or_b64 s[14:15], s[6:7], s[14:15]
.LBB114_455:
	v_and_b32_e32 v10, 0xffffff00, v2
	v_cndmask_b32_e64 v11, 0, 1, s[14:15]
	v_or_b32_e32 v10, v11, v10
	v_and_b32_e32 v10, 0xffff, v10
	s_mov_b32 s3, 0xffff0000
	v_and_or_b32 v2, v2, s3, v10
.LBB114_456:
	s_or_b64 exec, exec, s[4:5]
	v_or_b32_e32 v10, 0xd00, v0
	v_cmp_gt_i32_e32 vcc, s8, v10
	s_and_saveexec_b64 s[4:5], vcc
	s_cbranch_execz .LBB114_471
; %bb.457:
	s_cmp_lt_i32 s9, 1
	s_mov_b64 s[6:7], 0
	s_cbranch_scc1 .LBB114_462
; %bb.458:
	s_cmp_gt_i32 s9, 1
	s_cbranch_scc0 .LBB114_463
; %bb.459:
	s_cmp_eq_u32 s9, 2
	s_cbranch_scc0 .LBB114_547
; %bb.460:
	v_cmp_ge_f16_e64 s[14:15], s10, v9
	s_mov_b64 s[16:17], 0
	s_branch .LBB114_465
.LBB114_461:
	v_cmp_gt_f16_e32 vcc, s10, v10
	s_andn2_b64 s[14:15], s[14:15], exec
	s_and_b64 s[16:17], vcc, exec
	s_or_b64 s[14:15], s[14:15], s[16:17]
	s_cbranch_execz .LBB114_454
	s_branch .LBB114_455
.LBB114_462:
                                        ; implicit-def: $sgpr14_sgpr15
	s_mov_b64 s[16:17], 0
	s_cbranch_execnz .LBB114_466
	s_branch .LBB114_467
.LBB114_463:
	s_mov_b64 s[16:17], 0
                                        ; implicit-def: $sgpr14_sgpr15
	s_cbranch_execz .LBB114_465
; %bb.464:
	v_cmp_lt_f16_e32 vcc, s10, v9
	s_andn2_b64 s[14:15], s[14:15], exec
	s_and_b64 s[18:19], vcc, exec
	s_or_b64 s[14:15], s[14:15], s[18:19]
.LBB114_465:
	s_branch .LBB114_467
.LBB114_466:
	s_cmp_lg_u32 s9, 0
	s_mov_b64 s[6:7], -1
	s_cselect_b64 s[16:17], -1, 0
.LBB114_467:
	s_andn2_b64 vcc, exec, s[16:17]
	s_cbranch_vccz .LBB114_476
; %bb.468:
	s_andn2_b64 vcc, exec, s[6:7]
	s_cbranch_vccnz .LBB114_470
.LBB114_469:
	v_cmp_le_f16_e32 vcc, s10, v9
	s_andn2_b64 s[6:7], s[14:15], exec
	s_and_b64 s[14:15], vcc, exec
	s_or_b64 s[14:15], s[6:7], s[14:15]
.LBB114_470:
	v_cndmask_b32_e64 v9, 0, 1, s[14:15]
	v_lshlrev_b16_e32 v9, 8, v9
	v_or_b32_sdwa v9, v2, v9 dst_sel:DWORD dst_unused:UNUSED_PAD src0_sel:BYTE_0 src1_sel:DWORD
	v_and_b32_e32 v9, 0xffff, v9
	s_mov_b32 s3, 0xffff0000
	v_and_or_b32 v2, v2, s3, v9
.LBB114_471:
	s_or_b64 exec, exec, s[4:5]
	v_or_b32_e32 v9, 0xe00, v0
	v_cmp_gt_i32_e32 vcc, s8, v9
	s_and_saveexec_b64 s[4:5], vcc
	s_cbranch_execz .LBB114_486
; %bb.472:
	s_cmp_lt_i32 s9, 1
	s_mov_b64 s[6:7], 0
	s_cbranch_scc1 .LBB114_477
; %bb.473:
	s_cmp_gt_i32 s9, 1
	s_cbranch_scc0 .LBB114_478
; %bb.474:
	s_cmp_eq_u32 s9, 2
	s_cbranch_scc0 .LBB114_548
; %bb.475:
	v_cmp_ge_f16_e64 s[14:15], s10, v8
	s_mov_b64 s[16:17], 0
	s_branch .LBB114_480
.LBB114_476:
	v_cmp_gt_f16_e32 vcc, s10, v9
	s_andn2_b64 s[14:15], s[14:15], exec
	s_and_b64 s[16:17], vcc, exec
	s_or_b64 s[14:15], s[14:15], s[16:17]
	s_cbranch_execz .LBB114_469
	s_branch .LBB114_470
.LBB114_477:
                                        ; implicit-def: $sgpr14_sgpr15
	s_mov_b64 s[16:17], 0
	s_cbranch_execnz .LBB114_481
	s_branch .LBB114_482
.LBB114_478:
	s_mov_b64 s[16:17], 0
                                        ; implicit-def: $sgpr14_sgpr15
	s_cbranch_execz .LBB114_480
; %bb.479:
	v_cmp_lt_f16_e32 vcc, s10, v8
	s_andn2_b64 s[14:15], s[14:15], exec
	s_and_b64 s[18:19], vcc, exec
	s_or_b64 s[14:15], s[14:15], s[18:19]
.LBB114_480:
	s_branch .LBB114_482
.LBB114_481:
	s_cmp_lg_u32 s9, 0
	s_mov_b64 s[6:7], -1
	s_cselect_b64 s[16:17], -1, 0
.LBB114_482:
	s_andn2_b64 vcc, exec, s[16:17]
	s_cbranch_vccz .LBB114_491
; %bb.483:
	s_andn2_b64 vcc, exec, s[6:7]
	s_cbranch_vccnz .LBB114_485
.LBB114_484:
	v_cmp_le_f16_e32 vcc, s10, v8
	s_andn2_b64 s[6:7], s[14:15], exec
	s_and_b64 s[14:15], vcc, exec
	s_or_b64 s[14:15], s[6:7], s[14:15]
.LBB114_485:
	s_movk_i32 s3, 0xff00
	v_and_b32_sdwa v8, v2, s3 dst_sel:DWORD dst_unused:UNUSED_PAD src0_sel:WORD_1 src1_sel:DWORD
	v_cndmask_b32_e64 v9, 0, 1, s[14:15]
	v_or_b32_sdwa v8, v9, v8 dst_sel:WORD_1 dst_unused:UNUSED_PAD src0_sel:DWORD src1_sel:DWORD
	s_mov_b32 s3, 0xffff
	v_and_or_b32 v2, v2, s3, v8
.LBB114_486:
	s_or_b64 exec, exec, s[4:5]
	v_or_b32_e32 v8, 0xf00, v0
	v_cmp_gt_i32_e32 vcc, s8, v8
	s_and_saveexec_b64 s[4:5], vcc
	s_cbranch_execz .LBB114_501
; %bb.487:
	s_cmp_lt_i32 s9, 1
	s_mov_b64 s[6:7], 0
	s_cbranch_scc1 .LBB114_492
; %bb.488:
	s_cmp_gt_i32 s9, 1
	s_cbranch_scc0 .LBB114_493
; %bb.489:
	s_cmp_eq_u32 s9, 2
	s_cbranch_scc0 .LBB114_549
; %bb.490:
	v_cmp_ge_f16_e64 s[14:15], s10, v4
	s_mov_b64 s[16:17], 0
	s_branch .LBB114_495
.LBB114_491:
	v_cmp_gt_f16_e32 vcc, s10, v8
	s_andn2_b64 s[14:15], s[14:15], exec
	s_and_b64 s[16:17], vcc, exec
	s_or_b64 s[14:15], s[14:15], s[16:17]
	s_cbranch_execz .LBB114_484
	s_branch .LBB114_485
.LBB114_492:
                                        ; implicit-def: $sgpr14_sgpr15
	s_mov_b64 s[16:17], 0
	s_cbranch_execnz .LBB114_496
	s_branch .LBB114_497
.LBB114_493:
	s_mov_b64 s[16:17], 0
                                        ; implicit-def: $sgpr14_sgpr15
	s_cbranch_execz .LBB114_495
; %bb.494:
	v_cmp_lt_f16_e32 vcc, s10, v4
	s_andn2_b64 s[14:15], s[14:15], exec
	s_and_b64 s[18:19], vcc, exec
	s_or_b64 s[14:15], s[14:15], s[18:19]
.LBB114_495:
	s_branch .LBB114_497
.LBB114_496:
	s_cmp_lg_u32 s9, 0
	s_mov_b64 s[6:7], -1
	s_cselect_b64 s[16:17], -1, 0
.LBB114_497:
	s_andn2_b64 vcc, exec, s[16:17]
	s_cbranch_vccz .LBB114_534
; %bb.498:
	s_andn2_b64 vcc, exec, s[6:7]
	s_cbranch_vccnz .LBB114_500
.LBB114_499:
	v_cmp_le_f16_e32 vcc, s10, v4
	s_andn2_b64 s[6:7], s[14:15], exec
	s_and_b64 s[10:11], vcc, exec
	s_or_b64 s[14:15], s[6:7], s[10:11]
.LBB114_500:
	s_movk_i32 s3, 0xff
	v_cndmask_b32_e64 v8, 0, 1, s[14:15]
	v_and_b32_sdwa v4, v2, s3 dst_sel:DWORD dst_unused:UNUSED_PAD src0_sel:WORD_1 src1_sel:DWORD
	v_lshlrev_b16_e32 v8, 8, v8
	v_or_b32_sdwa v4, v4, v8 dst_sel:WORD_1 dst_unused:UNUSED_PAD src0_sel:DWORD src1_sel:DWORD
	s_mov_b32 s3, 0xffff
	v_and_or_b32 v2, v2, s3, v4
.LBB114_501:
	s_or_b64 exec, exec, s[4:5]
	s_and_saveexec_b64 s[4:5], s[0:1]
	s_xor_b64 s[0:1], exec, s[4:5]
	s_cbranch_execz .LBB114_503
; %bb.502:
	v_mov_b32_e32 v0, v7
	global_store_byte v1, v6, s[12:13]
.LBB114_503:
	s_or_b64 exec, exec, s[0:1]
	v_cmp_gt_i32_e32 vcc, s8, v0
	s_and_saveexec_b64 s[0:1], vcc
	s_cbranch_execnz .LBB114_520
; %bb.504:
	s_or_b64 exec, exec, s[0:1]
	v_cmp_gt_i32_e32 vcc, s8, v0
	s_and_saveexec_b64 s[0:1], vcc
	s_cbranch_execnz .LBB114_521
.LBB114_505:
	s_or_b64 exec, exec, s[0:1]
	v_cmp_gt_i32_e32 vcc, s8, v0
	s_and_saveexec_b64 s[0:1], vcc
	s_cbranch_execnz .LBB114_522
.LBB114_506:
	s_or_b64 exec, exec, s[0:1]
	v_cmp_gt_i32_e32 vcc, s8, v0
	s_and_saveexec_b64 s[0:1], vcc
	s_cbranch_execnz .LBB114_523
.LBB114_507:
	s_or_b64 exec, exec, s[0:1]
	v_cmp_gt_i32_e32 vcc, s8, v0
	s_and_saveexec_b64 s[0:1], vcc
	s_cbranch_execnz .LBB114_524
.LBB114_508:
	s_or_b64 exec, exec, s[0:1]
	v_cmp_gt_i32_e32 vcc, s8, v0
	s_and_saveexec_b64 s[0:1], vcc
	s_cbranch_execnz .LBB114_525
.LBB114_509:
	s_or_b64 exec, exec, s[0:1]
	v_cmp_gt_i32_e32 vcc, s8, v0
	s_and_saveexec_b64 s[0:1], vcc
	s_cbranch_execnz .LBB114_526
.LBB114_510:
	s_or_b64 exec, exec, s[0:1]
	v_cmp_gt_i32_e32 vcc, s8, v0
	s_and_saveexec_b64 s[0:1], vcc
	s_cbranch_execnz .LBB114_527
.LBB114_511:
	s_or_b64 exec, exec, s[0:1]
	v_cmp_gt_i32_e32 vcc, s8, v0
	s_and_saveexec_b64 s[0:1], vcc
	s_cbranch_execnz .LBB114_528
.LBB114_512:
	s_or_b64 exec, exec, s[0:1]
	v_cmp_gt_i32_e32 vcc, s8, v0
	s_and_saveexec_b64 s[0:1], vcc
	s_cbranch_execnz .LBB114_529
.LBB114_513:
	s_or_b64 exec, exec, s[0:1]
	v_cmp_gt_i32_e32 vcc, s8, v0
	s_and_saveexec_b64 s[0:1], vcc
	s_cbranch_execnz .LBB114_530
.LBB114_514:
	s_or_b64 exec, exec, s[0:1]
	v_cmp_gt_i32_e32 vcc, s8, v0
	s_and_saveexec_b64 s[0:1], vcc
	s_cbranch_execnz .LBB114_531
.LBB114_515:
	s_or_b64 exec, exec, s[0:1]
	v_cmp_gt_i32_e32 vcc, s8, v0
	s_and_saveexec_b64 s[0:1], vcc
	s_cbranch_execnz .LBB114_532
.LBB114_516:
	s_or_b64 exec, exec, s[0:1]
	v_cmp_gt_i32_e32 vcc, s8, v0
	s_and_saveexec_b64 s[0:1], vcc
	s_cbranch_execnz .LBB114_533
.LBB114_517:
	s_or_b64 exec, exec, s[0:1]
	v_cmp_gt_i32_e32 vcc, s8, v0
	s_and_saveexec_b64 s[0:1], vcc
	s_cbranch_execz .LBB114_519
.LBB114_518:
	v_lshrrev_b32_e32 v1, 24, v2
	v_add_u32_e32 v0, s2, v0
	global_store_byte v0, v1, s[12:13]
.LBB114_519:
	s_endpgm
.LBB114_520:
	v_lshrrev_b32_e32 v1, 8, v6
	v_add_u32_e32 v4, s2, v0
	v_add_u32_e32 v0, 0x100, v0
	global_store_byte v4, v1, s[12:13]
	s_or_b64 exec, exec, s[0:1]
	v_cmp_gt_i32_e32 vcc, s8, v0
	s_and_saveexec_b64 s[0:1], vcc
	s_cbranch_execz .LBB114_505
.LBB114_521:
	v_add_u32_e32 v1, s2, v0
	v_add_u32_e32 v0, 0x100, v0
	global_store_byte_d16_hi v1, v6, s[12:13]
	s_or_b64 exec, exec, s[0:1]
	v_cmp_gt_i32_e32 vcc, s8, v0
	s_and_saveexec_b64 s[0:1], vcc
	s_cbranch_execz .LBB114_506
.LBB114_522:
	v_lshrrev_b32_e32 v1, 24, v6
	v_add_u32_e32 v4, s2, v0
	v_add_u32_e32 v0, 0x100, v0
	global_store_byte v4, v1, s[12:13]
	s_or_b64 exec, exec, s[0:1]
	v_cmp_gt_i32_e32 vcc, s8, v0
	s_and_saveexec_b64 s[0:1], vcc
	s_cbranch_execz .LBB114_507
.LBB114_523:
	v_add_u32_e32 v1, s2, v0
	v_add_u32_e32 v0, 0x100, v0
	global_store_byte v1, v5, s[12:13]
	s_or_b64 exec, exec, s[0:1]
	v_cmp_gt_i32_e32 vcc, s8, v0
	s_and_saveexec_b64 s[0:1], vcc
	s_cbranch_execz .LBB114_508
.LBB114_524:
	v_lshrrev_b32_e32 v1, 8, v5
	v_add_u32_e32 v4, s2, v0
	v_add_u32_e32 v0, 0x100, v0
	global_store_byte v4, v1, s[12:13]
	s_or_b64 exec, exec, s[0:1]
	v_cmp_gt_i32_e32 vcc, s8, v0
	s_and_saveexec_b64 s[0:1], vcc
	s_cbranch_execz .LBB114_509
.LBB114_525:
	v_add_u32_e32 v1, s2, v0
	v_add_u32_e32 v0, 0x100, v0
	global_store_byte_d16_hi v1, v5, s[12:13]
	s_or_b64 exec, exec, s[0:1]
	v_cmp_gt_i32_e32 vcc, s8, v0
	s_and_saveexec_b64 s[0:1], vcc
	s_cbranch_execz .LBB114_510
.LBB114_526:
	v_lshrrev_b32_e32 v1, 24, v5
	v_add_u32_e32 v4, s2, v0
	v_add_u32_e32 v0, 0x100, v0
	global_store_byte v4, v1, s[12:13]
	s_or_b64 exec, exec, s[0:1]
	v_cmp_gt_i32_e32 vcc, s8, v0
	s_and_saveexec_b64 s[0:1], vcc
	s_cbranch_execz .LBB114_511
.LBB114_527:
	v_add_u32_e32 v1, s2, v0
	v_add_u32_e32 v0, 0x100, v0
	global_store_byte v1, v3, s[12:13]
	s_or_b64 exec, exec, s[0:1]
	v_cmp_gt_i32_e32 vcc, s8, v0
	s_and_saveexec_b64 s[0:1], vcc
	s_cbranch_execz .LBB114_512
.LBB114_528:
	v_lshrrev_b32_e32 v1, 8, v3
	v_add_u32_e32 v4, s2, v0
	v_add_u32_e32 v0, 0x100, v0
	global_store_byte v4, v1, s[12:13]
	s_or_b64 exec, exec, s[0:1]
	v_cmp_gt_i32_e32 vcc, s8, v0
	s_and_saveexec_b64 s[0:1], vcc
	s_cbranch_execz .LBB114_513
.LBB114_529:
	v_add_u32_e32 v1, s2, v0
	v_add_u32_e32 v0, 0x100, v0
	global_store_byte_d16_hi v1, v3, s[12:13]
	s_or_b64 exec, exec, s[0:1]
	v_cmp_gt_i32_e32 vcc, s8, v0
	s_and_saveexec_b64 s[0:1], vcc
	s_cbranch_execz .LBB114_514
.LBB114_530:
	v_lshrrev_b32_e32 v1, 24, v3
	v_add_u32_e32 v3, s2, v0
	v_add_u32_e32 v0, 0x100, v0
	global_store_byte v3, v1, s[12:13]
	s_or_b64 exec, exec, s[0:1]
	v_cmp_gt_i32_e32 vcc, s8, v0
	s_and_saveexec_b64 s[0:1], vcc
	s_cbranch_execz .LBB114_515
.LBB114_531:
	v_add_u32_e32 v1, s2, v0
	v_add_u32_e32 v0, 0x100, v0
	global_store_byte v1, v2, s[12:13]
	s_or_b64 exec, exec, s[0:1]
	v_cmp_gt_i32_e32 vcc, s8, v0
	s_and_saveexec_b64 s[0:1], vcc
	s_cbranch_execz .LBB114_516
.LBB114_532:
	v_lshrrev_b32_e32 v1, 8, v2
	v_add_u32_e32 v3, s2, v0
	v_add_u32_e32 v0, 0x100, v0
	global_store_byte v3, v1, s[12:13]
	s_or_b64 exec, exec, s[0:1]
	v_cmp_gt_i32_e32 vcc, s8, v0
	s_and_saveexec_b64 s[0:1], vcc
	s_cbranch_execz .LBB114_517
.LBB114_533:
	v_add_u32_e32 v1, s2, v0
	v_add_u32_e32 v0, 0x100, v0
	global_store_byte_d16_hi v1, v2, s[12:13]
	s_or_b64 exec, exec, s[0:1]
	v_cmp_gt_i32_e32 vcc, s8, v0
	s_and_saveexec_b64 s[0:1], vcc
	s_cbranch_execnz .LBB114_518
	s_branch .LBB114_519
.LBB114_534:
	v_cmp_gt_f16_e32 vcc, s10, v4
	s_andn2_b64 s[14:15], s[14:15], exec
	s_and_b64 s[16:17], vcc, exec
	s_or_b64 s[14:15], s[14:15], s[16:17]
	s_cbranch_execz .LBB114_499
	s_branch .LBB114_500
.LBB114_535:
	s_mov_b64 s[16:17], -1
                                        ; implicit-def: $sgpr14_sgpr15
	s_branch .LBB114_285
.LBB114_536:
	s_mov_b64 s[16:17], -1
                                        ; implicit-def: $sgpr14_sgpr15
	s_branch .LBB114_300
.LBB114_537:
	s_mov_b64 s[16:17], -1
                                        ; implicit-def: $sgpr14_sgpr15
	s_branch .LBB114_315
.LBB114_538:
	s_mov_b64 s[16:17], -1
                                        ; implicit-def: $sgpr14_sgpr15
	s_branch .LBB114_330
.LBB114_539:
	s_mov_b64 s[16:17], -1
                                        ; implicit-def: $sgpr14_sgpr15
	s_branch .LBB114_345
.LBB114_540:
	s_mov_b64 s[16:17], -1
                                        ; implicit-def: $sgpr14_sgpr15
	s_branch .LBB114_360
.LBB114_541:
	s_mov_b64 s[16:17], -1
                                        ; implicit-def: $sgpr14_sgpr15
	s_branch .LBB114_375
.LBB114_542:
	s_mov_b64 s[16:17], -1
                                        ; implicit-def: $sgpr14_sgpr15
	s_branch .LBB114_390
.LBB114_543:
	s_mov_b64 s[16:17], -1
                                        ; implicit-def: $sgpr14_sgpr15
	s_branch .LBB114_405
.LBB114_544:
	s_mov_b64 s[16:17], -1
                                        ; implicit-def: $sgpr14_sgpr15
	s_branch .LBB114_420
.LBB114_545:
	s_mov_b64 s[16:17], -1
                                        ; implicit-def: $sgpr14_sgpr15
	s_branch .LBB114_435
.LBB114_546:
	s_mov_b64 s[16:17], -1
                                        ; implicit-def: $sgpr14_sgpr15
	s_branch .LBB114_450
.LBB114_547:
	s_mov_b64 s[16:17], -1
                                        ; implicit-def: $sgpr14_sgpr15
	s_branch .LBB114_465
.LBB114_548:
	s_mov_b64 s[16:17], -1
                                        ; implicit-def: $sgpr14_sgpr15
	s_branch .LBB114_480
.LBB114_549:
	s_mov_b64 s[16:17], -1
                                        ; implicit-def: $sgpr14_sgpr15
	s_branch .LBB114_495
	.section	.rodata,"a",@progbits
	.p2align	6, 0x0
	.amdhsa_kernel _ZN2at6native29vectorized_elementwise_kernelILi4EZNS0_21compare_scalar_kernelIN3c104HalfEEEvRNS_18TensorIteratorBaseENS0_12_GLOBAL__N_16OpTypeET_EUlS4_E_St5arrayIPcLm2EEEEviT0_T1_
		.amdhsa_group_segment_fixed_size 0
		.amdhsa_private_segment_fixed_size 0
		.amdhsa_kernarg_size 32
		.amdhsa_user_sgpr_count 6
		.amdhsa_user_sgpr_private_segment_buffer 1
		.amdhsa_user_sgpr_dispatch_ptr 0
		.amdhsa_user_sgpr_queue_ptr 0
		.amdhsa_user_sgpr_kernarg_segment_ptr 1
		.amdhsa_user_sgpr_dispatch_id 0
		.amdhsa_user_sgpr_flat_scratch_init 0
		.amdhsa_user_sgpr_private_segment_size 0
		.amdhsa_uses_dynamic_stack 0
		.amdhsa_system_sgpr_private_segment_wavefront_offset 0
		.amdhsa_system_sgpr_workgroup_id_x 1
		.amdhsa_system_sgpr_workgroup_id_y 0
		.amdhsa_system_sgpr_workgroup_id_z 0
		.amdhsa_system_sgpr_workgroup_info 0
		.amdhsa_system_vgpr_workitem_id 0
		.amdhsa_next_free_vgpr 22
		.amdhsa_next_free_sgpr 50
		.amdhsa_reserve_vcc 1
		.amdhsa_reserve_flat_scratch 0
		.amdhsa_float_round_mode_32 0
		.amdhsa_float_round_mode_16_64 0
		.amdhsa_float_denorm_mode_32 3
		.amdhsa_float_denorm_mode_16_64 3
		.amdhsa_dx10_clamp 1
		.amdhsa_ieee_mode 1
		.amdhsa_fp16_overflow 0
		.amdhsa_exception_fp_ieee_invalid_op 0
		.amdhsa_exception_fp_denorm_src 0
		.amdhsa_exception_fp_ieee_div_zero 0
		.amdhsa_exception_fp_ieee_overflow 0
		.amdhsa_exception_fp_ieee_underflow 0
		.amdhsa_exception_fp_ieee_inexact 0
		.amdhsa_exception_int_div_zero 0
	.end_amdhsa_kernel
	.section	.text._ZN2at6native29vectorized_elementwise_kernelILi4EZNS0_21compare_scalar_kernelIN3c104HalfEEEvRNS_18TensorIteratorBaseENS0_12_GLOBAL__N_16OpTypeET_EUlS4_E_St5arrayIPcLm2EEEEviT0_T1_,"axG",@progbits,_ZN2at6native29vectorized_elementwise_kernelILi4EZNS0_21compare_scalar_kernelIN3c104HalfEEEvRNS_18TensorIteratorBaseENS0_12_GLOBAL__N_16OpTypeET_EUlS4_E_St5arrayIPcLm2EEEEviT0_T1_,comdat
.Lfunc_end114:
	.size	_ZN2at6native29vectorized_elementwise_kernelILi4EZNS0_21compare_scalar_kernelIN3c104HalfEEEvRNS_18TensorIteratorBaseENS0_12_GLOBAL__N_16OpTypeET_EUlS4_E_St5arrayIPcLm2EEEEviT0_T1_, .Lfunc_end114-_ZN2at6native29vectorized_elementwise_kernelILi4EZNS0_21compare_scalar_kernelIN3c104HalfEEEvRNS_18TensorIteratorBaseENS0_12_GLOBAL__N_16OpTypeET_EUlS4_E_St5arrayIPcLm2EEEEviT0_T1_
                                        ; -- End function
	.set _ZN2at6native29vectorized_elementwise_kernelILi4EZNS0_21compare_scalar_kernelIN3c104HalfEEEvRNS_18TensorIteratorBaseENS0_12_GLOBAL__N_16OpTypeET_EUlS4_E_St5arrayIPcLm2EEEEviT0_T1_.num_vgpr, 22
	.set _ZN2at6native29vectorized_elementwise_kernelILi4EZNS0_21compare_scalar_kernelIN3c104HalfEEEvRNS_18TensorIteratorBaseENS0_12_GLOBAL__N_16OpTypeET_EUlS4_E_St5arrayIPcLm2EEEEviT0_T1_.num_agpr, 0
	.set _ZN2at6native29vectorized_elementwise_kernelILi4EZNS0_21compare_scalar_kernelIN3c104HalfEEEvRNS_18TensorIteratorBaseENS0_12_GLOBAL__N_16OpTypeET_EUlS4_E_St5arrayIPcLm2EEEEviT0_T1_.numbered_sgpr, 50
	.set _ZN2at6native29vectorized_elementwise_kernelILi4EZNS0_21compare_scalar_kernelIN3c104HalfEEEvRNS_18TensorIteratorBaseENS0_12_GLOBAL__N_16OpTypeET_EUlS4_E_St5arrayIPcLm2EEEEviT0_T1_.num_named_barrier, 0
	.set _ZN2at6native29vectorized_elementwise_kernelILi4EZNS0_21compare_scalar_kernelIN3c104HalfEEEvRNS_18TensorIteratorBaseENS0_12_GLOBAL__N_16OpTypeET_EUlS4_E_St5arrayIPcLm2EEEEviT0_T1_.private_seg_size, 0
	.set _ZN2at6native29vectorized_elementwise_kernelILi4EZNS0_21compare_scalar_kernelIN3c104HalfEEEvRNS_18TensorIteratorBaseENS0_12_GLOBAL__N_16OpTypeET_EUlS4_E_St5arrayIPcLm2EEEEviT0_T1_.uses_vcc, 1
	.set _ZN2at6native29vectorized_elementwise_kernelILi4EZNS0_21compare_scalar_kernelIN3c104HalfEEEvRNS_18TensorIteratorBaseENS0_12_GLOBAL__N_16OpTypeET_EUlS4_E_St5arrayIPcLm2EEEEviT0_T1_.uses_flat_scratch, 0
	.set _ZN2at6native29vectorized_elementwise_kernelILi4EZNS0_21compare_scalar_kernelIN3c104HalfEEEvRNS_18TensorIteratorBaseENS0_12_GLOBAL__N_16OpTypeET_EUlS4_E_St5arrayIPcLm2EEEEviT0_T1_.has_dyn_sized_stack, 0
	.set _ZN2at6native29vectorized_elementwise_kernelILi4EZNS0_21compare_scalar_kernelIN3c104HalfEEEvRNS_18TensorIteratorBaseENS0_12_GLOBAL__N_16OpTypeET_EUlS4_E_St5arrayIPcLm2EEEEviT0_T1_.has_recursion, 0
	.set _ZN2at6native29vectorized_elementwise_kernelILi4EZNS0_21compare_scalar_kernelIN3c104HalfEEEvRNS_18TensorIteratorBaseENS0_12_GLOBAL__N_16OpTypeET_EUlS4_E_St5arrayIPcLm2EEEEviT0_T1_.has_indirect_call, 0
	.section	.AMDGPU.csdata,"",@progbits
; Kernel info:
; codeLenInByte = 8964
; TotalNumSgprs: 54
; NumVgprs: 22
; ScratchSize: 0
; MemoryBound: 0
; FloatMode: 240
; IeeeMode: 1
; LDSByteSize: 0 bytes/workgroup (compile time only)
; SGPRBlocks: 6
; VGPRBlocks: 5
; NumSGPRsForWavesPerEU: 54
; NumVGPRsForWavesPerEU: 22
; Occupancy: 10
; WaveLimiterHint : 1
; COMPUTE_PGM_RSRC2:SCRATCH_EN: 0
; COMPUTE_PGM_RSRC2:USER_SGPR: 6
; COMPUTE_PGM_RSRC2:TRAP_HANDLER: 0
; COMPUTE_PGM_RSRC2:TGID_X_EN: 1
; COMPUTE_PGM_RSRC2:TGID_Y_EN: 0
; COMPUTE_PGM_RSRC2:TGID_Z_EN: 0
; COMPUTE_PGM_RSRC2:TIDIG_COMP_CNT: 0
	.section	.text._ZN2at6native29vectorized_elementwise_kernelILi2EZNS0_21compare_scalar_kernelIN3c104HalfEEEvRNS_18TensorIteratorBaseENS0_12_GLOBAL__N_16OpTypeET_EUlS4_E_St5arrayIPcLm2EEEEviT0_T1_,"axG",@progbits,_ZN2at6native29vectorized_elementwise_kernelILi2EZNS0_21compare_scalar_kernelIN3c104HalfEEEvRNS_18TensorIteratorBaseENS0_12_GLOBAL__N_16OpTypeET_EUlS4_E_St5arrayIPcLm2EEEEviT0_T1_,comdat
	.globl	_ZN2at6native29vectorized_elementwise_kernelILi2EZNS0_21compare_scalar_kernelIN3c104HalfEEEvRNS_18TensorIteratorBaseENS0_12_GLOBAL__N_16OpTypeET_EUlS4_E_St5arrayIPcLm2EEEEviT0_T1_ ; -- Begin function _ZN2at6native29vectorized_elementwise_kernelILi2EZNS0_21compare_scalar_kernelIN3c104HalfEEEvRNS_18TensorIteratorBaseENS0_12_GLOBAL__N_16OpTypeET_EUlS4_E_St5arrayIPcLm2EEEEviT0_T1_
	.p2align	8
	.type	_ZN2at6native29vectorized_elementwise_kernelILi2EZNS0_21compare_scalar_kernelIN3c104HalfEEEvRNS_18TensorIteratorBaseENS0_12_GLOBAL__N_16OpTypeET_EUlS4_E_St5arrayIPcLm2EEEEviT0_T1_,@function
_ZN2at6native29vectorized_elementwise_kernelILi2EZNS0_21compare_scalar_kernelIN3c104HalfEEEvRNS_18TensorIteratorBaseENS0_12_GLOBAL__N_16OpTypeET_EUlS4_E_St5arrayIPcLm2EEEEviT0_T1_: ; @_ZN2at6native29vectorized_elementwise_kernelILi2EZNS0_21compare_scalar_kernelIN3c104HalfEEEvRNS_18TensorIteratorBaseENS0_12_GLOBAL__N_16OpTypeET_EUlS4_E_St5arrayIPcLm2EEEEviT0_T1_
; %bb.0:
	s_load_dwordx8 s[8:15], s[4:5], 0x0
	s_lshl_b32 s2, s6, 12
	s_mov_b64 s[0:1], -1
	s_waitcnt lgkmcnt(0)
	s_sub_i32 s8, s8, s2
	s_cmpk_gt_i32 s8, 0xfff
	s_cbranch_scc0 .LBB115_211
; %bb.1:
	s_ashr_i32 s3, s2, 31
	s_lshl_b64 s[0:1], s[2:3], 1
	s_add_u32 s0, s14, s0
	s_addc_u32 s1, s15, s1
	v_lshlrev_b32_e32 v11, 2, v0
	v_mov_b32_e32 v1, s1
	v_add_co_u32_e32 v2, vcc, s0, v11
	v_addc_co_u32_e32 v1, vcc, 0, v1, vcc
	v_add_co_u32_e32 v9, vcc, 0x1000, v2
	v_addc_co_u32_e32 v10, vcc, 0, v1, vcc
	global_load_dword v8, v11, s[0:1]
	global_load_dword v7, v11, s[0:1] offset:1024
	global_load_dword v6, v11, s[0:1] offset:2048
	;; [unrolled: 1-line block ×3, first 2 shown]
	global_load_dword v4, v[9:10], off
	global_load_dword v3, v[9:10], off offset:1024
	global_load_dword v2, v[9:10], off offset:2048
	;; [unrolled: 1-line block ×3, first 2 shown]
	s_cmp_lt_i32 s9, 1
	s_mov_b64 s[4:5], 0
	s_cbranch_scc1 .LBB115_5
; %bb.2:
	s_cmp_gt_i32 s9, 1
	s_cbranch_scc0 .LBB115_6
; %bb.3:
	s_cmp_eq_u32 s9, 2
	s_cbranch_scc0 .LBB115_7
; %bb.4:
	s_waitcnt vmcnt(7)
	v_cmp_ge_f16_e64 s[0:1], s10, v8
	s_mov_b64 s[6:7], 0
	s_branch .LBB115_8
.LBB115_5:
                                        ; implicit-def: $sgpr0_sgpr1
	s_mov_b64 s[6:7], 0
	s_cbranch_execnz .LBB115_11
	s_branch .LBB115_12
.LBB115_6:
	s_mov_b64 s[6:7], 0
                                        ; implicit-def: $sgpr0_sgpr1
	s_cbranch_execnz .LBB115_9
	s_branch .LBB115_10
.LBB115_7:
	s_mov_b64 s[6:7], -1
                                        ; implicit-def: $sgpr0_sgpr1
.LBB115_8:
	s_branch .LBB115_10
.LBB115_9:
	s_waitcnt vmcnt(7)
	v_cmp_lt_f16_e32 vcc, s10, v8
	s_andn2_b64 s[0:1], s[0:1], exec
	s_and_b64 s[16:17], vcc, exec
	s_or_b64 s[0:1], s[0:1], s[16:17]
.LBB115_10:
	s_branch .LBB115_12
.LBB115_11:
	s_cmp_lg_u32 s9, 0
	s_mov_b64 s[4:5], -1
	s_cselect_b64 s[6:7], -1, 0
.LBB115_12:
	s_andn2_b64 vcc, exec, s[6:7]
	s_cbranch_vccz .LBB115_18
; %bb.13:
	s_andn2_b64 vcc, exec, s[4:5]
	s_cbranch_vccz .LBB115_19
.LBB115_14:
	s_cmp_lt_i32 s9, 1
	s_mov_b64 s[6:7], 0
	s_cbranch_scc1 .LBB115_20
.LBB115_15:
	s_cmp_gt_i32 s9, 1
	s_cbranch_scc0 .LBB115_21
; %bb.16:
	s_cmp_eq_u32 s9, 2
	s_cbranch_scc0 .LBB115_251
; %bb.17:
	s_waitcnt vmcnt(7)
	v_cmp_le_f16_sdwa s[4:5], v8, s10 src0_sel:WORD_1 src1_sel:DWORD
	s_mov_b64 s[16:17], 0
	s_branch .LBB115_23
.LBB115_18:
	s_waitcnt vmcnt(7)
	v_cmp_gt_f16_e32 vcc, s10, v8
	s_andn2_b64 s[0:1], s[0:1], exec
	s_and_b64 s[6:7], vcc, exec
	s_or_b64 s[0:1], s[0:1], s[6:7]
	s_cbranch_execnz .LBB115_14
.LBB115_19:
	s_waitcnt vmcnt(7)
	v_cmp_le_f16_e32 vcc, s10, v8
	s_andn2_b64 s[0:1], s[0:1], exec
	s_and_b64 s[4:5], vcc, exec
	s_or_b64 s[0:1], s[0:1], s[4:5]
	s_cmp_lt_i32 s9, 1
	s_mov_b64 s[6:7], 0
	s_cbranch_scc0 .LBB115_15
.LBB115_20:
                                        ; implicit-def: $sgpr4_sgpr5
	s_mov_b64 s[16:17], 0
	s_cbranch_execnz .LBB115_24
	s_branch .LBB115_25
.LBB115_21:
	s_mov_b64 s[16:17], 0
                                        ; implicit-def: $sgpr4_sgpr5
	s_cbranch_execz .LBB115_23
; %bb.22:
	s_waitcnt vmcnt(7)
	v_cmp_gt_f16_sdwa s[18:19], v8, s10 src0_sel:WORD_1 src1_sel:DWORD
	s_andn2_b64 s[4:5], s[4:5], exec
	s_and_b64 s[18:19], s[18:19], exec
	s_or_b64 s[4:5], s[4:5], s[18:19]
.LBB115_23:
	s_branch .LBB115_25
.LBB115_24:
	s_cmp_lg_u32 s9, 0
	s_mov_b64 s[6:7], -1
	s_cselect_b64 s[16:17], -1, 0
.LBB115_25:
	s_andn2_b64 vcc, exec, s[16:17]
	s_cbranch_vccz .LBB115_31
; %bb.26:
	s_andn2_b64 vcc, exec, s[6:7]
	s_cbranch_vccz .LBB115_32
.LBB115_27:
	s_cmp_lt_i32 s9, 1
	s_mov_b64 s[16:17], 0
	s_cbranch_scc1 .LBB115_33
.LBB115_28:
	s_cmp_gt_i32 s9, 1
	s_cbranch_scc0 .LBB115_34
; %bb.29:
	s_cmp_eq_u32 s9, 2
	s_cbranch_scc0 .LBB115_252
; %bb.30:
	s_waitcnt vmcnt(6)
	v_cmp_ge_f16_e64 s[6:7], s10, v7
	s_mov_b64 s[18:19], 0
	s_branch .LBB115_36
.LBB115_31:
	s_waitcnt vmcnt(7)
	v_cmp_lt_f16_sdwa s[16:17], v8, s10 src0_sel:WORD_1 src1_sel:DWORD
	s_andn2_b64 s[4:5], s[4:5], exec
	s_and_b64 s[16:17], s[16:17], exec
	s_or_b64 s[4:5], s[4:5], s[16:17]
	s_cbranch_execnz .LBB115_27
.LBB115_32:
	s_waitcnt vmcnt(7)
	v_cmp_ge_f16_sdwa s[6:7], v8, s10 src0_sel:WORD_1 src1_sel:DWORD
	s_andn2_b64 s[4:5], s[4:5], exec
	s_and_b64 s[6:7], s[6:7], exec
	s_or_b64 s[4:5], s[4:5], s[6:7]
	s_cmp_lt_i32 s9, 1
	s_mov_b64 s[16:17], 0
	s_cbranch_scc0 .LBB115_28
.LBB115_33:
                                        ; implicit-def: $sgpr6_sgpr7
	s_mov_b64 s[18:19], 0
	s_cbranch_execnz .LBB115_37
	s_branch .LBB115_38
.LBB115_34:
	s_mov_b64 s[18:19], 0
                                        ; implicit-def: $sgpr6_sgpr7
	s_cbranch_execz .LBB115_36
; %bb.35:
	s_waitcnt vmcnt(6)
	v_cmp_lt_f16_e32 vcc, s10, v7
	s_andn2_b64 s[6:7], s[6:7], exec
	s_and_b64 s[20:21], vcc, exec
	s_or_b64 s[6:7], s[6:7], s[20:21]
.LBB115_36:
	s_branch .LBB115_38
.LBB115_37:
	s_cmp_lg_u32 s9, 0
	s_mov_b64 s[16:17], -1
	s_cselect_b64 s[18:19], -1, 0
.LBB115_38:
	s_andn2_b64 vcc, exec, s[18:19]
	s_cbranch_vccz .LBB115_44
; %bb.39:
	s_andn2_b64 vcc, exec, s[16:17]
	s_cbranch_vccz .LBB115_45
.LBB115_40:
	s_cmp_lt_i32 s9, 1
	s_mov_b64 s[18:19], 0
	s_cbranch_scc1 .LBB115_46
.LBB115_41:
	s_cmp_gt_i32 s9, 1
	s_cbranch_scc0 .LBB115_47
; %bb.42:
	s_cmp_eq_u32 s9, 2
	s_cbranch_scc0 .LBB115_253
; %bb.43:
	s_waitcnt vmcnt(6)
	v_cmp_le_f16_sdwa s[16:17], v7, s10 src0_sel:WORD_1 src1_sel:DWORD
	s_mov_b64 s[20:21], 0
	s_branch .LBB115_49
.LBB115_44:
	s_waitcnt vmcnt(6)
	v_cmp_gt_f16_e32 vcc, s10, v7
	s_andn2_b64 s[6:7], s[6:7], exec
	s_and_b64 s[18:19], vcc, exec
	s_or_b64 s[6:7], s[6:7], s[18:19]
	s_cbranch_execnz .LBB115_40
.LBB115_45:
	s_waitcnt vmcnt(6)
	v_cmp_le_f16_e32 vcc, s10, v7
	s_andn2_b64 s[6:7], s[6:7], exec
	s_and_b64 s[16:17], vcc, exec
	s_or_b64 s[6:7], s[6:7], s[16:17]
	s_cmp_lt_i32 s9, 1
	s_mov_b64 s[18:19], 0
	s_cbranch_scc0 .LBB115_41
.LBB115_46:
                                        ; implicit-def: $sgpr16_sgpr17
	s_mov_b64 s[20:21], 0
	s_cbranch_execnz .LBB115_50
	s_branch .LBB115_51
.LBB115_47:
	s_mov_b64 s[20:21], 0
                                        ; implicit-def: $sgpr16_sgpr17
	s_cbranch_execz .LBB115_49
; %bb.48:
	s_waitcnt vmcnt(6)
	v_cmp_gt_f16_sdwa s[22:23], v7, s10 src0_sel:WORD_1 src1_sel:DWORD
	s_andn2_b64 s[16:17], s[16:17], exec
	s_and_b64 s[22:23], s[22:23], exec
	s_or_b64 s[16:17], s[16:17], s[22:23]
.LBB115_49:
	s_branch .LBB115_51
.LBB115_50:
	s_cmp_lg_u32 s9, 0
	s_mov_b64 s[18:19], -1
	s_cselect_b64 s[20:21], -1, 0
.LBB115_51:
	s_andn2_b64 vcc, exec, s[20:21]
	s_cbranch_vccz .LBB115_57
; %bb.52:
	s_andn2_b64 vcc, exec, s[18:19]
	s_cbranch_vccz .LBB115_58
.LBB115_53:
	s_cmp_lt_i32 s9, 1
	s_mov_b64 s[20:21], 0
	s_cbranch_scc1 .LBB115_59
.LBB115_54:
	s_cmp_gt_i32 s9, 1
	s_cbranch_scc0 .LBB115_60
; %bb.55:
	s_cmp_eq_u32 s9, 2
	s_cbranch_scc0 .LBB115_254
; %bb.56:
	s_waitcnt vmcnt(5)
	v_cmp_ge_f16_e64 s[18:19], s10, v6
	s_mov_b64 s[22:23], 0
	s_branch .LBB115_62
.LBB115_57:
	s_waitcnt vmcnt(6)
	v_cmp_lt_f16_sdwa s[20:21], v7, s10 src0_sel:WORD_1 src1_sel:DWORD
	s_andn2_b64 s[16:17], s[16:17], exec
	s_and_b64 s[20:21], s[20:21], exec
	s_or_b64 s[16:17], s[16:17], s[20:21]
	s_cbranch_execnz .LBB115_53
.LBB115_58:
	s_waitcnt vmcnt(6)
	v_cmp_ge_f16_sdwa s[18:19], v7, s10 src0_sel:WORD_1 src1_sel:DWORD
	s_andn2_b64 s[16:17], s[16:17], exec
	s_and_b64 s[18:19], s[18:19], exec
	s_or_b64 s[16:17], s[16:17], s[18:19]
	s_cmp_lt_i32 s9, 1
	s_mov_b64 s[20:21], 0
	s_cbranch_scc0 .LBB115_54
.LBB115_59:
                                        ; implicit-def: $sgpr18_sgpr19
	s_mov_b64 s[22:23], 0
	s_cbranch_execnz .LBB115_63
	s_branch .LBB115_64
.LBB115_60:
	s_mov_b64 s[22:23], 0
                                        ; implicit-def: $sgpr18_sgpr19
	s_cbranch_execz .LBB115_62
; %bb.61:
	s_waitcnt vmcnt(5)
	v_cmp_lt_f16_e32 vcc, s10, v6
	s_andn2_b64 s[18:19], s[18:19], exec
	s_and_b64 s[24:25], vcc, exec
	s_or_b64 s[18:19], s[18:19], s[24:25]
.LBB115_62:
	s_branch .LBB115_64
.LBB115_63:
	s_cmp_lg_u32 s9, 0
	s_mov_b64 s[20:21], -1
	s_cselect_b64 s[22:23], -1, 0
.LBB115_64:
	s_andn2_b64 vcc, exec, s[22:23]
	s_cbranch_vccz .LBB115_70
; %bb.65:
	s_andn2_b64 vcc, exec, s[20:21]
	s_cbranch_vccz .LBB115_71
.LBB115_66:
	s_cmp_lt_i32 s9, 1
	s_mov_b64 s[22:23], 0
	s_cbranch_scc1 .LBB115_72
.LBB115_67:
	s_cmp_gt_i32 s9, 1
	s_cbranch_scc0 .LBB115_73
; %bb.68:
	s_cmp_eq_u32 s9, 2
	s_cbranch_scc0 .LBB115_255
; %bb.69:
	s_waitcnt vmcnt(5)
	v_cmp_le_f16_sdwa s[20:21], v6, s10 src0_sel:WORD_1 src1_sel:DWORD
	s_mov_b64 s[24:25], 0
	s_branch .LBB115_75
.LBB115_70:
	s_waitcnt vmcnt(5)
	v_cmp_gt_f16_e32 vcc, s10, v6
	s_andn2_b64 s[18:19], s[18:19], exec
	s_and_b64 s[22:23], vcc, exec
	s_or_b64 s[18:19], s[18:19], s[22:23]
	s_cbranch_execnz .LBB115_66
.LBB115_71:
	s_waitcnt vmcnt(5)
	v_cmp_le_f16_e32 vcc, s10, v6
	s_andn2_b64 s[18:19], s[18:19], exec
	s_and_b64 s[20:21], vcc, exec
	s_or_b64 s[18:19], s[18:19], s[20:21]
	s_cmp_lt_i32 s9, 1
	s_mov_b64 s[22:23], 0
	s_cbranch_scc0 .LBB115_67
.LBB115_72:
                                        ; implicit-def: $sgpr20_sgpr21
	s_mov_b64 s[24:25], 0
	s_cbranch_execnz .LBB115_76
	s_branch .LBB115_77
.LBB115_73:
	s_mov_b64 s[24:25], 0
                                        ; implicit-def: $sgpr20_sgpr21
	s_cbranch_execz .LBB115_75
; %bb.74:
	s_waitcnt vmcnt(5)
	v_cmp_gt_f16_sdwa s[26:27], v6, s10 src0_sel:WORD_1 src1_sel:DWORD
	s_andn2_b64 s[20:21], s[20:21], exec
	s_and_b64 s[26:27], s[26:27], exec
	s_or_b64 s[20:21], s[20:21], s[26:27]
.LBB115_75:
	s_branch .LBB115_77
.LBB115_76:
	s_cmp_lg_u32 s9, 0
	s_mov_b64 s[22:23], -1
	s_cselect_b64 s[24:25], -1, 0
.LBB115_77:
	s_andn2_b64 vcc, exec, s[24:25]
	s_cbranch_vccz .LBB115_83
; %bb.78:
	s_andn2_b64 vcc, exec, s[22:23]
	s_cbranch_vccz .LBB115_84
.LBB115_79:
	s_cmp_lt_i32 s9, 1
	s_mov_b64 s[24:25], 0
	s_cbranch_scc1 .LBB115_85
.LBB115_80:
	s_cmp_gt_i32 s9, 1
	s_cbranch_scc0 .LBB115_86
; %bb.81:
	s_cmp_eq_u32 s9, 2
	s_cbranch_scc0 .LBB115_256
; %bb.82:
	s_waitcnt vmcnt(4)
	v_cmp_ge_f16_e64 s[22:23], s10, v5
	s_mov_b64 s[26:27], 0
	s_branch .LBB115_88
.LBB115_83:
	s_waitcnt vmcnt(5)
	v_cmp_lt_f16_sdwa s[24:25], v6, s10 src0_sel:WORD_1 src1_sel:DWORD
	s_andn2_b64 s[20:21], s[20:21], exec
	s_and_b64 s[24:25], s[24:25], exec
	s_or_b64 s[20:21], s[20:21], s[24:25]
	s_cbranch_execnz .LBB115_79
.LBB115_84:
	s_waitcnt vmcnt(5)
	v_cmp_ge_f16_sdwa s[22:23], v6, s10 src0_sel:WORD_1 src1_sel:DWORD
	s_andn2_b64 s[20:21], s[20:21], exec
	s_and_b64 s[22:23], s[22:23], exec
	s_or_b64 s[20:21], s[20:21], s[22:23]
	s_cmp_lt_i32 s9, 1
	s_mov_b64 s[24:25], 0
	s_cbranch_scc0 .LBB115_80
.LBB115_85:
                                        ; implicit-def: $sgpr22_sgpr23
	s_mov_b64 s[26:27], 0
	s_cbranch_execnz .LBB115_89
	s_branch .LBB115_90
.LBB115_86:
	s_mov_b64 s[26:27], 0
                                        ; implicit-def: $sgpr22_sgpr23
	s_cbranch_execz .LBB115_88
; %bb.87:
	s_waitcnt vmcnt(4)
	v_cmp_lt_f16_e32 vcc, s10, v5
	s_andn2_b64 s[22:23], s[22:23], exec
	s_and_b64 s[28:29], vcc, exec
	s_or_b64 s[22:23], s[22:23], s[28:29]
.LBB115_88:
	s_branch .LBB115_90
.LBB115_89:
	s_cmp_lg_u32 s9, 0
	s_mov_b64 s[24:25], -1
	s_cselect_b64 s[26:27], -1, 0
.LBB115_90:
	s_andn2_b64 vcc, exec, s[26:27]
	s_cbranch_vccz .LBB115_96
; %bb.91:
	s_andn2_b64 vcc, exec, s[24:25]
	s_cbranch_vccz .LBB115_97
.LBB115_92:
	s_cmp_lt_i32 s9, 1
	s_mov_b64 s[26:27], 0
	s_cbranch_scc1 .LBB115_98
.LBB115_93:
	s_cmp_gt_i32 s9, 1
	s_cbranch_scc0 .LBB115_99
; %bb.94:
	s_cmp_eq_u32 s9, 2
	s_cbranch_scc0 .LBB115_257
; %bb.95:
	s_waitcnt vmcnt(4)
	v_cmp_le_f16_sdwa s[24:25], v5, s10 src0_sel:WORD_1 src1_sel:DWORD
	s_mov_b64 s[28:29], 0
	s_branch .LBB115_101
.LBB115_96:
	s_waitcnt vmcnt(4)
	v_cmp_gt_f16_e32 vcc, s10, v5
	s_andn2_b64 s[22:23], s[22:23], exec
	s_and_b64 s[26:27], vcc, exec
	s_or_b64 s[22:23], s[22:23], s[26:27]
	s_cbranch_execnz .LBB115_92
.LBB115_97:
	s_waitcnt vmcnt(4)
	v_cmp_le_f16_e32 vcc, s10, v5
	s_andn2_b64 s[22:23], s[22:23], exec
	s_and_b64 s[24:25], vcc, exec
	s_or_b64 s[22:23], s[22:23], s[24:25]
	s_cmp_lt_i32 s9, 1
	s_mov_b64 s[26:27], 0
	s_cbranch_scc0 .LBB115_93
.LBB115_98:
                                        ; implicit-def: $sgpr24_sgpr25
	s_mov_b64 s[28:29], 0
	s_cbranch_execnz .LBB115_102
	s_branch .LBB115_103
.LBB115_99:
	s_mov_b64 s[28:29], 0
                                        ; implicit-def: $sgpr24_sgpr25
	s_cbranch_execz .LBB115_101
; %bb.100:
	s_waitcnt vmcnt(4)
	v_cmp_gt_f16_sdwa s[30:31], v5, s10 src0_sel:WORD_1 src1_sel:DWORD
	s_andn2_b64 s[24:25], s[24:25], exec
	s_and_b64 s[30:31], s[30:31], exec
	s_or_b64 s[24:25], s[24:25], s[30:31]
.LBB115_101:
	s_branch .LBB115_103
.LBB115_102:
	s_cmp_lg_u32 s9, 0
	s_mov_b64 s[26:27], -1
	s_cselect_b64 s[28:29], -1, 0
.LBB115_103:
	s_andn2_b64 vcc, exec, s[28:29]
	s_cbranch_vccz .LBB115_109
; %bb.104:
	s_andn2_b64 vcc, exec, s[26:27]
	s_cbranch_vccz .LBB115_110
.LBB115_105:
	s_cmp_lt_i32 s9, 1
	s_mov_b64 s[28:29], 0
	s_cbranch_scc1 .LBB115_111
.LBB115_106:
	s_cmp_gt_i32 s9, 1
	s_cbranch_scc0 .LBB115_112
; %bb.107:
	s_cmp_eq_u32 s9, 2
	s_cbranch_scc0 .LBB115_258
; %bb.108:
	s_waitcnt vmcnt(3)
	v_cmp_ge_f16_e64 s[26:27], s10, v4
	s_mov_b64 s[30:31], 0
	s_branch .LBB115_114
.LBB115_109:
	s_waitcnt vmcnt(4)
	v_cmp_lt_f16_sdwa s[28:29], v5, s10 src0_sel:WORD_1 src1_sel:DWORD
	s_andn2_b64 s[24:25], s[24:25], exec
	s_and_b64 s[28:29], s[28:29], exec
	s_or_b64 s[24:25], s[24:25], s[28:29]
	s_cbranch_execnz .LBB115_105
.LBB115_110:
	s_waitcnt vmcnt(4)
	v_cmp_ge_f16_sdwa s[26:27], v5, s10 src0_sel:WORD_1 src1_sel:DWORD
	s_andn2_b64 s[24:25], s[24:25], exec
	s_and_b64 s[26:27], s[26:27], exec
	s_or_b64 s[24:25], s[24:25], s[26:27]
	s_cmp_lt_i32 s9, 1
	s_mov_b64 s[28:29], 0
	s_cbranch_scc0 .LBB115_106
.LBB115_111:
                                        ; implicit-def: $sgpr26_sgpr27
	s_mov_b64 s[30:31], 0
	s_cbranch_execnz .LBB115_115
	s_branch .LBB115_116
.LBB115_112:
	s_mov_b64 s[30:31], 0
                                        ; implicit-def: $sgpr26_sgpr27
	s_cbranch_execz .LBB115_114
; %bb.113:
	s_waitcnt vmcnt(3)
	v_cmp_lt_f16_e32 vcc, s10, v4
	s_andn2_b64 s[26:27], s[26:27], exec
	s_and_b64 s[34:35], vcc, exec
	s_or_b64 s[26:27], s[26:27], s[34:35]
.LBB115_114:
	s_branch .LBB115_116
.LBB115_115:
	s_cmp_lg_u32 s9, 0
	s_mov_b64 s[28:29], -1
	s_cselect_b64 s[30:31], -1, 0
.LBB115_116:
	s_andn2_b64 vcc, exec, s[30:31]
	s_cbranch_vccz .LBB115_122
; %bb.117:
	s_andn2_b64 vcc, exec, s[28:29]
	s_cbranch_vccz .LBB115_123
.LBB115_118:
	s_cmp_lt_i32 s9, 1
	s_mov_b64 s[30:31], 0
	s_cbranch_scc1 .LBB115_124
.LBB115_119:
	s_cmp_gt_i32 s9, 1
	s_cbranch_scc0 .LBB115_125
; %bb.120:
	s_cmp_eq_u32 s9, 2
	s_cbranch_scc0 .LBB115_259
; %bb.121:
	s_waitcnt vmcnt(3)
	v_cmp_le_f16_sdwa s[28:29], v4, s10 src0_sel:WORD_1 src1_sel:DWORD
	s_mov_b64 s[34:35], 0
	s_branch .LBB115_127
.LBB115_122:
	s_waitcnt vmcnt(3)
	v_cmp_gt_f16_e32 vcc, s10, v4
	s_andn2_b64 s[26:27], s[26:27], exec
	s_and_b64 s[30:31], vcc, exec
	s_or_b64 s[26:27], s[26:27], s[30:31]
	s_cbranch_execnz .LBB115_118
.LBB115_123:
	s_waitcnt vmcnt(3)
	v_cmp_le_f16_e32 vcc, s10, v4
	s_andn2_b64 s[26:27], s[26:27], exec
	s_and_b64 s[28:29], vcc, exec
	s_or_b64 s[26:27], s[26:27], s[28:29]
	s_cmp_lt_i32 s9, 1
	s_mov_b64 s[30:31], 0
	s_cbranch_scc0 .LBB115_119
.LBB115_124:
                                        ; implicit-def: $sgpr28_sgpr29
	s_mov_b64 s[34:35], 0
	s_cbranch_execnz .LBB115_128
	s_branch .LBB115_129
.LBB115_125:
	s_mov_b64 s[34:35], 0
                                        ; implicit-def: $sgpr28_sgpr29
	s_cbranch_execz .LBB115_127
; %bb.126:
	s_waitcnt vmcnt(3)
	v_cmp_gt_f16_sdwa s[36:37], v4, s10 src0_sel:WORD_1 src1_sel:DWORD
	s_andn2_b64 s[28:29], s[28:29], exec
	s_and_b64 s[36:37], s[36:37], exec
	s_or_b64 s[28:29], s[28:29], s[36:37]
.LBB115_127:
	s_branch .LBB115_129
.LBB115_128:
	s_cmp_lg_u32 s9, 0
	s_mov_b64 s[30:31], -1
	s_cselect_b64 s[34:35], -1, 0
.LBB115_129:
	s_andn2_b64 vcc, exec, s[34:35]
	s_cbranch_vccz .LBB115_135
; %bb.130:
	s_andn2_b64 vcc, exec, s[30:31]
	s_cbranch_vccz .LBB115_136
.LBB115_131:
	s_cmp_lt_i32 s9, 1
	s_mov_b64 s[34:35], 0
	s_cbranch_scc1 .LBB115_137
.LBB115_132:
	s_cmp_gt_i32 s9, 1
	s_cbranch_scc0 .LBB115_138
; %bb.133:
	s_cmp_eq_u32 s9, 2
	s_cbranch_scc0 .LBB115_260
; %bb.134:
	s_waitcnt vmcnt(2)
	v_cmp_ge_f16_e64 s[30:31], s10, v3
	s_mov_b64 s[36:37], 0
	s_branch .LBB115_140
.LBB115_135:
	s_waitcnt vmcnt(3)
	v_cmp_lt_f16_sdwa s[34:35], v4, s10 src0_sel:WORD_1 src1_sel:DWORD
	s_andn2_b64 s[28:29], s[28:29], exec
	s_and_b64 s[34:35], s[34:35], exec
	s_or_b64 s[28:29], s[28:29], s[34:35]
	s_cbranch_execnz .LBB115_131
.LBB115_136:
	s_waitcnt vmcnt(3)
	v_cmp_ge_f16_sdwa s[30:31], v4, s10 src0_sel:WORD_1 src1_sel:DWORD
	s_andn2_b64 s[28:29], s[28:29], exec
	s_and_b64 s[30:31], s[30:31], exec
	s_or_b64 s[28:29], s[28:29], s[30:31]
	s_cmp_lt_i32 s9, 1
	s_mov_b64 s[34:35], 0
	s_cbranch_scc0 .LBB115_132
.LBB115_137:
                                        ; implicit-def: $sgpr30_sgpr31
	s_mov_b64 s[36:37], 0
	s_cbranch_execnz .LBB115_141
	s_branch .LBB115_142
.LBB115_138:
	s_mov_b64 s[36:37], 0
                                        ; implicit-def: $sgpr30_sgpr31
	s_cbranch_execz .LBB115_140
; %bb.139:
	s_waitcnt vmcnt(2)
	v_cmp_lt_f16_e32 vcc, s10, v3
	s_andn2_b64 s[30:31], s[30:31], exec
	s_and_b64 s[38:39], vcc, exec
	s_or_b64 s[30:31], s[30:31], s[38:39]
.LBB115_140:
	s_branch .LBB115_142
.LBB115_141:
	s_cmp_lg_u32 s9, 0
	s_mov_b64 s[34:35], -1
	s_cselect_b64 s[36:37], -1, 0
.LBB115_142:
	s_andn2_b64 vcc, exec, s[36:37]
	s_cbranch_vccz .LBB115_148
; %bb.143:
	s_andn2_b64 vcc, exec, s[34:35]
	s_cbranch_vccz .LBB115_149
.LBB115_144:
	s_cmp_lt_i32 s9, 1
	s_mov_b64 s[36:37], 0
	s_cbranch_scc1 .LBB115_150
.LBB115_145:
	s_cmp_gt_i32 s9, 1
	s_cbranch_scc0 .LBB115_151
; %bb.146:
	s_cmp_eq_u32 s9, 2
	s_cbranch_scc0 .LBB115_261
; %bb.147:
	s_waitcnt vmcnt(2)
	v_cmp_le_f16_sdwa s[34:35], v3, s10 src0_sel:WORD_1 src1_sel:DWORD
	s_mov_b64 s[38:39], 0
	s_branch .LBB115_153
.LBB115_148:
	s_waitcnt vmcnt(2)
	v_cmp_gt_f16_e32 vcc, s10, v3
	s_andn2_b64 s[30:31], s[30:31], exec
	s_and_b64 s[36:37], vcc, exec
	s_or_b64 s[30:31], s[30:31], s[36:37]
	s_cbranch_execnz .LBB115_144
.LBB115_149:
	s_waitcnt vmcnt(2)
	v_cmp_le_f16_e32 vcc, s10, v3
	s_andn2_b64 s[30:31], s[30:31], exec
	s_and_b64 s[34:35], vcc, exec
	s_or_b64 s[30:31], s[30:31], s[34:35]
	s_cmp_lt_i32 s9, 1
	s_mov_b64 s[36:37], 0
	s_cbranch_scc0 .LBB115_145
.LBB115_150:
                                        ; implicit-def: $sgpr34_sgpr35
	s_mov_b64 s[38:39], 0
	s_cbranch_execnz .LBB115_154
	s_branch .LBB115_155
.LBB115_151:
	s_mov_b64 s[38:39], 0
                                        ; implicit-def: $sgpr34_sgpr35
	s_cbranch_execz .LBB115_153
; %bb.152:
	s_waitcnt vmcnt(2)
	v_cmp_gt_f16_sdwa s[40:41], v3, s10 src0_sel:WORD_1 src1_sel:DWORD
	s_andn2_b64 s[34:35], s[34:35], exec
	s_and_b64 s[40:41], s[40:41], exec
	s_or_b64 s[34:35], s[34:35], s[40:41]
.LBB115_153:
	s_branch .LBB115_155
.LBB115_154:
	s_cmp_lg_u32 s9, 0
	s_mov_b64 s[36:37], -1
	s_cselect_b64 s[38:39], -1, 0
.LBB115_155:
	s_andn2_b64 vcc, exec, s[38:39]
	s_cbranch_vccz .LBB115_161
; %bb.156:
	s_andn2_b64 vcc, exec, s[36:37]
	s_cbranch_vccz .LBB115_162
.LBB115_157:
	s_cmp_lt_i32 s9, 1
	s_mov_b64 s[38:39], 0
	s_cbranch_scc1 .LBB115_163
.LBB115_158:
	s_cmp_gt_i32 s9, 1
	s_cbranch_scc0 .LBB115_164
; %bb.159:
	s_cmp_eq_u32 s9, 2
	s_cbranch_scc0 .LBB115_262
; %bb.160:
	s_waitcnt vmcnt(1)
	v_cmp_ge_f16_e64 s[36:37], s10, v2
	s_mov_b64 s[40:41], 0
	s_branch .LBB115_166
.LBB115_161:
	s_waitcnt vmcnt(2)
	v_cmp_lt_f16_sdwa s[38:39], v3, s10 src0_sel:WORD_1 src1_sel:DWORD
	s_andn2_b64 s[34:35], s[34:35], exec
	s_and_b64 s[38:39], s[38:39], exec
	s_or_b64 s[34:35], s[34:35], s[38:39]
	s_cbranch_execnz .LBB115_157
.LBB115_162:
	s_waitcnt vmcnt(2)
	v_cmp_ge_f16_sdwa s[36:37], v3, s10 src0_sel:WORD_1 src1_sel:DWORD
	s_andn2_b64 s[34:35], s[34:35], exec
	s_and_b64 s[36:37], s[36:37], exec
	s_or_b64 s[34:35], s[34:35], s[36:37]
	s_cmp_lt_i32 s9, 1
	s_mov_b64 s[38:39], 0
	s_cbranch_scc0 .LBB115_158
.LBB115_163:
                                        ; implicit-def: $sgpr36_sgpr37
	s_mov_b64 s[40:41], 0
	s_cbranch_execnz .LBB115_167
	s_branch .LBB115_168
.LBB115_164:
	s_mov_b64 s[40:41], 0
                                        ; implicit-def: $sgpr36_sgpr37
	s_cbranch_execz .LBB115_166
; %bb.165:
	s_waitcnt vmcnt(1)
	v_cmp_lt_f16_e32 vcc, s10, v2
	s_andn2_b64 s[36:37], s[36:37], exec
	s_and_b64 s[42:43], vcc, exec
	s_or_b64 s[36:37], s[36:37], s[42:43]
.LBB115_166:
	s_branch .LBB115_168
.LBB115_167:
	s_cmp_lg_u32 s9, 0
	s_mov_b64 s[38:39], -1
	s_cselect_b64 s[40:41], -1, 0
.LBB115_168:
	s_andn2_b64 vcc, exec, s[40:41]
	s_cbranch_vccz .LBB115_174
; %bb.169:
	s_andn2_b64 vcc, exec, s[38:39]
	s_cbranch_vccz .LBB115_175
.LBB115_170:
	s_cmp_lt_i32 s9, 1
	s_mov_b64 s[40:41], 0
	s_cbranch_scc1 .LBB115_176
.LBB115_171:
	s_cmp_gt_i32 s9, 1
	s_cbranch_scc0 .LBB115_177
; %bb.172:
	s_cmp_eq_u32 s9, 2
	s_cbranch_scc0 .LBB115_263
; %bb.173:
	s_waitcnt vmcnt(1)
	v_cmp_le_f16_sdwa s[38:39], v2, s10 src0_sel:WORD_1 src1_sel:DWORD
	s_mov_b64 s[42:43], 0
	s_branch .LBB115_179
.LBB115_174:
	s_waitcnt vmcnt(1)
	v_cmp_gt_f16_e32 vcc, s10, v2
	s_andn2_b64 s[36:37], s[36:37], exec
	s_and_b64 s[40:41], vcc, exec
	s_or_b64 s[36:37], s[36:37], s[40:41]
	s_cbranch_execnz .LBB115_170
.LBB115_175:
	s_waitcnt vmcnt(1)
	v_cmp_le_f16_e32 vcc, s10, v2
	s_andn2_b64 s[36:37], s[36:37], exec
	s_and_b64 s[38:39], vcc, exec
	s_or_b64 s[36:37], s[36:37], s[38:39]
	s_cmp_lt_i32 s9, 1
	s_mov_b64 s[40:41], 0
	s_cbranch_scc0 .LBB115_171
.LBB115_176:
                                        ; implicit-def: $sgpr38_sgpr39
	s_mov_b64 s[42:43], 0
	s_cbranch_execnz .LBB115_180
	s_branch .LBB115_181
.LBB115_177:
	s_mov_b64 s[42:43], 0
                                        ; implicit-def: $sgpr38_sgpr39
	s_cbranch_execz .LBB115_179
; %bb.178:
	s_waitcnt vmcnt(1)
	v_cmp_gt_f16_sdwa s[44:45], v2, s10 src0_sel:WORD_1 src1_sel:DWORD
	s_andn2_b64 s[38:39], s[38:39], exec
	s_and_b64 s[44:45], s[44:45], exec
	s_or_b64 s[38:39], s[38:39], s[44:45]
.LBB115_179:
	s_branch .LBB115_181
.LBB115_180:
	s_cmp_lg_u32 s9, 0
	s_mov_b64 s[40:41], -1
	s_cselect_b64 s[42:43], -1, 0
.LBB115_181:
	s_andn2_b64 vcc, exec, s[42:43]
	s_cbranch_vccz .LBB115_187
; %bb.182:
	s_andn2_b64 vcc, exec, s[40:41]
	s_cbranch_vccz .LBB115_188
.LBB115_183:
	s_cmp_lt_i32 s9, 1
	s_mov_b64 s[42:43], 0
	s_cbranch_scc1 .LBB115_189
.LBB115_184:
	s_cmp_gt_i32 s9, 1
	s_cbranch_scc0 .LBB115_190
; %bb.185:
	s_cmp_eq_u32 s9, 2
	s_cbranch_scc0 .LBB115_264
; %bb.186:
	s_waitcnt vmcnt(0)
	v_cmp_ge_f16_e64 s[40:41], s10, v1
	s_mov_b64 s[44:45], 0
	s_branch .LBB115_192
.LBB115_187:
	s_waitcnt vmcnt(1)
	v_cmp_lt_f16_sdwa s[42:43], v2, s10 src0_sel:WORD_1 src1_sel:DWORD
	s_andn2_b64 s[38:39], s[38:39], exec
	s_and_b64 s[42:43], s[42:43], exec
	s_or_b64 s[38:39], s[38:39], s[42:43]
	s_cbranch_execnz .LBB115_183
.LBB115_188:
	s_waitcnt vmcnt(1)
	v_cmp_ge_f16_sdwa s[40:41], v2, s10 src0_sel:WORD_1 src1_sel:DWORD
	s_andn2_b64 s[38:39], s[38:39], exec
	s_and_b64 s[40:41], s[40:41], exec
	s_or_b64 s[38:39], s[38:39], s[40:41]
	s_cmp_lt_i32 s9, 1
	s_mov_b64 s[42:43], 0
	s_cbranch_scc0 .LBB115_184
.LBB115_189:
                                        ; implicit-def: $sgpr40_sgpr41
	s_mov_b64 s[44:45], 0
	s_cbranch_execnz .LBB115_193
	s_branch .LBB115_194
.LBB115_190:
	s_mov_b64 s[44:45], 0
                                        ; implicit-def: $sgpr40_sgpr41
	s_cbranch_execz .LBB115_192
; %bb.191:
	s_waitcnt vmcnt(0)
	v_cmp_lt_f16_e32 vcc, s10, v1
	s_andn2_b64 s[40:41], s[40:41], exec
	s_and_b64 s[46:47], vcc, exec
	s_or_b64 s[40:41], s[40:41], s[46:47]
.LBB115_192:
	s_branch .LBB115_194
.LBB115_193:
	s_cmp_lg_u32 s9, 0
	s_mov_b64 s[42:43], -1
	s_cselect_b64 s[44:45], -1, 0
.LBB115_194:
	s_andn2_b64 vcc, exec, s[44:45]
	s_cbranch_vccz .LBB115_200
; %bb.195:
	s_andn2_b64 vcc, exec, s[42:43]
	s_cbranch_vccz .LBB115_201
.LBB115_196:
	s_cmp_lt_i32 s9, 1
	s_mov_b64 s[44:45], 0
	s_cbranch_scc1 .LBB115_202
.LBB115_197:
	s_cmp_gt_i32 s9, 1
	s_cbranch_scc0 .LBB115_203
; %bb.198:
	s_cmp_eq_u32 s9, 2
	s_cbranch_scc0 .LBB115_265
; %bb.199:
	s_waitcnt vmcnt(0)
	v_cmp_le_f16_sdwa s[42:43], v1, s10 src0_sel:WORD_1 src1_sel:DWORD
	s_mov_b64 s[46:47], 0
	s_branch .LBB115_205
.LBB115_200:
	s_waitcnt vmcnt(0)
	v_cmp_gt_f16_e32 vcc, s10, v1
	s_andn2_b64 s[40:41], s[40:41], exec
	s_and_b64 s[44:45], vcc, exec
	s_or_b64 s[40:41], s[40:41], s[44:45]
	s_cbranch_execnz .LBB115_196
.LBB115_201:
	s_waitcnt vmcnt(0)
	v_cmp_le_f16_e32 vcc, s10, v1
	s_andn2_b64 s[40:41], s[40:41], exec
	s_and_b64 s[42:43], vcc, exec
	s_or_b64 s[40:41], s[40:41], s[42:43]
	s_cmp_lt_i32 s9, 1
	s_mov_b64 s[44:45], 0
	s_cbranch_scc0 .LBB115_197
.LBB115_202:
                                        ; implicit-def: $sgpr42_sgpr43
	s_mov_b64 s[46:47], 0
	s_cbranch_execnz .LBB115_206
	s_branch .LBB115_207
.LBB115_203:
	s_mov_b64 s[46:47], 0
                                        ; implicit-def: $sgpr42_sgpr43
	s_cbranch_execz .LBB115_205
; %bb.204:
	s_waitcnt vmcnt(0)
	v_cmp_gt_f16_sdwa s[48:49], v1, s10 src0_sel:WORD_1 src1_sel:DWORD
	s_andn2_b64 s[42:43], s[42:43], exec
	s_and_b64 s[48:49], s[48:49], exec
	s_or_b64 s[42:43], s[42:43], s[48:49]
.LBB115_205:
	s_branch .LBB115_207
.LBB115_206:
	s_cmp_lg_u32 s9, 0
	s_mov_b64 s[44:45], -1
	s_cselect_b64 s[46:47], -1, 0
.LBB115_207:
	s_andn2_b64 vcc, exec, s[46:47]
	s_cbranch_vccz .LBB115_249
; %bb.208:
	s_andn2_b64 vcc, exec, s[44:45]
	s_cbranch_vccnz .LBB115_210
.LBB115_209:
	s_waitcnt vmcnt(0)
	v_cmp_ge_f16_sdwa s[44:45], v1, s10 src0_sel:WORD_1 src1_sel:DWORD
	s_andn2_b64 s[42:43], s[42:43], exec
	s_and_b64 s[44:45], s[44:45], exec
	s_or_b64 s[42:43], s[42:43], s[44:45]
.LBB115_210:
	s_waitcnt vmcnt(0)
	v_cndmask_b32_e64 v1, 0, 1, s[16:17]
	v_lshlrev_b16_e32 v1, 8, v1
	v_cndmask_b32_e64 v2, 0, 1, s[6:7]
	v_or_b32_e32 v1, v2, v1
	v_cndmask_b32_e64 v2, 0, 1, s[4:5]
	v_lshlrev_b16_e32 v2, 8, v2
	v_cndmask_b32_e64 v3, 0, 1, s[0:1]
	v_or_b32_e32 v2, v3, v2
	;; [unrolled: 4-line block ×7, first 2 shown]
	v_cndmask_b32_e64 v8, 0, 1, s[38:39]
	v_lshlrev_b16_e32 v8, 8, v8
	v_cndmask_b32_e64 v9, 0, 1, s[36:37]
	s_add_u32 s0, s12, s2
	v_or_b32_e32 v8, v9, v8
	s_addc_u32 s1, s13, s3
	v_lshlrev_b32_e32 v9, 1, v0
	global_store_short v9, v2, s[0:1]
	global_store_short v9, v1, s[0:1] offset:512
	global_store_short v9, v4, s[0:1] offset:1024
	global_store_short v9, v3, s[0:1] offset:1536
	global_store_short v9, v6, s[0:1] offset:2048
	global_store_short v9, v5, s[0:1] offset:2560
	global_store_short v9, v8, s[0:1] offset:3072
	global_store_short v9, v7, s[0:1] offset:3584
	s_mov_b64 s[0:1], 0
.LBB115_211:
	s_and_b64 vcc, exec, s[0:1]
	s_cbranch_vccz .LBB115_519
; %bb.212:
	v_cmp_gt_i32_e64 s[0:1], s8, v0
	v_mov_b32_e32 v21, 0
	v_or_b32_e32 v1, s2, v0
	v_mov_b32_e32 v7, 0
	v_mov_b32_e32 v2, v0
	s_and_saveexec_b64 s[4:5], s[0:1]
	s_cbranch_execz .LBB115_214
; %bb.213:
	v_mov_b32_e32 v2, 0
	v_lshlrev_b64 v[2:3], 1, v[1:2]
	v_mov_b32_e32 v4, s15
	v_add_co_u32_e32 v2, vcc, s14, v2
	v_addc_co_u32_e32 v3, vcc, v4, v3, vcc
	global_load_ushort v7, v[2:3], off
	v_or_b32_e32 v2, 0x100, v0
.LBB115_214:
	s_or_b64 exec, exec, s[4:5]
	v_cmp_gt_i32_e32 vcc, s8, v2
	s_and_saveexec_b64 s[4:5], vcc
	s_cbranch_execz .LBB115_216
; %bb.215:
	v_add_u32_e32 v3, s2, v2
	v_mov_b32_e32 v4, 0
	v_lshlrev_b64 v[3:4], 1, v[3:4]
	v_mov_b32_e32 v5, s15
	v_add_co_u32_e32 v3, vcc, s14, v3
	v_addc_co_u32_e32 v4, vcc, v5, v4, vcc
	global_load_ushort v21, v[3:4], off
	v_add_u32_e32 v2, 0x100, v2
.LBB115_216:
	s_or_b64 exec, exec, s[4:5]
	v_cmp_gt_i32_e32 vcc, s8, v2
	v_mov_b32_e32 v19, 0
	v_mov_b32_e32 v20, 0
	s_and_saveexec_b64 s[4:5], vcc
	s_cbranch_execz .LBB115_218
; %bb.217:
	v_add_u32_e32 v3, s2, v2
	v_mov_b32_e32 v4, 0
	v_lshlrev_b64 v[3:4], 1, v[3:4]
	v_mov_b32_e32 v5, s15
	v_add_co_u32_e32 v3, vcc, s14, v3
	v_addc_co_u32_e32 v4, vcc, v5, v4, vcc
	global_load_ushort v20, v[3:4], off
	v_add_u32_e32 v2, 0x100, v2
.LBB115_218:
	s_or_b64 exec, exec, s[4:5]
	v_cmp_gt_i32_e32 vcc, s8, v2
	s_and_saveexec_b64 s[4:5], vcc
	s_cbranch_execz .LBB115_220
; %bb.219:
	v_add_u32_e32 v3, s2, v2
	v_mov_b32_e32 v4, 0
	v_lshlrev_b64 v[3:4], 1, v[3:4]
	v_mov_b32_e32 v5, s15
	v_add_co_u32_e32 v3, vcc, s14, v3
	v_addc_co_u32_e32 v4, vcc, v5, v4, vcc
	global_load_ushort v19, v[3:4], off
	v_add_u32_e32 v2, 0x100, v2
.LBB115_220:
	s_or_b64 exec, exec, s[4:5]
	v_cmp_gt_i32_e32 vcc, s8, v2
	v_mov_b32_e32 v17, 0
	v_mov_b32_e32 v18, 0
	s_and_saveexec_b64 s[4:5], vcc
	s_cbranch_execz .LBB115_222
; %bb.221:
	v_add_u32_e32 v3, s2, v2
	v_mov_b32_e32 v4, 0
	v_lshlrev_b64 v[3:4], 1, v[3:4]
	v_mov_b32_e32 v5, s15
	v_add_co_u32_e32 v3, vcc, s14, v3
	v_addc_co_u32_e32 v4, vcc, v5, v4, vcc
	global_load_ushort v18, v[3:4], off
	v_add_u32_e32 v2, 0x100, v2
.LBB115_222:
	;; [unrolled: 30-line block ×7, first 2 shown]
	s_or_b64 exec, exec, s[4:5]
	v_cmp_gt_i32_e32 vcc, s8, v2
	s_and_saveexec_b64 s[4:5], vcc
	s_cbranch_execz .LBB115_244
; %bb.243:
	v_add_u32_e32 v2, s2, v2
	v_mov_b32_e32 v3, 0
	v_lshlrev_b64 v[2:3], 1, v[2:3]
	v_mov_b32_e32 v4, s15
	v_add_co_u32_e32 v2, vcc, s14, v2
	v_addc_co_u32_e32 v3, vcc, v4, v3, vcc
	global_load_ushort v4, v[2:3], off
.LBB115_244:
	s_or_b64 exec, exec, s[4:5]
	v_mov_b32_e32 v6, 0
	v_mov_b32_e32 v5, v6
	;; [unrolled: 1-line block ×4, first 2 shown]
	s_and_saveexec_b64 s[4:5], s[0:1]
	s_cbranch_execz .LBB115_276
; %bb.245:
	s_cmp_lt_i32 s9, 1
	s_mov_b64 s[6:7], 0
	s_cbranch_scc1 .LBB115_250
; %bb.246:
	s_cmp_gt_i32 s9, 1
	s_cbranch_scc0 .LBB115_266
; %bb.247:
	s_cmp_eq_u32 s9, 2
	s_cbranch_scc0 .LBB115_267
; %bb.248:
	s_waitcnt vmcnt(0)
	v_cmp_ge_f16_e64 s[14:15], s10, v7
	s_mov_b64 s[16:17], 0
	s_branch .LBB115_268
.LBB115_249:
	s_waitcnt vmcnt(0)
	v_cmp_lt_f16_sdwa s[46:47], v1, s10 src0_sel:WORD_1 src1_sel:DWORD
	s_andn2_b64 s[42:43], s[42:43], exec
	s_and_b64 s[46:47], s[46:47], exec
	s_or_b64 s[42:43], s[42:43], s[46:47]
	s_cbranch_execz .LBB115_209
	s_branch .LBB115_210
.LBB115_250:
                                        ; implicit-def: $sgpr14_sgpr15
	s_mov_b64 s[16:17], 0
	s_cbranch_execnz .LBB115_271
	s_branch .LBB115_272
.LBB115_251:
	s_mov_b64 s[16:17], -1
                                        ; implicit-def: $sgpr4_sgpr5
	s_branch .LBB115_23
.LBB115_252:
	s_mov_b64 s[18:19], -1
                                        ; implicit-def: $sgpr6_sgpr7
	s_branch .LBB115_36
.LBB115_253:
	s_mov_b64 s[20:21], -1
                                        ; implicit-def: $sgpr16_sgpr17
	s_branch .LBB115_49
.LBB115_254:
	s_mov_b64 s[22:23], -1
                                        ; implicit-def: $sgpr18_sgpr19
	s_branch .LBB115_62
.LBB115_255:
	s_mov_b64 s[24:25], -1
                                        ; implicit-def: $sgpr20_sgpr21
	s_branch .LBB115_75
.LBB115_256:
	s_mov_b64 s[26:27], -1
                                        ; implicit-def: $sgpr22_sgpr23
	s_branch .LBB115_88
.LBB115_257:
	s_mov_b64 s[28:29], -1
                                        ; implicit-def: $sgpr24_sgpr25
	s_branch .LBB115_101
.LBB115_258:
	s_mov_b64 s[30:31], -1
                                        ; implicit-def: $sgpr26_sgpr27
	s_branch .LBB115_114
.LBB115_259:
	s_mov_b64 s[34:35], -1
                                        ; implicit-def: $sgpr28_sgpr29
	s_branch .LBB115_127
.LBB115_260:
	s_mov_b64 s[36:37], -1
                                        ; implicit-def: $sgpr30_sgpr31
	s_branch .LBB115_140
.LBB115_261:
	s_mov_b64 s[38:39], -1
                                        ; implicit-def: $sgpr34_sgpr35
	s_branch .LBB115_153
.LBB115_262:
	s_mov_b64 s[40:41], -1
                                        ; implicit-def: $sgpr36_sgpr37
	s_branch .LBB115_166
.LBB115_263:
	s_mov_b64 s[42:43], -1
                                        ; implicit-def: $sgpr38_sgpr39
	s_branch .LBB115_179
.LBB115_264:
	s_mov_b64 s[44:45], -1
                                        ; implicit-def: $sgpr40_sgpr41
	s_branch .LBB115_192
.LBB115_265:
	s_mov_b64 s[46:47], -1
                                        ; implicit-def: $sgpr42_sgpr43
	s_branch .LBB115_205
.LBB115_266:
	s_mov_b64 s[16:17], 0
                                        ; implicit-def: $sgpr14_sgpr15
	s_cbranch_execnz .LBB115_269
	s_branch .LBB115_270
.LBB115_267:
	s_mov_b64 s[16:17], -1
                                        ; implicit-def: $sgpr14_sgpr15
.LBB115_268:
	s_branch .LBB115_270
.LBB115_269:
	s_waitcnt vmcnt(0)
	v_cmp_lt_f16_e32 vcc, s10, v7
	s_andn2_b64 s[14:15], s[14:15], exec
	s_and_b64 s[18:19], vcc, exec
	s_or_b64 s[14:15], s[14:15], s[18:19]
.LBB115_270:
	s_branch .LBB115_272
.LBB115_271:
	s_cmp_lg_u32 s9, 0
	s_mov_b64 s[6:7], -1
	s_cselect_b64 s[16:17], -1, 0
.LBB115_272:
	s_andn2_b64 vcc, exec, s[16:17]
	s_cbranch_vccz .LBB115_281
; %bb.273:
	s_andn2_b64 vcc, exec, s[6:7]
	s_cbranch_vccnz .LBB115_275
.LBB115_274:
	s_waitcnt vmcnt(0)
	v_cmp_le_f16_e32 vcc, s10, v7
	s_andn2_b64 s[6:7], s[14:15], exec
	s_and_b64 s[14:15], vcc, exec
	s_or_b64 s[14:15], s[6:7], s[14:15]
.LBB115_275:
	v_cndmask_b32_e64 v2, 0, 1, s[14:15]
	v_mov_b32_e32 v5, 0
	v_and_b32_e32 v6, 0xffff, v2
	v_mov_b32_e32 v3, v5
	v_mov_b32_e32 v2, v5
.LBB115_276:
	s_or_b64 exec, exec, s[4:5]
	s_waitcnt vmcnt(0)
	v_or_b32_e32 v7, 0x100, v0
	v_cmp_gt_i32_e32 vcc, s8, v7
	s_and_saveexec_b64 s[4:5], vcc
	s_cbranch_execz .LBB115_291
; %bb.277:
	s_cmp_lt_i32 s9, 1
	s_mov_b64 s[6:7], 0
	s_cbranch_scc1 .LBB115_282
; %bb.278:
	s_cmp_gt_i32 s9, 1
	s_cbranch_scc0 .LBB115_283
; %bb.279:
	s_cmp_eq_u32 s9, 2
	s_cbranch_scc0 .LBB115_535
; %bb.280:
	v_cmp_ge_f16_e64 s[14:15], s10, v21
	s_mov_b64 s[16:17], 0
	s_branch .LBB115_285
.LBB115_281:
	s_waitcnt vmcnt(0)
	v_cmp_gt_f16_e32 vcc, s10, v7
	s_andn2_b64 s[14:15], s[14:15], exec
	s_and_b64 s[16:17], vcc, exec
	s_or_b64 s[14:15], s[14:15], s[16:17]
	s_cbranch_execz .LBB115_274
	s_branch .LBB115_275
.LBB115_282:
                                        ; implicit-def: $sgpr14_sgpr15
	s_mov_b64 s[16:17], 0
	s_cbranch_execnz .LBB115_286
	s_branch .LBB115_287
.LBB115_283:
	s_mov_b64 s[16:17], 0
                                        ; implicit-def: $sgpr14_sgpr15
	s_cbranch_execz .LBB115_285
; %bb.284:
	v_cmp_lt_f16_e32 vcc, s10, v21
	s_andn2_b64 s[14:15], s[14:15], exec
	s_and_b64 s[18:19], vcc, exec
	s_or_b64 s[14:15], s[14:15], s[18:19]
.LBB115_285:
	s_branch .LBB115_287
.LBB115_286:
	s_cmp_lg_u32 s9, 0
	s_mov_b64 s[6:7], -1
	s_cselect_b64 s[16:17], -1, 0
.LBB115_287:
	s_andn2_b64 vcc, exec, s[16:17]
	s_cbranch_vccz .LBB115_296
; %bb.288:
	s_andn2_b64 vcc, exec, s[6:7]
	s_cbranch_vccnz .LBB115_290
.LBB115_289:
	v_cmp_le_f16_e32 vcc, s10, v21
	s_andn2_b64 s[6:7], s[14:15], exec
	s_and_b64 s[14:15], vcc, exec
	s_or_b64 s[14:15], s[6:7], s[14:15]
.LBB115_290:
	v_cndmask_b32_e64 v21, 0, 1, s[14:15]
	v_lshlrev_b16_e32 v21, 8, v21
	v_or_b32_sdwa v21, v6, v21 dst_sel:DWORD dst_unused:UNUSED_PAD src0_sel:BYTE_0 src1_sel:DWORD
	v_and_b32_e32 v21, 0xffff, v21
	s_mov_b32 s3, 0xffff0000
	v_and_or_b32 v6, v6, s3, v21
.LBB115_291:
	s_or_b64 exec, exec, s[4:5]
	v_or_b32_e32 v21, 0x200, v0
	v_cmp_gt_i32_e32 vcc, s8, v21
	s_and_saveexec_b64 s[4:5], vcc
	s_cbranch_execz .LBB115_306
; %bb.292:
	s_cmp_lt_i32 s9, 1
	s_mov_b64 s[6:7], 0
	s_cbranch_scc1 .LBB115_297
; %bb.293:
	s_cmp_gt_i32 s9, 1
	s_cbranch_scc0 .LBB115_298
; %bb.294:
	s_cmp_eq_u32 s9, 2
	s_cbranch_scc0 .LBB115_536
; %bb.295:
	v_cmp_ge_f16_e64 s[14:15], s10, v20
	s_mov_b64 s[16:17], 0
	s_branch .LBB115_300
.LBB115_296:
	v_cmp_gt_f16_e32 vcc, s10, v21
	s_andn2_b64 s[14:15], s[14:15], exec
	s_and_b64 s[16:17], vcc, exec
	s_or_b64 s[14:15], s[14:15], s[16:17]
	s_cbranch_execz .LBB115_289
	s_branch .LBB115_290
.LBB115_297:
                                        ; implicit-def: $sgpr14_sgpr15
	s_mov_b64 s[16:17], 0
	s_cbranch_execnz .LBB115_301
	s_branch .LBB115_302
.LBB115_298:
	s_mov_b64 s[16:17], 0
                                        ; implicit-def: $sgpr14_sgpr15
	s_cbranch_execz .LBB115_300
; %bb.299:
	v_cmp_lt_f16_e32 vcc, s10, v20
	s_andn2_b64 s[14:15], s[14:15], exec
	s_and_b64 s[18:19], vcc, exec
	s_or_b64 s[14:15], s[14:15], s[18:19]
.LBB115_300:
	s_branch .LBB115_302
.LBB115_301:
	s_cmp_lg_u32 s9, 0
	s_mov_b64 s[6:7], -1
	s_cselect_b64 s[16:17], -1, 0
.LBB115_302:
	s_andn2_b64 vcc, exec, s[16:17]
	s_cbranch_vccz .LBB115_311
; %bb.303:
	s_andn2_b64 vcc, exec, s[6:7]
	s_cbranch_vccnz .LBB115_305
.LBB115_304:
	v_cmp_le_f16_e32 vcc, s10, v20
	s_andn2_b64 s[6:7], s[14:15], exec
	s_and_b64 s[14:15], vcc, exec
	s_or_b64 s[14:15], s[6:7], s[14:15]
.LBB115_305:
	s_movk_i32 s3, 0xff00
	v_and_b32_sdwa v20, v6, s3 dst_sel:DWORD dst_unused:UNUSED_PAD src0_sel:WORD_1 src1_sel:DWORD
	v_cndmask_b32_e64 v21, 0, 1, s[14:15]
	v_or_b32_sdwa v20, v21, v20 dst_sel:WORD_1 dst_unused:UNUSED_PAD src0_sel:DWORD src1_sel:DWORD
	s_mov_b32 s3, 0xffff
	v_and_or_b32 v6, v6, s3, v20
.LBB115_306:
	s_or_b64 exec, exec, s[4:5]
	v_or_b32_e32 v20, 0x300, v0
	v_cmp_gt_i32_e32 vcc, s8, v20
	s_and_saveexec_b64 s[4:5], vcc
	s_cbranch_execz .LBB115_321
; %bb.307:
	s_cmp_lt_i32 s9, 1
	s_mov_b64 s[6:7], 0
	s_cbranch_scc1 .LBB115_312
; %bb.308:
	s_cmp_gt_i32 s9, 1
	s_cbranch_scc0 .LBB115_313
; %bb.309:
	s_cmp_eq_u32 s9, 2
	s_cbranch_scc0 .LBB115_537
; %bb.310:
	v_cmp_ge_f16_e64 s[14:15], s10, v19
	s_mov_b64 s[16:17], 0
	s_branch .LBB115_315
.LBB115_311:
	v_cmp_gt_f16_e32 vcc, s10, v20
	s_andn2_b64 s[14:15], s[14:15], exec
	s_and_b64 s[16:17], vcc, exec
	s_or_b64 s[14:15], s[14:15], s[16:17]
	s_cbranch_execz .LBB115_304
	s_branch .LBB115_305
.LBB115_312:
                                        ; implicit-def: $sgpr14_sgpr15
	s_mov_b64 s[16:17], 0
	s_cbranch_execnz .LBB115_316
	s_branch .LBB115_317
.LBB115_313:
	s_mov_b64 s[16:17], 0
                                        ; implicit-def: $sgpr14_sgpr15
	s_cbranch_execz .LBB115_315
; %bb.314:
	v_cmp_lt_f16_e32 vcc, s10, v19
	s_andn2_b64 s[14:15], s[14:15], exec
	s_and_b64 s[18:19], vcc, exec
	s_or_b64 s[14:15], s[14:15], s[18:19]
.LBB115_315:
	s_branch .LBB115_317
.LBB115_316:
	s_cmp_lg_u32 s9, 0
	s_mov_b64 s[6:7], -1
	s_cselect_b64 s[16:17], -1, 0
.LBB115_317:
	s_andn2_b64 vcc, exec, s[16:17]
	s_cbranch_vccz .LBB115_326
; %bb.318:
	s_andn2_b64 vcc, exec, s[6:7]
	s_cbranch_vccnz .LBB115_320
.LBB115_319:
	v_cmp_le_f16_e32 vcc, s10, v19
	s_andn2_b64 s[6:7], s[14:15], exec
	s_and_b64 s[14:15], vcc, exec
	s_or_b64 s[14:15], s[6:7], s[14:15]
.LBB115_320:
	s_movk_i32 s3, 0xff
	v_cndmask_b32_e64 v20, 0, 1, s[14:15]
	v_and_b32_sdwa v19, v6, s3 dst_sel:DWORD dst_unused:UNUSED_PAD src0_sel:WORD_1 src1_sel:DWORD
	v_lshlrev_b16_e32 v20, 8, v20
	v_or_b32_sdwa v19, v19, v20 dst_sel:WORD_1 dst_unused:UNUSED_PAD src0_sel:DWORD src1_sel:DWORD
	s_mov_b32 s3, 0xffff
	v_and_or_b32 v6, v6, s3, v19
.LBB115_321:
	s_or_b64 exec, exec, s[4:5]
	v_or_b32_e32 v19, 0x400, v0
	v_cmp_gt_i32_e32 vcc, s8, v19
	s_and_saveexec_b64 s[4:5], vcc
	s_cbranch_execz .LBB115_336
; %bb.322:
	s_cmp_lt_i32 s9, 1
	s_mov_b64 s[6:7], 0
	s_cbranch_scc1 .LBB115_327
; %bb.323:
	s_cmp_gt_i32 s9, 1
	s_cbranch_scc0 .LBB115_328
; %bb.324:
	s_cmp_eq_u32 s9, 2
	s_cbranch_scc0 .LBB115_538
; %bb.325:
	v_cmp_ge_f16_e64 s[14:15], s10, v18
	s_mov_b64 s[16:17], 0
	s_branch .LBB115_330
.LBB115_326:
	v_cmp_gt_f16_e32 vcc, s10, v19
	s_andn2_b64 s[14:15], s[14:15], exec
	s_and_b64 s[16:17], vcc, exec
	s_or_b64 s[14:15], s[14:15], s[16:17]
	s_cbranch_execz .LBB115_319
	s_branch .LBB115_320
.LBB115_327:
                                        ; implicit-def: $sgpr14_sgpr15
	s_mov_b64 s[16:17], 0
	s_cbranch_execnz .LBB115_331
	s_branch .LBB115_332
.LBB115_328:
	s_mov_b64 s[16:17], 0
                                        ; implicit-def: $sgpr14_sgpr15
	s_cbranch_execz .LBB115_330
; %bb.329:
	v_cmp_lt_f16_e32 vcc, s10, v18
	s_andn2_b64 s[14:15], s[14:15], exec
	s_and_b64 s[18:19], vcc, exec
	s_or_b64 s[14:15], s[14:15], s[18:19]
.LBB115_330:
	s_branch .LBB115_332
.LBB115_331:
	s_cmp_lg_u32 s9, 0
	s_mov_b64 s[6:7], -1
	s_cselect_b64 s[16:17], -1, 0
.LBB115_332:
	s_andn2_b64 vcc, exec, s[16:17]
	s_cbranch_vccz .LBB115_341
; %bb.333:
	s_andn2_b64 vcc, exec, s[6:7]
	s_cbranch_vccnz .LBB115_335
.LBB115_334:
	v_cmp_le_f16_e32 vcc, s10, v18
	s_andn2_b64 s[6:7], s[14:15], exec
	s_and_b64 s[14:15], vcc, exec
	s_or_b64 s[14:15], s[6:7], s[14:15]
.LBB115_335:
	v_and_b32_e32 v18, 0xffffff00, v5
	v_cndmask_b32_e64 v19, 0, 1, s[14:15]
	v_or_b32_e32 v18, v19, v18
	v_and_b32_e32 v18, 0xffff, v18
	s_mov_b32 s3, 0xffff0000
	v_and_or_b32 v5, v5, s3, v18
.LBB115_336:
	s_or_b64 exec, exec, s[4:5]
	v_or_b32_e32 v18, 0x500, v0
	v_cmp_gt_i32_e32 vcc, s8, v18
	s_and_saveexec_b64 s[4:5], vcc
	s_cbranch_execz .LBB115_351
; %bb.337:
	s_cmp_lt_i32 s9, 1
	s_mov_b64 s[6:7], 0
	s_cbranch_scc1 .LBB115_342
; %bb.338:
	s_cmp_gt_i32 s9, 1
	s_cbranch_scc0 .LBB115_343
; %bb.339:
	s_cmp_eq_u32 s9, 2
	s_cbranch_scc0 .LBB115_539
; %bb.340:
	v_cmp_ge_f16_e64 s[14:15], s10, v17
	s_mov_b64 s[16:17], 0
	s_branch .LBB115_345
.LBB115_341:
	v_cmp_gt_f16_e32 vcc, s10, v18
	s_andn2_b64 s[14:15], s[14:15], exec
	s_and_b64 s[16:17], vcc, exec
	s_or_b64 s[14:15], s[14:15], s[16:17]
	s_cbranch_execz .LBB115_334
	s_branch .LBB115_335
.LBB115_342:
                                        ; implicit-def: $sgpr14_sgpr15
	s_mov_b64 s[16:17], 0
	s_cbranch_execnz .LBB115_346
	s_branch .LBB115_347
.LBB115_343:
	s_mov_b64 s[16:17], 0
                                        ; implicit-def: $sgpr14_sgpr15
	s_cbranch_execz .LBB115_345
; %bb.344:
	v_cmp_lt_f16_e32 vcc, s10, v17
	s_andn2_b64 s[14:15], s[14:15], exec
	s_and_b64 s[18:19], vcc, exec
	s_or_b64 s[14:15], s[14:15], s[18:19]
.LBB115_345:
	s_branch .LBB115_347
.LBB115_346:
	s_cmp_lg_u32 s9, 0
	s_mov_b64 s[6:7], -1
	s_cselect_b64 s[16:17], -1, 0
.LBB115_347:
	s_andn2_b64 vcc, exec, s[16:17]
	s_cbranch_vccz .LBB115_356
; %bb.348:
	s_andn2_b64 vcc, exec, s[6:7]
	s_cbranch_vccnz .LBB115_350
.LBB115_349:
	v_cmp_le_f16_e32 vcc, s10, v17
	s_andn2_b64 s[6:7], s[14:15], exec
	s_and_b64 s[14:15], vcc, exec
	s_or_b64 s[14:15], s[6:7], s[14:15]
.LBB115_350:
	v_cndmask_b32_e64 v17, 0, 1, s[14:15]
	v_lshlrev_b16_e32 v17, 8, v17
	v_or_b32_sdwa v17, v5, v17 dst_sel:DWORD dst_unused:UNUSED_PAD src0_sel:BYTE_0 src1_sel:DWORD
	v_and_b32_e32 v17, 0xffff, v17
	s_mov_b32 s3, 0xffff0000
	v_and_or_b32 v5, v5, s3, v17
.LBB115_351:
	s_or_b64 exec, exec, s[4:5]
	v_or_b32_e32 v17, 0x600, v0
	v_cmp_gt_i32_e32 vcc, s8, v17
	s_and_saveexec_b64 s[4:5], vcc
	s_cbranch_execz .LBB115_366
; %bb.352:
	s_cmp_lt_i32 s9, 1
	s_mov_b64 s[6:7], 0
	s_cbranch_scc1 .LBB115_357
; %bb.353:
	s_cmp_gt_i32 s9, 1
	s_cbranch_scc0 .LBB115_358
; %bb.354:
	s_cmp_eq_u32 s9, 2
	s_cbranch_scc0 .LBB115_540
; %bb.355:
	v_cmp_ge_f16_e64 s[14:15], s10, v16
	s_mov_b64 s[16:17], 0
	s_branch .LBB115_360
.LBB115_356:
	v_cmp_gt_f16_e32 vcc, s10, v17
	s_andn2_b64 s[14:15], s[14:15], exec
	s_and_b64 s[16:17], vcc, exec
	s_or_b64 s[14:15], s[14:15], s[16:17]
	s_cbranch_execz .LBB115_349
	s_branch .LBB115_350
.LBB115_357:
                                        ; implicit-def: $sgpr14_sgpr15
	s_mov_b64 s[16:17], 0
	s_cbranch_execnz .LBB115_361
	s_branch .LBB115_362
.LBB115_358:
	s_mov_b64 s[16:17], 0
                                        ; implicit-def: $sgpr14_sgpr15
	s_cbranch_execz .LBB115_360
; %bb.359:
	v_cmp_lt_f16_e32 vcc, s10, v16
	s_andn2_b64 s[14:15], s[14:15], exec
	s_and_b64 s[18:19], vcc, exec
	s_or_b64 s[14:15], s[14:15], s[18:19]
.LBB115_360:
	s_branch .LBB115_362
.LBB115_361:
	s_cmp_lg_u32 s9, 0
	s_mov_b64 s[6:7], -1
	s_cselect_b64 s[16:17], -1, 0
.LBB115_362:
	s_andn2_b64 vcc, exec, s[16:17]
	s_cbranch_vccz .LBB115_371
; %bb.363:
	s_andn2_b64 vcc, exec, s[6:7]
	s_cbranch_vccnz .LBB115_365
.LBB115_364:
	v_cmp_le_f16_e32 vcc, s10, v16
	s_andn2_b64 s[6:7], s[14:15], exec
	s_and_b64 s[14:15], vcc, exec
	s_or_b64 s[14:15], s[6:7], s[14:15]
.LBB115_365:
	s_movk_i32 s3, 0xff00
	v_and_b32_sdwa v16, v5, s3 dst_sel:DWORD dst_unused:UNUSED_PAD src0_sel:WORD_1 src1_sel:DWORD
	v_cndmask_b32_e64 v17, 0, 1, s[14:15]
	v_or_b32_sdwa v16, v17, v16 dst_sel:WORD_1 dst_unused:UNUSED_PAD src0_sel:DWORD src1_sel:DWORD
	s_mov_b32 s3, 0xffff
	v_and_or_b32 v5, v5, s3, v16
.LBB115_366:
	s_or_b64 exec, exec, s[4:5]
	v_or_b32_e32 v16, 0x700, v0
	v_cmp_gt_i32_e32 vcc, s8, v16
	s_and_saveexec_b64 s[4:5], vcc
	s_cbranch_execz .LBB115_381
; %bb.367:
	s_cmp_lt_i32 s9, 1
	s_mov_b64 s[6:7], 0
	s_cbranch_scc1 .LBB115_372
; %bb.368:
	s_cmp_gt_i32 s9, 1
	s_cbranch_scc0 .LBB115_373
; %bb.369:
	s_cmp_eq_u32 s9, 2
	s_cbranch_scc0 .LBB115_541
; %bb.370:
	v_cmp_ge_f16_e64 s[14:15], s10, v15
	s_mov_b64 s[16:17], 0
	s_branch .LBB115_375
.LBB115_371:
	v_cmp_gt_f16_e32 vcc, s10, v16
	s_andn2_b64 s[14:15], s[14:15], exec
	s_and_b64 s[16:17], vcc, exec
	s_or_b64 s[14:15], s[14:15], s[16:17]
	s_cbranch_execz .LBB115_364
	s_branch .LBB115_365
.LBB115_372:
                                        ; implicit-def: $sgpr14_sgpr15
	s_mov_b64 s[16:17], 0
	s_cbranch_execnz .LBB115_376
	s_branch .LBB115_377
.LBB115_373:
	s_mov_b64 s[16:17], 0
                                        ; implicit-def: $sgpr14_sgpr15
	s_cbranch_execz .LBB115_375
; %bb.374:
	v_cmp_lt_f16_e32 vcc, s10, v15
	s_andn2_b64 s[14:15], s[14:15], exec
	s_and_b64 s[18:19], vcc, exec
	s_or_b64 s[14:15], s[14:15], s[18:19]
.LBB115_375:
	s_branch .LBB115_377
.LBB115_376:
	s_cmp_lg_u32 s9, 0
	s_mov_b64 s[6:7], -1
	s_cselect_b64 s[16:17], -1, 0
.LBB115_377:
	s_andn2_b64 vcc, exec, s[16:17]
	s_cbranch_vccz .LBB115_386
; %bb.378:
	s_andn2_b64 vcc, exec, s[6:7]
	s_cbranch_vccnz .LBB115_380
.LBB115_379:
	v_cmp_le_f16_e32 vcc, s10, v15
	s_andn2_b64 s[6:7], s[14:15], exec
	s_and_b64 s[14:15], vcc, exec
	s_or_b64 s[14:15], s[6:7], s[14:15]
.LBB115_380:
	s_movk_i32 s3, 0xff
	v_cndmask_b32_e64 v16, 0, 1, s[14:15]
	v_and_b32_sdwa v15, v5, s3 dst_sel:DWORD dst_unused:UNUSED_PAD src0_sel:WORD_1 src1_sel:DWORD
	v_lshlrev_b16_e32 v16, 8, v16
	v_or_b32_sdwa v15, v15, v16 dst_sel:WORD_1 dst_unused:UNUSED_PAD src0_sel:DWORD src1_sel:DWORD
	s_mov_b32 s3, 0xffff
	v_and_or_b32 v5, v5, s3, v15
.LBB115_381:
	s_or_b64 exec, exec, s[4:5]
	v_or_b32_e32 v15, 0x800, v0
	v_cmp_gt_i32_e32 vcc, s8, v15
	s_and_saveexec_b64 s[4:5], vcc
	s_cbranch_execz .LBB115_396
; %bb.382:
	s_cmp_lt_i32 s9, 1
	s_mov_b64 s[6:7], 0
	s_cbranch_scc1 .LBB115_387
; %bb.383:
	s_cmp_gt_i32 s9, 1
	s_cbranch_scc0 .LBB115_388
; %bb.384:
	s_cmp_eq_u32 s9, 2
	s_cbranch_scc0 .LBB115_542
; %bb.385:
	v_cmp_ge_f16_e64 s[14:15], s10, v14
	s_mov_b64 s[16:17], 0
	s_branch .LBB115_390
.LBB115_386:
	v_cmp_gt_f16_e32 vcc, s10, v15
	s_andn2_b64 s[14:15], s[14:15], exec
	s_and_b64 s[16:17], vcc, exec
	s_or_b64 s[14:15], s[14:15], s[16:17]
	s_cbranch_execz .LBB115_379
	s_branch .LBB115_380
.LBB115_387:
                                        ; implicit-def: $sgpr14_sgpr15
	s_mov_b64 s[16:17], 0
	s_cbranch_execnz .LBB115_391
	s_branch .LBB115_392
.LBB115_388:
	s_mov_b64 s[16:17], 0
                                        ; implicit-def: $sgpr14_sgpr15
	s_cbranch_execz .LBB115_390
; %bb.389:
	v_cmp_lt_f16_e32 vcc, s10, v14
	s_andn2_b64 s[14:15], s[14:15], exec
	s_and_b64 s[18:19], vcc, exec
	s_or_b64 s[14:15], s[14:15], s[18:19]
.LBB115_390:
	s_branch .LBB115_392
.LBB115_391:
	s_cmp_lg_u32 s9, 0
	s_mov_b64 s[6:7], -1
	s_cselect_b64 s[16:17], -1, 0
.LBB115_392:
	s_andn2_b64 vcc, exec, s[16:17]
	s_cbranch_vccz .LBB115_401
; %bb.393:
	s_andn2_b64 vcc, exec, s[6:7]
	s_cbranch_vccnz .LBB115_395
.LBB115_394:
	v_cmp_le_f16_e32 vcc, s10, v14
	s_andn2_b64 s[6:7], s[14:15], exec
	s_and_b64 s[14:15], vcc, exec
	s_or_b64 s[14:15], s[6:7], s[14:15]
.LBB115_395:
	v_and_b32_e32 v14, 0xffffff00, v3
	v_cndmask_b32_e64 v15, 0, 1, s[14:15]
	v_or_b32_e32 v14, v15, v14
	v_and_b32_e32 v14, 0xffff, v14
	s_mov_b32 s3, 0xffff0000
	v_and_or_b32 v3, v3, s3, v14
.LBB115_396:
	s_or_b64 exec, exec, s[4:5]
	v_or_b32_e32 v14, 0x900, v0
	v_cmp_gt_i32_e32 vcc, s8, v14
	s_and_saveexec_b64 s[4:5], vcc
	s_cbranch_execz .LBB115_411
; %bb.397:
	s_cmp_lt_i32 s9, 1
	s_mov_b64 s[6:7], 0
	s_cbranch_scc1 .LBB115_402
; %bb.398:
	s_cmp_gt_i32 s9, 1
	s_cbranch_scc0 .LBB115_403
; %bb.399:
	s_cmp_eq_u32 s9, 2
	s_cbranch_scc0 .LBB115_543
; %bb.400:
	v_cmp_ge_f16_e64 s[14:15], s10, v13
	s_mov_b64 s[16:17], 0
	s_branch .LBB115_405
.LBB115_401:
	v_cmp_gt_f16_e32 vcc, s10, v14
	s_andn2_b64 s[14:15], s[14:15], exec
	s_and_b64 s[16:17], vcc, exec
	s_or_b64 s[14:15], s[14:15], s[16:17]
	s_cbranch_execz .LBB115_394
	s_branch .LBB115_395
.LBB115_402:
                                        ; implicit-def: $sgpr14_sgpr15
	s_mov_b64 s[16:17], 0
	s_cbranch_execnz .LBB115_406
	s_branch .LBB115_407
.LBB115_403:
	s_mov_b64 s[16:17], 0
                                        ; implicit-def: $sgpr14_sgpr15
	s_cbranch_execz .LBB115_405
; %bb.404:
	v_cmp_lt_f16_e32 vcc, s10, v13
	s_andn2_b64 s[14:15], s[14:15], exec
	s_and_b64 s[18:19], vcc, exec
	s_or_b64 s[14:15], s[14:15], s[18:19]
.LBB115_405:
	s_branch .LBB115_407
.LBB115_406:
	s_cmp_lg_u32 s9, 0
	s_mov_b64 s[6:7], -1
	s_cselect_b64 s[16:17], -1, 0
.LBB115_407:
	s_andn2_b64 vcc, exec, s[16:17]
	s_cbranch_vccz .LBB115_416
; %bb.408:
	s_andn2_b64 vcc, exec, s[6:7]
	s_cbranch_vccnz .LBB115_410
.LBB115_409:
	v_cmp_le_f16_e32 vcc, s10, v13
	s_andn2_b64 s[6:7], s[14:15], exec
	s_and_b64 s[14:15], vcc, exec
	s_or_b64 s[14:15], s[6:7], s[14:15]
.LBB115_410:
	v_cndmask_b32_e64 v13, 0, 1, s[14:15]
	v_lshlrev_b16_e32 v13, 8, v13
	v_or_b32_sdwa v13, v3, v13 dst_sel:DWORD dst_unused:UNUSED_PAD src0_sel:BYTE_0 src1_sel:DWORD
	v_and_b32_e32 v13, 0xffff, v13
	s_mov_b32 s3, 0xffff0000
	v_and_or_b32 v3, v3, s3, v13
.LBB115_411:
	s_or_b64 exec, exec, s[4:5]
	v_or_b32_e32 v13, 0xa00, v0
	v_cmp_gt_i32_e32 vcc, s8, v13
	s_and_saveexec_b64 s[4:5], vcc
	s_cbranch_execz .LBB115_426
; %bb.412:
	s_cmp_lt_i32 s9, 1
	s_mov_b64 s[6:7], 0
	s_cbranch_scc1 .LBB115_417
; %bb.413:
	s_cmp_gt_i32 s9, 1
	s_cbranch_scc0 .LBB115_418
; %bb.414:
	s_cmp_eq_u32 s9, 2
	s_cbranch_scc0 .LBB115_544
; %bb.415:
	v_cmp_ge_f16_e64 s[14:15], s10, v12
	s_mov_b64 s[16:17], 0
	s_branch .LBB115_420
.LBB115_416:
	v_cmp_gt_f16_e32 vcc, s10, v13
	s_andn2_b64 s[14:15], s[14:15], exec
	s_and_b64 s[16:17], vcc, exec
	s_or_b64 s[14:15], s[14:15], s[16:17]
	s_cbranch_execz .LBB115_409
	s_branch .LBB115_410
.LBB115_417:
                                        ; implicit-def: $sgpr14_sgpr15
	s_mov_b64 s[16:17], 0
	s_cbranch_execnz .LBB115_421
	s_branch .LBB115_422
.LBB115_418:
	s_mov_b64 s[16:17], 0
                                        ; implicit-def: $sgpr14_sgpr15
	s_cbranch_execz .LBB115_420
; %bb.419:
	v_cmp_lt_f16_e32 vcc, s10, v12
	s_andn2_b64 s[14:15], s[14:15], exec
	s_and_b64 s[18:19], vcc, exec
	s_or_b64 s[14:15], s[14:15], s[18:19]
.LBB115_420:
	s_branch .LBB115_422
.LBB115_421:
	s_cmp_lg_u32 s9, 0
	s_mov_b64 s[6:7], -1
	s_cselect_b64 s[16:17], -1, 0
.LBB115_422:
	s_andn2_b64 vcc, exec, s[16:17]
	s_cbranch_vccz .LBB115_431
; %bb.423:
	s_andn2_b64 vcc, exec, s[6:7]
	s_cbranch_vccnz .LBB115_425
.LBB115_424:
	v_cmp_le_f16_e32 vcc, s10, v12
	s_andn2_b64 s[6:7], s[14:15], exec
	s_and_b64 s[14:15], vcc, exec
	s_or_b64 s[14:15], s[6:7], s[14:15]
.LBB115_425:
	s_movk_i32 s3, 0xff00
	v_and_b32_sdwa v12, v3, s3 dst_sel:DWORD dst_unused:UNUSED_PAD src0_sel:WORD_1 src1_sel:DWORD
	v_cndmask_b32_e64 v13, 0, 1, s[14:15]
	v_or_b32_sdwa v12, v13, v12 dst_sel:WORD_1 dst_unused:UNUSED_PAD src0_sel:DWORD src1_sel:DWORD
	s_mov_b32 s3, 0xffff
	v_and_or_b32 v3, v3, s3, v12
.LBB115_426:
	s_or_b64 exec, exec, s[4:5]
	v_or_b32_e32 v12, 0xb00, v0
	v_cmp_gt_i32_e32 vcc, s8, v12
	s_and_saveexec_b64 s[4:5], vcc
	s_cbranch_execz .LBB115_441
; %bb.427:
	s_cmp_lt_i32 s9, 1
	s_mov_b64 s[6:7], 0
	s_cbranch_scc1 .LBB115_432
; %bb.428:
	s_cmp_gt_i32 s9, 1
	s_cbranch_scc0 .LBB115_433
; %bb.429:
	s_cmp_eq_u32 s9, 2
	s_cbranch_scc0 .LBB115_545
; %bb.430:
	v_cmp_ge_f16_e64 s[14:15], s10, v11
	s_mov_b64 s[16:17], 0
	s_branch .LBB115_435
.LBB115_431:
	v_cmp_gt_f16_e32 vcc, s10, v12
	s_andn2_b64 s[14:15], s[14:15], exec
	s_and_b64 s[16:17], vcc, exec
	s_or_b64 s[14:15], s[14:15], s[16:17]
	s_cbranch_execz .LBB115_424
	s_branch .LBB115_425
.LBB115_432:
                                        ; implicit-def: $sgpr14_sgpr15
	s_mov_b64 s[16:17], 0
	s_cbranch_execnz .LBB115_436
	s_branch .LBB115_437
.LBB115_433:
	s_mov_b64 s[16:17], 0
                                        ; implicit-def: $sgpr14_sgpr15
	s_cbranch_execz .LBB115_435
; %bb.434:
	v_cmp_lt_f16_e32 vcc, s10, v11
	s_andn2_b64 s[14:15], s[14:15], exec
	s_and_b64 s[18:19], vcc, exec
	s_or_b64 s[14:15], s[14:15], s[18:19]
.LBB115_435:
	s_branch .LBB115_437
.LBB115_436:
	s_cmp_lg_u32 s9, 0
	s_mov_b64 s[6:7], -1
	s_cselect_b64 s[16:17], -1, 0
.LBB115_437:
	s_andn2_b64 vcc, exec, s[16:17]
	s_cbranch_vccz .LBB115_446
; %bb.438:
	s_andn2_b64 vcc, exec, s[6:7]
	s_cbranch_vccnz .LBB115_440
.LBB115_439:
	v_cmp_le_f16_e32 vcc, s10, v11
	s_andn2_b64 s[6:7], s[14:15], exec
	s_and_b64 s[14:15], vcc, exec
	s_or_b64 s[14:15], s[6:7], s[14:15]
.LBB115_440:
	s_movk_i32 s3, 0xff
	v_cndmask_b32_e64 v12, 0, 1, s[14:15]
	v_and_b32_sdwa v11, v3, s3 dst_sel:DWORD dst_unused:UNUSED_PAD src0_sel:WORD_1 src1_sel:DWORD
	v_lshlrev_b16_e32 v12, 8, v12
	v_or_b32_sdwa v11, v11, v12 dst_sel:WORD_1 dst_unused:UNUSED_PAD src0_sel:DWORD src1_sel:DWORD
	s_mov_b32 s3, 0xffff
	v_and_or_b32 v3, v3, s3, v11
.LBB115_441:
	s_or_b64 exec, exec, s[4:5]
	v_or_b32_e32 v11, 0xc00, v0
	v_cmp_gt_i32_e32 vcc, s8, v11
	s_and_saveexec_b64 s[4:5], vcc
	s_cbranch_execz .LBB115_456
; %bb.442:
	s_cmp_lt_i32 s9, 1
	s_mov_b64 s[6:7], 0
	s_cbranch_scc1 .LBB115_447
; %bb.443:
	s_cmp_gt_i32 s9, 1
	s_cbranch_scc0 .LBB115_448
; %bb.444:
	s_cmp_eq_u32 s9, 2
	s_cbranch_scc0 .LBB115_546
; %bb.445:
	v_cmp_ge_f16_e64 s[14:15], s10, v10
	s_mov_b64 s[16:17], 0
	s_branch .LBB115_450
.LBB115_446:
	v_cmp_gt_f16_e32 vcc, s10, v11
	s_andn2_b64 s[14:15], s[14:15], exec
	s_and_b64 s[16:17], vcc, exec
	s_or_b64 s[14:15], s[14:15], s[16:17]
	s_cbranch_execz .LBB115_439
	s_branch .LBB115_440
.LBB115_447:
                                        ; implicit-def: $sgpr14_sgpr15
	s_mov_b64 s[16:17], 0
	s_cbranch_execnz .LBB115_451
	s_branch .LBB115_452
.LBB115_448:
	s_mov_b64 s[16:17], 0
                                        ; implicit-def: $sgpr14_sgpr15
	s_cbranch_execz .LBB115_450
; %bb.449:
	v_cmp_lt_f16_e32 vcc, s10, v10
	s_andn2_b64 s[14:15], s[14:15], exec
	s_and_b64 s[18:19], vcc, exec
	s_or_b64 s[14:15], s[14:15], s[18:19]
.LBB115_450:
	s_branch .LBB115_452
.LBB115_451:
	s_cmp_lg_u32 s9, 0
	s_mov_b64 s[6:7], -1
	s_cselect_b64 s[16:17], -1, 0
.LBB115_452:
	s_andn2_b64 vcc, exec, s[16:17]
	s_cbranch_vccz .LBB115_461
; %bb.453:
	s_andn2_b64 vcc, exec, s[6:7]
	s_cbranch_vccnz .LBB115_455
.LBB115_454:
	v_cmp_le_f16_e32 vcc, s10, v10
	s_andn2_b64 s[6:7], s[14:15], exec
	s_and_b64 s[14:15], vcc, exec
	s_or_b64 s[14:15], s[6:7], s[14:15]
.LBB115_455:
	v_and_b32_e32 v10, 0xffffff00, v2
	v_cndmask_b32_e64 v11, 0, 1, s[14:15]
	v_or_b32_e32 v10, v11, v10
	v_and_b32_e32 v10, 0xffff, v10
	s_mov_b32 s3, 0xffff0000
	v_and_or_b32 v2, v2, s3, v10
.LBB115_456:
	s_or_b64 exec, exec, s[4:5]
	v_or_b32_e32 v10, 0xd00, v0
	v_cmp_gt_i32_e32 vcc, s8, v10
	s_and_saveexec_b64 s[4:5], vcc
	s_cbranch_execz .LBB115_471
; %bb.457:
	s_cmp_lt_i32 s9, 1
	s_mov_b64 s[6:7], 0
	s_cbranch_scc1 .LBB115_462
; %bb.458:
	s_cmp_gt_i32 s9, 1
	s_cbranch_scc0 .LBB115_463
; %bb.459:
	s_cmp_eq_u32 s9, 2
	s_cbranch_scc0 .LBB115_547
; %bb.460:
	v_cmp_ge_f16_e64 s[14:15], s10, v9
	s_mov_b64 s[16:17], 0
	s_branch .LBB115_465
.LBB115_461:
	v_cmp_gt_f16_e32 vcc, s10, v10
	s_andn2_b64 s[14:15], s[14:15], exec
	s_and_b64 s[16:17], vcc, exec
	s_or_b64 s[14:15], s[14:15], s[16:17]
	s_cbranch_execz .LBB115_454
	s_branch .LBB115_455
.LBB115_462:
                                        ; implicit-def: $sgpr14_sgpr15
	s_mov_b64 s[16:17], 0
	s_cbranch_execnz .LBB115_466
	s_branch .LBB115_467
.LBB115_463:
	s_mov_b64 s[16:17], 0
                                        ; implicit-def: $sgpr14_sgpr15
	s_cbranch_execz .LBB115_465
; %bb.464:
	v_cmp_lt_f16_e32 vcc, s10, v9
	s_andn2_b64 s[14:15], s[14:15], exec
	s_and_b64 s[18:19], vcc, exec
	s_or_b64 s[14:15], s[14:15], s[18:19]
.LBB115_465:
	s_branch .LBB115_467
.LBB115_466:
	s_cmp_lg_u32 s9, 0
	s_mov_b64 s[6:7], -1
	s_cselect_b64 s[16:17], -1, 0
.LBB115_467:
	s_andn2_b64 vcc, exec, s[16:17]
	s_cbranch_vccz .LBB115_476
; %bb.468:
	s_andn2_b64 vcc, exec, s[6:7]
	s_cbranch_vccnz .LBB115_470
.LBB115_469:
	v_cmp_le_f16_e32 vcc, s10, v9
	s_andn2_b64 s[6:7], s[14:15], exec
	s_and_b64 s[14:15], vcc, exec
	s_or_b64 s[14:15], s[6:7], s[14:15]
.LBB115_470:
	v_cndmask_b32_e64 v9, 0, 1, s[14:15]
	v_lshlrev_b16_e32 v9, 8, v9
	v_or_b32_sdwa v9, v2, v9 dst_sel:DWORD dst_unused:UNUSED_PAD src0_sel:BYTE_0 src1_sel:DWORD
	v_and_b32_e32 v9, 0xffff, v9
	s_mov_b32 s3, 0xffff0000
	v_and_or_b32 v2, v2, s3, v9
.LBB115_471:
	s_or_b64 exec, exec, s[4:5]
	v_or_b32_e32 v9, 0xe00, v0
	v_cmp_gt_i32_e32 vcc, s8, v9
	s_and_saveexec_b64 s[4:5], vcc
	s_cbranch_execz .LBB115_486
; %bb.472:
	s_cmp_lt_i32 s9, 1
	s_mov_b64 s[6:7], 0
	s_cbranch_scc1 .LBB115_477
; %bb.473:
	s_cmp_gt_i32 s9, 1
	s_cbranch_scc0 .LBB115_478
; %bb.474:
	s_cmp_eq_u32 s9, 2
	s_cbranch_scc0 .LBB115_548
; %bb.475:
	v_cmp_ge_f16_e64 s[14:15], s10, v8
	s_mov_b64 s[16:17], 0
	s_branch .LBB115_480
.LBB115_476:
	v_cmp_gt_f16_e32 vcc, s10, v9
	s_andn2_b64 s[14:15], s[14:15], exec
	s_and_b64 s[16:17], vcc, exec
	s_or_b64 s[14:15], s[14:15], s[16:17]
	s_cbranch_execz .LBB115_469
	s_branch .LBB115_470
.LBB115_477:
                                        ; implicit-def: $sgpr14_sgpr15
	s_mov_b64 s[16:17], 0
	s_cbranch_execnz .LBB115_481
	s_branch .LBB115_482
.LBB115_478:
	s_mov_b64 s[16:17], 0
                                        ; implicit-def: $sgpr14_sgpr15
	s_cbranch_execz .LBB115_480
; %bb.479:
	v_cmp_lt_f16_e32 vcc, s10, v8
	s_andn2_b64 s[14:15], s[14:15], exec
	s_and_b64 s[18:19], vcc, exec
	s_or_b64 s[14:15], s[14:15], s[18:19]
.LBB115_480:
	s_branch .LBB115_482
.LBB115_481:
	s_cmp_lg_u32 s9, 0
	s_mov_b64 s[6:7], -1
	s_cselect_b64 s[16:17], -1, 0
.LBB115_482:
	s_andn2_b64 vcc, exec, s[16:17]
	s_cbranch_vccz .LBB115_491
; %bb.483:
	s_andn2_b64 vcc, exec, s[6:7]
	s_cbranch_vccnz .LBB115_485
.LBB115_484:
	v_cmp_le_f16_e32 vcc, s10, v8
	s_andn2_b64 s[6:7], s[14:15], exec
	s_and_b64 s[14:15], vcc, exec
	s_or_b64 s[14:15], s[6:7], s[14:15]
.LBB115_485:
	s_movk_i32 s3, 0xff00
	v_and_b32_sdwa v8, v2, s3 dst_sel:DWORD dst_unused:UNUSED_PAD src0_sel:WORD_1 src1_sel:DWORD
	v_cndmask_b32_e64 v9, 0, 1, s[14:15]
	v_or_b32_sdwa v8, v9, v8 dst_sel:WORD_1 dst_unused:UNUSED_PAD src0_sel:DWORD src1_sel:DWORD
	s_mov_b32 s3, 0xffff
	v_and_or_b32 v2, v2, s3, v8
.LBB115_486:
	s_or_b64 exec, exec, s[4:5]
	v_or_b32_e32 v8, 0xf00, v0
	v_cmp_gt_i32_e32 vcc, s8, v8
	s_and_saveexec_b64 s[4:5], vcc
	s_cbranch_execz .LBB115_501
; %bb.487:
	s_cmp_lt_i32 s9, 1
	s_mov_b64 s[6:7], 0
	s_cbranch_scc1 .LBB115_492
; %bb.488:
	s_cmp_gt_i32 s9, 1
	s_cbranch_scc0 .LBB115_493
; %bb.489:
	s_cmp_eq_u32 s9, 2
	s_cbranch_scc0 .LBB115_549
; %bb.490:
	v_cmp_ge_f16_e64 s[14:15], s10, v4
	s_mov_b64 s[16:17], 0
	s_branch .LBB115_495
.LBB115_491:
	v_cmp_gt_f16_e32 vcc, s10, v8
	s_andn2_b64 s[14:15], s[14:15], exec
	s_and_b64 s[16:17], vcc, exec
	s_or_b64 s[14:15], s[14:15], s[16:17]
	s_cbranch_execz .LBB115_484
	s_branch .LBB115_485
.LBB115_492:
                                        ; implicit-def: $sgpr14_sgpr15
	s_mov_b64 s[16:17], 0
	s_cbranch_execnz .LBB115_496
	s_branch .LBB115_497
.LBB115_493:
	s_mov_b64 s[16:17], 0
                                        ; implicit-def: $sgpr14_sgpr15
	s_cbranch_execz .LBB115_495
; %bb.494:
	v_cmp_lt_f16_e32 vcc, s10, v4
	s_andn2_b64 s[14:15], s[14:15], exec
	s_and_b64 s[18:19], vcc, exec
	s_or_b64 s[14:15], s[14:15], s[18:19]
.LBB115_495:
	s_branch .LBB115_497
.LBB115_496:
	s_cmp_lg_u32 s9, 0
	s_mov_b64 s[6:7], -1
	s_cselect_b64 s[16:17], -1, 0
.LBB115_497:
	s_andn2_b64 vcc, exec, s[16:17]
	s_cbranch_vccz .LBB115_534
; %bb.498:
	s_andn2_b64 vcc, exec, s[6:7]
	s_cbranch_vccnz .LBB115_500
.LBB115_499:
	v_cmp_le_f16_e32 vcc, s10, v4
	s_andn2_b64 s[6:7], s[14:15], exec
	s_and_b64 s[10:11], vcc, exec
	s_or_b64 s[14:15], s[6:7], s[10:11]
.LBB115_500:
	s_movk_i32 s3, 0xff
	v_cndmask_b32_e64 v8, 0, 1, s[14:15]
	v_and_b32_sdwa v4, v2, s3 dst_sel:DWORD dst_unused:UNUSED_PAD src0_sel:WORD_1 src1_sel:DWORD
	v_lshlrev_b16_e32 v8, 8, v8
	v_or_b32_sdwa v4, v4, v8 dst_sel:WORD_1 dst_unused:UNUSED_PAD src0_sel:DWORD src1_sel:DWORD
	s_mov_b32 s3, 0xffff
	v_and_or_b32 v2, v2, s3, v4
.LBB115_501:
	s_or_b64 exec, exec, s[4:5]
	s_and_saveexec_b64 s[4:5], s[0:1]
	s_xor_b64 s[0:1], exec, s[4:5]
	s_cbranch_execz .LBB115_503
; %bb.502:
	v_mov_b32_e32 v0, v7
	global_store_byte v1, v6, s[12:13]
.LBB115_503:
	s_or_b64 exec, exec, s[0:1]
	v_cmp_gt_i32_e32 vcc, s8, v0
	s_and_saveexec_b64 s[0:1], vcc
	s_cbranch_execnz .LBB115_520
; %bb.504:
	s_or_b64 exec, exec, s[0:1]
	v_cmp_gt_i32_e32 vcc, s8, v0
	s_and_saveexec_b64 s[0:1], vcc
	s_cbranch_execnz .LBB115_521
.LBB115_505:
	s_or_b64 exec, exec, s[0:1]
	v_cmp_gt_i32_e32 vcc, s8, v0
	s_and_saveexec_b64 s[0:1], vcc
	s_cbranch_execnz .LBB115_522
.LBB115_506:
	s_or_b64 exec, exec, s[0:1]
	v_cmp_gt_i32_e32 vcc, s8, v0
	s_and_saveexec_b64 s[0:1], vcc
	s_cbranch_execnz .LBB115_523
.LBB115_507:
	s_or_b64 exec, exec, s[0:1]
	v_cmp_gt_i32_e32 vcc, s8, v0
	s_and_saveexec_b64 s[0:1], vcc
	s_cbranch_execnz .LBB115_524
.LBB115_508:
	s_or_b64 exec, exec, s[0:1]
	v_cmp_gt_i32_e32 vcc, s8, v0
	s_and_saveexec_b64 s[0:1], vcc
	s_cbranch_execnz .LBB115_525
.LBB115_509:
	s_or_b64 exec, exec, s[0:1]
	v_cmp_gt_i32_e32 vcc, s8, v0
	s_and_saveexec_b64 s[0:1], vcc
	s_cbranch_execnz .LBB115_526
.LBB115_510:
	s_or_b64 exec, exec, s[0:1]
	v_cmp_gt_i32_e32 vcc, s8, v0
	s_and_saveexec_b64 s[0:1], vcc
	s_cbranch_execnz .LBB115_527
.LBB115_511:
	s_or_b64 exec, exec, s[0:1]
	v_cmp_gt_i32_e32 vcc, s8, v0
	s_and_saveexec_b64 s[0:1], vcc
	s_cbranch_execnz .LBB115_528
.LBB115_512:
	s_or_b64 exec, exec, s[0:1]
	v_cmp_gt_i32_e32 vcc, s8, v0
	s_and_saveexec_b64 s[0:1], vcc
	s_cbranch_execnz .LBB115_529
.LBB115_513:
	s_or_b64 exec, exec, s[0:1]
	v_cmp_gt_i32_e32 vcc, s8, v0
	s_and_saveexec_b64 s[0:1], vcc
	s_cbranch_execnz .LBB115_530
.LBB115_514:
	s_or_b64 exec, exec, s[0:1]
	v_cmp_gt_i32_e32 vcc, s8, v0
	s_and_saveexec_b64 s[0:1], vcc
	s_cbranch_execnz .LBB115_531
.LBB115_515:
	s_or_b64 exec, exec, s[0:1]
	v_cmp_gt_i32_e32 vcc, s8, v0
	s_and_saveexec_b64 s[0:1], vcc
	s_cbranch_execnz .LBB115_532
.LBB115_516:
	s_or_b64 exec, exec, s[0:1]
	v_cmp_gt_i32_e32 vcc, s8, v0
	s_and_saveexec_b64 s[0:1], vcc
	s_cbranch_execnz .LBB115_533
.LBB115_517:
	s_or_b64 exec, exec, s[0:1]
	v_cmp_gt_i32_e32 vcc, s8, v0
	s_and_saveexec_b64 s[0:1], vcc
	s_cbranch_execz .LBB115_519
.LBB115_518:
	v_lshrrev_b32_e32 v1, 24, v2
	v_add_u32_e32 v0, s2, v0
	global_store_byte v0, v1, s[12:13]
.LBB115_519:
	s_endpgm
.LBB115_520:
	v_lshrrev_b32_e32 v1, 8, v6
	v_add_u32_e32 v4, s2, v0
	v_add_u32_e32 v0, 0x100, v0
	global_store_byte v4, v1, s[12:13]
	s_or_b64 exec, exec, s[0:1]
	v_cmp_gt_i32_e32 vcc, s8, v0
	s_and_saveexec_b64 s[0:1], vcc
	s_cbranch_execz .LBB115_505
.LBB115_521:
	v_add_u32_e32 v1, s2, v0
	v_add_u32_e32 v0, 0x100, v0
	global_store_byte_d16_hi v1, v6, s[12:13]
	s_or_b64 exec, exec, s[0:1]
	v_cmp_gt_i32_e32 vcc, s8, v0
	s_and_saveexec_b64 s[0:1], vcc
	s_cbranch_execz .LBB115_506
.LBB115_522:
	v_lshrrev_b32_e32 v1, 24, v6
	v_add_u32_e32 v4, s2, v0
	v_add_u32_e32 v0, 0x100, v0
	global_store_byte v4, v1, s[12:13]
	s_or_b64 exec, exec, s[0:1]
	v_cmp_gt_i32_e32 vcc, s8, v0
	s_and_saveexec_b64 s[0:1], vcc
	s_cbranch_execz .LBB115_507
.LBB115_523:
	v_add_u32_e32 v1, s2, v0
	v_add_u32_e32 v0, 0x100, v0
	global_store_byte v1, v5, s[12:13]
	s_or_b64 exec, exec, s[0:1]
	v_cmp_gt_i32_e32 vcc, s8, v0
	s_and_saveexec_b64 s[0:1], vcc
	s_cbranch_execz .LBB115_508
.LBB115_524:
	v_lshrrev_b32_e32 v1, 8, v5
	v_add_u32_e32 v4, s2, v0
	v_add_u32_e32 v0, 0x100, v0
	global_store_byte v4, v1, s[12:13]
	s_or_b64 exec, exec, s[0:1]
	v_cmp_gt_i32_e32 vcc, s8, v0
	s_and_saveexec_b64 s[0:1], vcc
	s_cbranch_execz .LBB115_509
.LBB115_525:
	v_add_u32_e32 v1, s2, v0
	v_add_u32_e32 v0, 0x100, v0
	global_store_byte_d16_hi v1, v5, s[12:13]
	s_or_b64 exec, exec, s[0:1]
	v_cmp_gt_i32_e32 vcc, s8, v0
	s_and_saveexec_b64 s[0:1], vcc
	s_cbranch_execz .LBB115_510
.LBB115_526:
	v_lshrrev_b32_e32 v1, 24, v5
	v_add_u32_e32 v4, s2, v0
	v_add_u32_e32 v0, 0x100, v0
	global_store_byte v4, v1, s[12:13]
	s_or_b64 exec, exec, s[0:1]
	v_cmp_gt_i32_e32 vcc, s8, v0
	s_and_saveexec_b64 s[0:1], vcc
	s_cbranch_execz .LBB115_511
.LBB115_527:
	v_add_u32_e32 v1, s2, v0
	v_add_u32_e32 v0, 0x100, v0
	global_store_byte v1, v3, s[12:13]
	s_or_b64 exec, exec, s[0:1]
	v_cmp_gt_i32_e32 vcc, s8, v0
	s_and_saveexec_b64 s[0:1], vcc
	s_cbranch_execz .LBB115_512
.LBB115_528:
	v_lshrrev_b32_e32 v1, 8, v3
	v_add_u32_e32 v4, s2, v0
	v_add_u32_e32 v0, 0x100, v0
	global_store_byte v4, v1, s[12:13]
	s_or_b64 exec, exec, s[0:1]
	v_cmp_gt_i32_e32 vcc, s8, v0
	s_and_saveexec_b64 s[0:1], vcc
	s_cbranch_execz .LBB115_513
.LBB115_529:
	v_add_u32_e32 v1, s2, v0
	v_add_u32_e32 v0, 0x100, v0
	global_store_byte_d16_hi v1, v3, s[12:13]
	s_or_b64 exec, exec, s[0:1]
	v_cmp_gt_i32_e32 vcc, s8, v0
	s_and_saveexec_b64 s[0:1], vcc
	s_cbranch_execz .LBB115_514
.LBB115_530:
	v_lshrrev_b32_e32 v1, 24, v3
	v_add_u32_e32 v3, s2, v0
	v_add_u32_e32 v0, 0x100, v0
	global_store_byte v3, v1, s[12:13]
	s_or_b64 exec, exec, s[0:1]
	v_cmp_gt_i32_e32 vcc, s8, v0
	s_and_saveexec_b64 s[0:1], vcc
	s_cbranch_execz .LBB115_515
.LBB115_531:
	v_add_u32_e32 v1, s2, v0
	v_add_u32_e32 v0, 0x100, v0
	global_store_byte v1, v2, s[12:13]
	s_or_b64 exec, exec, s[0:1]
	v_cmp_gt_i32_e32 vcc, s8, v0
	s_and_saveexec_b64 s[0:1], vcc
	s_cbranch_execz .LBB115_516
.LBB115_532:
	v_lshrrev_b32_e32 v1, 8, v2
	v_add_u32_e32 v3, s2, v0
	v_add_u32_e32 v0, 0x100, v0
	global_store_byte v3, v1, s[12:13]
	s_or_b64 exec, exec, s[0:1]
	v_cmp_gt_i32_e32 vcc, s8, v0
	s_and_saveexec_b64 s[0:1], vcc
	s_cbranch_execz .LBB115_517
.LBB115_533:
	v_add_u32_e32 v1, s2, v0
	v_add_u32_e32 v0, 0x100, v0
	global_store_byte_d16_hi v1, v2, s[12:13]
	s_or_b64 exec, exec, s[0:1]
	v_cmp_gt_i32_e32 vcc, s8, v0
	s_and_saveexec_b64 s[0:1], vcc
	s_cbranch_execnz .LBB115_518
	s_branch .LBB115_519
.LBB115_534:
	v_cmp_gt_f16_e32 vcc, s10, v4
	s_andn2_b64 s[14:15], s[14:15], exec
	s_and_b64 s[16:17], vcc, exec
	s_or_b64 s[14:15], s[14:15], s[16:17]
	s_cbranch_execz .LBB115_499
	s_branch .LBB115_500
.LBB115_535:
	s_mov_b64 s[16:17], -1
                                        ; implicit-def: $sgpr14_sgpr15
	s_branch .LBB115_285
.LBB115_536:
	s_mov_b64 s[16:17], -1
                                        ; implicit-def: $sgpr14_sgpr15
	s_branch .LBB115_300
.LBB115_537:
	s_mov_b64 s[16:17], -1
                                        ; implicit-def: $sgpr14_sgpr15
	s_branch .LBB115_315
.LBB115_538:
	s_mov_b64 s[16:17], -1
                                        ; implicit-def: $sgpr14_sgpr15
	s_branch .LBB115_330
.LBB115_539:
	s_mov_b64 s[16:17], -1
                                        ; implicit-def: $sgpr14_sgpr15
	s_branch .LBB115_345
.LBB115_540:
	s_mov_b64 s[16:17], -1
                                        ; implicit-def: $sgpr14_sgpr15
	s_branch .LBB115_360
.LBB115_541:
	s_mov_b64 s[16:17], -1
                                        ; implicit-def: $sgpr14_sgpr15
	s_branch .LBB115_375
.LBB115_542:
	s_mov_b64 s[16:17], -1
                                        ; implicit-def: $sgpr14_sgpr15
	s_branch .LBB115_390
.LBB115_543:
	s_mov_b64 s[16:17], -1
                                        ; implicit-def: $sgpr14_sgpr15
	s_branch .LBB115_405
.LBB115_544:
	s_mov_b64 s[16:17], -1
                                        ; implicit-def: $sgpr14_sgpr15
	s_branch .LBB115_420
.LBB115_545:
	s_mov_b64 s[16:17], -1
                                        ; implicit-def: $sgpr14_sgpr15
	s_branch .LBB115_435
.LBB115_546:
	s_mov_b64 s[16:17], -1
                                        ; implicit-def: $sgpr14_sgpr15
	s_branch .LBB115_450
.LBB115_547:
	s_mov_b64 s[16:17], -1
                                        ; implicit-def: $sgpr14_sgpr15
	s_branch .LBB115_465
.LBB115_548:
	s_mov_b64 s[16:17], -1
                                        ; implicit-def: $sgpr14_sgpr15
	s_branch .LBB115_480
.LBB115_549:
	s_mov_b64 s[16:17], -1
                                        ; implicit-def: $sgpr14_sgpr15
	s_branch .LBB115_495
	.section	.rodata,"a",@progbits
	.p2align	6, 0x0
	.amdhsa_kernel _ZN2at6native29vectorized_elementwise_kernelILi2EZNS0_21compare_scalar_kernelIN3c104HalfEEEvRNS_18TensorIteratorBaseENS0_12_GLOBAL__N_16OpTypeET_EUlS4_E_St5arrayIPcLm2EEEEviT0_T1_
		.amdhsa_group_segment_fixed_size 0
		.amdhsa_private_segment_fixed_size 0
		.amdhsa_kernarg_size 32
		.amdhsa_user_sgpr_count 6
		.amdhsa_user_sgpr_private_segment_buffer 1
		.amdhsa_user_sgpr_dispatch_ptr 0
		.amdhsa_user_sgpr_queue_ptr 0
		.amdhsa_user_sgpr_kernarg_segment_ptr 1
		.amdhsa_user_sgpr_dispatch_id 0
		.amdhsa_user_sgpr_flat_scratch_init 0
		.amdhsa_user_sgpr_private_segment_size 0
		.amdhsa_uses_dynamic_stack 0
		.amdhsa_system_sgpr_private_segment_wavefront_offset 0
		.amdhsa_system_sgpr_workgroup_id_x 1
		.amdhsa_system_sgpr_workgroup_id_y 0
		.amdhsa_system_sgpr_workgroup_id_z 0
		.amdhsa_system_sgpr_workgroup_info 0
		.amdhsa_system_vgpr_workitem_id 0
		.amdhsa_next_free_vgpr 22
		.amdhsa_next_free_sgpr 50
		.amdhsa_reserve_vcc 1
		.amdhsa_reserve_flat_scratch 0
		.amdhsa_float_round_mode_32 0
		.amdhsa_float_round_mode_16_64 0
		.amdhsa_float_denorm_mode_32 3
		.amdhsa_float_denorm_mode_16_64 3
		.amdhsa_dx10_clamp 1
		.amdhsa_ieee_mode 1
		.amdhsa_fp16_overflow 0
		.amdhsa_exception_fp_ieee_invalid_op 0
		.amdhsa_exception_fp_denorm_src 0
		.amdhsa_exception_fp_ieee_div_zero 0
		.amdhsa_exception_fp_ieee_overflow 0
		.amdhsa_exception_fp_ieee_underflow 0
		.amdhsa_exception_fp_ieee_inexact 0
		.amdhsa_exception_int_div_zero 0
	.end_amdhsa_kernel
	.section	.text._ZN2at6native29vectorized_elementwise_kernelILi2EZNS0_21compare_scalar_kernelIN3c104HalfEEEvRNS_18TensorIteratorBaseENS0_12_GLOBAL__N_16OpTypeET_EUlS4_E_St5arrayIPcLm2EEEEviT0_T1_,"axG",@progbits,_ZN2at6native29vectorized_elementwise_kernelILi2EZNS0_21compare_scalar_kernelIN3c104HalfEEEvRNS_18TensorIteratorBaseENS0_12_GLOBAL__N_16OpTypeET_EUlS4_E_St5arrayIPcLm2EEEEviT0_T1_,comdat
.Lfunc_end115:
	.size	_ZN2at6native29vectorized_elementwise_kernelILi2EZNS0_21compare_scalar_kernelIN3c104HalfEEEvRNS_18TensorIteratorBaseENS0_12_GLOBAL__N_16OpTypeET_EUlS4_E_St5arrayIPcLm2EEEEviT0_T1_, .Lfunc_end115-_ZN2at6native29vectorized_elementwise_kernelILi2EZNS0_21compare_scalar_kernelIN3c104HalfEEEvRNS_18TensorIteratorBaseENS0_12_GLOBAL__N_16OpTypeET_EUlS4_E_St5arrayIPcLm2EEEEviT0_T1_
                                        ; -- End function
	.set _ZN2at6native29vectorized_elementwise_kernelILi2EZNS0_21compare_scalar_kernelIN3c104HalfEEEvRNS_18TensorIteratorBaseENS0_12_GLOBAL__N_16OpTypeET_EUlS4_E_St5arrayIPcLm2EEEEviT0_T1_.num_vgpr, 22
	.set _ZN2at6native29vectorized_elementwise_kernelILi2EZNS0_21compare_scalar_kernelIN3c104HalfEEEvRNS_18TensorIteratorBaseENS0_12_GLOBAL__N_16OpTypeET_EUlS4_E_St5arrayIPcLm2EEEEviT0_T1_.num_agpr, 0
	.set _ZN2at6native29vectorized_elementwise_kernelILi2EZNS0_21compare_scalar_kernelIN3c104HalfEEEvRNS_18TensorIteratorBaseENS0_12_GLOBAL__N_16OpTypeET_EUlS4_E_St5arrayIPcLm2EEEEviT0_T1_.numbered_sgpr, 50
	.set _ZN2at6native29vectorized_elementwise_kernelILi2EZNS0_21compare_scalar_kernelIN3c104HalfEEEvRNS_18TensorIteratorBaseENS0_12_GLOBAL__N_16OpTypeET_EUlS4_E_St5arrayIPcLm2EEEEviT0_T1_.num_named_barrier, 0
	.set _ZN2at6native29vectorized_elementwise_kernelILi2EZNS0_21compare_scalar_kernelIN3c104HalfEEEvRNS_18TensorIteratorBaseENS0_12_GLOBAL__N_16OpTypeET_EUlS4_E_St5arrayIPcLm2EEEEviT0_T1_.private_seg_size, 0
	.set _ZN2at6native29vectorized_elementwise_kernelILi2EZNS0_21compare_scalar_kernelIN3c104HalfEEEvRNS_18TensorIteratorBaseENS0_12_GLOBAL__N_16OpTypeET_EUlS4_E_St5arrayIPcLm2EEEEviT0_T1_.uses_vcc, 1
	.set _ZN2at6native29vectorized_elementwise_kernelILi2EZNS0_21compare_scalar_kernelIN3c104HalfEEEvRNS_18TensorIteratorBaseENS0_12_GLOBAL__N_16OpTypeET_EUlS4_E_St5arrayIPcLm2EEEEviT0_T1_.uses_flat_scratch, 0
	.set _ZN2at6native29vectorized_elementwise_kernelILi2EZNS0_21compare_scalar_kernelIN3c104HalfEEEvRNS_18TensorIteratorBaseENS0_12_GLOBAL__N_16OpTypeET_EUlS4_E_St5arrayIPcLm2EEEEviT0_T1_.has_dyn_sized_stack, 0
	.set _ZN2at6native29vectorized_elementwise_kernelILi2EZNS0_21compare_scalar_kernelIN3c104HalfEEEvRNS_18TensorIteratorBaseENS0_12_GLOBAL__N_16OpTypeET_EUlS4_E_St5arrayIPcLm2EEEEviT0_T1_.has_recursion, 0
	.set _ZN2at6native29vectorized_elementwise_kernelILi2EZNS0_21compare_scalar_kernelIN3c104HalfEEEvRNS_18TensorIteratorBaseENS0_12_GLOBAL__N_16OpTypeET_EUlS4_E_St5arrayIPcLm2EEEEviT0_T1_.has_indirect_call, 0
	.section	.AMDGPU.csdata,"",@progbits
; Kernel info:
; codeLenInByte = 8980
; TotalNumSgprs: 54
; NumVgprs: 22
; ScratchSize: 0
; MemoryBound: 0
; FloatMode: 240
; IeeeMode: 1
; LDSByteSize: 0 bytes/workgroup (compile time only)
; SGPRBlocks: 6
; VGPRBlocks: 5
; NumSGPRsForWavesPerEU: 54
; NumVGPRsForWavesPerEU: 22
; Occupancy: 10
; WaveLimiterHint : 1
; COMPUTE_PGM_RSRC2:SCRATCH_EN: 0
; COMPUTE_PGM_RSRC2:USER_SGPR: 6
; COMPUTE_PGM_RSRC2:TRAP_HANDLER: 0
; COMPUTE_PGM_RSRC2:TGID_X_EN: 1
; COMPUTE_PGM_RSRC2:TGID_Y_EN: 0
; COMPUTE_PGM_RSRC2:TGID_Z_EN: 0
; COMPUTE_PGM_RSRC2:TIDIG_COMP_CNT: 0
	.section	.text._ZN2at6native27unrolled_elementwise_kernelIZNS0_21compare_scalar_kernelIN3c104HalfEEEvRNS_18TensorIteratorBaseENS0_12_GLOBAL__N_16OpTypeET_EUlS4_E_St5arrayIPcLm2EELi4E23TrivialOffsetCalculatorILi1EjESF_NS0_6memory15LoadWithoutCastENSG_16StoreWithoutCastEEEviS9_T0_T2_T3_T4_T5_,"axG",@progbits,_ZN2at6native27unrolled_elementwise_kernelIZNS0_21compare_scalar_kernelIN3c104HalfEEEvRNS_18TensorIteratorBaseENS0_12_GLOBAL__N_16OpTypeET_EUlS4_E_St5arrayIPcLm2EELi4E23TrivialOffsetCalculatorILi1EjESF_NS0_6memory15LoadWithoutCastENSG_16StoreWithoutCastEEEviS9_T0_T2_T3_T4_T5_,comdat
	.globl	_ZN2at6native27unrolled_elementwise_kernelIZNS0_21compare_scalar_kernelIN3c104HalfEEEvRNS_18TensorIteratorBaseENS0_12_GLOBAL__N_16OpTypeET_EUlS4_E_St5arrayIPcLm2EELi4E23TrivialOffsetCalculatorILi1EjESF_NS0_6memory15LoadWithoutCastENSG_16StoreWithoutCastEEEviS9_T0_T2_T3_T4_T5_ ; -- Begin function _ZN2at6native27unrolled_elementwise_kernelIZNS0_21compare_scalar_kernelIN3c104HalfEEEvRNS_18TensorIteratorBaseENS0_12_GLOBAL__N_16OpTypeET_EUlS4_E_St5arrayIPcLm2EELi4E23TrivialOffsetCalculatorILi1EjESF_NS0_6memory15LoadWithoutCastENSG_16StoreWithoutCastEEEviS9_T0_T2_T3_T4_T5_
	.p2align	8
	.type	_ZN2at6native27unrolled_elementwise_kernelIZNS0_21compare_scalar_kernelIN3c104HalfEEEvRNS_18TensorIteratorBaseENS0_12_GLOBAL__N_16OpTypeET_EUlS4_E_St5arrayIPcLm2EELi4E23TrivialOffsetCalculatorILi1EjESF_NS0_6memory15LoadWithoutCastENSG_16StoreWithoutCastEEEviS9_T0_T2_T3_T4_T5_,@function
_ZN2at6native27unrolled_elementwise_kernelIZNS0_21compare_scalar_kernelIN3c104HalfEEEvRNS_18TensorIteratorBaseENS0_12_GLOBAL__N_16OpTypeET_EUlS4_E_St5arrayIPcLm2EELi4E23TrivialOffsetCalculatorILi1EjESF_NS0_6memory15LoadWithoutCastENSG_16StoreWithoutCastEEEviS9_T0_T2_T3_T4_T5_: ; @_ZN2at6native27unrolled_elementwise_kernelIZNS0_21compare_scalar_kernelIN3c104HalfEEEvRNS_18TensorIteratorBaseENS0_12_GLOBAL__N_16OpTypeET_EUlS4_E_St5arrayIPcLm2EELi4E23TrivialOffsetCalculatorILi1EjESF_NS0_6memory15LoadWithoutCastENSG_16StoreWithoutCastEEEviS9_T0_T2_T3_T4_T5_
; %bb.0:
	s_load_dwordx8 s[8:15], s[4:5], 0x0
	s_waitcnt lgkmcnt(0)
	s_lshl_b32 s11, s6, 10
	v_mov_b32_e32 v6, 0
	v_or_b32_e32 v1, s11, v0
	v_mov_b32_e32 v5, 0
	s_sub_i32 s8, s8, s11
	v_cmp_gt_i32_e64 s[0:1], s8, v0
	v_mov_b32_e32 v3, v0
	s_and_saveexec_b64 s[2:3], s[0:1]
	s_cbranch_execz .LBB116_2
; %bb.1:
	v_mov_b32_e32 v2, 0
	v_lshlrev_b64 v[2:3], 1, v[1:2]
	v_mov_b32_e32 v4, s15
	v_add_co_u32_e32 v2, vcc, s14, v2
	v_addc_co_u32_e32 v3, vcc, v4, v3, vcc
	global_load_ushort v5, v[2:3], off
	v_or_b32_e32 v3, 0x100, v0
.LBB116_2:
	s_or_b64 exec, exec, s[2:3]
	v_cmp_gt_i32_e32 vcc, s8, v3
	s_and_saveexec_b64 s[2:3], vcc
	s_cbranch_execz .LBB116_4
; %bb.3:
	v_add_u32_e32 v6, s11, v3
	v_mov_b32_e32 v7, 0
	v_lshlrev_b64 v[6:7], 1, v[6:7]
	v_mov_b32_e32 v2, s15
	v_add_co_u32_e32 v6, vcc, s14, v6
	v_addc_co_u32_e32 v7, vcc, v2, v7, vcc
	global_load_ushort v6, v[6:7], off
	v_add_u32_e32 v3, 0x100, v3
.LBB116_4:
	s_or_b64 exec, exec, s[2:3]
	v_cmp_gt_i32_e32 vcc, s8, v3
	v_mov_b32_e32 v2, 0
	v_mov_b32_e32 v4, 0
	s_and_saveexec_b64 s[2:3], vcc
	s_cbranch_execnz .LBB116_7
; %bb.5:
	s_or_b64 exec, exec, s[2:3]
	v_cmp_gt_i32_e32 vcc, s8, v3
	s_and_saveexec_b64 s[2:3], vcc
	s_cbranch_execnz .LBB116_8
.LBB116_6:
	s_or_b64 exec, exec, s[2:3]
	v_mov_b32_e32 v3, 0
	s_and_saveexec_b64 s[2:3], s[0:1]
	s_cbranch_execnz .LBB116_9
	s_branch .LBB116_24
.LBB116_7:
	v_add_u32_e32 v7, s11, v3
	v_mov_b32_e32 v8, 0
	v_lshlrev_b64 v[7:8], 1, v[7:8]
	v_mov_b32_e32 v4, s15
	v_add_co_u32_e32 v7, vcc, s14, v7
	v_addc_co_u32_e32 v8, vcc, v4, v8, vcc
	global_load_ushort v4, v[7:8], off
	v_add_u32_e32 v3, 0x100, v3
	s_or_b64 exec, exec, s[2:3]
	v_cmp_gt_i32_e32 vcc, s8, v3
	s_and_saveexec_b64 s[2:3], vcc
	s_cbranch_execz .LBB116_6
.LBB116_8:
	v_add_u32_e32 v2, s11, v3
	v_mov_b32_e32 v3, 0
	v_lshlrev_b64 v[2:3], 1, v[2:3]
	v_mov_b32_e32 v7, s15
	v_add_co_u32_e32 v2, vcc, s14, v2
	v_addc_co_u32_e32 v3, vcc, v7, v3, vcc
	global_load_ushort v2, v[2:3], off
	s_or_b64 exec, exec, s[2:3]
	v_mov_b32_e32 v3, 0
	s_and_saveexec_b64 s[2:3], s[0:1]
	s_cbranch_execz .LBB116_24
.LBB116_9:
	s_cmp_lt_i32 s9, 1
	s_mov_b64 s[4:5], 0
	s_cbranch_scc1 .LBB116_13
; %bb.10:
	s_cmp_gt_i32 s9, 1
	s_cbranch_scc0 .LBB116_14
; %bb.11:
	s_cmp_eq_u32 s9, 2
	s_cbranch_scc0 .LBB116_15
; %bb.12:
	s_waitcnt vmcnt(0)
	v_cmp_ge_f16_e64 s[6:7], s10, v5
	s_mov_b64 s[14:15], 0
	s_branch .LBB116_16
.LBB116_13:
                                        ; implicit-def: $sgpr6_sgpr7
	s_mov_b64 s[14:15], 0
	s_cbranch_execnz .LBB116_19
	s_branch .LBB116_20
.LBB116_14:
	s_mov_b64 s[14:15], 0
                                        ; implicit-def: $sgpr6_sgpr7
	s_cbranch_execnz .LBB116_17
	s_branch .LBB116_18
.LBB116_15:
	s_mov_b64 s[14:15], -1
                                        ; implicit-def: $sgpr6_sgpr7
.LBB116_16:
	s_branch .LBB116_18
.LBB116_17:
	s_waitcnt vmcnt(0)
	v_cmp_lt_f16_e32 vcc, s10, v5
	s_andn2_b64 s[6:7], s[6:7], exec
	s_and_b64 s[16:17], vcc, exec
	s_or_b64 s[6:7], s[6:7], s[16:17]
.LBB116_18:
	s_branch .LBB116_20
.LBB116_19:
	s_cmp_lg_u32 s9, 0
	s_mov_b64 s[4:5], -1
	s_cselect_b64 s[14:15], -1, 0
.LBB116_20:
	s_andn2_b64 vcc, exec, s[14:15]
	s_cbranch_vccz .LBB116_29
; %bb.21:
	s_andn2_b64 vcc, exec, s[4:5]
	s_cbranch_vccnz .LBB116_23
.LBB116_22:
	s_waitcnt vmcnt(0)
	v_cmp_le_f16_e32 vcc, s10, v5
	s_andn2_b64 s[4:5], s[6:7], exec
	s_and_b64 s[6:7], vcc, exec
	s_or_b64 s[6:7], s[4:5], s[6:7]
.LBB116_23:
	v_cndmask_b32_e64 v3, 0, 1, s[6:7]
.LBB116_24:
	s_or_b64 exec, exec, s[2:3]
	s_waitcnt vmcnt(0)
	v_or_b32_e32 v5, 0x100, v0
	v_cmp_gt_i32_e32 vcc, s8, v5
	s_and_saveexec_b64 s[2:3], vcc
	s_cbranch_execz .LBB116_39
; %bb.25:
	s_cmp_lt_i32 s9, 1
	s_mov_b64 s[4:5], 0
	s_cbranch_scc1 .LBB116_30
; %bb.26:
	s_cmp_gt_i32 s9, 1
	s_cbranch_scc0 .LBB116_31
; %bb.27:
	s_cmp_eq_u32 s9, 2
	s_cbranch_scc0 .LBB116_79
; %bb.28:
	v_cmp_ge_f16_e64 s[6:7], s10, v6
	s_mov_b64 s[14:15], 0
	s_branch .LBB116_33
.LBB116_29:
	s_waitcnt vmcnt(0)
	v_cmp_gt_f16_e32 vcc, s10, v5
	s_andn2_b64 s[6:7], s[6:7], exec
	s_and_b64 s[14:15], vcc, exec
	s_or_b64 s[6:7], s[6:7], s[14:15]
	s_cbranch_execz .LBB116_22
	s_branch .LBB116_23
.LBB116_30:
                                        ; implicit-def: $sgpr6_sgpr7
	s_mov_b64 s[14:15], 0
	s_cbranch_execnz .LBB116_34
	s_branch .LBB116_35
.LBB116_31:
	s_mov_b64 s[14:15], 0
                                        ; implicit-def: $sgpr6_sgpr7
	s_cbranch_execz .LBB116_33
; %bb.32:
	v_cmp_lt_f16_e32 vcc, s10, v6
	s_andn2_b64 s[6:7], s[6:7], exec
	s_and_b64 s[16:17], vcc, exec
	s_or_b64 s[6:7], s[6:7], s[16:17]
.LBB116_33:
	s_branch .LBB116_35
.LBB116_34:
	s_cmp_lg_u32 s9, 0
	s_mov_b64 s[4:5], -1
	s_cselect_b64 s[14:15], -1, 0
.LBB116_35:
	s_andn2_b64 vcc, exec, s[14:15]
	s_cbranch_vccz .LBB116_44
; %bb.36:
	s_andn2_b64 vcc, exec, s[4:5]
	s_cbranch_vccnz .LBB116_38
.LBB116_37:
	v_cmp_le_f16_e32 vcc, s10, v6
	s_andn2_b64 s[4:5], s[6:7], exec
	s_and_b64 s[6:7], vcc, exec
	s_or_b64 s[6:7], s[4:5], s[6:7]
.LBB116_38:
	v_cndmask_b32_e64 v6, 0, 1, s[6:7]
	v_lshlrev_b16_e32 v6, 8, v6
	v_or_b32_e32 v3, v3, v6
	v_and_b32_e32 v3, 0xffff, v3
.LBB116_39:
	s_or_b64 exec, exec, s[2:3]
	v_or_b32_e32 v6, 0x200, v0
	v_cmp_gt_i32_e32 vcc, s8, v6
	s_and_saveexec_b64 s[2:3], vcc
	s_cbranch_execz .LBB116_54
; %bb.40:
	s_cmp_lt_i32 s9, 1
	s_mov_b64 s[4:5], 0
	s_cbranch_scc1 .LBB116_45
; %bb.41:
	s_cmp_gt_i32 s9, 1
	s_cbranch_scc0 .LBB116_46
; %bb.42:
	s_cmp_eq_u32 s9, 2
	s_cbranch_scc0 .LBB116_80
; %bb.43:
	v_cmp_ge_f16_e64 s[6:7], s10, v4
	s_mov_b64 s[14:15], 0
	s_branch .LBB116_48
.LBB116_44:
	v_cmp_gt_f16_e32 vcc, s10, v6
	s_andn2_b64 s[6:7], s[6:7], exec
	s_and_b64 s[14:15], vcc, exec
	s_or_b64 s[6:7], s[6:7], s[14:15]
	s_cbranch_execz .LBB116_37
	s_branch .LBB116_38
.LBB116_45:
                                        ; implicit-def: $sgpr6_sgpr7
	s_mov_b64 s[14:15], 0
	s_cbranch_execnz .LBB116_49
	s_branch .LBB116_50
.LBB116_46:
	s_mov_b64 s[14:15], 0
                                        ; implicit-def: $sgpr6_sgpr7
	s_cbranch_execz .LBB116_48
; %bb.47:
	v_cmp_lt_f16_e32 vcc, s10, v4
	s_andn2_b64 s[6:7], s[6:7], exec
	s_and_b64 s[16:17], vcc, exec
	s_or_b64 s[6:7], s[6:7], s[16:17]
.LBB116_48:
	s_branch .LBB116_50
.LBB116_49:
	s_cmp_lg_u32 s9, 0
	s_mov_b64 s[4:5], -1
	s_cselect_b64 s[14:15], -1, 0
.LBB116_50:
	s_andn2_b64 vcc, exec, s[14:15]
	s_cbranch_vccz .LBB116_59
; %bb.51:
	s_andn2_b64 vcc, exec, s[4:5]
	s_cbranch_vccnz .LBB116_53
.LBB116_52:
	v_cmp_le_f16_e32 vcc, s10, v4
	s_andn2_b64 s[4:5], s[6:7], exec
	s_and_b64 s[6:7], vcc, exec
	s_or_b64 s[6:7], s[4:5], s[6:7]
.LBB116_53:
	v_cndmask_b32_e64 v4, 0, 1, s[6:7]
	v_lshl_or_b32 v3, v4, 16, v3
.LBB116_54:
	s_or_b64 exec, exec, s[2:3]
	v_or_b32_e32 v4, 0x300, v0
	v_cmp_gt_i32_e32 vcc, s8, v4
	s_and_saveexec_b64 s[2:3], vcc
	s_cbranch_execz .LBB116_69
; %bb.55:
	s_cmp_lt_i32 s9, 1
	s_mov_b64 s[4:5], 0
	s_cbranch_scc1 .LBB116_60
; %bb.56:
	s_cmp_gt_i32 s9, 1
	s_cbranch_scc0 .LBB116_61
; %bb.57:
	s_cmp_eq_u32 s9, 2
	s_cbranch_scc0 .LBB116_81
; %bb.58:
	v_cmp_ge_f16_e64 s[6:7], s10, v2
	s_mov_b64 s[14:15], 0
	s_branch .LBB116_63
.LBB116_59:
	v_cmp_gt_f16_e32 vcc, s10, v4
	s_andn2_b64 s[6:7], s[6:7], exec
	s_and_b64 s[14:15], vcc, exec
	s_or_b64 s[6:7], s[6:7], s[14:15]
	s_cbranch_execz .LBB116_52
	s_branch .LBB116_53
.LBB116_60:
                                        ; implicit-def: $sgpr6_sgpr7
	s_mov_b64 s[14:15], 0
	s_cbranch_execnz .LBB116_64
	s_branch .LBB116_65
.LBB116_61:
	s_mov_b64 s[14:15], 0
                                        ; implicit-def: $sgpr6_sgpr7
	s_cbranch_execz .LBB116_63
; %bb.62:
	v_cmp_lt_f16_e32 vcc, s10, v2
	s_andn2_b64 s[6:7], s[6:7], exec
	s_and_b64 s[16:17], vcc, exec
	s_or_b64 s[6:7], s[6:7], s[16:17]
.LBB116_63:
	s_branch .LBB116_65
.LBB116_64:
	s_cmp_lg_u32 s9, 0
	s_mov_b64 s[4:5], -1
	s_cselect_b64 s[14:15], -1, 0
.LBB116_65:
	s_andn2_b64 vcc, exec, s[14:15]
	s_cbranch_vccz .LBB116_78
; %bb.66:
	s_andn2_b64 vcc, exec, s[4:5]
	s_cbranch_vccnz .LBB116_68
.LBB116_67:
	v_cmp_le_f16_e32 vcc, s10, v2
	s_andn2_b64 s[4:5], s[6:7], exec
	s_and_b64 s[6:7], vcc, exec
	s_or_b64 s[6:7], s[4:5], s[6:7]
.LBB116_68:
	v_cndmask_b32_e64 v2, 0, 1, s[6:7]
	v_lshlrev_b16_e32 v2, 8, v2
	v_or_b32_sdwa v2, v3, v2 dst_sel:WORD_1 dst_unused:UNUSED_PAD src0_sel:WORD_1 src1_sel:DWORD
	s_mov_b32 s4, 0xffff
	v_and_or_b32 v3, v3, s4, v2
.LBB116_69:
	s_or_b64 exec, exec, s[2:3]
	s_and_saveexec_b64 s[2:3], s[0:1]
	s_xor_b64 s[0:1], exec, s[2:3]
	s_cbranch_execz .LBB116_71
; %bb.70:
	v_mov_b32_e32 v0, v5
	global_store_byte v1, v3, s[12:13]
.LBB116_71:
	s_or_b64 exec, exec, s[0:1]
	v_cmp_gt_i32_e32 vcc, s8, v0
	s_and_saveexec_b64 s[0:1], vcc
	s_cbranch_execnz .LBB116_75
; %bb.72:
	s_or_b64 exec, exec, s[0:1]
	v_cmp_gt_i32_e32 vcc, s8, v0
	s_and_saveexec_b64 s[0:1], vcc
	s_cbranch_execnz .LBB116_76
.LBB116_73:
	s_or_b64 exec, exec, s[0:1]
	v_cmp_gt_i32_e32 vcc, s8, v0
	s_and_saveexec_b64 s[0:1], vcc
	s_cbranch_execnz .LBB116_77
.LBB116_74:
	s_endpgm
.LBB116_75:
	v_add_u32_e32 v1, 0x100, v0
	v_add_u32_e32 v0, s11, v0
	v_lshrrev_b32_e32 v2, 8, v3
	global_store_byte v0, v2, s[12:13]
	v_mov_b32_e32 v0, v1
	s_or_b64 exec, exec, s[0:1]
	v_cmp_gt_i32_e32 vcc, s8, v0
	s_and_saveexec_b64 s[0:1], vcc
	s_cbranch_execz .LBB116_73
.LBB116_76:
	v_add_u32_e32 v1, 0x100, v0
	v_add_u32_e32 v0, s11, v0
	global_store_byte_d16_hi v0, v3, s[12:13]
	v_mov_b32_e32 v0, v1
	s_or_b64 exec, exec, s[0:1]
	v_cmp_gt_i32_e32 vcc, s8, v0
	s_and_saveexec_b64 s[0:1], vcc
	s_cbranch_execz .LBB116_74
.LBB116_77:
	v_add_u32_e32 v0, s11, v0
	v_lshrrev_b32_e32 v1, 24, v3
	global_store_byte v0, v1, s[12:13]
	s_endpgm
.LBB116_78:
	v_cmp_gt_f16_e32 vcc, s10, v2
	s_andn2_b64 s[6:7], s[6:7], exec
	s_and_b64 s[14:15], vcc, exec
	s_or_b64 s[6:7], s[6:7], s[14:15]
	s_cbranch_execz .LBB116_67
	s_branch .LBB116_68
.LBB116_79:
	s_mov_b64 s[14:15], -1
                                        ; implicit-def: $sgpr6_sgpr7
	s_branch .LBB116_33
.LBB116_80:
	s_mov_b64 s[14:15], -1
                                        ; implicit-def: $sgpr6_sgpr7
	s_branch .LBB116_48
.LBB116_81:
	s_mov_b64 s[14:15], -1
                                        ; implicit-def: $sgpr6_sgpr7
	s_branch .LBB116_63
	.section	.rodata,"a",@progbits
	.p2align	6, 0x0
	.amdhsa_kernel _ZN2at6native27unrolled_elementwise_kernelIZNS0_21compare_scalar_kernelIN3c104HalfEEEvRNS_18TensorIteratorBaseENS0_12_GLOBAL__N_16OpTypeET_EUlS4_E_St5arrayIPcLm2EELi4E23TrivialOffsetCalculatorILi1EjESF_NS0_6memory15LoadWithoutCastENSG_16StoreWithoutCastEEEviS9_T0_T2_T3_T4_T5_
		.amdhsa_group_segment_fixed_size 0
		.amdhsa_private_segment_fixed_size 0
		.amdhsa_kernarg_size 36
		.amdhsa_user_sgpr_count 6
		.amdhsa_user_sgpr_private_segment_buffer 1
		.amdhsa_user_sgpr_dispatch_ptr 0
		.amdhsa_user_sgpr_queue_ptr 0
		.amdhsa_user_sgpr_kernarg_segment_ptr 1
		.amdhsa_user_sgpr_dispatch_id 0
		.amdhsa_user_sgpr_flat_scratch_init 0
		.amdhsa_user_sgpr_private_segment_size 0
		.amdhsa_uses_dynamic_stack 0
		.amdhsa_system_sgpr_private_segment_wavefront_offset 0
		.amdhsa_system_sgpr_workgroup_id_x 1
		.amdhsa_system_sgpr_workgroup_id_y 0
		.amdhsa_system_sgpr_workgroup_id_z 0
		.amdhsa_system_sgpr_workgroup_info 0
		.amdhsa_system_vgpr_workitem_id 0
		.amdhsa_next_free_vgpr 9
		.amdhsa_next_free_sgpr 18
		.amdhsa_reserve_vcc 1
		.amdhsa_reserve_flat_scratch 0
		.amdhsa_float_round_mode_32 0
		.amdhsa_float_round_mode_16_64 0
		.amdhsa_float_denorm_mode_32 3
		.amdhsa_float_denorm_mode_16_64 3
		.amdhsa_dx10_clamp 1
		.amdhsa_ieee_mode 1
		.amdhsa_fp16_overflow 0
		.amdhsa_exception_fp_ieee_invalid_op 0
		.amdhsa_exception_fp_denorm_src 0
		.amdhsa_exception_fp_ieee_div_zero 0
		.amdhsa_exception_fp_ieee_overflow 0
		.amdhsa_exception_fp_ieee_underflow 0
		.amdhsa_exception_fp_ieee_inexact 0
		.amdhsa_exception_int_div_zero 0
	.end_amdhsa_kernel
	.section	.text._ZN2at6native27unrolled_elementwise_kernelIZNS0_21compare_scalar_kernelIN3c104HalfEEEvRNS_18TensorIteratorBaseENS0_12_GLOBAL__N_16OpTypeET_EUlS4_E_St5arrayIPcLm2EELi4E23TrivialOffsetCalculatorILi1EjESF_NS0_6memory15LoadWithoutCastENSG_16StoreWithoutCastEEEviS9_T0_T2_T3_T4_T5_,"axG",@progbits,_ZN2at6native27unrolled_elementwise_kernelIZNS0_21compare_scalar_kernelIN3c104HalfEEEvRNS_18TensorIteratorBaseENS0_12_GLOBAL__N_16OpTypeET_EUlS4_E_St5arrayIPcLm2EELi4E23TrivialOffsetCalculatorILi1EjESF_NS0_6memory15LoadWithoutCastENSG_16StoreWithoutCastEEEviS9_T0_T2_T3_T4_T5_,comdat
.Lfunc_end116:
	.size	_ZN2at6native27unrolled_elementwise_kernelIZNS0_21compare_scalar_kernelIN3c104HalfEEEvRNS_18TensorIteratorBaseENS0_12_GLOBAL__N_16OpTypeET_EUlS4_E_St5arrayIPcLm2EELi4E23TrivialOffsetCalculatorILi1EjESF_NS0_6memory15LoadWithoutCastENSG_16StoreWithoutCastEEEviS9_T0_T2_T3_T4_T5_, .Lfunc_end116-_ZN2at6native27unrolled_elementwise_kernelIZNS0_21compare_scalar_kernelIN3c104HalfEEEvRNS_18TensorIteratorBaseENS0_12_GLOBAL__N_16OpTypeET_EUlS4_E_St5arrayIPcLm2EELi4E23TrivialOffsetCalculatorILi1EjESF_NS0_6memory15LoadWithoutCastENSG_16StoreWithoutCastEEEviS9_T0_T2_T3_T4_T5_
                                        ; -- End function
	.set _ZN2at6native27unrolled_elementwise_kernelIZNS0_21compare_scalar_kernelIN3c104HalfEEEvRNS_18TensorIteratorBaseENS0_12_GLOBAL__N_16OpTypeET_EUlS4_E_St5arrayIPcLm2EELi4E23TrivialOffsetCalculatorILi1EjESF_NS0_6memory15LoadWithoutCastENSG_16StoreWithoutCastEEEviS9_T0_T2_T3_T4_T5_.num_vgpr, 9
	.set _ZN2at6native27unrolled_elementwise_kernelIZNS0_21compare_scalar_kernelIN3c104HalfEEEvRNS_18TensorIteratorBaseENS0_12_GLOBAL__N_16OpTypeET_EUlS4_E_St5arrayIPcLm2EELi4E23TrivialOffsetCalculatorILi1EjESF_NS0_6memory15LoadWithoutCastENSG_16StoreWithoutCastEEEviS9_T0_T2_T3_T4_T5_.num_agpr, 0
	.set _ZN2at6native27unrolled_elementwise_kernelIZNS0_21compare_scalar_kernelIN3c104HalfEEEvRNS_18TensorIteratorBaseENS0_12_GLOBAL__N_16OpTypeET_EUlS4_E_St5arrayIPcLm2EELi4E23TrivialOffsetCalculatorILi1EjESF_NS0_6memory15LoadWithoutCastENSG_16StoreWithoutCastEEEviS9_T0_T2_T3_T4_T5_.numbered_sgpr, 18
	.set _ZN2at6native27unrolled_elementwise_kernelIZNS0_21compare_scalar_kernelIN3c104HalfEEEvRNS_18TensorIteratorBaseENS0_12_GLOBAL__N_16OpTypeET_EUlS4_E_St5arrayIPcLm2EELi4E23TrivialOffsetCalculatorILi1EjESF_NS0_6memory15LoadWithoutCastENSG_16StoreWithoutCastEEEviS9_T0_T2_T3_T4_T5_.num_named_barrier, 0
	.set _ZN2at6native27unrolled_elementwise_kernelIZNS0_21compare_scalar_kernelIN3c104HalfEEEvRNS_18TensorIteratorBaseENS0_12_GLOBAL__N_16OpTypeET_EUlS4_E_St5arrayIPcLm2EELi4E23TrivialOffsetCalculatorILi1EjESF_NS0_6memory15LoadWithoutCastENSG_16StoreWithoutCastEEEviS9_T0_T2_T3_T4_T5_.private_seg_size, 0
	.set _ZN2at6native27unrolled_elementwise_kernelIZNS0_21compare_scalar_kernelIN3c104HalfEEEvRNS_18TensorIteratorBaseENS0_12_GLOBAL__N_16OpTypeET_EUlS4_E_St5arrayIPcLm2EELi4E23TrivialOffsetCalculatorILi1EjESF_NS0_6memory15LoadWithoutCastENSG_16StoreWithoutCastEEEviS9_T0_T2_T3_T4_T5_.uses_vcc, 1
	.set _ZN2at6native27unrolled_elementwise_kernelIZNS0_21compare_scalar_kernelIN3c104HalfEEEvRNS_18TensorIteratorBaseENS0_12_GLOBAL__N_16OpTypeET_EUlS4_E_St5arrayIPcLm2EELi4E23TrivialOffsetCalculatorILi1EjESF_NS0_6memory15LoadWithoutCastENSG_16StoreWithoutCastEEEviS9_T0_T2_T3_T4_T5_.uses_flat_scratch, 0
	.set _ZN2at6native27unrolled_elementwise_kernelIZNS0_21compare_scalar_kernelIN3c104HalfEEEvRNS_18TensorIteratorBaseENS0_12_GLOBAL__N_16OpTypeET_EUlS4_E_St5arrayIPcLm2EELi4E23TrivialOffsetCalculatorILi1EjESF_NS0_6memory15LoadWithoutCastENSG_16StoreWithoutCastEEEviS9_T0_T2_T3_T4_T5_.has_dyn_sized_stack, 0
	.set _ZN2at6native27unrolled_elementwise_kernelIZNS0_21compare_scalar_kernelIN3c104HalfEEEvRNS_18TensorIteratorBaseENS0_12_GLOBAL__N_16OpTypeET_EUlS4_E_St5arrayIPcLm2EELi4E23TrivialOffsetCalculatorILi1EjESF_NS0_6memory15LoadWithoutCastENSG_16StoreWithoutCastEEEviS9_T0_T2_T3_T4_T5_.has_recursion, 0
	.set _ZN2at6native27unrolled_elementwise_kernelIZNS0_21compare_scalar_kernelIN3c104HalfEEEvRNS_18TensorIteratorBaseENS0_12_GLOBAL__N_16OpTypeET_EUlS4_E_St5arrayIPcLm2EELi4E23TrivialOffsetCalculatorILi1EjESF_NS0_6memory15LoadWithoutCastENSG_16StoreWithoutCastEEEviS9_T0_T2_T3_T4_T5_.has_indirect_call, 0
	.section	.AMDGPU.csdata,"",@progbits
; Kernel info:
; codeLenInByte = 1328
; TotalNumSgprs: 22
; NumVgprs: 9
; ScratchSize: 0
; MemoryBound: 0
; FloatMode: 240
; IeeeMode: 1
; LDSByteSize: 0 bytes/workgroup (compile time only)
; SGPRBlocks: 2
; VGPRBlocks: 2
; NumSGPRsForWavesPerEU: 22
; NumVGPRsForWavesPerEU: 9
; Occupancy: 10
; WaveLimiterHint : 0
; COMPUTE_PGM_RSRC2:SCRATCH_EN: 0
; COMPUTE_PGM_RSRC2:USER_SGPR: 6
; COMPUTE_PGM_RSRC2:TRAP_HANDLER: 0
; COMPUTE_PGM_RSRC2:TGID_X_EN: 1
; COMPUTE_PGM_RSRC2:TGID_Y_EN: 0
; COMPUTE_PGM_RSRC2:TGID_Z_EN: 0
; COMPUTE_PGM_RSRC2:TIDIG_COMP_CNT: 0
	.section	.text._ZN2at6native32elementwise_kernel_manual_unrollILi128ELi8EZNS0_22gpu_kernel_impl_nocastIZNS0_21compare_scalar_kernelIN3c104HalfEEEvRNS_18TensorIteratorBaseENS0_12_GLOBAL__N_16OpTypeET_EUlS5_E_EEvS7_RKSA_EUlibE_EEviT1_,"axG",@progbits,_ZN2at6native32elementwise_kernel_manual_unrollILi128ELi8EZNS0_22gpu_kernel_impl_nocastIZNS0_21compare_scalar_kernelIN3c104HalfEEEvRNS_18TensorIteratorBaseENS0_12_GLOBAL__N_16OpTypeET_EUlS5_E_EEvS7_RKSA_EUlibE_EEviT1_,comdat
	.globl	_ZN2at6native32elementwise_kernel_manual_unrollILi128ELi8EZNS0_22gpu_kernel_impl_nocastIZNS0_21compare_scalar_kernelIN3c104HalfEEEvRNS_18TensorIteratorBaseENS0_12_GLOBAL__N_16OpTypeET_EUlS5_E_EEvS7_RKSA_EUlibE_EEviT1_ ; -- Begin function _ZN2at6native32elementwise_kernel_manual_unrollILi128ELi8EZNS0_22gpu_kernel_impl_nocastIZNS0_21compare_scalar_kernelIN3c104HalfEEEvRNS_18TensorIteratorBaseENS0_12_GLOBAL__N_16OpTypeET_EUlS5_E_EEvS7_RKSA_EUlibE_EEviT1_
	.p2align	8
	.type	_ZN2at6native32elementwise_kernel_manual_unrollILi128ELi8EZNS0_22gpu_kernel_impl_nocastIZNS0_21compare_scalar_kernelIN3c104HalfEEEvRNS_18TensorIteratorBaseENS0_12_GLOBAL__N_16OpTypeET_EUlS5_E_EEvS7_RKSA_EUlibE_EEviT1_,@function
_ZN2at6native32elementwise_kernel_manual_unrollILi128ELi8EZNS0_22gpu_kernel_impl_nocastIZNS0_21compare_scalar_kernelIN3c104HalfEEEvRNS_18TensorIteratorBaseENS0_12_GLOBAL__N_16OpTypeET_EUlS5_E_EEvS7_RKSA_EUlibE_EEviT1_: ; @_ZN2at6native32elementwise_kernel_manual_unrollILi128ELi8EZNS0_22gpu_kernel_impl_nocastIZNS0_21compare_scalar_kernelIN3c104HalfEEEvRNS_18TensorIteratorBaseENS0_12_GLOBAL__N_16OpTypeET_EUlS5_E_EEvS7_RKSA_EUlibE_EEviT1_
; %bb.0:
	s_load_dword s57, s[4:5], 0x0
	s_load_dword s33, s[4:5], 0x8
	s_add_u32 s34, s4, 8
	s_addc_u32 s35, s5, 0
	v_lshl_or_b32 v15, s6, 10, v0
	v_or_b32_e32 v22, 0x380, v15
	s_waitcnt lgkmcnt(0)
	s_add_i32 s56, s33, -1
	s_cmp_gt_u32 s56, 1
	v_cmp_le_i32_e32 vcc, s57, v22
	s_cselect_b64 s[36:37], -1, 0
	s_and_saveexec_b64 s[0:1], vcc
	s_xor_b64 s[38:39], exec, s[0:1]
	s_cbranch_execz .LBB117_235
; %bb.1:
	s_load_dwordx4 s[24:27], s[34:35], 0x4
	s_load_dwordx2 s[42:43], s[34:35], 0x14
	s_load_dwordx4 s[20:23], s[34:35], 0xc4
	s_load_dwordx4 s[16:19], s[34:35], 0x148
	s_load_dwordx2 s[40:41], s[34:35], 0x158
	s_cmp_lg_u32 s33, 0
	s_cselect_b64 s[48:49], -1, 0
	s_add_u32 s46, s34, 0xc4
	s_addc_u32 s47, s35, 0
	s_min_u32 s58, s56, 15
	s_cmp_gt_u32 s33, 1
	s_cselect_b64 s[44:45], -1, 0
	v_cmp_gt_i32_e32 vcc, s57, v15
	s_and_saveexec_b64 s[50:51], vcc
	s_cbranch_execnz .LBB117_9
; %bb.2:
	s_or_b64 exec, exec, s[50:51]
	v_cmp_gt_i32_e32 vcc, s57, v15
	s_and_saveexec_b64 s[50:51], vcc
	s_cbranch_execnz .LBB117_38
.LBB117_3:
	s_or_b64 exec, exec, s[50:51]
	v_cmp_gt_i32_e32 vcc, s57, v15
	s_and_saveexec_b64 s[50:51], vcc
	s_cbranch_execnz .LBB117_66
.LBB117_4:
	s_or_b64 exec, exec, s[50:51]
	v_cmp_gt_i32_e32 vcc, s57, v15
	s_and_saveexec_b64 s[50:51], vcc
	s_cbranch_execnz .LBB117_94
.LBB117_5:
	s_or_b64 exec, exec, s[50:51]
	v_cmp_gt_i32_e32 vcc, s57, v15
	s_and_saveexec_b64 s[50:51], vcc
	s_cbranch_execnz .LBB117_122
.LBB117_6:
	s_or_b64 exec, exec, s[50:51]
	v_cmp_gt_i32_e32 vcc, s57, v15
	s_and_saveexec_b64 s[50:51], vcc
	s_cbranch_execnz .LBB117_150
.LBB117_7:
	s_or_b64 exec, exec, s[50:51]
	v_cmp_gt_i32_e32 vcc, s57, v15
	s_and_saveexec_b64 s[50:51], vcc
	s_cbranch_execnz .LBB117_178
.LBB117_8:
	s_or_b64 exec, exec, s[50:51]
	v_cmp_gt_i32_e32 vcc, s57, v15
	s_and_saveexec_b64 s[50:51], vcc
	s_cbranch_execnz .LBB117_206
	s_branch .LBB117_234
.LBB117_9:
	s_andn2_b64 vcc, exec, s[36:37]
	s_cbranch_vccnz .LBB117_14
; %bb.10:
	s_andn2_b64 vcc, exec, s[48:49]
	s_cbranch_vccnz .LBB117_15
; %bb.11:
	s_add_i32 s60, s58, 1
	s_cmp_eq_u32 s56, 2
	s_cbranch_scc1 .LBB117_16
; %bb.12:
	s_and_b32 s59, s60, 28
	v_mov_b32_e32 v2, 0
	s_mov_b32 s61, 0
	s_mov_b64 s[52:53], s[34:35]
	s_mov_b64 s[54:55], s[46:47]
	v_mov_b32_e32 v0, 0
	v_mov_b32_e32 v1, v15
.LBB117_13:                             ; =>This Inner Loop Header: Depth=1
	s_load_dwordx8 s[8:15], s[52:53], 0x4
	s_load_dwordx4 s[28:31], s[52:53], 0x24
	s_load_dwordx8 s[0:7], s[54:55], 0x0
	s_add_u32 s52, s52, 48
	s_addc_u32 s53, s53, 0
	s_waitcnt lgkmcnt(0)
	v_mul_hi_u32 v3, s9, v1
	s_add_i32 s61, s61, 4
	s_add_u32 s54, s54, 32
	s_addc_u32 s55, s55, 0
	v_add_u32_e32 v3, v1, v3
	v_lshrrev_b32_e32 v3, s10, v3
	v_mul_lo_u32 v4, v3, s8
	v_mul_hi_u32 v5, s12, v3
	s_cmp_lg_u32 s59, s61
	v_sub_u32_e32 v1, v1, v4
	v_add_u32_e32 v4, v3, v5
	v_mul_lo_u32 v5, v1, s0
	v_mul_lo_u32 v6, v1, s1
	v_lshrrev_b32_e32 v1, s13, v4
	v_mul_lo_u32 v4, v1, s11
	v_mul_hi_u32 v7, s15, v1
	v_sub_u32_e32 v3, v3, v4
	v_add_u32_e32 v4, v1, v7
	v_lshrrev_b32_e32 v4, s28, v4
	v_mul_hi_u32 v8, s30, v4
	v_mul_lo_u32 v9, v4, s14
	v_mul_lo_u32 v7, v3, s2
	;; [unrolled: 1-line block ×3, first 2 shown]
	v_sub_u32_e32 v9, v1, v9
	v_add_u32_e32 v1, v4, v8
	v_lshrrev_b32_e32 v1, s31, v1
	v_mul_lo_u32 v8, v1, s29
	v_mul_lo_u32 v10, v9, s4
	;; [unrolled: 1-line block ×3, first 2 shown]
	v_add3_u32 v0, v5, v0, v7
	v_sub_u32_e32 v4, v4, v8
	v_mul_lo_u32 v8, v4, s6
	v_mul_lo_u32 v4, v4, s7
	v_add3_u32 v2, v6, v2, v3
	v_add3_u32 v0, v10, v0, v8
	;; [unrolled: 1-line block ×3, first 2 shown]
	s_cbranch_scc1 .LBB117_13
	s_branch .LBB117_17
.LBB117_14:
                                        ; implicit-def: $vgpr0
                                        ; implicit-def: $vgpr2
	s_branch .LBB117_21
.LBB117_15:
	v_mov_b32_e32 v0, 0
	v_mov_b32_e32 v2, 0
	s_branch .LBB117_20
.LBB117_16:
	s_mov_b32 s59, 0
	v_mov_b32_e32 v0, 0
	v_mov_b32_e32 v2, 0
	;; [unrolled: 1-line block ×3, first 2 shown]
.LBB117_17:
	s_and_b32 s4, s60, 3
	s_cmp_eq_u32 s4, 0
	s_cbranch_scc1 .LBB117_20
; %bb.18:
	s_lshl_b32 s0, s59, 3
	s_add_u32 s0, s34, s0
	s_addc_u32 s1, s35, 0
	s_add_u32 s0, s0, 0xc4
	s_addc_u32 s1, s1, 0
	s_mul_i32 s2, s59, 12
	s_add_u32 s2, s34, s2
	s_addc_u32 s3, s35, 0
.LBB117_19:                             ; =>This Inner Loop Header: Depth=1
	s_load_dwordx2 s[6:7], s[2:3], 0x4
	s_load_dword s5, s[2:3], 0xc
	s_load_dwordx2 s[8:9], s[0:1], 0x0
	s_add_u32 s2, s2, 12
	s_addc_u32 s3, s3, 0
	s_waitcnt lgkmcnt(0)
	v_mul_hi_u32 v3, s7, v1
	s_add_u32 s0, s0, 8
	s_addc_u32 s1, s1, 0
	s_add_i32 s4, s4, -1
	v_add_u32_e32 v3, v1, v3
	v_lshrrev_b32_e32 v4, s5, v3
	v_mul_lo_u32 v3, v4, s6
	s_cmp_lg_u32 s4, 0
	v_sub_u32_e32 v3, v1, v3
	v_mad_u64_u32 v[0:1], s[6:7], v3, s8, v[0:1]
	v_mad_u64_u32 v[2:3], s[6:7], v3, s9, v[2:3]
	v_mov_b32_e32 v1, v4
	s_cbranch_scc1 .LBB117_19
.LBB117_20:
	s_cbranch_execnz .LBB117_23
.LBB117_21:
	s_waitcnt lgkmcnt(0)
	v_mul_hi_u32 v0, s25, v15
	s_andn2_b64 vcc, exec, s[44:45]
	v_add_u32_e32 v0, v15, v0
	v_lshrrev_b32_e32 v1, s26, v0
	v_mul_lo_u32 v0, v1, s24
	v_sub_u32_e32 v2, v15, v0
	v_mul_lo_u32 v0, v2, s20
	v_mul_lo_u32 v2, v2, s21
	s_cbranch_vccnz .LBB117_23
; %bb.22:
	v_mul_hi_u32 v3, s42, v1
	v_add_u32_e32 v3, v1, v3
	v_lshrrev_b32_e32 v3, s43, v3
	v_mul_lo_u32 v3, v3, s27
	v_sub_u32_e32 v3, v1, v3
	v_mad_u64_u32 v[0:1], s[0:1], v3, s22, v[0:1]
	v_mad_u64_u32 v[2:3], s[0:1], v3, s23, v[2:3]
.LBB117_23:
	s_waitcnt lgkmcnt(0)
	global_load_ushort v1, v2, s[18:19]
	s_cmp_lt_i32 s40, 1
	s_mov_b64 s[0:1], 0
	s_cbranch_scc1 .LBB117_27
; %bb.24:
	s_cmp_gt_i32 s40, 1
	s_cbranch_scc0 .LBB117_28
; %bb.25:
	s_cmp_eq_u32 s40, 2
	s_cbranch_scc0 .LBB117_29
; %bb.26:
	s_waitcnt vmcnt(0)
	v_cmp_ge_f16_e64 s[2:3], s41, v1
	s_mov_b64 s[4:5], 0
	s_branch .LBB117_30
.LBB117_27:
                                        ; implicit-def: $sgpr2_sgpr3
	s_mov_b64 s[4:5], 0
	s_cbranch_execnz .LBB117_33
	s_branch .LBB117_34
.LBB117_28:
	s_mov_b64 s[4:5], 0
                                        ; implicit-def: $sgpr2_sgpr3
	s_cbranch_execnz .LBB117_31
	s_branch .LBB117_32
.LBB117_29:
	s_mov_b64 s[4:5], -1
                                        ; implicit-def: $sgpr2_sgpr3
.LBB117_30:
	s_branch .LBB117_32
.LBB117_31:
	s_waitcnt vmcnt(0)
	v_cmp_lt_f16_e32 vcc, s41, v1
	s_andn2_b64 s[2:3], s[2:3], exec
	s_and_b64 s[6:7], vcc, exec
	s_or_b64 s[2:3], s[2:3], s[6:7]
.LBB117_32:
	s_branch .LBB117_34
.LBB117_33:
	s_cmp_lg_u32 s40, 0
	s_mov_b64 s[0:1], -1
	s_cselect_b64 s[4:5], -1, 0
.LBB117_34:
	s_andn2_b64 vcc, exec, s[4:5]
	s_cbranch_vccz .LBB117_43
; %bb.35:
	s_andn2_b64 vcc, exec, s[0:1]
	s_cbranch_vccnz .LBB117_37
.LBB117_36:
	s_waitcnt vmcnt(0)
	v_cmp_le_f16_e32 vcc, s41, v1
	s_andn2_b64 s[0:1], s[2:3], exec
	s_and_b64 s[2:3], vcc, exec
	s_or_b64 s[2:3], s[0:1], s[2:3]
.LBB117_37:
	s_waitcnt vmcnt(0)
	v_cndmask_b32_e64 v1, 0, 1, s[2:3]
	v_add_u32_e32 v15, 0x80, v15
	global_store_byte v0, v1, s[16:17]
	s_or_b64 exec, exec, s[50:51]
	v_cmp_gt_i32_e32 vcc, s57, v15
	s_and_saveexec_b64 s[50:51], vcc
	s_cbranch_execz .LBB117_3
.LBB117_38:
	s_andn2_b64 vcc, exec, s[36:37]
	s_cbranch_vccnz .LBB117_44
; %bb.39:
	s_andn2_b64 vcc, exec, s[48:49]
	s_cbranch_vccnz .LBB117_45
; %bb.40:
	s_add_i32 s60, s58, 1
	s_cmp_eq_u32 s56, 2
	s_cbranch_scc1 .LBB117_46
; %bb.41:
	s_and_b32 s59, s60, 28
	v_mov_b32_e32 v2, 0
	s_mov_b32 s61, 0
	s_mov_b64 s[52:53], s[34:35]
	s_mov_b64 s[54:55], s[46:47]
	v_mov_b32_e32 v0, 0
	v_mov_b32_e32 v1, v15
.LBB117_42:                             ; =>This Inner Loop Header: Depth=1
	s_load_dwordx8 s[8:15], s[52:53], 0x4
	s_load_dwordx4 s[28:31], s[52:53], 0x24
	s_load_dwordx8 s[0:7], s[54:55], 0x0
	s_add_u32 s52, s52, 48
	s_addc_u32 s53, s53, 0
	s_waitcnt lgkmcnt(0)
	v_mul_hi_u32 v3, s9, v1
	s_add_i32 s61, s61, 4
	s_add_u32 s54, s54, 32
	s_addc_u32 s55, s55, 0
	v_add_u32_e32 v3, v1, v3
	v_lshrrev_b32_e32 v3, s10, v3
	v_mul_lo_u32 v4, v3, s8
	v_mul_hi_u32 v5, s12, v3
	s_cmp_eq_u32 s59, s61
	v_sub_u32_e32 v1, v1, v4
	v_add_u32_e32 v4, v3, v5
	v_mul_lo_u32 v5, v1, s0
	v_mul_lo_u32 v6, v1, s1
	v_lshrrev_b32_e32 v1, s13, v4
	v_mul_lo_u32 v4, v1, s11
	v_mul_hi_u32 v7, s15, v1
	v_sub_u32_e32 v3, v3, v4
	v_add_u32_e32 v4, v1, v7
	v_lshrrev_b32_e32 v4, s28, v4
	v_mul_hi_u32 v8, s30, v4
	v_mul_lo_u32 v9, v4, s14
	v_mul_lo_u32 v7, v3, s2
	;; [unrolled: 1-line block ×3, first 2 shown]
	v_sub_u32_e32 v9, v1, v9
	v_add_u32_e32 v1, v4, v8
	v_lshrrev_b32_e32 v1, s31, v1
	v_mul_lo_u32 v8, v1, s29
	v_mul_lo_u32 v10, v9, s4
	;; [unrolled: 1-line block ×3, first 2 shown]
	v_add3_u32 v0, v5, v0, v7
	v_sub_u32_e32 v4, v4, v8
	v_mul_lo_u32 v8, v4, s6
	v_mul_lo_u32 v4, v4, s7
	v_add3_u32 v2, v6, v2, v3
	v_add3_u32 v0, v10, v0, v8
	;; [unrolled: 1-line block ×3, first 2 shown]
	s_cbranch_scc0 .LBB117_42
	s_branch .LBB117_47
.LBB117_43:
	s_waitcnt vmcnt(0)
	v_cmp_gt_f16_e32 vcc, s41, v1
	s_andn2_b64 s[2:3], s[2:3], exec
	s_and_b64 s[4:5], vcc, exec
	s_or_b64 s[2:3], s[2:3], s[4:5]
	s_cbranch_execz .LBB117_36
	s_branch .LBB117_37
.LBB117_44:
                                        ; implicit-def: $vgpr0
                                        ; implicit-def: $vgpr2
	s_branch .LBB117_51
.LBB117_45:
	v_mov_b32_e32 v0, 0
	v_mov_b32_e32 v2, 0
	s_branch .LBB117_50
.LBB117_46:
	s_mov_b32 s59, 0
	v_mov_b32_e32 v0, 0
	v_mov_b32_e32 v2, 0
	;; [unrolled: 1-line block ×3, first 2 shown]
.LBB117_47:
	s_and_b32 s4, s60, 3
	s_cmp_eq_u32 s4, 0
	s_cbranch_scc1 .LBB117_50
; %bb.48:
	s_lshl_b32 s0, s59, 3
	s_add_u32 s0, s34, s0
	s_addc_u32 s1, s35, 0
	s_add_u32 s0, s0, 0xc4
	s_addc_u32 s1, s1, 0
	s_mul_i32 s2, s59, 12
	s_add_u32 s2, s34, s2
	s_addc_u32 s3, s35, 0
.LBB117_49:                             ; =>This Inner Loop Header: Depth=1
	s_load_dwordx2 s[6:7], s[2:3], 0x4
	s_load_dword s5, s[2:3], 0xc
	s_load_dwordx2 s[8:9], s[0:1], 0x0
	s_add_u32 s2, s2, 12
	s_addc_u32 s3, s3, 0
	s_waitcnt lgkmcnt(0)
	v_mul_hi_u32 v3, s7, v1
	s_add_u32 s0, s0, 8
	s_addc_u32 s1, s1, 0
	s_add_i32 s4, s4, -1
	v_add_u32_e32 v3, v1, v3
	v_lshrrev_b32_e32 v4, s5, v3
	v_mul_lo_u32 v3, v4, s6
	s_cmp_lg_u32 s4, 0
	v_sub_u32_e32 v3, v1, v3
	v_mad_u64_u32 v[0:1], s[6:7], v3, s8, v[0:1]
	v_mad_u64_u32 v[2:3], s[6:7], v3, s9, v[2:3]
	v_mov_b32_e32 v1, v4
	s_cbranch_scc1 .LBB117_49
.LBB117_50:
	s_cbranch_execnz .LBB117_53
.LBB117_51:
	s_waitcnt lgkmcnt(0)
	v_mul_hi_u32 v0, s25, v15
	s_andn2_b64 vcc, exec, s[44:45]
	v_add_u32_e32 v0, v15, v0
	v_lshrrev_b32_e32 v1, s26, v0
	v_mul_lo_u32 v0, v1, s24
	v_sub_u32_e32 v2, v15, v0
	v_mul_lo_u32 v0, v2, s20
	v_mul_lo_u32 v2, v2, s21
	s_cbranch_vccnz .LBB117_53
; %bb.52:
	v_mul_hi_u32 v3, s42, v1
	v_add_u32_e32 v3, v1, v3
	v_lshrrev_b32_e32 v3, s43, v3
	v_mul_lo_u32 v3, v3, s27
	v_sub_u32_e32 v3, v1, v3
	v_mad_u64_u32 v[0:1], s[0:1], v3, s22, v[0:1]
	v_mad_u64_u32 v[2:3], s[0:1], v3, s23, v[2:3]
.LBB117_53:
	s_waitcnt lgkmcnt(0)
	global_load_ushort v1, v2, s[18:19]
	s_cmp_lt_i32 s40, 1
	s_mov_b64 s[0:1], 0
	s_cbranch_scc1 .LBB117_57
; %bb.54:
	s_cmp_gt_i32 s40, 1
	s_cbranch_scc0 .LBB117_58
; %bb.55:
	s_cmp_eq_u32 s40, 2
	s_cbranch_scc0 .LBB117_471
; %bb.56:
	s_waitcnt vmcnt(0)
	v_cmp_ge_f16_e64 s[2:3], s41, v1
	s_mov_b64 s[4:5], 0
	s_branch .LBB117_60
.LBB117_57:
                                        ; implicit-def: $sgpr2_sgpr3
	s_mov_b64 s[4:5], 0
	s_cbranch_execnz .LBB117_61
	s_branch .LBB117_62
.LBB117_58:
	s_mov_b64 s[4:5], 0
                                        ; implicit-def: $sgpr2_sgpr3
	s_cbranch_execz .LBB117_60
; %bb.59:
	s_waitcnt vmcnt(0)
	v_cmp_lt_f16_e32 vcc, s41, v1
	s_andn2_b64 s[2:3], s[2:3], exec
	s_and_b64 s[6:7], vcc, exec
	s_or_b64 s[2:3], s[2:3], s[6:7]
.LBB117_60:
	s_branch .LBB117_62
.LBB117_61:
	s_cmp_lg_u32 s40, 0
	s_mov_b64 s[0:1], -1
	s_cselect_b64 s[4:5], -1, 0
.LBB117_62:
	s_andn2_b64 vcc, exec, s[4:5]
	s_cbranch_vccz .LBB117_71
; %bb.63:
	s_andn2_b64 vcc, exec, s[0:1]
	s_cbranch_vccnz .LBB117_65
.LBB117_64:
	s_waitcnt vmcnt(0)
	v_cmp_le_f16_e32 vcc, s41, v1
	s_andn2_b64 s[0:1], s[2:3], exec
	s_and_b64 s[2:3], vcc, exec
	s_or_b64 s[2:3], s[0:1], s[2:3]
.LBB117_65:
	s_waitcnt vmcnt(0)
	v_cndmask_b32_e64 v1, 0, 1, s[2:3]
	v_add_u32_e32 v15, 0x80, v15
	global_store_byte v0, v1, s[16:17]
	s_or_b64 exec, exec, s[50:51]
	v_cmp_gt_i32_e32 vcc, s57, v15
	s_and_saveexec_b64 s[50:51], vcc
	s_cbranch_execz .LBB117_4
.LBB117_66:
	s_andn2_b64 vcc, exec, s[36:37]
	s_cbranch_vccnz .LBB117_72
; %bb.67:
	s_andn2_b64 vcc, exec, s[48:49]
	s_cbranch_vccnz .LBB117_73
; %bb.68:
	s_add_i32 s60, s58, 1
	s_cmp_eq_u32 s56, 2
	s_cbranch_scc1 .LBB117_74
; %bb.69:
	s_and_b32 s59, s60, 28
	v_mov_b32_e32 v2, 0
	s_mov_b32 s61, 0
	s_mov_b64 s[52:53], s[34:35]
	s_mov_b64 s[54:55], s[46:47]
	v_mov_b32_e32 v0, 0
	v_mov_b32_e32 v1, v15
.LBB117_70:                             ; =>This Inner Loop Header: Depth=1
	s_load_dwordx8 s[8:15], s[52:53], 0x4
	s_load_dwordx4 s[28:31], s[52:53], 0x24
	s_load_dwordx8 s[0:7], s[54:55], 0x0
	s_add_u32 s52, s52, 48
	s_addc_u32 s53, s53, 0
	s_waitcnt lgkmcnt(0)
	v_mul_hi_u32 v3, s9, v1
	s_add_i32 s61, s61, 4
	s_add_u32 s54, s54, 32
	s_addc_u32 s55, s55, 0
	v_add_u32_e32 v3, v1, v3
	v_lshrrev_b32_e32 v3, s10, v3
	v_mul_lo_u32 v4, v3, s8
	v_mul_hi_u32 v5, s12, v3
	s_cmp_eq_u32 s59, s61
	v_sub_u32_e32 v1, v1, v4
	v_add_u32_e32 v4, v3, v5
	v_mul_lo_u32 v5, v1, s0
	v_mul_lo_u32 v6, v1, s1
	v_lshrrev_b32_e32 v1, s13, v4
	v_mul_lo_u32 v4, v1, s11
	v_mul_hi_u32 v7, s15, v1
	v_sub_u32_e32 v3, v3, v4
	v_add_u32_e32 v4, v1, v7
	v_lshrrev_b32_e32 v4, s28, v4
	v_mul_hi_u32 v8, s30, v4
	v_mul_lo_u32 v9, v4, s14
	v_mul_lo_u32 v7, v3, s2
	;; [unrolled: 1-line block ×3, first 2 shown]
	v_sub_u32_e32 v9, v1, v9
	v_add_u32_e32 v1, v4, v8
	v_lshrrev_b32_e32 v1, s31, v1
	v_mul_lo_u32 v8, v1, s29
	v_mul_lo_u32 v10, v9, s4
	;; [unrolled: 1-line block ×3, first 2 shown]
	v_add3_u32 v0, v5, v0, v7
	v_sub_u32_e32 v4, v4, v8
	v_mul_lo_u32 v8, v4, s6
	v_mul_lo_u32 v4, v4, s7
	v_add3_u32 v2, v6, v2, v3
	v_add3_u32 v0, v10, v0, v8
	;; [unrolled: 1-line block ×3, first 2 shown]
	s_cbranch_scc0 .LBB117_70
	s_branch .LBB117_75
.LBB117_71:
	s_waitcnt vmcnt(0)
	v_cmp_gt_f16_e32 vcc, s41, v1
	s_andn2_b64 s[2:3], s[2:3], exec
	s_and_b64 s[4:5], vcc, exec
	s_or_b64 s[2:3], s[2:3], s[4:5]
	s_cbranch_execz .LBB117_64
	s_branch .LBB117_65
.LBB117_72:
                                        ; implicit-def: $vgpr0
                                        ; implicit-def: $vgpr2
	s_branch .LBB117_79
.LBB117_73:
	v_mov_b32_e32 v0, 0
	v_mov_b32_e32 v2, 0
	s_branch .LBB117_78
.LBB117_74:
	s_mov_b32 s59, 0
	v_mov_b32_e32 v0, 0
	v_mov_b32_e32 v2, 0
	;; [unrolled: 1-line block ×3, first 2 shown]
.LBB117_75:
	s_and_b32 s4, s60, 3
	s_cmp_eq_u32 s4, 0
	s_cbranch_scc1 .LBB117_78
; %bb.76:
	s_lshl_b32 s0, s59, 3
	s_add_u32 s0, s34, s0
	s_addc_u32 s1, s35, 0
	s_add_u32 s0, s0, 0xc4
	s_addc_u32 s1, s1, 0
	s_mul_i32 s2, s59, 12
	s_add_u32 s2, s34, s2
	s_addc_u32 s3, s35, 0
.LBB117_77:                             ; =>This Inner Loop Header: Depth=1
	s_load_dwordx2 s[6:7], s[2:3], 0x4
	s_load_dword s5, s[2:3], 0xc
	s_load_dwordx2 s[8:9], s[0:1], 0x0
	s_add_u32 s2, s2, 12
	s_addc_u32 s3, s3, 0
	s_waitcnt lgkmcnt(0)
	v_mul_hi_u32 v3, s7, v1
	s_add_u32 s0, s0, 8
	s_addc_u32 s1, s1, 0
	s_add_i32 s4, s4, -1
	v_add_u32_e32 v3, v1, v3
	v_lshrrev_b32_e32 v4, s5, v3
	v_mul_lo_u32 v3, v4, s6
	s_cmp_lg_u32 s4, 0
	v_sub_u32_e32 v3, v1, v3
	v_mad_u64_u32 v[0:1], s[6:7], v3, s8, v[0:1]
	v_mad_u64_u32 v[2:3], s[6:7], v3, s9, v[2:3]
	v_mov_b32_e32 v1, v4
	s_cbranch_scc1 .LBB117_77
.LBB117_78:
	s_cbranch_execnz .LBB117_81
.LBB117_79:
	s_waitcnt lgkmcnt(0)
	v_mul_hi_u32 v0, s25, v15
	s_andn2_b64 vcc, exec, s[44:45]
	v_add_u32_e32 v0, v15, v0
	v_lshrrev_b32_e32 v1, s26, v0
	v_mul_lo_u32 v0, v1, s24
	v_sub_u32_e32 v2, v15, v0
	v_mul_lo_u32 v0, v2, s20
	v_mul_lo_u32 v2, v2, s21
	s_cbranch_vccnz .LBB117_81
; %bb.80:
	v_mul_hi_u32 v3, s42, v1
	v_add_u32_e32 v3, v1, v3
	v_lshrrev_b32_e32 v3, s43, v3
	v_mul_lo_u32 v3, v3, s27
	v_sub_u32_e32 v3, v1, v3
	v_mad_u64_u32 v[0:1], s[0:1], v3, s22, v[0:1]
	v_mad_u64_u32 v[2:3], s[0:1], v3, s23, v[2:3]
.LBB117_81:
	s_waitcnt lgkmcnt(0)
	global_load_ushort v1, v2, s[18:19]
	s_cmp_lt_i32 s40, 1
	s_mov_b64 s[0:1], 0
	s_cbranch_scc1 .LBB117_85
; %bb.82:
	s_cmp_gt_i32 s40, 1
	s_cbranch_scc0 .LBB117_86
; %bb.83:
	s_cmp_eq_u32 s40, 2
	s_cbranch_scc0 .LBB117_472
; %bb.84:
	s_waitcnt vmcnt(0)
	v_cmp_ge_f16_e64 s[2:3], s41, v1
	s_mov_b64 s[4:5], 0
	s_branch .LBB117_88
.LBB117_85:
                                        ; implicit-def: $sgpr2_sgpr3
	s_mov_b64 s[4:5], 0
	s_cbranch_execnz .LBB117_89
	s_branch .LBB117_90
.LBB117_86:
	s_mov_b64 s[4:5], 0
                                        ; implicit-def: $sgpr2_sgpr3
	s_cbranch_execz .LBB117_88
; %bb.87:
	s_waitcnt vmcnt(0)
	v_cmp_lt_f16_e32 vcc, s41, v1
	s_andn2_b64 s[2:3], s[2:3], exec
	s_and_b64 s[6:7], vcc, exec
	s_or_b64 s[2:3], s[2:3], s[6:7]
.LBB117_88:
	s_branch .LBB117_90
.LBB117_89:
	s_cmp_lg_u32 s40, 0
	s_mov_b64 s[0:1], -1
	s_cselect_b64 s[4:5], -1, 0
.LBB117_90:
	s_andn2_b64 vcc, exec, s[4:5]
	s_cbranch_vccz .LBB117_99
; %bb.91:
	s_andn2_b64 vcc, exec, s[0:1]
	s_cbranch_vccnz .LBB117_93
.LBB117_92:
	s_waitcnt vmcnt(0)
	v_cmp_le_f16_e32 vcc, s41, v1
	s_andn2_b64 s[0:1], s[2:3], exec
	s_and_b64 s[2:3], vcc, exec
	s_or_b64 s[2:3], s[0:1], s[2:3]
.LBB117_93:
	s_waitcnt vmcnt(0)
	v_cndmask_b32_e64 v1, 0, 1, s[2:3]
	v_add_u32_e32 v15, 0x80, v15
	global_store_byte v0, v1, s[16:17]
	s_or_b64 exec, exec, s[50:51]
	v_cmp_gt_i32_e32 vcc, s57, v15
	s_and_saveexec_b64 s[50:51], vcc
	s_cbranch_execz .LBB117_5
.LBB117_94:
	s_andn2_b64 vcc, exec, s[36:37]
	s_cbranch_vccnz .LBB117_100
; %bb.95:
	s_andn2_b64 vcc, exec, s[48:49]
	s_cbranch_vccnz .LBB117_101
; %bb.96:
	s_add_i32 s60, s58, 1
	s_cmp_eq_u32 s56, 2
	s_cbranch_scc1 .LBB117_102
; %bb.97:
	s_and_b32 s59, s60, 28
	v_mov_b32_e32 v2, 0
	s_mov_b32 s61, 0
	s_mov_b64 s[52:53], s[34:35]
	s_mov_b64 s[54:55], s[46:47]
	v_mov_b32_e32 v0, 0
	v_mov_b32_e32 v1, v15
.LBB117_98:                             ; =>This Inner Loop Header: Depth=1
	s_load_dwordx8 s[8:15], s[52:53], 0x4
	s_load_dwordx4 s[28:31], s[52:53], 0x24
	s_load_dwordx8 s[0:7], s[54:55], 0x0
	s_add_u32 s52, s52, 48
	s_addc_u32 s53, s53, 0
	s_waitcnt lgkmcnt(0)
	v_mul_hi_u32 v3, s9, v1
	s_add_i32 s61, s61, 4
	s_add_u32 s54, s54, 32
	s_addc_u32 s55, s55, 0
	v_add_u32_e32 v3, v1, v3
	v_lshrrev_b32_e32 v3, s10, v3
	v_mul_lo_u32 v4, v3, s8
	v_mul_hi_u32 v5, s12, v3
	s_cmp_eq_u32 s59, s61
	v_sub_u32_e32 v1, v1, v4
	v_add_u32_e32 v4, v3, v5
	v_mul_lo_u32 v5, v1, s0
	v_mul_lo_u32 v6, v1, s1
	v_lshrrev_b32_e32 v1, s13, v4
	v_mul_lo_u32 v4, v1, s11
	v_mul_hi_u32 v7, s15, v1
	v_sub_u32_e32 v3, v3, v4
	v_add_u32_e32 v4, v1, v7
	v_lshrrev_b32_e32 v4, s28, v4
	v_mul_hi_u32 v8, s30, v4
	v_mul_lo_u32 v9, v4, s14
	v_mul_lo_u32 v7, v3, s2
	;; [unrolled: 1-line block ×3, first 2 shown]
	v_sub_u32_e32 v9, v1, v9
	v_add_u32_e32 v1, v4, v8
	v_lshrrev_b32_e32 v1, s31, v1
	v_mul_lo_u32 v8, v1, s29
	v_mul_lo_u32 v10, v9, s4
	;; [unrolled: 1-line block ×3, first 2 shown]
	v_add3_u32 v0, v5, v0, v7
	v_sub_u32_e32 v4, v4, v8
	v_mul_lo_u32 v8, v4, s6
	v_mul_lo_u32 v4, v4, s7
	v_add3_u32 v2, v6, v2, v3
	v_add3_u32 v0, v10, v0, v8
	;; [unrolled: 1-line block ×3, first 2 shown]
	s_cbranch_scc0 .LBB117_98
	s_branch .LBB117_103
.LBB117_99:
	s_waitcnt vmcnt(0)
	v_cmp_gt_f16_e32 vcc, s41, v1
	s_andn2_b64 s[2:3], s[2:3], exec
	s_and_b64 s[4:5], vcc, exec
	s_or_b64 s[2:3], s[2:3], s[4:5]
	s_cbranch_execz .LBB117_92
	s_branch .LBB117_93
.LBB117_100:
                                        ; implicit-def: $vgpr0
                                        ; implicit-def: $vgpr2
	s_branch .LBB117_107
.LBB117_101:
	v_mov_b32_e32 v0, 0
	v_mov_b32_e32 v2, 0
	s_branch .LBB117_106
.LBB117_102:
	s_mov_b32 s59, 0
	v_mov_b32_e32 v0, 0
	v_mov_b32_e32 v2, 0
	;; [unrolled: 1-line block ×3, first 2 shown]
.LBB117_103:
	s_and_b32 s4, s60, 3
	s_cmp_eq_u32 s4, 0
	s_cbranch_scc1 .LBB117_106
; %bb.104:
	s_lshl_b32 s0, s59, 3
	s_add_u32 s0, s34, s0
	s_addc_u32 s1, s35, 0
	s_add_u32 s0, s0, 0xc4
	s_addc_u32 s1, s1, 0
	s_mul_i32 s2, s59, 12
	s_add_u32 s2, s34, s2
	s_addc_u32 s3, s35, 0
.LBB117_105:                            ; =>This Inner Loop Header: Depth=1
	s_load_dwordx2 s[6:7], s[2:3], 0x4
	s_load_dword s5, s[2:3], 0xc
	s_load_dwordx2 s[8:9], s[0:1], 0x0
	s_add_u32 s2, s2, 12
	s_addc_u32 s3, s3, 0
	s_waitcnt lgkmcnt(0)
	v_mul_hi_u32 v3, s7, v1
	s_add_u32 s0, s0, 8
	s_addc_u32 s1, s1, 0
	s_add_i32 s4, s4, -1
	v_add_u32_e32 v3, v1, v3
	v_lshrrev_b32_e32 v4, s5, v3
	v_mul_lo_u32 v3, v4, s6
	s_cmp_lg_u32 s4, 0
	v_sub_u32_e32 v3, v1, v3
	v_mad_u64_u32 v[0:1], s[6:7], v3, s8, v[0:1]
	v_mad_u64_u32 v[2:3], s[6:7], v3, s9, v[2:3]
	v_mov_b32_e32 v1, v4
	s_cbranch_scc1 .LBB117_105
.LBB117_106:
	s_cbranch_execnz .LBB117_109
.LBB117_107:
	s_waitcnt lgkmcnt(0)
	v_mul_hi_u32 v0, s25, v15
	s_andn2_b64 vcc, exec, s[44:45]
	v_add_u32_e32 v0, v15, v0
	v_lshrrev_b32_e32 v1, s26, v0
	v_mul_lo_u32 v0, v1, s24
	v_sub_u32_e32 v2, v15, v0
	v_mul_lo_u32 v0, v2, s20
	v_mul_lo_u32 v2, v2, s21
	s_cbranch_vccnz .LBB117_109
; %bb.108:
	v_mul_hi_u32 v3, s42, v1
	v_add_u32_e32 v3, v1, v3
	v_lshrrev_b32_e32 v3, s43, v3
	v_mul_lo_u32 v3, v3, s27
	v_sub_u32_e32 v3, v1, v3
	v_mad_u64_u32 v[0:1], s[0:1], v3, s22, v[0:1]
	v_mad_u64_u32 v[2:3], s[0:1], v3, s23, v[2:3]
.LBB117_109:
	s_waitcnt lgkmcnt(0)
	global_load_ushort v1, v2, s[18:19]
	s_cmp_lt_i32 s40, 1
	s_mov_b64 s[0:1], 0
	s_cbranch_scc1 .LBB117_113
; %bb.110:
	s_cmp_gt_i32 s40, 1
	s_cbranch_scc0 .LBB117_114
; %bb.111:
	s_cmp_eq_u32 s40, 2
	s_cbranch_scc0 .LBB117_473
; %bb.112:
	s_waitcnt vmcnt(0)
	v_cmp_ge_f16_e64 s[2:3], s41, v1
	s_mov_b64 s[4:5], 0
	s_branch .LBB117_116
.LBB117_113:
                                        ; implicit-def: $sgpr2_sgpr3
	s_mov_b64 s[4:5], 0
	s_cbranch_execnz .LBB117_117
	s_branch .LBB117_118
.LBB117_114:
	s_mov_b64 s[4:5], 0
                                        ; implicit-def: $sgpr2_sgpr3
	s_cbranch_execz .LBB117_116
; %bb.115:
	s_waitcnt vmcnt(0)
	v_cmp_lt_f16_e32 vcc, s41, v1
	s_andn2_b64 s[2:3], s[2:3], exec
	s_and_b64 s[6:7], vcc, exec
	s_or_b64 s[2:3], s[2:3], s[6:7]
.LBB117_116:
	s_branch .LBB117_118
.LBB117_117:
	s_cmp_lg_u32 s40, 0
	s_mov_b64 s[0:1], -1
	s_cselect_b64 s[4:5], -1, 0
.LBB117_118:
	s_andn2_b64 vcc, exec, s[4:5]
	s_cbranch_vccz .LBB117_127
; %bb.119:
	s_andn2_b64 vcc, exec, s[0:1]
	s_cbranch_vccnz .LBB117_121
.LBB117_120:
	s_waitcnt vmcnt(0)
	v_cmp_le_f16_e32 vcc, s41, v1
	s_andn2_b64 s[0:1], s[2:3], exec
	s_and_b64 s[2:3], vcc, exec
	s_or_b64 s[2:3], s[0:1], s[2:3]
.LBB117_121:
	s_waitcnt vmcnt(0)
	v_cndmask_b32_e64 v1, 0, 1, s[2:3]
	v_add_u32_e32 v15, 0x80, v15
	global_store_byte v0, v1, s[16:17]
	s_or_b64 exec, exec, s[50:51]
	v_cmp_gt_i32_e32 vcc, s57, v15
	s_and_saveexec_b64 s[50:51], vcc
	s_cbranch_execz .LBB117_6
.LBB117_122:
	s_andn2_b64 vcc, exec, s[36:37]
	s_cbranch_vccnz .LBB117_128
; %bb.123:
	s_andn2_b64 vcc, exec, s[48:49]
	s_cbranch_vccnz .LBB117_129
; %bb.124:
	s_add_i32 s60, s58, 1
	s_cmp_eq_u32 s56, 2
	s_cbranch_scc1 .LBB117_130
; %bb.125:
	s_and_b32 s59, s60, 28
	v_mov_b32_e32 v2, 0
	s_mov_b32 s61, 0
	s_mov_b64 s[52:53], s[34:35]
	s_mov_b64 s[54:55], s[46:47]
	v_mov_b32_e32 v0, 0
	v_mov_b32_e32 v1, v15
.LBB117_126:                            ; =>This Inner Loop Header: Depth=1
	s_load_dwordx8 s[8:15], s[52:53], 0x4
	s_load_dwordx4 s[28:31], s[52:53], 0x24
	s_load_dwordx8 s[0:7], s[54:55], 0x0
	s_add_u32 s52, s52, 48
	s_addc_u32 s53, s53, 0
	s_waitcnt lgkmcnt(0)
	v_mul_hi_u32 v3, s9, v1
	s_add_i32 s61, s61, 4
	s_add_u32 s54, s54, 32
	s_addc_u32 s55, s55, 0
	v_add_u32_e32 v3, v1, v3
	v_lshrrev_b32_e32 v3, s10, v3
	v_mul_lo_u32 v4, v3, s8
	v_mul_hi_u32 v5, s12, v3
	s_cmp_eq_u32 s59, s61
	v_sub_u32_e32 v1, v1, v4
	v_add_u32_e32 v4, v3, v5
	v_mul_lo_u32 v5, v1, s0
	v_mul_lo_u32 v6, v1, s1
	v_lshrrev_b32_e32 v1, s13, v4
	v_mul_lo_u32 v4, v1, s11
	v_mul_hi_u32 v7, s15, v1
	v_sub_u32_e32 v3, v3, v4
	v_add_u32_e32 v4, v1, v7
	v_lshrrev_b32_e32 v4, s28, v4
	v_mul_hi_u32 v8, s30, v4
	v_mul_lo_u32 v9, v4, s14
	v_mul_lo_u32 v7, v3, s2
	;; [unrolled: 1-line block ×3, first 2 shown]
	v_sub_u32_e32 v9, v1, v9
	v_add_u32_e32 v1, v4, v8
	v_lshrrev_b32_e32 v1, s31, v1
	v_mul_lo_u32 v8, v1, s29
	v_mul_lo_u32 v10, v9, s4
	;; [unrolled: 1-line block ×3, first 2 shown]
	v_add3_u32 v0, v5, v0, v7
	v_sub_u32_e32 v4, v4, v8
	v_mul_lo_u32 v8, v4, s6
	v_mul_lo_u32 v4, v4, s7
	v_add3_u32 v2, v6, v2, v3
	v_add3_u32 v0, v10, v0, v8
	v_add3_u32 v2, v9, v2, v4
	s_cbranch_scc0 .LBB117_126
	s_branch .LBB117_131
.LBB117_127:
	s_waitcnt vmcnt(0)
	v_cmp_gt_f16_e32 vcc, s41, v1
	s_andn2_b64 s[2:3], s[2:3], exec
	s_and_b64 s[4:5], vcc, exec
	s_or_b64 s[2:3], s[2:3], s[4:5]
	s_cbranch_execz .LBB117_120
	s_branch .LBB117_121
.LBB117_128:
                                        ; implicit-def: $vgpr0
                                        ; implicit-def: $vgpr2
	s_branch .LBB117_135
.LBB117_129:
	v_mov_b32_e32 v0, 0
	v_mov_b32_e32 v2, 0
	s_branch .LBB117_134
.LBB117_130:
	s_mov_b32 s59, 0
	v_mov_b32_e32 v0, 0
	v_mov_b32_e32 v2, 0
	;; [unrolled: 1-line block ×3, first 2 shown]
.LBB117_131:
	s_and_b32 s4, s60, 3
	s_cmp_eq_u32 s4, 0
	s_cbranch_scc1 .LBB117_134
; %bb.132:
	s_lshl_b32 s0, s59, 3
	s_add_u32 s0, s34, s0
	s_addc_u32 s1, s35, 0
	s_add_u32 s0, s0, 0xc4
	s_addc_u32 s1, s1, 0
	s_mul_i32 s2, s59, 12
	s_add_u32 s2, s34, s2
	s_addc_u32 s3, s35, 0
.LBB117_133:                            ; =>This Inner Loop Header: Depth=1
	s_load_dwordx2 s[6:7], s[2:3], 0x4
	s_load_dword s5, s[2:3], 0xc
	s_load_dwordx2 s[8:9], s[0:1], 0x0
	s_add_u32 s2, s2, 12
	s_addc_u32 s3, s3, 0
	s_waitcnt lgkmcnt(0)
	v_mul_hi_u32 v3, s7, v1
	s_add_u32 s0, s0, 8
	s_addc_u32 s1, s1, 0
	s_add_i32 s4, s4, -1
	v_add_u32_e32 v3, v1, v3
	v_lshrrev_b32_e32 v4, s5, v3
	v_mul_lo_u32 v3, v4, s6
	s_cmp_lg_u32 s4, 0
	v_sub_u32_e32 v3, v1, v3
	v_mad_u64_u32 v[0:1], s[6:7], v3, s8, v[0:1]
	v_mad_u64_u32 v[2:3], s[6:7], v3, s9, v[2:3]
	v_mov_b32_e32 v1, v4
	s_cbranch_scc1 .LBB117_133
.LBB117_134:
	s_cbranch_execnz .LBB117_137
.LBB117_135:
	s_waitcnt lgkmcnt(0)
	v_mul_hi_u32 v0, s25, v15
	s_andn2_b64 vcc, exec, s[44:45]
	v_add_u32_e32 v0, v15, v0
	v_lshrrev_b32_e32 v1, s26, v0
	v_mul_lo_u32 v0, v1, s24
	v_sub_u32_e32 v2, v15, v0
	v_mul_lo_u32 v0, v2, s20
	v_mul_lo_u32 v2, v2, s21
	s_cbranch_vccnz .LBB117_137
; %bb.136:
	v_mul_hi_u32 v3, s42, v1
	v_add_u32_e32 v3, v1, v3
	v_lshrrev_b32_e32 v3, s43, v3
	v_mul_lo_u32 v3, v3, s27
	v_sub_u32_e32 v3, v1, v3
	v_mad_u64_u32 v[0:1], s[0:1], v3, s22, v[0:1]
	v_mad_u64_u32 v[2:3], s[0:1], v3, s23, v[2:3]
.LBB117_137:
	s_waitcnt lgkmcnt(0)
	global_load_ushort v1, v2, s[18:19]
	s_cmp_lt_i32 s40, 1
	s_mov_b64 s[0:1], 0
	s_cbranch_scc1 .LBB117_141
; %bb.138:
	s_cmp_gt_i32 s40, 1
	s_cbranch_scc0 .LBB117_142
; %bb.139:
	s_cmp_eq_u32 s40, 2
	s_cbranch_scc0 .LBB117_474
; %bb.140:
	s_waitcnt vmcnt(0)
	v_cmp_ge_f16_e64 s[2:3], s41, v1
	s_mov_b64 s[4:5], 0
	s_branch .LBB117_144
.LBB117_141:
                                        ; implicit-def: $sgpr2_sgpr3
	s_mov_b64 s[4:5], 0
	s_cbranch_execnz .LBB117_145
	s_branch .LBB117_146
.LBB117_142:
	s_mov_b64 s[4:5], 0
                                        ; implicit-def: $sgpr2_sgpr3
	s_cbranch_execz .LBB117_144
; %bb.143:
	s_waitcnt vmcnt(0)
	v_cmp_lt_f16_e32 vcc, s41, v1
	s_andn2_b64 s[2:3], s[2:3], exec
	s_and_b64 s[6:7], vcc, exec
	s_or_b64 s[2:3], s[2:3], s[6:7]
.LBB117_144:
	s_branch .LBB117_146
.LBB117_145:
	s_cmp_lg_u32 s40, 0
	s_mov_b64 s[0:1], -1
	s_cselect_b64 s[4:5], -1, 0
.LBB117_146:
	s_andn2_b64 vcc, exec, s[4:5]
	s_cbranch_vccz .LBB117_155
; %bb.147:
	s_andn2_b64 vcc, exec, s[0:1]
	s_cbranch_vccnz .LBB117_149
.LBB117_148:
	s_waitcnt vmcnt(0)
	v_cmp_le_f16_e32 vcc, s41, v1
	s_andn2_b64 s[0:1], s[2:3], exec
	s_and_b64 s[2:3], vcc, exec
	s_or_b64 s[2:3], s[0:1], s[2:3]
.LBB117_149:
	s_waitcnt vmcnt(0)
	v_cndmask_b32_e64 v1, 0, 1, s[2:3]
	v_add_u32_e32 v15, 0x80, v15
	global_store_byte v0, v1, s[16:17]
	s_or_b64 exec, exec, s[50:51]
	v_cmp_gt_i32_e32 vcc, s57, v15
	s_and_saveexec_b64 s[50:51], vcc
	s_cbranch_execz .LBB117_7
.LBB117_150:
	s_andn2_b64 vcc, exec, s[36:37]
	s_cbranch_vccnz .LBB117_156
; %bb.151:
	s_andn2_b64 vcc, exec, s[48:49]
	s_cbranch_vccnz .LBB117_157
; %bb.152:
	s_add_i32 s60, s58, 1
	s_cmp_eq_u32 s56, 2
	s_cbranch_scc1 .LBB117_158
; %bb.153:
	s_and_b32 s59, s60, 28
	v_mov_b32_e32 v2, 0
	s_mov_b32 s61, 0
	s_mov_b64 s[52:53], s[34:35]
	s_mov_b64 s[54:55], s[46:47]
	v_mov_b32_e32 v0, 0
	v_mov_b32_e32 v1, v15
.LBB117_154:                            ; =>This Inner Loop Header: Depth=1
	s_load_dwordx8 s[8:15], s[52:53], 0x4
	s_load_dwordx4 s[28:31], s[52:53], 0x24
	s_load_dwordx8 s[0:7], s[54:55], 0x0
	s_add_u32 s52, s52, 48
	s_addc_u32 s53, s53, 0
	s_waitcnt lgkmcnt(0)
	v_mul_hi_u32 v3, s9, v1
	s_add_i32 s61, s61, 4
	s_add_u32 s54, s54, 32
	s_addc_u32 s55, s55, 0
	v_add_u32_e32 v3, v1, v3
	v_lshrrev_b32_e32 v3, s10, v3
	v_mul_lo_u32 v4, v3, s8
	v_mul_hi_u32 v5, s12, v3
	s_cmp_eq_u32 s59, s61
	v_sub_u32_e32 v1, v1, v4
	v_add_u32_e32 v4, v3, v5
	v_mul_lo_u32 v5, v1, s0
	v_mul_lo_u32 v6, v1, s1
	v_lshrrev_b32_e32 v1, s13, v4
	v_mul_lo_u32 v4, v1, s11
	v_mul_hi_u32 v7, s15, v1
	v_sub_u32_e32 v3, v3, v4
	v_add_u32_e32 v4, v1, v7
	v_lshrrev_b32_e32 v4, s28, v4
	v_mul_hi_u32 v8, s30, v4
	v_mul_lo_u32 v9, v4, s14
	v_mul_lo_u32 v7, v3, s2
	v_mul_lo_u32 v3, v3, s3
	v_sub_u32_e32 v9, v1, v9
	v_add_u32_e32 v1, v4, v8
	v_lshrrev_b32_e32 v1, s31, v1
	v_mul_lo_u32 v8, v1, s29
	v_mul_lo_u32 v10, v9, s4
	;; [unrolled: 1-line block ×3, first 2 shown]
	v_add3_u32 v0, v5, v0, v7
	v_sub_u32_e32 v4, v4, v8
	v_mul_lo_u32 v8, v4, s6
	v_mul_lo_u32 v4, v4, s7
	v_add3_u32 v2, v6, v2, v3
	v_add3_u32 v0, v10, v0, v8
	;; [unrolled: 1-line block ×3, first 2 shown]
	s_cbranch_scc0 .LBB117_154
	s_branch .LBB117_159
.LBB117_155:
	s_waitcnt vmcnt(0)
	v_cmp_gt_f16_e32 vcc, s41, v1
	s_andn2_b64 s[2:3], s[2:3], exec
	s_and_b64 s[4:5], vcc, exec
	s_or_b64 s[2:3], s[2:3], s[4:5]
	s_cbranch_execz .LBB117_148
	s_branch .LBB117_149
.LBB117_156:
                                        ; implicit-def: $vgpr0
                                        ; implicit-def: $vgpr2
	s_branch .LBB117_163
.LBB117_157:
	v_mov_b32_e32 v0, 0
	v_mov_b32_e32 v2, 0
	s_branch .LBB117_162
.LBB117_158:
	s_mov_b32 s59, 0
	v_mov_b32_e32 v0, 0
	v_mov_b32_e32 v2, 0
	;; [unrolled: 1-line block ×3, first 2 shown]
.LBB117_159:
	s_and_b32 s4, s60, 3
	s_cmp_eq_u32 s4, 0
	s_cbranch_scc1 .LBB117_162
; %bb.160:
	s_lshl_b32 s0, s59, 3
	s_add_u32 s0, s34, s0
	s_addc_u32 s1, s35, 0
	s_add_u32 s0, s0, 0xc4
	s_addc_u32 s1, s1, 0
	s_mul_i32 s2, s59, 12
	s_add_u32 s2, s34, s2
	s_addc_u32 s3, s35, 0
.LBB117_161:                            ; =>This Inner Loop Header: Depth=1
	s_load_dwordx2 s[6:7], s[2:3], 0x4
	s_load_dword s5, s[2:3], 0xc
	s_load_dwordx2 s[8:9], s[0:1], 0x0
	s_add_u32 s2, s2, 12
	s_addc_u32 s3, s3, 0
	s_waitcnt lgkmcnt(0)
	v_mul_hi_u32 v3, s7, v1
	s_add_u32 s0, s0, 8
	s_addc_u32 s1, s1, 0
	s_add_i32 s4, s4, -1
	v_add_u32_e32 v3, v1, v3
	v_lshrrev_b32_e32 v4, s5, v3
	v_mul_lo_u32 v3, v4, s6
	s_cmp_lg_u32 s4, 0
	v_sub_u32_e32 v3, v1, v3
	v_mad_u64_u32 v[0:1], s[6:7], v3, s8, v[0:1]
	v_mad_u64_u32 v[2:3], s[6:7], v3, s9, v[2:3]
	v_mov_b32_e32 v1, v4
	s_cbranch_scc1 .LBB117_161
.LBB117_162:
	s_cbranch_execnz .LBB117_165
.LBB117_163:
	s_waitcnt lgkmcnt(0)
	v_mul_hi_u32 v0, s25, v15
	s_andn2_b64 vcc, exec, s[44:45]
	v_add_u32_e32 v0, v15, v0
	v_lshrrev_b32_e32 v1, s26, v0
	v_mul_lo_u32 v0, v1, s24
	v_sub_u32_e32 v2, v15, v0
	v_mul_lo_u32 v0, v2, s20
	v_mul_lo_u32 v2, v2, s21
	s_cbranch_vccnz .LBB117_165
; %bb.164:
	v_mul_hi_u32 v3, s42, v1
	v_add_u32_e32 v3, v1, v3
	v_lshrrev_b32_e32 v3, s43, v3
	v_mul_lo_u32 v3, v3, s27
	v_sub_u32_e32 v3, v1, v3
	v_mad_u64_u32 v[0:1], s[0:1], v3, s22, v[0:1]
	v_mad_u64_u32 v[2:3], s[0:1], v3, s23, v[2:3]
.LBB117_165:
	s_waitcnt lgkmcnt(0)
	global_load_ushort v1, v2, s[18:19]
	s_cmp_lt_i32 s40, 1
	s_mov_b64 s[0:1], 0
	s_cbranch_scc1 .LBB117_169
; %bb.166:
	s_cmp_gt_i32 s40, 1
	s_cbranch_scc0 .LBB117_170
; %bb.167:
	s_cmp_eq_u32 s40, 2
	s_cbranch_scc0 .LBB117_475
; %bb.168:
	s_waitcnt vmcnt(0)
	v_cmp_ge_f16_e64 s[2:3], s41, v1
	s_mov_b64 s[4:5], 0
	s_branch .LBB117_172
.LBB117_169:
                                        ; implicit-def: $sgpr2_sgpr3
	s_mov_b64 s[4:5], 0
	s_cbranch_execnz .LBB117_173
	s_branch .LBB117_174
.LBB117_170:
	s_mov_b64 s[4:5], 0
                                        ; implicit-def: $sgpr2_sgpr3
	s_cbranch_execz .LBB117_172
; %bb.171:
	s_waitcnt vmcnt(0)
	v_cmp_lt_f16_e32 vcc, s41, v1
	s_andn2_b64 s[2:3], s[2:3], exec
	s_and_b64 s[6:7], vcc, exec
	s_or_b64 s[2:3], s[2:3], s[6:7]
.LBB117_172:
	s_branch .LBB117_174
.LBB117_173:
	s_cmp_lg_u32 s40, 0
	s_mov_b64 s[0:1], -1
	s_cselect_b64 s[4:5], -1, 0
.LBB117_174:
	s_andn2_b64 vcc, exec, s[4:5]
	s_cbranch_vccz .LBB117_183
; %bb.175:
	s_andn2_b64 vcc, exec, s[0:1]
	s_cbranch_vccnz .LBB117_177
.LBB117_176:
	s_waitcnt vmcnt(0)
	v_cmp_le_f16_e32 vcc, s41, v1
	s_andn2_b64 s[0:1], s[2:3], exec
	s_and_b64 s[2:3], vcc, exec
	s_or_b64 s[2:3], s[0:1], s[2:3]
.LBB117_177:
	s_waitcnt vmcnt(0)
	v_cndmask_b32_e64 v1, 0, 1, s[2:3]
	v_add_u32_e32 v15, 0x80, v15
	global_store_byte v0, v1, s[16:17]
	s_or_b64 exec, exec, s[50:51]
	v_cmp_gt_i32_e32 vcc, s57, v15
	s_and_saveexec_b64 s[50:51], vcc
	s_cbranch_execz .LBB117_8
.LBB117_178:
	s_andn2_b64 vcc, exec, s[36:37]
	s_cbranch_vccnz .LBB117_184
; %bb.179:
	s_andn2_b64 vcc, exec, s[48:49]
	s_cbranch_vccnz .LBB117_185
; %bb.180:
	s_add_i32 s60, s58, 1
	s_cmp_eq_u32 s56, 2
	s_cbranch_scc1 .LBB117_186
; %bb.181:
	s_and_b32 s59, s60, 28
	v_mov_b32_e32 v2, 0
	s_mov_b32 s61, 0
	s_mov_b64 s[52:53], s[34:35]
	s_mov_b64 s[54:55], s[46:47]
	v_mov_b32_e32 v0, 0
	v_mov_b32_e32 v1, v15
.LBB117_182:                            ; =>This Inner Loop Header: Depth=1
	s_load_dwordx8 s[8:15], s[52:53], 0x4
	s_load_dwordx4 s[28:31], s[52:53], 0x24
	s_load_dwordx8 s[0:7], s[54:55], 0x0
	s_add_u32 s52, s52, 48
	s_addc_u32 s53, s53, 0
	s_waitcnt lgkmcnt(0)
	v_mul_hi_u32 v3, s9, v1
	s_add_i32 s61, s61, 4
	s_add_u32 s54, s54, 32
	s_addc_u32 s55, s55, 0
	v_add_u32_e32 v3, v1, v3
	v_lshrrev_b32_e32 v3, s10, v3
	v_mul_lo_u32 v4, v3, s8
	v_mul_hi_u32 v5, s12, v3
	s_cmp_eq_u32 s59, s61
	v_sub_u32_e32 v1, v1, v4
	v_add_u32_e32 v4, v3, v5
	v_mul_lo_u32 v5, v1, s0
	v_mul_lo_u32 v6, v1, s1
	v_lshrrev_b32_e32 v1, s13, v4
	v_mul_lo_u32 v4, v1, s11
	v_mul_hi_u32 v7, s15, v1
	v_sub_u32_e32 v3, v3, v4
	v_add_u32_e32 v4, v1, v7
	v_lshrrev_b32_e32 v4, s28, v4
	v_mul_hi_u32 v8, s30, v4
	v_mul_lo_u32 v9, v4, s14
	v_mul_lo_u32 v7, v3, s2
	;; [unrolled: 1-line block ×3, first 2 shown]
	v_sub_u32_e32 v9, v1, v9
	v_add_u32_e32 v1, v4, v8
	v_lshrrev_b32_e32 v1, s31, v1
	v_mul_lo_u32 v8, v1, s29
	v_mul_lo_u32 v10, v9, s4
	;; [unrolled: 1-line block ×3, first 2 shown]
	v_add3_u32 v0, v5, v0, v7
	v_sub_u32_e32 v4, v4, v8
	v_mul_lo_u32 v8, v4, s6
	v_mul_lo_u32 v4, v4, s7
	v_add3_u32 v2, v6, v2, v3
	v_add3_u32 v0, v10, v0, v8
	;; [unrolled: 1-line block ×3, first 2 shown]
	s_cbranch_scc0 .LBB117_182
	s_branch .LBB117_187
.LBB117_183:
	s_waitcnt vmcnt(0)
	v_cmp_gt_f16_e32 vcc, s41, v1
	s_andn2_b64 s[2:3], s[2:3], exec
	s_and_b64 s[4:5], vcc, exec
	s_or_b64 s[2:3], s[2:3], s[4:5]
	s_cbranch_execz .LBB117_176
	s_branch .LBB117_177
.LBB117_184:
                                        ; implicit-def: $vgpr0
                                        ; implicit-def: $vgpr2
	s_branch .LBB117_191
.LBB117_185:
	v_mov_b32_e32 v0, 0
	v_mov_b32_e32 v2, 0
	s_branch .LBB117_190
.LBB117_186:
	s_mov_b32 s59, 0
	v_mov_b32_e32 v0, 0
	v_mov_b32_e32 v2, 0
	;; [unrolled: 1-line block ×3, first 2 shown]
.LBB117_187:
	s_and_b32 s4, s60, 3
	s_cmp_eq_u32 s4, 0
	s_cbranch_scc1 .LBB117_190
; %bb.188:
	s_lshl_b32 s0, s59, 3
	s_add_u32 s0, s34, s0
	s_addc_u32 s1, s35, 0
	s_add_u32 s0, s0, 0xc4
	s_addc_u32 s1, s1, 0
	s_mul_i32 s2, s59, 12
	s_add_u32 s2, s34, s2
	s_addc_u32 s3, s35, 0
.LBB117_189:                            ; =>This Inner Loop Header: Depth=1
	s_load_dwordx2 s[6:7], s[2:3], 0x4
	s_load_dword s5, s[2:3], 0xc
	s_load_dwordx2 s[8:9], s[0:1], 0x0
	s_add_u32 s2, s2, 12
	s_addc_u32 s3, s3, 0
	s_waitcnt lgkmcnt(0)
	v_mul_hi_u32 v3, s7, v1
	s_add_u32 s0, s0, 8
	s_addc_u32 s1, s1, 0
	s_add_i32 s4, s4, -1
	v_add_u32_e32 v3, v1, v3
	v_lshrrev_b32_e32 v4, s5, v3
	v_mul_lo_u32 v3, v4, s6
	s_cmp_lg_u32 s4, 0
	v_sub_u32_e32 v3, v1, v3
	v_mad_u64_u32 v[0:1], s[6:7], v3, s8, v[0:1]
	v_mad_u64_u32 v[2:3], s[6:7], v3, s9, v[2:3]
	v_mov_b32_e32 v1, v4
	s_cbranch_scc1 .LBB117_189
.LBB117_190:
	s_cbranch_execnz .LBB117_193
.LBB117_191:
	s_waitcnt lgkmcnt(0)
	v_mul_hi_u32 v0, s25, v15
	s_andn2_b64 vcc, exec, s[44:45]
	v_add_u32_e32 v0, v15, v0
	v_lshrrev_b32_e32 v1, s26, v0
	v_mul_lo_u32 v0, v1, s24
	v_sub_u32_e32 v2, v15, v0
	v_mul_lo_u32 v0, v2, s20
	v_mul_lo_u32 v2, v2, s21
	s_cbranch_vccnz .LBB117_193
; %bb.192:
	v_mul_hi_u32 v3, s42, v1
	v_add_u32_e32 v3, v1, v3
	v_lshrrev_b32_e32 v3, s43, v3
	v_mul_lo_u32 v3, v3, s27
	v_sub_u32_e32 v3, v1, v3
	v_mad_u64_u32 v[0:1], s[0:1], v3, s22, v[0:1]
	v_mad_u64_u32 v[2:3], s[0:1], v3, s23, v[2:3]
.LBB117_193:
	s_waitcnt lgkmcnt(0)
	global_load_ushort v1, v2, s[18:19]
	s_cmp_lt_i32 s40, 1
	s_mov_b64 s[0:1], 0
	s_cbranch_scc1 .LBB117_197
; %bb.194:
	s_cmp_gt_i32 s40, 1
	s_cbranch_scc0 .LBB117_198
; %bb.195:
	s_cmp_eq_u32 s40, 2
	s_cbranch_scc0 .LBB117_476
; %bb.196:
	s_waitcnt vmcnt(0)
	v_cmp_ge_f16_e64 s[2:3], s41, v1
	s_mov_b64 s[4:5], 0
	s_branch .LBB117_200
.LBB117_197:
                                        ; implicit-def: $sgpr2_sgpr3
	s_mov_b64 s[4:5], 0
	s_cbranch_execnz .LBB117_201
	s_branch .LBB117_202
.LBB117_198:
	s_mov_b64 s[4:5], 0
                                        ; implicit-def: $sgpr2_sgpr3
	s_cbranch_execz .LBB117_200
; %bb.199:
	s_waitcnt vmcnt(0)
	v_cmp_lt_f16_e32 vcc, s41, v1
	s_andn2_b64 s[2:3], s[2:3], exec
	s_and_b64 s[6:7], vcc, exec
	s_or_b64 s[2:3], s[2:3], s[6:7]
.LBB117_200:
	s_branch .LBB117_202
.LBB117_201:
	s_cmp_lg_u32 s40, 0
	s_mov_b64 s[0:1], -1
	s_cselect_b64 s[4:5], -1, 0
.LBB117_202:
	s_andn2_b64 vcc, exec, s[4:5]
	s_cbranch_vccz .LBB117_211
; %bb.203:
	s_andn2_b64 vcc, exec, s[0:1]
	s_cbranch_vccnz .LBB117_205
.LBB117_204:
	s_waitcnt vmcnt(0)
	v_cmp_le_f16_e32 vcc, s41, v1
	s_andn2_b64 s[0:1], s[2:3], exec
	s_and_b64 s[2:3], vcc, exec
	s_or_b64 s[2:3], s[0:1], s[2:3]
.LBB117_205:
	s_waitcnt vmcnt(0)
	v_cndmask_b32_e64 v1, 0, 1, s[2:3]
	v_add_u32_e32 v15, 0x80, v15
	global_store_byte v0, v1, s[16:17]
	s_or_b64 exec, exec, s[50:51]
	v_cmp_gt_i32_e32 vcc, s57, v15
	s_and_saveexec_b64 s[50:51], vcc
	s_cbranch_execz .LBB117_234
.LBB117_206:
	s_andn2_b64 vcc, exec, s[36:37]
	s_cbranch_vccnz .LBB117_212
; %bb.207:
	s_andn2_b64 vcc, exec, s[48:49]
	s_cbranch_vccnz .LBB117_213
; %bb.208:
	s_add_i32 s58, s58, 1
	s_cmp_eq_u32 s56, 2
	s_cbranch_scc1 .LBB117_214
; %bb.209:
	s_and_b32 s52, s58, 28
	v_mov_b32_e32 v2, 0
	s_mov_b32 s53, 0
	s_mov_b64 s[48:49], s[34:35]
	v_mov_b32_e32 v0, 0
	v_mov_b32_e32 v1, v15
.LBB117_210:                            ; =>This Inner Loop Header: Depth=1
	s_load_dwordx8 s[8:15], s[48:49], 0x4
	s_load_dwordx4 s[28:31], s[48:49], 0x24
	s_load_dwordx8 s[0:7], s[46:47], 0x0
	s_add_u32 s48, s48, 48
	s_addc_u32 s49, s49, 0
	s_waitcnt lgkmcnt(0)
	v_mul_hi_u32 v3, s9, v1
	s_add_i32 s53, s53, 4
	s_add_u32 s46, s46, 32
	s_addc_u32 s47, s47, 0
	v_add_u32_e32 v3, v1, v3
	v_lshrrev_b32_e32 v3, s10, v3
	v_mul_lo_u32 v4, v3, s8
	v_mul_hi_u32 v5, s12, v3
	s_cmp_eq_u32 s52, s53
	v_sub_u32_e32 v1, v1, v4
	v_add_u32_e32 v4, v3, v5
	v_mul_lo_u32 v5, v1, s0
	v_mul_lo_u32 v6, v1, s1
	v_lshrrev_b32_e32 v1, s13, v4
	v_mul_lo_u32 v4, v1, s11
	v_mul_hi_u32 v7, s15, v1
	v_sub_u32_e32 v3, v3, v4
	v_add_u32_e32 v4, v1, v7
	v_lshrrev_b32_e32 v4, s28, v4
	v_mul_hi_u32 v8, s30, v4
	v_mul_lo_u32 v9, v4, s14
	v_mul_lo_u32 v7, v3, s2
	;; [unrolled: 1-line block ×3, first 2 shown]
	v_sub_u32_e32 v9, v1, v9
	v_add_u32_e32 v1, v4, v8
	v_lshrrev_b32_e32 v1, s31, v1
	v_mul_lo_u32 v8, v1, s29
	v_mul_lo_u32 v10, v9, s4
	;; [unrolled: 1-line block ×3, first 2 shown]
	v_add3_u32 v0, v5, v0, v7
	v_sub_u32_e32 v4, v4, v8
	v_mul_lo_u32 v8, v4, s6
	v_mul_lo_u32 v4, v4, s7
	v_add3_u32 v2, v6, v2, v3
	v_add3_u32 v0, v10, v0, v8
	v_add3_u32 v2, v9, v2, v4
	s_cbranch_scc0 .LBB117_210
	s_branch .LBB117_215
.LBB117_211:
	s_waitcnt vmcnt(0)
	v_cmp_gt_f16_e32 vcc, s41, v1
	s_andn2_b64 s[2:3], s[2:3], exec
	s_and_b64 s[4:5], vcc, exec
	s_or_b64 s[2:3], s[2:3], s[4:5]
	s_cbranch_execz .LBB117_204
	s_branch .LBB117_205
.LBB117_212:
                                        ; implicit-def: $vgpr0
                                        ; implicit-def: $vgpr2
	s_branch .LBB117_219
.LBB117_213:
	v_mov_b32_e32 v0, 0
	v_mov_b32_e32 v2, 0
	s_branch .LBB117_218
.LBB117_214:
	s_mov_b32 s52, 0
	v_mov_b32_e32 v0, 0
	v_mov_b32_e32 v2, 0
	;; [unrolled: 1-line block ×3, first 2 shown]
.LBB117_215:
	s_and_b32 s4, s58, 3
	s_cmp_eq_u32 s4, 0
	s_cbranch_scc1 .LBB117_218
; %bb.216:
	s_lshl_b32 s0, s52, 3
	s_add_u32 s0, s34, s0
	s_addc_u32 s1, s35, 0
	s_add_u32 s0, s0, 0xc4
	s_addc_u32 s1, s1, 0
	s_mul_i32 s2, s52, 12
	s_add_u32 s2, s34, s2
	s_addc_u32 s3, s35, 0
.LBB117_217:                            ; =>This Inner Loop Header: Depth=1
	s_load_dwordx2 s[6:7], s[2:3], 0x4
	s_load_dword s5, s[2:3], 0xc
	s_load_dwordx2 s[8:9], s[0:1], 0x0
	s_add_u32 s2, s2, 12
	s_addc_u32 s3, s3, 0
	s_waitcnt lgkmcnt(0)
	v_mul_hi_u32 v3, s7, v1
	s_add_u32 s0, s0, 8
	s_addc_u32 s1, s1, 0
	s_add_i32 s4, s4, -1
	v_add_u32_e32 v3, v1, v3
	v_lshrrev_b32_e32 v4, s5, v3
	v_mul_lo_u32 v3, v4, s6
	s_cmp_lg_u32 s4, 0
	v_sub_u32_e32 v3, v1, v3
	v_mad_u64_u32 v[0:1], s[6:7], v3, s8, v[0:1]
	v_mad_u64_u32 v[2:3], s[6:7], v3, s9, v[2:3]
	v_mov_b32_e32 v1, v4
	s_cbranch_scc1 .LBB117_217
.LBB117_218:
	s_cbranch_execnz .LBB117_221
.LBB117_219:
	s_waitcnt lgkmcnt(0)
	v_mul_hi_u32 v0, s25, v15
	s_andn2_b64 vcc, exec, s[44:45]
	v_add_u32_e32 v0, v15, v0
	v_lshrrev_b32_e32 v1, s26, v0
	v_mul_lo_u32 v0, v1, s24
	v_sub_u32_e32 v2, v15, v0
	v_mul_lo_u32 v0, v2, s20
	v_mul_lo_u32 v2, v2, s21
	s_cbranch_vccnz .LBB117_221
; %bb.220:
	v_mul_hi_u32 v3, s42, v1
	v_add_u32_e32 v3, v1, v3
	v_lshrrev_b32_e32 v3, s43, v3
	v_mul_lo_u32 v3, v3, s27
	v_sub_u32_e32 v3, v1, v3
	v_mad_u64_u32 v[0:1], s[0:1], v3, s22, v[0:1]
	v_mad_u64_u32 v[2:3], s[0:1], v3, s23, v[2:3]
.LBB117_221:
	s_waitcnt lgkmcnt(0)
	global_load_ushort v1, v2, s[18:19]
	s_cmp_lt_i32 s40, 1
	s_mov_b64 s[0:1], 0
	s_cbranch_scc1 .LBB117_225
; %bb.222:
	s_cmp_gt_i32 s40, 1
	s_cbranch_scc0 .LBB117_226
; %bb.223:
	s_cmp_eq_u32 s40, 2
	s_cbranch_scc0 .LBB117_477
; %bb.224:
	s_waitcnt vmcnt(0)
	v_cmp_ge_f16_e64 s[2:3], s41, v1
	s_mov_b64 s[4:5], 0
	s_branch .LBB117_228
.LBB117_225:
                                        ; implicit-def: $sgpr2_sgpr3
	s_mov_b64 s[4:5], 0
	s_cbranch_execnz .LBB117_229
	s_branch .LBB117_230
.LBB117_226:
	s_mov_b64 s[4:5], 0
                                        ; implicit-def: $sgpr2_sgpr3
	s_cbranch_execz .LBB117_228
; %bb.227:
	s_waitcnt vmcnt(0)
	v_cmp_lt_f16_e32 vcc, s41, v1
	s_andn2_b64 s[2:3], s[2:3], exec
	s_and_b64 s[6:7], vcc, exec
	s_or_b64 s[2:3], s[2:3], s[6:7]
.LBB117_228:
	s_branch .LBB117_230
.LBB117_229:
	s_cmp_lg_u32 s40, 0
	s_mov_b64 s[0:1], -1
	s_cselect_b64 s[4:5], -1, 0
.LBB117_230:
	s_andn2_b64 vcc, exec, s[4:5]
	s_cbranch_vccz .LBB117_244
; %bb.231:
	s_andn2_b64 vcc, exec, s[0:1]
	s_cbranch_vccnz .LBB117_233
.LBB117_232:
	s_waitcnt vmcnt(0)
	v_cmp_le_f16_e32 vcc, s41, v1
	s_andn2_b64 s[0:1], s[2:3], exec
	s_and_b64 s[2:3], vcc, exec
	s_or_b64 s[2:3], s[0:1], s[2:3]
.LBB117_233:
	s_waitcnt vmcnt(0)
	v_cndmask_b32_e64 v1, 0, 1, s[2:3]
	global_store_byte v0, v1, s[16:17]
.LBB117_234:
	s_or_b64 exec, exec, s[50:51]
                                        ; implicit-def: $vgpr22
                                        ; implicit-def: $vgpr15
.LBB117_235:
	s_andn2_saveexec_b64 s[0:1], s[38:39]
	s_cbranch_execz .LBB117_242
; %bb.236:
	v_cndmask_b32_e64 v0, 0, 1, s[36:37]
	v_cmp_ne_u32_e64 s[0:1], 1, v0
	s_andn2_b64 vcc, exec, s[36:37]
	s_cbranch_vccnz .LBB117_243
; %bb.237:
	s_cmp_lg_u32 s33, 0
	s_waitcnt lgkmcnt(0)
	s_mov_b32 s26, 0
	s_cbranch_scc0 .LBB117_245
; %bb.238:
	s_min_u32 s27, s56, 15
	s_add_i32 s27, s27, 1
	s_cmp_eq_u32 s56, 2
	s_cbranch_scc1 .LBB117_246
; %bb.239:
	s_and_b32 s26, s27, 28
	s_add_u32 s2, s34, 0xc4
	s_addc_u32 s3, s35, 0
	v_mov_b32_e32 v5, 0
	s_mov_b32 s28, 0
	s_mov_b64 s[24:25], s[34:35]
	v_mov_b32_e32 v0, 0
	v_mov_b32_e32 v1, v15
.LBB117_240:                            ; =>This Inner Loop Header: Depth=1
	s_load_dwordx8 s[12:19], s[24:25], 0x4
	s_load_dwordx4 s[20:23], s[24:25], 0x24
	s_load_dwordx8 s[4:11], s[2:3], 0x0
	s_add_u32 s24, s24, 48
	s_addc_u32 s25, s25, 0
	s_waitcnt lgkmcnt(0)
	v_mul_hi_u32 v2, s13, v1
	s_add_i32 s28, s28, 4
	s_add_u32 s2, s2, 32
	s_addc_u32 s3, s3, 0
	v_add_u32_e32 v2, v1, v2
	v_lshrrev_b32_e32 v2, s14, v2
	v_mul_lo_u32 v3, v2, s12
	v_mul_hi_u32 v4, s16, v2
	s_cmp_lg_u32 s26, s28
	v_sub_u32_e32 v1, v1, v3
	v_add_u32_e32 v3, v2, v4
	v_mul_lo_u32 v4, v1, s4
	v_mul_lo_u32 v6, v1, s5
	v_lshrrev_b32_e32 v1, s17, v3
	v_mul_lo_u32 v3, v1, s15
	v_mul_hi_u32 v7, s19, v1
	v_sub_u32_e32 v2, v2, v3
	v_add_u32_e32 v3, v1, v7
	v_lshrrev_b32_e32 v3, s20, v3
	v_mul_hi_u32 v8, s22, v3
	v_mul_lo_u32 v9, v3, s18
	v_mul_lo_u32 v7, v2, s6
	;; [unrolled: 1-line block ×3, first 2 shown]
	v_sub_u32_e32 v9, v1, v9
	v_add_u32_e32 v1, v3, v8
	v_lshrrev_b32_e32 v1, s23, v1
	v_mul_lo_u32 v8, v1, s21
	v_mul_lo_u32 v10, v9, s8
	v_mul_lo_u32 v9, v9, s9
	v_add3_u32 v0, v4, v0, v7
	v_sub_u32_e32 v3, v3, v8
	v_mul_lo_u32 v8, v3, s10
	v_mul_lo_u32 v3, v3, s11
	v_add3_u32 v2, v6, v5, v2
	v_add3_u32 v0, v10, v0, v8
	;; [unrolled: 1-line block ×3, first 2 shown]
	s_cbranch_scc1 .LBB117_240
; %bb.241:
	s_and_b32 s6, s27, 3
	s_cmp_eq_u32 s6, 0
	s_cbranch_scc0 .LBB117_247
	s_branch .LBB117_249
.LBB117_242:
	s_endpgm
.LBB117_243:
                                        ; implicit-def: $vgpr0
                                        ; implicit-def: $vgpr5
	s_branch .LBB117_250
.LBB117_244:
	s_waitcnt vmcnt(0)
	v_cmp_gt_f16_e32 vcc, s41, v1
	s_andn2_b64 s[2:3], s[2:3], exec
	s_and_b64 s[4:5], vcc, exec
	s_or_b64 s[2:3], s[2:3], s[4:5]
	s_cbranch_execz .LBB117_232
	s_branch .LBB117_233
.LBB117_245:
	v_mov_b32_e32 v0, 0
	v_mov_b32_e32 v5, 0
	s_branch .LBB117_249
.LBB117_246:
	v_mov_b32_e32 v0, 0
	v_mov_b32_e32 v5, 0
	;; [unrolled: 1-line block ×3, first 2 shown]
	s_and_b32 s6, s27, 3
	s_cmp_eq_u32 s6, 0
	s_cbranch_scc1 .LBB117_249
.LBB117_247:
	s_lshl_b32 s2, s26, 3
	s_add_u32 s2, s34, s2
	s_addc_u32 s3, s35, 0
	s_add_u32 s2, s2, 0xc4
	s_addc_u32 s3, s3, 0
	s_mul_i32 s4, s26, 12
	s_add_u32 s4, s34, s4
	s_addc_u32 s5, s35, 0
.LBB117_248:                            ; =>This Inner Loop Header: Depth=1
	s_load_dwordx2 s[8:9], s[4:5], 0x4
	s_load_dword s7, s[4:5], 0xc
	s_load_dwordx2 s[10:11], s[2:3], 0x0
	s_add_u32 s4, s4, 12
	s_addc_u32 s5, s5, 0
	s_waitcnt lgkmcnt(0)
	v_mul_hi_u32 v2, s9, v1
	s_add_u32 s2, s2, 8
	s_addc_u32 s3, s3, 0
	s_add_i32 s6, s6, -1
	v_add_u32_e32 v2, v1, v2
	v_lshrrev_b32_e32 v2, s7, v2
	v_mul_lo_u32 v3, v2, s8
	s_cmp_lg_u32 s6, 0
	v_sub_u32_e32 v3, v1, v3
	v_mad_u64_u32 v[0:1], s[8:9], v3, s10, v[0:1]
	v_mad_u64_u32 v[5:6], s[8:9], v3, s11, v[5:6]
	v_mov_b32_e32 v1, v2
	s_cbranch_scc1 .LBB117_248
.LBB117_249:
	s_cbranch_execnz .LBB117_252
.LBB117_250:
	s_load_dwordx4 s[4:7], s[34:35], 0x4
	s_load_dwordx2 s[2:3], s[34:35], 0xc4
	s_cmp_lt_u32 s33, 2
	s_waitcnt lgkmcnt(0)
	v_mul_hi_u32 v0, s5, v15
	v_add_u32_e32 v0, v15, v0
	v_lshrrev_b32_e32 v1, s6, v0
	v_mul_lo_u32 v0, v1, s4
	v_sub_u32_e32 v2, v15, v0
	v_mul_lo_u32 v0, v2, s2
	v_mul_lo_u32 v5, v2, s3
	s_cbranch_scc1 .LBB117_252
; %bb.251:
	s_load_dwordx4 s[4:7], s[34:35], 0x10
	s_load_dwordx2 s[2:3], s[34:35], 0xcc
	s_waitcnt lgkmcnt(0)
	v_mul_hi_u32 v2, s5, v1
	v_add_u32_e32 v2, v1, v2
	v_lshrrev_b32_e32 v2, s6, v2
	v_mul_lo_u32 v2, v2, s4
	v_sub_u32_e32 v2, v1, v2
	v_mad_u64_u32 v[0:1], s[4:5], v2, s2, v[0:1]
	v_mad_u64_u32 v[5:6], s[2:3], v2, s3, v[5:6]
.LBB117_252:
	s_and_b64 vcc, exec, s[0:1]
	v_add_u32_e32 v3, 0x80, v15
	s_cbranch_vccnz .LBB117_258
; %bb.253:
	s_cmp_lg_u32 s33, 0
	s_waitcnt lgkmcnt(0)
	s_mov_b32 s26, 0
	s_cbranch_scc0 .LBB117_259
; %bb.254:
	s_min_u32 s27, s56, 15
	s_add_i32 s27, s27, 1
	s_cmp_eq_u32 s56, 2
	s_cbranch_scc1 .LBB117_260
; %bb.255:
	s_and_b32 s26, s27, 28
	s_add_u32 s2, s34, 0xc4
	s_addc_u32 s3, s35, 0
	v_mov_b32_e32 v6, 0
	s_mov_b32 s28, 0
	s_mov_b64 s[24:25], s[34:35]
	v_mov_b32_e32 v1, 0
	v_mov_b32_e32 v2, v3
.LBB117_256:                            ; =>This Inner Loop Header: Depth=1
	s_load_dwordx8 s[12:19], s[24:25], 0x4
	s_load_dwordx4 s[20:23], s[24:25], 0x24
	s_load_dwordx8 s[4:11], s[2:3], 0x0
	s_add_u32 s24, s24, 48
	s_addc_u32 s25, s25, 0
	s_waitcnt lgkmcnt(0)
	v_mul_hi_u32 v4, s13, v2
	s_add_i32 s28, s28, 4
	s_add_u32 s2, s2, 32
	s_addc_u32 s3, s3, 0
	v_add_u32_e32 v4, v2, v4
	v_lshrrev_b32_e32 v4, s14, v4
	v_mul_lo_u32 v7, v4, s12
	v_mul_hi_u32 v8, s16, v4
	s_cmp_lg_u32 s26, s28
	v_sub_u32_e32 v2, v2, v7
	v_add_u32_e32 v7, v4, v8
	v_mul_lo_u32 v8, v2, s4
	v_mul_lo_u32 v9, v2, s5
	v_lshrrev_b32_e32 v2, s17, v7
	v_mul_lo_u32 v7, v2, s15
	v_mul_hi_u32 v10, s19, v2
	v_sub_u32_e32 v4, v4, v7
	v_add_u32_e32 v7, v2, v10
	v_lshrrev_b32_e32 v7, s20, v7
	v_mul_hi_u32 v11, s22, v7
	v_mul_lo_u32 v12, v7, s18
	v_mul_lo_u32 v10, v4, s6
	;; [unrolled: 1-line block ×3, first 2 shown]
	v_sub_u32_e32 v12, v2, v12
	v_add_u32_e32 v2, v7, v11
	v_lshrrev_b32_e32 v2, s23, v2
	v_mul_lo_u32 v11, v2, s21
	v_mul_lo_u32 v13, v12, s8
	;; [unrolled: 1-line block ×3, first 2 shown]
	v_add3_u32 v1, v8, v1, v10
	v_sub_u32_e32 v7, v7, v11
	v_mul_lo_u32 v11, v7, s10
	v_mul_lo_u32 v7, v7, s11
	v_add3_u32 v4, v9, v6, v4
	v_add3_u32 v1, v13, v1, v11
	;; [unrolled: 1-line block ×3, first 2 shown]
	s_cbranch_scc1 .LBB117_256
; %bb.257:
	s_and_b32 s6, s27, 3
	s_cmp_eq_u32 s6, 0
	s_cbranch_scc0 .LBB117_261
	s_branch .LBB117_263
.LBB117_258:
                                        ; implicit-def: $vgpr1
                                        ; implicit-def: $vgpr6
	s_branch .LBB117_264
.LBB117_259:
	v_mov_b32_e32 v1, 0
	v_mov_b32_e32 v6, 0
	s_branch .LBB117_263
.LBB117_260:
	v_mov_b32_e32 v1, 0
	v_mov_b32_e32 v6, 0
	;; [unrolled: 1-line block ×3, first 2 shown]
	s_and_b32 s6, s27, 3
	s_cmp_eq_u32 s6, 0
	s_cbranch_scc1 .LBB117_263
.LBB117_261:
	s_lshl_b32 s2, s26, 3
	s_add_u32 s2, s34, s2
	s_addc_u32 s3, s35, 0
	s_add_u32 s2, s2, 0xc4
	s_addc_u32 s3, s3, 0
	s_mul_i32 s4, s26, 12
	s_add_u32 s4, s34, s4
	s_addc_u32 s5, s35, 0
.LBB117_262:                            ; =>This Inner Loop Header: Depth=1
	s_load_dwordx2 s[8:9], s[4:5], 0x4
	s_load_dword s7, s[4:5], 0xc
	s_load_dwordx2 s[10:11], s[2:3], 0x0
	s_add_u32 s4, s4, 12
	s_addc_u32 s5, s5, 0
	s_waitcnt lgkmcnt(0)
	v_mul_hi_u32 v4, s9, v2
	s_add_u32 s2, s2, 8
	s_addc_u32 s3, s3, 0
	s_add_i32 s6, s6, -1
	v_add_u32_e32 v4, v2, v4
	v_lshrrev_b32_e32 v4, s7, v4
	v_mul_lo_u32 v7, v4, s8
	s_cmp_lg_u32 s6, 0
	v_sub_u32_e32 v7, v2, v7
	v_mad_u64_u32 v[1:2], s[8:9], v7, s10, v[1:2]
	v_mad_u64_u32 v[6:7], s[8:9], v7, s11, v[6:7]
	v_mov_b32_e32 v2, v4
	s_cbranch_scc1 .LBB117_262
.LBB117_263:
	s_cbranch_execnz .LBB117_266
.LBB117_264:
	s_load_dwordx4 s[4:7], s[34:35], 0x4
	s_load_dwordx2 s[2:3], s[34:35], 0xc4
	s_cmp_lt_u32 s33, 2
	s_waitcnt lgkmcnt(0)
	v_mul_hi_u32 v1, s5, v3
	v_add_u32_e32 v1, v3, v1
	v_lshrrev_b32_e32 v2, s6, v1
	v_mul_lo_u32 v1, v2, s4
	v_sub_u32_e32 v3, v3, v1
	v_mul_lo_u32 v1, v3, s2
	v_mul_lo_u32 v6, v3, s3
	s_cbranch_scc1 .LBB117_266
; %bb.265:
	s_load_dwordx4 s[4:7], s[34:35], 0x10
	s_load_dwordx2 s[2:3], s[34:35], 0xcc
	s_waitcnt lgkmcnt(0)
	v_mul_hi_u32 v3, s5, v2
	v_add_u32_e32 v3, v2, v3
	v_lshrrev_b32_e32 v3, s6, v3
	v_mul_lo_u32 v3, v3, s4
	v_sub_u32_e32 v3, v2, v3
	v_mad_u64_u32 v[1:2], s[4:5], v3, s2, v[1:2]
	v_mad_u64_u32 v[6:7], s[2:3], v3, s3, v[6:7]
.LBB117_266:
	s_and_b64 vcc, exec, s[0:1]
	v_add_u32_e32 v4, 0x100, v15
	s_cbranch_vccnz .LBB117_272
; %bb.267:
	s_cmp_lg_u32 s33, 0
	s_waitcnt lgkmcnt(0)
	s_mov_b32 s26, 0
	s_cbranch_scc0 .LBB117_273
; %bb.268:
	s_min_u32 s27, s56, 15
	s_add_i32 s27, s27, 1
	s_cmp_eq_u32 s56, 2
	s_cbranch_scc1 .LBB117_274
; %bb.269:
	s_and_b32 s26, s27, 28
	s_add_u32 s2, s34, 0xc4
	s_addc_u32 s3, s35, 0
	v_mov_b32_e32 v9, 0
	s_mov_b32 s28, 0
	s_mov_b64 s[24:25], s[34:35]
	v_mov_b32_e32 v2, 0
	v_mov_b32_e32 v3, v4
.LBB117_270:                            ; =>This Inner Loop Header: Depth=1
	s_load_dwordx8 s[12:19], s[24:25], 0x4
	s_load_dwordx4 s[20:23], s[24:25], 0x24
	s_load_dwordx8 s[4:11], s[2:3], 0x0
	s_add_u32 s24, s24, 48
	s_addc_u32 s25, s25, 0
	s_waitcnt lgkmcnt(0)
	v_mul_hi_u32 v7, s13, v3
	s_add_i32 s28, s28, 4
	s_add_u32 s2, s2, 32
	s_addc_u32 s3, s3, 0
	v_add_u32_e32 v7, v3, v7
	v_lshrrev_b32_e32 v7, s14, v7
	v_mul_lo_u32 v8, v7, s12
	v_mul_hi_u32 v10, s16, v7
	s_cmp_lg_u32 s26, s28
	v_sub_u32_e32 v3, v3, v8
	v_add_u32_e32 v8, v7, v10
	v_mul_lo_u32 v10, v3, s4
	v_mul_lo_u32 v11, v3, s5
	v_lshrrev_b32_e32 v3, s17, v8
	v_mul_lo_u32 v8, v3, s15
	v_mul_hi_u32 v12, s19, v3
	v_sub_u32_e32 v7, v7, v8
	v_add_u32_e32 v8, v3, v12
	v_lshrrev_b32_e32 v8, s20, v8
	v_mul_hi_u32 v13, s22, v8
	v_mul_lo_u32 v14, v8, s18
	v_mul_lo_u32 v12, v7, s6
	;; [unrolled: 1-line block ×3, first 2 shown]
	v_sub_u32_e32 v14, v3, v14
	v_add_u32_e32 v3, v8, v13
	v_lshrrev_b32_e32 v3, s23, v3
	v_mul_lo_u32 v13, v3, s21
	v_mul_lo_u32 v16, v14, s8
	;; [unrolled: 1-line block ×3, first 2 shown]
	v_add3_u32 v2, v10, v2, v12
	v_sub_u32_e32 v8, v8, v13
	v_mul_lo_u32 v13, v8, s10
	v_mul_lo_u32 v8, v8, s11
	v_add3_u32 v7, v11, v9, v7
	v_add3_u32 v2, v16, v2, v13
	;; [unrolled: 1-line block ×3, first 2 shown]
	s_cbranch_scc1 .LBB117_270
; %bb.271:
	s_and_b32 s6, s27, 3
	s_cmp_eq_u32 s6, 0
	s_cbranch_scc0 .LBB117_275
	s_branch .LBB117_277
.LBB117_272:
                                        ; implicit-def: $vgpr2
                                        ; implicit-def: $vgpr9
	s_branch .LBB117_278
.LBB117_273:
	v_mov_b32_e32 v2, 0
	v_mov_b32_e32 v9, 0
	s_branch .LBB117_277
.LBB117_274:
	v_mov_b32_e32 v2, 0
	v_mov_b32_e32 v9, 0
	;; [unrolled: 1-line block ×3, first 2 shown]
	s_and_b32 s6, s27, 3
	s_cmp_eq_u32 s6, 0
	s_cbranch_scc1 .LBB117_277
.LBB117_275:
	s_lshl_b32 s2, s26, 3
	s_add_u32 s2, s34, s2
	s_addc_u32 s3, s35, 0
	s_add_u32 s2, s2, 0xc4
	s_addc_u32 s3, s3, 0
	s_mul_i32 s4, s26, 12
	s_add_u32 s4, s34, s4
	s_addc_u32 s5, s35, 0
.LBB117_276:                            ; =>This Inner Loop Header: Depth=1
	s_load_dwordx2 s[8:9], s[4:5], 0x4
	s_load_dword s7, s[4:5], 0xc
	s_load_dwordx2 s[10:11], s[2:3], 0x0
	s_add_u32 s4, s4, 12
	s_addc_u32 s5, s5, 0
	s_waitcnt lgkmcnt(0)
	v_mul_hi_u32 v7, s9, v3
	s_add_u32 s2, s2, 8
	s_addc_u32 s3, s3, 0
	s_add_i32 s6, s6, -1
	v_add_u32_e32 v7, v3, v7
	v_lshrrev_b32_e32 v7, s7, v7
	v_mul_lo_u32 v8, v7, s8
	s_cmp_lg_u32 s6, 0
	v_sub_u32_e32 v8, v3, v8
	v_mad_u64_u32 v[2:3], s[8:9], v8, s10, v[2:3]
	v_mad_u64_u32 v[9:10], s[8:9], v8, s11, v[9:10]
	v_mov_b32_e32 v3, v7
	s_cbranch_scc1 .LBB117_276
.LBB117_277:
	s_cbranch_execnz .LBB117_280
.LBB117_278:
	s_load_dwordx4 s[4:7], s[34:35], 0x4
	s_load_dwordx2 s[2:3], s[34:35], 0xc4
	s_cmp_lt_u32 s33, 2
	s_waitcnt lgkmcnt(0)
	v_mul_hi_u32 v2, s5, v4
	v_add_u32_e32 v2, v4, v2
	v_lshrrev_b32_e32 v3, s6, v2
	v_mul_lo_u32 v2, v3, s4
	v_sub_u32_e32 v4, v4, v2
	v_mul_lo_u32 v2, v4, s2
	v_mul_lo_u32 v9, v4, s3
	s_cbranch_scc1 .LBB117_280
; %bb.279:
	s_load_dwordx4 s[4:7], s[34:35], 0x10
	s_load_dwordx2 s[2:3], s[34:35], 0xcc
	s_waitcnt lgkmcnt(0)
	v_mul_hi_u32 v4, s5, v3
	v_add_u32_e32 v4, v3, v4
	v_lshrrev_b32_e32 v4, s6, v4
	v_mul_lo_u32 v4, v4, s4
	v_sub_u32_e32 v4, v3, v4
	v_mad_u64_u32 v[2:3], s[4:5], v4, s2, v[2:3]
	v_mad_u64_u32 v[9:10], s[2:3], v4, s3, v[9:10]
.LBB117_280:
	s_and_b64 vcc, exec, s[0:1]
	v_add_u32_e32 v7, 0x180, v15
	s_cbranch_vccnz .LBB117_286
; %bb.281:
	s_cmp_lg_u32 s33, 0
	s_waitcnt lgkmcnt(0)
	s_mov_b32 s26, 0
	s_cbranch_scc0 .LBB117_287
; %bb.282:
	s_min_u32 s27, s56, 15
	s_add_i32 s27, s27, 1
	s_cmp_eq_u32 s56, 2
	s_cbranch_scc1 .LBB117_288
; %bb.283:
	s_and_b32 s26, s27, 28
	s_add_u32 s2, s34, 0xc4
	s_addc_u32 s3, s35, 0
	v_mov_b32_e32 v12, 0
	s_mov_b32 s28, 0
	s_mov_b64 s[24:25], s[34:35]
	v_mov_b32_e32 v3, 0
	v_mov_b32_e32 v4, v7
.LBB117_284:                            ; =>This Inner Loop Header: Depth=1
	s_load_dwordx8 s[12:19], s[24:25], 0x4
	s_load_dwordx4 s[20:23], s[24:25], 0x24
	s_load_dwordx8 s[4:11], s[2:3], 0x0
	s_add_u32 s24, s24, 48
	s_addc_u32 s25, s25, 0
	s_waitcnt lgkmcnt(0)
	v_mul_hi_u32 v8, s13, v4
	s_add_i32 s28, s28, 4
	s_add_u32 s2, s2, 32
	s_addc_u32 s3, s3, 0
	v_add_u32_e32 v8, v4, v8
	v_lshrrev_b32_e32 v8, s14, v8
	v_mul_lo_u32 v10, v8, s12
	v_mul_hi_u32 v11, s16, v8
	s_cmp_lg_u32 s26, s28
	v_sub_u32_e32 v4, v4, v10
	v_add_u32_e32 v10, v8, v11
	v_mul_lo_u32 v11, v4, s4
	v_mul_lo_u32 v13, v4, s5
	v_lshrrev_b32_e32 v4, s17, v10
	v_mul_lo_u32 v10, v4, s15
	v_mul_hi_u32 v14, s19, v4
	v_sub_u32_e32 v8, v8, v10
	v_add_u32_e32 v10, v4, v14
	v_lshrrev_b32_e32 v10, s20, v10
	v_mul_hi_u32 v16, s22, v10
	v_mul_lo_u32 v17, v10, s18
	v_mul_lo_u32 v14, v8, s6
	;; [unrolled: 1-line block ×3, first 2 shown]
	v_sub_u32_e32 v17, v4, v17
	v_add_u32_e32 v4, v10, v16
	v_lshrrev_b32_e32 v4, s23, v4
	v_mul_lo_u32 v16, v4, s21
	v_mul_lo_u32 v18, v17, s8
	;; [unrolled: 1-line block ×3, first 2 shown]
	v_add3_u32 v3, v11, v3, v14
	v_sub_u32_e32 v10, v10, v16
	v_mul_lo_u32 v16, v10, s10
	v_mul_lo_u32 v10, v10, s11
	v_add3_u32 v8, v13, v12, v8
	v_add3_u32 v3, v18, v3, v16
	;; [unrolled: 1-line block ×3, first 2 shown]
	s_cbranch_scc1 .LBB117_284
; %bb.285:
	s_and_b32 s6, s27, 3
	s_cmp_eq_u32 s6, 0
	s_cbranch_scc0 .LBB117_289
	s_branch .LBB117_291
.LBB117_286:
                                        ; implicit-def: $vgpr3
                                        ; implicit-def: $vgpr12
	s_branch .LBB117_292
.LBB117_287:
	v_mov_b32_e32 v3, 0
	v_mov_b32_e32 v12, 0
	s_branch .LBB117_291
.LBB117_288:
	v_mov_b32_e32 v3, 0
	v_mov_b32_e32 v12, 0
	;; [unrolled: 1-line block ×3, first 2 shown]
	s_and_b32 s6, s27, 3
	s_cmp_eq_u32 s6, 0
	s_cbranch_scc1 .LBB117_291
.LBB117_289:
	s_lshl_b32 s2, s26, 3
	s_add_u32 s2, s34, s2
	s_addc_u32 s3, s35, 0
	s_add_u32 s2, s2, 0xc4
	s_addc_u32 s3, s3, 0
	s_mul_i32 s4, s26, 12
	s_add_u32 s4, s34, s4
	s_addc_u32 s5, s35, 0
.LBB117_290:                            ; =>This Inner Loop Header: Depth=1
	s_load_dwordx2 s[8:9], s[4:5], 0x4
	s_load_dword s7, s[4:5], 0xc
	s_load_dwordx2 s[10:11], s[2:3], 0x0
	s_add_u32 s4, s4, 12
	s_addc_u32 s5, s5, 0
	s_waitcnt lgkmcnt(0)
	v_mul_hi_u32 v8, s9, v4
	s_add_u32 s2, s2, 8
	s_addc_u32 s3, s3, 0
	s_add_i32 s6, s6, -1
	v_add_u32_e32 v8, v4, v8
	v_lshrrev_b32_e32 v8, s7, v8
	v_mul_lo_u32 v10, v8, s8
	s_cmp_lg_u32 s6, 0
	v_sub_u32_e32 v10, v4, v10
	v_mad_u64_u32 v[3:4], s[8:9], v10, s10, v[3:4]
	v_mad_u64_u32 v[12:13], s[8:9], v10, s11, v[12:13]
	v_mov_b32_e32 v4, v8
	s_cbranch_scc1 .LBB117_290
.LBB117_291:
	s_cbranch_execnz .LBB117_294
.LBB117_292:
	s_load_dwordx4 s[4:7], s[34:35], 0x4
	s_load_dwordx2 s[2:3], s[34:35], 0xc4
	s_cmp_lt_u32 s33, 2
	s_waitcnt lgkmcnt(0)
	v_mul_hi_u32 v3, s5, v7
	v_add_u32_e32 v3, v7, v3
	v_lshrrev_b32_e32 v4, s6, v3
	v_mul_lo_u32 v3, v4, s4
	v_sub_u32_e32 v7, v7, v3
	v_mul_lo_u32 v3, v7, s2
	v_mul_lo_u32 v12, v7, s3
	s_cbranch_scc1 .LBB117_294
; %bb.293:
	s_load_dwordx4 s[4:7], s[34:35], 0x10
	s_load_dwordx2 s[2:3], s[34:35], 0xcc
	s_waitcnt lgkmcnt(0)
	v_mul_hi_u32 v7, s5, v4
	v_add_u32_e32 v7, v4, v7
	v_lshrrev_b32_e32 v7, s6, v7
	v_mul_lo_u32 v7, v7, s4
	v_sub_u32_e32 v7, v4, v7
	v_mad_u64_u32 v[3:4], s[4:5], v7, s2, v[3:4]
	v_mad_u64_u32 v[12:13], s[2:3], v7, s3, v[12:13]
.LBB117_294:
	s_and_b64 vcc, exec, s[0:1]
	v_add_u32_e32 v4, 0x200, v15
	s_cbranch_vccnz .LBB117_300
; %bb.295:
	s_cmp_lg_u32 s33, 0
	s_waitcnt lgkmcnt(0)
	s_mov_b32 s26, 0
	s_cbranch_scc0 .LBB117_301
; %bb.296:
	s_min_u32 s27, s56, 15
	s_add_i32 s27, s27, 1
	s_cmp_eq_u32 s56, 2
	s_cbranch_scc1 .LBB117_302
; %bb.297:
	s_and_b32 s26, s27, 28
	s_add_u32 s2, s34, 0xc4
	s_addc_u32 s3, s35, 0
	v_mov_b32_e32 v13, 0
	s_mov_b32 s28, 0
	s_mov_b64 s[24:25], s[34:35]
	v_mov_b32_e32 v7, 0
	v_mov_b32_e32 v8, v4
.LBB117_298:                            ; =>This Inner Loop Header: Depth=1
	s_load_dwordx8 s[12:19], s[24:25], 0x4
	s_load_dwordx4 s[20:23], s[24:25], 0x24
	s_load_dwordx8 s[4:11], s[2:3], 0x0
	s_add_u32 s24, s24, 48
	s_addc_u32 s25, s25, 0
	s_waitcnt lgkmcnt(0)
	v_mul_hi_u32 v10, s13, v8
	s_add_i32 s28, s28, 4
	s_add_u32 s2, s2, 32
	s_addc_u32 s3, s3, 0
	v_add_u32_e32 v10, v8, v10
	v_lshrrev_b32_e32 v10, s14, v10
	v_mul_lo_u32 v11, v10, s12
	v_mul_hi_u32 v14, s16, v10
	s_cmp_lg_u32 s26, s28
	v_sub_u32_e32 v8, v8, v11
	v_add_u32_e32 v11, v10, v14
	v_mul_lo_u32 v14, v8, s4
	v_mul_lo_u32 v16, v8, s5
	v_lshrrev_b32_e32 v8, s17, v11
	v_mul_lo_u32 v11, v8, s15
	v_mul_hi_u32 v17, s19, v8
	v_sub_u32_e32 v10, v10, v11
	v_add_u32_e32 v11, v8, v17
	v_lshrrev_b32_e32 v11, s20, v11
	v_mul_hi_u32 v18, s22, v11
	v_mul_lo_u32 v19, v11, s18
	v_mul_lo_u32 v17, v10, s6
	;; [unrolled: 1-line block ×3, first 2 shown]
	v_sub_u32_e32 v19, v8, v19
	v_add_u32_e32 v8, v11, v18
	v_lshrrev_b32_e32 v8, s23, v8
	v_mul_lo_u32 v18, v8, s21
	v_mul_lo_u32 v20, v19, s8
	;; [unrolled: 1-line block ×3, first 2 shown]
	v_add3_u32 v7, v14, v7, v17
	v_sub_u32_e32 v11, v11, v18
	v_mul_lo_u32 v18, v11, s10
	v_mul_lo_u32 v11, v11, s11
	v_add3_u32 v10, v16, v13, v10
	v_add3_u32 v7, v20, v7, v18
	;; [unrolled: 1-line block ×3, first 2 shown]
	s_cbranch_scc1 .LBB117_298
; %bb.299:
	s_and_b32 s6, s27, 3
	s_cmp_eq_u32 s6, 0
	s_cbranch_scc0 .LBB117_303
	s_branch .LBB117_305
.LBB117_300:
                                        ; implicit-def: $vgpr7
                                        ; implicit-def: $vgpr13
	s_branch .LBB117_306
.LBB117_301:
	v_mov_b32_e32 v7, 0
	v_mov_b32_e32 v13, 0
	s_branch .LBB117_305
.LBB117_302:
	v_mov_b32_e32 v7, 0
	v_mov_b32_e32 v13, 0
	;; [unrolled: 1-line block ×3, first 2 shown]
	s_and_b32 s6, s27, 3
	s_cmp_eq_u32 s6, 0
	s_cbranch_scc1 .LBB117_305
.LBB117_303:
	s_lshl_b32 s2, s26, 3
	s_add_u32 s2, s34, s2
	s_addc_u32 s3, s35, 0
	s_add_u32 s2, s2, 0xc4
	s_addc_u32 s3, s3, 0
	s_mul_i32 s4, s26, 12
	s_add_u32 s4, s34, s4
	s_addc_u32 s5, s35, 0
.LBB117_304:                            ; =>This Inner Loop Header: Depth=1
	s_load_dwordx2 s[8:9], s[4:5], 0x4
	s_load_dword s7, s[4:5], 0xc
	s_load_dwordx2 s[10:11], s[2:3], 0x0
	s_add_u32 s4, s4, 12
	s_addc_u32 s5, s5, 0
	s_waitcnt lgkmcnt(0)
	v_mul_hi_u32 v10, s9, v8
	s_add_u32 s2, s2, 8
	s_addc_u32 s3, s3, 0
	s_add_i32 s6, s6, -1
	v_add_u32_e32 v10, v8, v10
	v_lshrrev_b32_e32 v10, s7, v10
	v_mul_lo_u32 v11, v10, s8
	s_cmp_lg_u32 s6, 0
	v_sub_u32_e32 v11, v8, v11
	v_mad_u64_u32 v[7:8], s[8:9], v11, s10, v[7:8]
	v_mad_u64_u32 v[13:14], s[8:9], v11, s11, v[13:14]
	v_mov_b32_e32 v8, v10
	s_cbranch_scc1 .LBB117_304
.LBB117_305:
	s_cbranch_execnz .LBB117_308
.LBB117_306:
	s_load_dwordx4 s[4:7], s[34:35], 0x4
	s_load_dwordx2 s[2:3], s[34:35], 0xc4
	s_cmp_lt_u32 s33, 2
	s_waitcnt lgkmcnt(0)
	v_mul_hi_u32 v7, s5, v4
	v_add_u32_e32 v7, v4, v7
	v_lshrrev_b32_e32 v8, s6, v7
	v_mul_lo_u32 v7, v8, s4
	v_sub_u32_e32 v4, v4, v7
	v_mul_lo_u32 v7, v4, s2
	v_mul_lo_u32 v13, v4, s3
	s_cbranch_scc1 .LBB117_308
; %bb.307:
	s_load_dwordx4 s[4:7], s[34:35], 0x10
	s_load_dwordx2 s[2:3], s[34:35], 0xcc
	s_waitcnt lgkmcnt(0)
	v_mul_hi_u32 v4, s5, v8
	v_add_u32_e32 v4, v8, v4
	v_lshrrev_b32_e32 v4, s6, v4
	v_mul_lo_u32 v4, v4, s4
	v_sub_u32_e32 v4, v8, v4
	v_mad_u64_u32 v[7:8], s[4:5], v4, s2, v[7:8]
	v_mad_u64_u32 v[13:14], s[2:3], v4, s3, v[13:14]
.LBB117_308:
	s_and_b64 vcc, exec, s[0:1]
	v_add_u32_e32 v4, 0x280, v15
	s_cbranch_vccnz .LBB117_314
; %bb.309:
	s_cmp_lg_u32 s33, 0
	s_waitcnt lgkmcnt(0)
	s_mov_b32 s26, 0
	s_cbranch_scc0 .LBB117_315
; %bb.310:
	s_min_u32 s27, s56, 15
	s_add_i32 s27, s27, 1
	s_cmp_eq_u32 s56, 2
	s_cbranch_scc1 .LBB117_316
; %bb.311:
	s_and_b32 s26, s27, 28
	s_add_u32 s2, s34, 0xc4
	s_addc_u32 s3, s35, 0
	v_mov_b32_e32 v16, 0
	s_mov_b32 s28, 0
	s_mov_b64 s[24:25], s[34:35]
	v_mov_b32_e32 v10, 0
	v_mov_b32_e32 v8, v4
.LBB117_312:                            ; =>This Inner Loop Header: Depth=1
	s_load_dwordx8 s[12:19], s[24:25], 0x4
	s_load_dwordx4 s[20:23], s[24:25], 0x24
	s_load_dwordx8 s[4:11], s[2:3], 0x0
	s_add_u32 s24, s24, 48
	s_addc_u32 s25, s25, 0
	s_waitcnt lgkmcnt(0)
	v_mul_hi_u32 v11, s13, v8
	s_add_i32 s28, s28, 4
	s_add_u32 s2, s2, 32
	s_addc_u32 s3, s3, 0
	v_add_u32_e32 v11, v8, v11
	v_lshrrev_b32_e32 v11, s14, v11
	v_mul_lo_u32 v14, v11, s12
	v_mul_hi_u32 v17, s16, v11
	s_cmp_lg_u32 s26, s28
	v_sub_u32_e32 v8, v8, v14
	v_add_u32_e32 v14, v11, v17
	v_mul_lo_u32 v17, v8, s4
	v_mul_lo_u32 v18, v8, s5
	v_lshrrev_b32_e32 v8, s17, v14
	v_mul_lo_u32 v14, v8, s15
	v_mul_hi_u32 v19, s19, v8
	v_sub_u32_e32 v11, v11, v14
	v_add_u32_e32 v14, v8, v19
	v_lshrrev_b32_e32 v14, s20, v14
	v_mul_hi_u32 v20, s22, v14
	v_mul_lo_u32 v21, v14, s18
	v_mul_lo_u32 v19, v11, s6
	;; [unrolled: 1-line block ×3, first 2 shown]
	v_sub_u32_e32 v21, v8, v21
	v_add_u32_e32 v8, v14, v20
	v_lshrrev_b32_e32 v8, s23, v8
	v_mul_lo_u32 v20, v8, s21
	v_mul_lo_u32 v23, v21, s8
	;; [unrolled: 1-line block ×3, first 2 shown]
	v_add3_u32 v10, v17, v10, v19
	v_sub_u32_e32 v14, v14, v20
	v_mul_lo_u32 v20, v14, s10
	v_mul_lo_u32 v14, v14, s11
	v_add3_u32 v11, v18, v16, v11
	v_add3_u32 v10, v23, v10, v20
	;; [unrolled: 1-line block ×3, first 2 shown]
	s_cbranch_scc1 .LBB117_312
; %bb.313:
	s_and_b32 s6, s27, 3
	s_cmp_eq_u32 s6, 0
	s_cbranch_scc0 .LBB117_317
	s_branch .LBB117_319
.LBB117_314:
                                        ; implicit-def: $vgpr10
                                        ; implicit-def: $vgpr16
	s_branch .LBB117_320
.LBB117_315:
	v_mov_b32_e32 v10, 0
	v_mov_b32_e32 v16, 0
	s_branch .LBB117_319
.LBB117_316:
	v_mov_b32_e32 v10, 0
	v_mov_b32_e32 v16, 0
	;; [unrolled: 1-line block ×3, first 2 shown]
	s_and_b32 s6, s27, 3
	s_cmp_eq_u32 s6, 0
	s_cbranch_scc1 .LBB117_319
.LBB117_317:
	s_lshl_b32 s2, s26, 3
	s_add_u32 s2, s34, s2
	s_addc_u32 s3, s35, 0
	s_add_u32 s2, s2, 0xc4
	s_addc_u32 s3, s3, 0
	s_mul_i32 s4, s26, 12
	s_add_u32 s4, s34, s4
	s_addc_u32 s5, s35, 0
.LBB117_318:                            ; =>This Inner Loop Header: Depth=1
	s_load_dwordx2 s[8:9], s[4:5], 0x4
	s_load_dword s7, s[4:5], 0xc
	s_load_dwordx2 s[10:11], s[2:3], 0x0
	s_add_u32 s4, s4, 12
	s_addc_u32 s5, s5, 0
	s_waitcnt lgkmcnt(0)
	v_mul_hi_u32 v11, s9, v8
	s_add_u32 s2, s2, 8
	s_addc_u32 s3, s3, 0
	s_add_i32 s6, s6, -1
	v_add_u32_e32 v11, v8, v11
	v_lshrrev_b32_e32 v14, s7, v11
	v_mul_lo_u32 v11, v14, s8
	s_cmp_lg_u32 s6, 0
	v_sub_u32_e32 v8, v8, v11
	v_mad_u64_u32 v[10:11], s[8:9], v8, s10, v[10:11]
	v_mad_u64_u32 v[16:17], s[8:9], v8, s11, v[16:17]
	v_mov_b32_e32 v8, v14
	s_cbranch_scc1 .LBB117_318
.LBB117_319:
	s_cbranch_execnz .LBB117_322
.LBB117_320:
	s_load_dwordx4 s[4:7], s[34:35], 0x4
	s_load_dwordx2 s[2:3], s[34:35], 0xc4
	s_cmp_lt_u32 s33, 2
	s_waitcnt lgkmcnt(0)
	v_mul_hi_u32 v8, s5, v4
	v_add_u32_e32 v8, v4, v8
	v_lshrrev_b32_e32 v8, s6, v8
	v_mul_lo_u32 v10, v8, s4
	v_sub_u32_e32 v4, v4, v10
	v_mul_lo_u32 v10, v4, s2
	v_mul_lo_u32 v16, v4, s3
	s_cbranch_scc1 .LBB117_322
; %bb.321:
	s_load_dwordx4 s[4:7], s[34:35], 0x10
	s_load_dwordx2 s[2:3], s[34:35], 0xcc
	s_waitcnt lgkmcnt(0)
	v_mul_hi_u32 v4, s5, v8
	v_add_u32_e32 v4, v8, v4
	v_lshrrev_b32_e32 v4, s6, v4
	v_mul_lo_u32 v4, v4, s4
	v_sub_u32_e32 v4, v8, v4
	v_mad_u64_u32 v[10:11], s[4:5], v4, s2, v[10:11]
	v_mad_u64_u32 v[16:17], s[2:3], v4, s3, v[16:17]
.LBB117_322:
	s_and_b64 vcc, exec, s[0:1]
	v_add_u32_e32 v4, 0x300, v15
	s_cbranch_vccnz .LBB117_328
; %bb.323:
	s_cmp_lg_u32 s33, 0
	s_waitcnt lgkmcnt(0)
	s_mov_b32 s26, 0
	s_cbranch_scc0 .LBB117_329
; %bb.324:
	s_min_u32 s27, s56, 15
	s_add_i32 s27, s27, 1
	s_cmp_eq_u32 s56, 2
	s_cbranch_scc1 .LBB117_330
; %bb.325:
	s_and_b32 s26, s27, 28
	s_add_u32 s2, s34, 0xc4
	s_addc_u32 s3, s35, 0
	v_mov_b32_e32 v17, 0
	s_mov_b32 s28, 0
	s_mov_b64 s[24:25], s[34:35]
	v_mov_b32_e32 v14, 0
	v_mov_b32_e32 v8, v4
.LBB117_326:                            ; =>This Inner Loop Header: Depth=1
	s_load_dwordx8 s[12:19], s[24:25], 0x4
	s_load_dwordx4 s[20:23], s[24:25], 0x24
	s_load_dwordx8 s[4:11], s[2:3], 0x0
	s_add_u32 s24, s24, 48
	s_addc_u32 s25, s25, 0
	s_waitcnt lgkmcnt(0)
	v_mul_hi_u32 v11, s13, v8
	s_add_i32 s28, s28, 4
	s_add_u32 s2, s2, 32
	s_addc_u32 s3, s3, 0
	v_add_u32_e32 v11, v8, v11
	v_lshrrev_b32_e32 v11, s14, v11
	v_mul_lo_u32 v15, v11, s12
	v_mul_hi_u32 v18, s16, v11
	s_cmp_lg_u32 s26, s28
	v_sub_u32_e32 v8, v8, v15
	v_add_u32_e32 v15, v11, v18
	v_mul_lo_u32 v18, v8, s4
	v_mul_lo_u32 v19, v8, s5
	v_lshrrev_b32_e32 v8, s17, v15
	v_mul_lo_u32 v15, v8, s15
	v_mul_hi_u32 v20, s19, v8
	v_sub_u32_e32 v11, v11, v15
	v_add_u32_e32 v15, v8, v20
	v_lshrrev_b32_e32 v15, s20, v15
	v_mul_hi_u32 v21, s22, v15
	v_mul_lo_u32 v23, v15, s18
	v_mul_lo_u32 v20, v11, s6
	;; [unrolled: 1-line block ×3, first 2 shown]
	v_sub_u32_e32 v23, v8, v23
	v_add_u32_e32 v8, v15, v21
	v_lshrrev_b32_e32 v8, s23, v8
	v_mul_lo_u32 v21, v8, s21
	v_mul_lo_u32 v24, v23, s8
	;; [unrolled: 1-line block ×3, first 2 shown]
	v_add3_u32 v14, v18, v14, v20
	v_sub_u32_e32 v15, v15, v21
	v_mul_lo_u32 v21, v15, s10
	v_mul_lo_u32 v15, v15, s11
	v_add3_u32 v11, v19, v17, v11
	v_add3_u32 v14, v24, v14, v21
	;; [unrolled: 1-line block ×3, first 2 shown]
	s_cbranch_scc1 .LBB117_326
; %bb.327:
	s_and_b32 s6, s27, 3
	s_cmp_eq_u32 s6, 0
	s_cbranch_scc0 .LBB117_331
	s_branch .LBB117_333
.LBB117_328:
                                        ; implicit-def: $vgpr14
                                        ; implicit-def: $vgpr17
	s_branch .LBB117_334
.LBB117_329:
	v_mov_b32_e32 v14, 0
	v_mov_b32_e32 v17, 0
	s_branch .LBB117_333
.LBB117_330:
	v_mov_b32_e32 v14, 0
	v_mov_b32_e32 v17, 0
	v_mov_b32_e32 v8, v4
	s_and_b32 s6, s27, 3
	s_cmp_eq_u32 s6, 0
	s_cbranch_scc1 .LBB117_333
.LBB117_331:
	s_lshl_b32 s2, s26, 3
	s_add_u32 s2, s34, s2
	s_addc_u32 s3, s35, 0
	s_add_u32 s2, s2, 0xc4
	s_addc_u32 s3, s3, 0
	s_mul_i32 s4, s26, 12
	s_add_u32 s4, s34, s4
	s_addc_u32 s5, s35, 0
.LBB117_332:                            ; =>This Inner Loop Header: Depth=1
	s_load_dwordx2 s[8:9], s[4:5], 0x4
	s_load_dword s7, s[4:5], 0xc
	s_load_dwordx2 s[10:11], s[2:3], 0x0
	s_add_u32 s4, s4, 12
	s_addc_u32 s5, s5, 0
	s_waitcnt lgkmcnt(0)
	v_mul_hi_u32 v11, s9, v8
	s_add_u32 s2, s2, 8
	s_addc_u32 s3, s3, 0
	s_add_i32 s6, s6, -1
	v_add_u32_e32 v11, v8, v11
	v_lshrrev_b32_e32 v11, s7, v11
	v_mul_lo_u32 v15, v11, s8
	s_cmp_lg_u32 s6, 0
	v_sub_u32_e32 v8, v8, v15
	v_mad_u64_u32 v[14:15], s[8:9], v8, s10, v[14:15]
	v_mad_u64_u32 v[17:18], s[8:9], v8, s11, v[17:18]
	v_mov_b32_e32 v8, v11
	s_cbranch_scc1 .LBB117_332
.LBB117_333:
	s_cbranch_execnz .LBB117_336
.LBB117_334:
	s_load_dwordx4 s[4:7], s[34:35], 0x4
	s_load_dwordx2 s[2:3], s[34:35], 0xc4
	s_cmp_lt_u32 s33, 2
	s_waitcnt lgkmcnt(0)
	v_mul_hi_u32 v8, s5, v4
	v_add_u32_e32 v8, v4, v8
	v_lshrrev_b32_e32 v8, s6, v8
	v_mul_lo_u32 v11, v8, s4
	v_sub_u32_e32 v4, v4, v11
	v_mul_lo_u32 v14, v4, s2
	v_mul_lo_u32 v17, v4, s3
	s_cbranch_scc1 .LBB117_336
; %bb.335:
	s_load_dwordx4 s[4:7], s[34:35], 0x10
	s_load_dwordx2 s[2:3], s[34:35], 0xcc
	s_waitcnt lgkmcnt(0)
	v_mul_hi_u32 v4, s5, v8
	v_add_u32_e32 v4, v8, v4
	v_lshrrev_b32_e32 v4, s6, v4
	v_mul_lo_u32 v4, v4, s4
	v_sub_u32_e32 v4, v8, v4
	v_mad_u64_u32 v[14:15], s[4:5], v4, s2, v[14:15]
	v_mad_u64_u32 v[17:18], s[2:3], v4, s3, v[17:18]
.LBB117_336:
	s_and_b64 vcc, exec, s[0:1]
	s_cbranch_vccnz .LBB117_342
; %bb.337:
	s_cmp_lg_u32 s33, 0
	s_waitcnt lgkmcnt(0)
	s_mov_b32 s24, 0
	s_cbranch_scc0 .LBB117_343
; %bb.338:
	s_min_u32 s25, s56, 15
	s_add_i32 s25, s25, 1
	s_cmp_eq_u32 s56, 2
	s_cbranch_scc1 .LBB117_344
; %bb.339:
	s_and_b32 s24, s25, 28
	s_add_u32 s20, s34, 0xc4
	s_addc_u32 s21, s35, 0
	v_mov_b32_e32 v20, 0
	s_mov_b32 s26, 0
	s_mov_b64 s[22:23], s[34:35]
	v_mov_b32_e32 v18, 0
	v_mov_b32_e32 v4, v22
.LBB117_340:                            ; =>This Inner Loop Header: Depth=1
	s_load_dwordx8 s[8:15], s[22:23], 0x4
	s_load_dwordx4 s[16:19], s[22:23], 0x24
	s_load_dwordx8 s[0:7], s[20:21], 0x0
	s_add_u32 s22, s22, 48
	s_addc_u32 s23, s23, 0
	s_waitcnt lgkmcnt(0)
	v_mul_hi_u32 v8, s9, v4
	s_add_i32 s26, s26, 4
	s_add_u32 s20, s20, 32
	s_addc_u32 s21, s21, 0
	v_add_u32_e32 v8, v4, v8
	v_lshrrev_b32_e32 v8, s10, v8
	v_mul_lo_u32 v11, v8, s8
	v_mul_hi_u32 v15, s12, v8
	s_cmp_lg_u32 s24, s26
	v_sub_u32_e32 v4, v4, v11
	v_add_u32_e32 v11, v8, v15
	v_mul_lo_u32 v15, v4, s0
	v_mul_lo_u32 v19, v4, s1
	v_lshrrev_b32_e32 v4, s13, v11
	v_mul_lo_u32 v11, v4, s11
	v_mul_hi_u32 v21, s15, v4
	v_sub_u32_e32 v8, v8, v11
	v_add_u32_e32 v11, v4, v21
	v_lshrrev_b32_e32 v11, s16, v11
	v_mul_hi_u32 v23, s18, v11
	v_mul_lo_u32 v24, v11, s14
	v_mul_lo_u32 v21, v8, s2
	;; [unrolled: 1-line block ×3, first 2 shown]
	v_sub_u32_e32 v24, v4, v24
	v_add_u32_e32 v4, v11, v23
	v_lshrrev_b32_e32 v4, s19, v4
	v_mul_lo_u32 v23, v4, s17
	v_mul_lo_u32 v25, v24, s4
	;; [unrolled: 1-line block ×3, first 2 shown]
	v_add3_u32 v15, v15, v18, v21
	v_sub_u32_e32 v11, v11, v23
	v_mul_lo_u32 v23, v11, s6
	v_mul_lo_u32 v11, v11, s7
	v_add3_u32 v8, v19, v20, v8
	v_add3_u32 v18, v25, v15, v23
	;; [unrolled: 1-line block ×3, first 2 shown]
	s_cbranch_scc1 .LBB117_340
; %bb.341:
	s_and_b32 s4, s25, 3
	s_cmp_eq_u32 s4, 0
	s_cbranch_scc0 .LBB117_345
	s_branch .LBB117_347
.LBB117_342:
                                        ; implicit-def: $vgpr18
                                        ; implicit-def: $vgpr20
	s_branch .LBB117_348
.LBB117_343:
	v_mov_b32_e32 v18, 0
	v_mov_b32_e32 v20, 0
	s_branch .LBB117_347
.LBB117_344:
	v_mov_b32_e32 v18, 0
	v_mov_b32_e32 v20, 0
	;; [unrolled: 1-line block ×3, first 2 shown]
	s_and_b32 s4, s25, 3
	s_cmp_eq_u32 s4, 0
	s_cbranch_scc1 .LBB117_347
.LBB117_345:
	s_lshl_b32 s0, s24, 3
	s_add_u32 s0, s34, s0
	s_addc_u32 s1, s35, 0
	s_add_u32 s0, s0, 0xc4
	s_addc_u32 s1, s1, 0
	s_mul_i32 s2, s24, 12
	s_add_u32 s2, s34, s2
	s_addc_u32 s3, s35, 0
.LBB117_346:                            ; =>This Inner Loop Header: Depth=1
	s_load_dwordx2 s[6:7], s[2:3], 0x4
	s_load_dword s5, s[2:3], 0xc
	s_load_dwordx2 s[8:9], s[0:1], 0x0
	s_add_u32 s2, s2, 12
	s_addc_u32 s3, s3, 0
	s_waitcnt lgkmcnt(0)
	v_mul_hi_u32 v8, s7, v4
	s_add_u32 s0, s0, 8
	s_addc_u32 s1, s1, 0
	s_add_i32 s4, s4, -1
	v_add_u32_e32 v8, v4, v8
	v_lshrrev_b32_e32 v8, s5, v8
	v_mul_lo_u32 v11, v8, s6
	s_cmp_lg_u32 s4, 0
	v_sub_u32_e32 v4, v4, v11
	v_mad_u64_u32 v[18:19], s[6:7], v4, s8, v[18:19]
	v_mad_u64_u32 v[20:21], s[6:7], v4, s9, v[20:21]
	v_mov_b32_e32 v4, v8
	s_cbranch_scc1 .LBB117_346
.LBB117_347:
	s_cbranch_execnz .LBB117_350
.LBB117_348:
	s_load_dwordx4 s[0:3], s[34:35], 0x4
	s_load_dwordx2 s[4:5], s[34:35], 0xc4
	s_cmp_lt_u32 s33, 2
	s_waitcnt lgkmcnt(0)
	v_mul_hi_u32 v4, s1, v22
	v_add_u32_e32 v4, v22, v4
	v_lshrrev_b32_e32 v4, s2, v4
	v_mul_lo_u32 v8, v4, s0
	v_sub_u32_e32 v8, v22, v8
	v_mul_lo_u32 v18, v8, s4
	v_mul_lo_u32 v20, v8, s5
	s_cbranch_scc1 .LBB117_350
; %bb.349:
	s_load_dwordx4 s[0:3], s[34:35], 0x10
	s_load_dwordx2 s[4:5], s[34:35], 0xcc
	s_waitcnt lgkmcnt(0)
	v_mul_hi_u32 v8, s1, v4
	v_add_u32_e32 v8, v4, v8
	v_lshrrev_b32_e32 v8, s2, v8
	v_mul_lo_u32 v8, v8, s0
	v_sub_u32_e32 v4, v4, v8
	v_mad_u64_u32 v[18:19], s[0:1], v4, s4, v[18:19]
	v_mad_u64_u32 v[20:21], s[0:1], v4, s5, v[20:21]
.LBB117_350:
	s_load_dwordx4 s[0:3], s[34:35], 0x148
	s_load_dwordx2 s[4:5], s[34:35], 0x158
	s_mov_b64 s[8:9], 0
	s_waitcnt lgkmcnt(0)
	global_load_ushort v4, v5, s[2:3]
	s_cmp_lt_i32 s4, 1
	s_cbranch_scc1 .LBB117_354
; %bb.351:
	s_cmp_gt_i32 s4, 1
	s_cbranch_scc0 .LBB117_355
; %bb.352:
	s_cmp_eq_u32 s4, 2
	s_cbranch_scc0 .LBB117_356
; %bb.353:
	s_waitcnt vmcnt(0)
	v_cmp_ge_f16_e64 s[6:7], s5, v4
	s_mov_b64 s[10:11], 0
	s_branch .LBB117_357
.LBB117_354:
                                        ; implicit-def: $sgpr6_sgpr7
	s_mov_b64 s[10:11], 0
	s_cbranch_execnz .LBB117_360
	s_branch .LBB117_361
.LBB117_355:
	s_mov_b64 s[10:11], 0
                                        ; implicit-def: $sgpr6_sgpr7
	s_cbranch_execnz .LBB117_358
	s_branch .LBB117_359
.LBB117_356:
	s_mov_b64 s[10:11], -1
                                        ; implicit-def: $sgpr6_sgpr7
.LBB117_357:
	s_branch .LBB117_359
.LBB117_358:
	s_waitcnt vmcnt(0)
	v_cmp_lt_f16_e32 vcc, s5, v4
	s_andn2_b64 s[6:7], s[6:7], exec
	s_and_b64 s[12:13], vcc, exec
	s_or_b64 s[6:7], s[6:7], s[12:13]
.LBB117_359:
	s_branch .LBB117_361
.LBB117_360:
	s_cmp_lg_u32 s4, 0
	s_mov_b64 s[8:9], -1
	s_cselect_b64 s[10:11], -1, 0
.LBB117_361:
	s_andn2_b64 vcc, exec, s[10:11]
	s_cbranch_vccz .LBB117_367
; %bb.362:
	s_andn2_b64 vcc, exec, s[8:9]
	s_cbranch_vccz .LBB117_368
.LBB117_363:
	global_load_ushort v4, v6, s[2:3]
	s_cmp_lt_i32 s4, 1
	s_mov_b64 s[10:11], 0
	s_cbranch_scc1 .LBB117_369
.LBB117_364:
	s_cmp_gt_i32 s4, 1
	s_cbranch_scc0 .LBB117_370
; %bb.365:
	s_cmp_eq_u32 s4, 2
	s_cbranch_scc0 .LBB117_371
; %bb.366:
	s_waitcnt vmcnt(0)
	v_cmp_ge_f16_e64 s[8:9], s5, v4
	s_mov_b64 s[12:13], 0
	s_branch .LBB117_372
.LBB117_367:
	s_waitcnt vmcnt(0)
	v_cmp_gt_f16_e32 vcc, s5, v4
	s_andn2_b64 s[6:7], s[6:7], exec
	s_and_b64 s[10:11], vcc, exec
	s_or_b64 s[6:7], s[6:7], s[10:11]
	s_cbranch_execnz .LBB117_363
.LBB117_368:
	s_waitcnt vmcnt(0)
	v_cmp_le_f16_e32 vcc, s5, v4
	s_andn2_b64 s[6:7], s[6:7], exec
	s_and_b64 s[8:9], vcc, exec
	s_or_b64 s[6:7], s[6:7], s[8:9]
	global_load_ushort v4, v6, s[2:3]
	s_cmp_lt_i32 s4, 1
	s_mov_b64 s[10:11], 0
	s_cbranch_scc0 .LBB117_364
.LBB117_369:
                                        ; implicit-def: $sgpr8_sgpr9
	s_mov_b64 s[12:13], 0
	s_cbranch_execnz .LBB117_375
	s_branch .LBB117_376
.LBB117_370:
	s_mov_b64 s[12:13], 0
                                        ; implicit-def: $sgpr8_sgpr9
	s_cbranch_execnz .LBB117_373
	s_branch .LBB117_374
.LBB117_371:
	s_mov_b64 s[12:13], -1
                                        ; implicit-def: $sgpr8_sgpr9
.LBB117_372:
	s_branch .LBB117_374
.LBB117_373:
	s_waitcnt vmcnt(0)
	v_cmp_lt_f16_e32 vcc, s5, v4
	s_andn2_b64 s[8:9], s[8:9], exec
	s_and_b64 s[14:15], vcc, exec
	s_or_b64 s[8:9], s[8:9], s[14:15]
.LBB117_374:
	s_branch .LBB117_376
.LBB117_375:
	s_cmp_lg_u32 s4, 0
	s_mov_b64 s[10:11], -1
	s_cselect_b64 s[12:13], -1, 0
.LBB117_376:
	s_andn2_b64 vcc, exec, s[12:13]
	s_cbranch_vccz .LBB117_382
; %bb.377:
	s_andn2_b64 vcc, exec, s[10:11]
	s_cbranch_vccz .LBB117_383
.LBB117_378:
	global_load_ushort v4, v9, s[2:3]
	s_cmp_lt_i32 s4, 1
	s_mov_b64 s[12:13], 0
	s_cbranch_scc1 .LBB117_384
.LBB117_379:
	s_cmp_gt_i32 s4, 1
	s_cbranch_scc0 .LBB117_385
; %bb.380:
	s_cmp_eq_u32 s4, 2
	s_cbranch_scc0 .LBB117_386
; %bb.381:
	s_waitcnt vmcnt(0)
	v_cmp_ge_f16_e64 s[10:11], s5, v4
	s_mov_b64 s[14:15], 0
	s_branch .LBB117_387
.LBB117_382:
	s_waitcnt vmcnt(0)
	v_cmp_gt_f16_e32 vcc, s5, v4
	s_andn2_b64 s[8:9], s[8:9], exec
	s_and_b64 s[12:13], vcc, exec
	s_or_b64 s[8:9], s[8:9], s[12:13]
	s_cbranch_execnz .LBB117_378
.LBB117_383:
	s_waitcnt vmcnt(0)
	v_cmp_le_f16_e32 vcc, s5, v4
	s_andn2_b64 s[8:9], s[8:9], exec
	s_and_b64 s[10:11], vcc, exec
	s_or_b64 s[8:9], s[8:9], s[10:11]
	global_load_ushort v4, v9, s[2:3]
	s_cmp_lt_i32 s4, 1
	s_mov_b64 s[12:13], 0
	s_cbranch_scc0 .LBB117_379
.LBB117_384:
                                        ; implicit-def: $sgpr10_sgpr11
	s_mov_b64 s[14:15], 0
	s_cbranch_execnz .LBB117_390
	s_branch .LBB117_391
.LBB117_385:
	s_mov_b64 s[14:15], 0
                                        ; implicit-def: $sgpr10_sgpr11
	s_cbranch_execnz .LBB117_388
	s_branch .LBB117_389
.LBB117_386:
	s_mov_b64 s[14:15], -1
                                        ; implicit-def: $sgpr10_sgpr11
.LBB117_387:
	s_branch .LBB117_389
.LBB117_388:
	s_waitcnt vmcnt(0)
	v_cmp_lt_f16_e32 vcc, s5, v4
	s_andn2_b64 s[10:11], s[10:11], exec
	s_and_b64 s[16:17], vcc, exec
	s_or_b64 s[10:11], s[10:11], s[16:17]
.LBB117_389:
	s_branch .LBB117_391
.LBB117_390:
	s_cmp_lg_u32 s4, 0
	s_mov_b64 s[12:13], -1
	s_cselect_b64 s[14:15], -1, 0
.LBB117_391:
	s_andn2_b64 vcc, exec, s[14:15]
	s_cbranch_vccz .LBB117_397
; %bb.392:
	s_andn2_b64 vcc, exec, s[12:13]
	s_cbranch_vccz .LBB117_398
.LBB117_393:
	global_load_ushort v4, v12, s[2:3]
	s_cmp_lt_i32 s4, 1
	s_mov_b64 s[14:15], 0
	s_cbranch_scc1 .LBB117_399
.LBB117_394:
	s_cmp_gt_i32 s4, 1
	s_cbranch_scc0 .LBB117_400
; %bb.395:
	s_cmp_eq_u32 s4, 2
	s_cbranch_scc0 .LBB117_401
; %bb.396:
	s_waitcnt vmcnt(0)
	v_cmp_ge_f16_e64 s[12:13], s5, v4
	s_mov_b64 s[16:17], 0
	s_branch .LBB117_402
.LBB117_397:
	s_waitcnt vmcnt(0)
	v_cmp_gt_f16_e32 vcc, s5, v4
	s_andn2_b64 s[10:11], s[10:11], exec
	s_and_b64 s[14:15], vcc, exec
	s_or_b64 s[10:11], s[10:11], s[14:15]
	s_cbranch_execnz .LBB117_393
.LBB117_398:
	s_waitcnt vmcnt(0)
	v_cmp_le_f16_e32 vcc, s5, v4
	s_andn2_b64 s[10:11], s[10:11], exec
	s_and_b64 s[12:13], vcc, exec
	s_or_b64 s[10:11], s[10:11], s[12:13]
	global_load_ushort v4, v12, s[2:3]
	s_cmp_lt_i32 s4, 1
	s_mov_b64 s[14:15], 0
	s_cbranch_scc0 .LBB117_394
.LBB117_399:
                                        ; implicit-def: $sgpr12_sgpr13
	s_mov_b64 s[16:17], 0
	s_cbranch_execnz .LBB117_405
	s_branch .LBB117_406
.LBB117_400:
	s_mov_b64 s[16:17], 0
                                        ; implicit-def: $sgpr12_sgpr13
	s_cbranch_execnz .LBB117_403
	s_branch .LBB117_404
.LBB117_401:
	s_mov_b64 s[16:17], -1
                                        ; implicit-def: $sgpr12_sgpr13
.LBB117_402:
	s_branch .LBB117_404
.LBB117_403:
	s_waitcnt vmcnt(0)
	v_cmp_lt_f16_e32 vcc, s5, v4
	s_andn2_b64 s[12:13], s[12:13], exec
	s_and_b64 s[18:19], vcc, exec
	s_or_b64 s[12:13], s[12:13], s[18:19]
.LBB117_404:
	s_branch .LBB117_406
.LBB117_405:
	s_cmp_lg_u32 s4, 0
	s_mov_b64 s[14:15], -1
	s_cselect_b64 s[16:17], -1, 0
.LBB117_406:
	s_andn2_b64 vcc, exec, s[16:17]
	s_cbranch_vccz .LBB117_412
; %bb.407:
	s_andn2_b64 vcc, exec, s[14:15]
	s_cbranch_vccz .LBB117_413
.LBB117_408:
	global_load_ushort v4, v13, s[2:3]
	s_cmp_lt_i32 s4, 1
	s_mov_b64 s[16:17], 0
	s_cbranch_scc1 .LBB117_414
.LBB117_409:
	s_cmp_gt_i32 s4, 1
	s_cbranch_scc0 .LBB117_415
; %bb.410:
	s_cmp_eq_u32 s4, 2
	s_cbranch_scc0 .LBB117_416
; %bb.411:
	s_waitcnt vmcnt(0)
	v_cmp_ge_f16_e64 s[14:15], s5, v4
	s_mov_b64 s[18:19], 0
	s_branch .LBB117_417
.LBB117_412:
	s_waitcnt vmcnt(0)
	v_cmp_gt_f16_e32 vcc, s5, v4
	s_andn2_b64 s[12:13], s[12:13], exec
	s_and_b64 s[16:17], vcc, exec
	s_or_b64 s[12:13], s[12:13], s[16:17]
	s_cbranch_execnz .LBB117_408
.LBB117_413:
	s_waitcnt vmcnt(0)
	v_cmp_le_f16_e32 vcc, s5, v4
	s_andn2_b64 s[12:13], s[12:13], exec
	s_and_b64 s[14:15], vcc, exec
	s_or_b64 s[12:13], s[12:13], s[14:15]
	global_load_ushort v4, v13, s[2:3]
	s_cmp_lt_i32 s4, 1
	s_mov_b64 s[16:17], 0
	s_cbranch_scc0 .LBB117_409
.LBB117_414:
                                        ; implicit-def: $sgpr14_sgpr15
	s_mov_b64 s[18:19], 0
	s_cbranch_execnz .LBB117_420
	s_branch .LBB117_421
.LBB117_415:
	s_mov_b64 s[18:19], 0
                                        ; implicit-def: $sgpr14_sgpr15
	s_cbranch_execnz .LBB117_418
	s_branch .LBB117_419
.LBB117_416:
	s_mov_b64 s[18:19], -1
                                        ; implicit-def: $sgpr14_sgpr15
.LBB117_417:
	s_branch .LBB117_419
.LBB117_418:
	s_waitcnt vmcnt(0)
	v_cmp_lt_f16_e32 vcc, s5, v4
	s_andn2_b64 s[14:15], s[14:15], exec
	s_and_b64 s[20:21], vcc, exec
	s_or_b64 s[14:15], s[14:15], s[20:21]
.LBB117_419:
	s_branch .LBB117_421
.LBB117_420:
	s_cmp_lg_u32 s4, 0
	s_mov_b64 s[16:17], -1
	s_cselect_b64 s[18:19], -1, 0
.LBB117_421:
	s_andn2_b64 vcc, exec, s[18:19]
	s_cbranch_vccz .LBB117_427
; %bb.422:
	s_andn2_b64 vcc, exec, s[16:17]
	s_cbranch_vccz .LBB117_428
.LBB117_423:
	global_load_ushort v4, v16, s[2:3]
	s_cmp_lt_i32 s4, 1
	s_mov_b64 s[18:19], 0
	s_cbranch_scc1 .LBB117_429
.LBB117_424:
	s_cmp_gt_i32 s4, 1
	s_cbranch_scc0 .LBB117_430
; %bb.425:
	s_cmp_eq_u32 s4, 2
	s_cbranch_scc0 .LBB117_431
; %bb.426:
	s_waitcnt vmcnt(0)
	v_cmp_ge_f16_e64 s[16:17], s5, v4
	s_mov_b64 s[20:21], 0
	s_branch .LBB117_432
.LBB117_427:
	s_waitcnt vmcnt(0)
	v_cmp_gt_f16_e32 vcc, s5, v4
	s_andn2_b64 s[14:15], s[14:15], exec
	s_and_b64 s[18:19], vcc, exec
	s_or_b64 s[14:15], s[14:15], s[18:19]
	s_cbranch_execnz .LBB117_423
.LBB117_428:
	s_waitcnt vmcnt(0)
	v_cmp_le_f16_e32 vcc, s5, v4
	s_andn2_b64 s[14:15], s[14:15], exec
	s_and_b64 s[16:17], vcc, exec
	s_or_b64 s[14:15], s[14:15], s[16:17]
	global_load_ushort v4, v16, s[2:3]
	s_cmp_lt_i32 s4, 1
	s_mov_b64 s[18:19], 0
	s_cbranch_scc0 .LBB117_424
.LBB117_429:
                                        ; implicit-def: $sgpr16_sgpr17
	s_mov_b64 s[20:21], 0
	s_cbranch_execnz .LBB117_435
	s_branch .LBB117_436
.LBB117_430:
	s_mov_b64 s[20:21], 0
                                        ; implicit-def: $sgpr16_sgpr17
	s_cbranch_execnz .LBB117_433
	s_branch .LBB117_434
.LBB117_431:
	s_mov_b64 s[20:21], -1
                                        ; implicit-def: $sgpr16_sgpr17
.LBB117_432:
	s_branch .LBB117_434
.LBB117_433:
	s_waitcnt vmcnt(0)
	v_cmp_lt_f16_e32 vcc, s5, v4
	s_andn2_b64 s[16:17], s[16:17], exec
	s_and_b64 s[22:23], vcc, exec
	s_or_b64 s[16:17], s[16:17], s[22:23]
.LBB117_434:
	s_branch .LBB117_436
.LBB117_435:
	s_cmp_lg_u32 s4, 0
	s_mov_b64 s[18:19], -1
	s_cselect_b64 s[20:21], -1, 0
.LBB117_436:
	s_andn2_b64 vcc, exec, s[20:21]
	s_cbranch_vccz .LBB117_442
; %bb.437:
	s_andn2_b64 vcc, exec, s[18:19]
	s_cbranch_vccz .LBB117_443
.LBB117_438:
	global_load_ushort v4, v17, s[2:3]
	s_cmp_lt_i32 s4, 1
	s_mov_b64 s[20:21], 0
	s_cbranch_scc1 .LBB117_444
.LBB117_439:
	s_cmp_gt_i32 s4, 1
	s_cbranch_scc0 .LBB117_445
; %bb.440:
	s_cmp_eq_u32 s4, 2
	s_cbranch_scc0 .LBB117_446
; %bb.441:
	s_waitcnt vmcnt(0)
	v_cmp_ge_f16_e64 s[18:19], s5, v4
	s_mov_b64 s[22:23], 0
	s_branch .LBB117_447
.LBB117_442:
	s_waitcnt vmcnt(0)
	v_cmp_gt_f16_e32 vcc, s5, v4
	s_andn2_b64 s[16:17], s[16:17], exec
	s_and_b64 s[20:21], vcc, exec
	s_or_b64 s[16:17], s[16:17], s[20:21]
	s_cbranch_execnz .LBB117_438
.LBB117_443:
	s_waitcnt vmcnt(0)
	v_cmp_le_f16_e32 vcc, s5, v4
	s_andn2_b64 s[16:17], s[16:17], exec
	s_and_b64 s[18:19], vcc, exec
	s_or_b64 s[16:17], s[16:17], s[18:19]
	global_load_ushort v4, v17, s[2:3]
	s_cmp_lt_i32 s4, 1
	s_mov_b64 s[20:21], 0
	s_cbranch_scc0 .LBB117_439
.LBB117_444:
                                        ; implicit-def: $sgpr18_sgpr19
	s_mov_b64 s[22:23], 0
	s_cbranch_execnz .LBB117_450
	s_branch .LBB117_451
.LBB117_445:
	s_mov_b64 s[22:23], 0
                                        ; implicit-def: $sgpr18_sgpr19
	s_cbranch_execnz .LBB117_448
	s_branch .LBB117_449
.LBB117_446:
	s_mov_b64 s[22:23], -1
                                        ; implicit-def: $sgpr18_sgpr19
.LBB117_447:
	s_branch .LBB117_449
.LBB117_448:
	s_waitcnt vmcnt(0)
	v_cmp_lt_f16_e32 vcc, s5, v4
	s_andn2_b64 s[18:19], s[18:19], exec
	s_and_b64 s[24:25], vcc, exec
	s_or_b64 s[18:19], s[18:19], s[24:25]
.LBB117_449:
	s_branch .LBB117_451
.LBB117_450:
	s_cmp_lg_u32 s4, 0
	s_mov_b64 s[20:21], -1
	s_cselect_b64 s[22:23], -1, 0
.LBB117_451:
	s_andn2_b64 vcc, exec, s[22:23]
	s_cbranch_vccz .LBB117_457
; %bb.452:
	s_andn2_b64 vcc, exec, s[20:21]
	s_cbranch_vccz .LBB117_458
.LBB117_453:
	global_load_ushort v4, v20, s[2:3]
	s_cmp_lt_i32 s4, 1
	s_mov_b64 s[20:21], 0
	s_cbranch_scc1 .LBB117_459
.LBB117_454:
	s_cmp_gt_i32 s4, 1
	s_cbranch_scc0 .LBB117_460
; %bb.455:
	s_cmp_eq_u32 s4, 2
	s_cbranch_scc0 .LBB117_461
; %bb.456:
	s_waitcnt vmcnt(0)
	v_cmp_ge_f16_e64 s[2:3], s5, v4
	s_mov_b64 s[22:23], 0
	s_branch .LBB117_462
.LBB117_457:
	s_waitcnt vmcnt(0)
	v_cmp_gt_f16_e32 vcc, s5, v4
	s_andn2_b64 s[18:19], s[18:19], exec
	s_and_b64 s[22:23], vcc, exec
	s_or_b64 s[18:19], s[18:19], s[22:23]
	s_cbranch_execnz .LBB117_453
.LBB117_458:
	s_waitcnt vmcnt(0)
	v_cmp_le_f16_e32 vcc, s5, v4
	s_andn2_b64 s[18:19], s[18:19], exec
	s_and_b64 s[20:21], vcc, exec
	s_or_b64 s[18:19], s[18:19], s[20:21]
	global_load_ushort v4, v20, s[2:3]
	s_cmp_lt_i32 s4, 1
	s_mov_b64 s[20:21], 0
	s_cbranch_scc0 .LBB117_454
.LBB117_459:
                                        ; implicit-def: $sgpr2_sgpr3
	s_mov_b64 s[22:23], 0
	s_cbranch_execnz .LBB117_465
	s_branch .LBB117_466
.LBB117_460:
	s_mov_b64 s[22:23], 0
                                        ; implicit-def: $sgpr2_sgpr3
	s_cbranch_execnz .LBB117_463
	s_branch .LBB117_464
.LBB117_461:
	s_mov_b64 s[22:23], -1
                                        ; implicit-def: $sgpr2_sgpr3
.LBB117_462:
	s_branch .LBB117_464
.LBB117_463:
	s_waitcnt vmcnt(0)
	v_cmp_lt_f16_e32 vcc, s5, v4
	s_andn2_b64 s[2:3], s[2:3], exec
	s_and_b64 s[24:25], vcc, exec
	s_or_b64 s[2:3], s[2:3], s[24:25]
.LBB117_464:
	s_branch .LBB117_466
.LBB117_465:
	s_cmp_lg_u32 s4, 0
	s_mov_b64 s[20:21], -1
	s_cselect_b64 s[22:23], -1, 0
.LBB117_466:
	s_andn2_b64 vcc, exec, s[22:23]
	s_cbranch_vccz .LBB117_470
; %bb.467:
	s_andn2_b64 vcc, exec, s[20:21]
	s_cbranch_vccnz .LBB117_469
.LBB117_468:
	s_waitcnt vmcnt(0)
	v_cmp_le_f16_e32 vcc, s5, v4
	s_andn2_b64 s[2:3], s[2:3], exec
	s_and_b64 s[4:5], vcc, exec
	s_or_b64 s[2:3], s[2:3], s[4:5]
.LBB117_469:
	v_cndmask_b32_e64 v12, 0, 1, s[6:7]
	s_waitcnt vmcnt(0)
	v_cndmask_b32_e64 v4, 0, 1, s[18:19]
	v_cndmask_b32_e64 v5, 0, 1, s[16:17]
	;; [unrolled: 1-line block ×7, first 2 shown]
	global_store_byte v0, v12, s[0:1]
	global_store_byte v1, v11, s[0:1]
	;; [unrolled: 1-line block ×8, first 2 shown]
	s_endpgm
.LBB117_470:
	s_waitcnt vmcnt(0)
	v_cmp_gt_f16_e32 vcc, s5, v4
	s_andn2_b64 s[2:3], s[2:3], exec
	s_and_b64 s[22:23], vcc, exec
	s_or_b64 s[2:3], s[2:3], s[22:23]
	s_cbranch_execz .LBB117_468
	s_branch .LBB117_469
.LBB117_471:
	s_mov_b64 s[4:5], -1
                                        ; implicit-def: $sgpr2_sgpr3
	s_branch .LBB117_60
.LBB117_472:
	s_mov_b64 s[4:5], -1
                                        ; implicit-def: $sgpr2_sgpr3
	s_branch .LBB117_88
.LBB117_473:
	s_mov_b64 s[4:5], -1
                                        ; implicit-def: $sgpr2_sgpr3
	s_branch .LBB117_116
.LBB117_474:
	s_mov_b64 s[4:5], -1
                                        ; implicit-def: $sgpr2_sgpr3
	s_branch .LBB117_144
.LBB117_475:
	s_mov_b64 s[4:5], -1
                                        ; implicit-def: $sgpr2_sgpr3
	s_branch .LBB117_172
.LBB117_476:
	s_mov_b64 s[4:5], -1
                                        ; implicit-def: $sgpr2_sgpr3
	s_branch .LBB117_200
.LBB117_477:
	s_mov_b64 s[4:5], -1
                                        ; implicit-def: $sgpr2_sgpr3
	s_branch .LBB117_228
	.section	.rodata,"a",@progbits
	.p2align	6, 0x0
	.amdhsa_kernel _ZN2at6native32elementwise_kernel_manual_unrollILi128ELi8EZNS0_22gpu_kernel_impl_nocastIZNS0_21compare_scalar_kernelIN3c104HalfEEEvRNS_18TensorIteratorBaseENS0_12_GLOBAL__N_16OpTypeET_EUlS5_E_EEvS7_RKSA_EUlibE_EEviT1_
		.amdhsa_group_segment_fixed_size 0
		.amdhsa_private_segment_fixed_size 0
		.amdhsa_kernarg_size 360
		.amdhsa_user_sgpr_count 6
		.amdhsa_user_sgpr_private_segment_buffer 1
		.amdhsa_user_sgpr_dispatch_ptr 0
		.amdhsa_user_sgpr_queue_ptr 0
		.amdhsa_user_sgpr_kernarg_segment_ptr 1
		.amdhsa_user_sgpr_dispatch_id 0
		.amdhsa_user_sgpr_flat_scratch_init 0
		.amdhsa_user_sgpr_private_segment_size 0
		.amdhsa_uses_dynamic_stack 0
		.amdhsa_system_sgpr_private_segment_wavefront_offset 0
		.amdhsa_system_sgpr_workgroup_id_x 1
		.amdhsa_system_sgpr_workgroup_id_y 0
		.amdhsa_system_sgpr_workgroup_id_z 0
		.amdhsa_system_sgpr_workgroup_info 0
		.amdhsa_system_vgpr_workitem_id 0
		.amdhsa_next_free_vgpr 26
		.amdhsa_next_free_sgpr 62
		.amdhsa_reserve_vcc 1
		.amdhsa_reserve_flat_scratch 0
		.amdhsa_float_round_mode_32 0
		.amdhsa_float_round_mode_16_64 0
		.amdhsa_float_denorm_mode_32 3
		.amdhsa_float_denorm_mode_16_64 3
		.amdhsa_dx10_clamp 1
		.amdhsa_ieee_mode 1
		.amdhsa_fp16_overflow 0
		.amdhsa_exception_fp_ieee_invalid_op 0
		.amdhsa_exception_fp_denorm_src 0
		.amdhsa_exception_fp_ieee_div_zero 0
		.amdhsa_exception_fp_ieee_overflow 0
		.amdhsa_exception_fp_ieee_underflow 0
		.amdhsa_exception_fp_ieee_inexact 0
		.amdhsa_exception_int_div_zero 0
	.end_amdhsa_kernel
	.section	.text._ZN2at6native32elementwise_kernel_manual_unrollILi128ELi8EZNS0_22gpu_kernel_impl_nocastIZNS0_21compare_scalar_kernelIN3c104HalfEEEvRNS_18TensorIteratorBaseENS0_12_GLOBAL__N_16OpTypeET_EUlS5_E_EEvS7_RKSA_EUlibE_EEviT1_,"axG",@progbits,_ZN2at6native32elementwise_kernel_manual_unrollILi128ELi8EZNS0_22gpu_kernel_impl_nocastIZNS0_21compare_scalar_kernelIN3c104HalfEEEvRNS_18TensorIteratorBaseENS0_12_GLOBAL__N_16OpTypeET_EUlS5_E_EEvS7_RKSA_EUlibE_EEviT1_,comdat
.Lfunc_end117:
	.size	_ZN2at6native32elementwise_kernel_manual_unrollILi128ELi8EZNS0_22gpu_kernel_impl_nocastIZNS0_21compare_scalar_kernelIN3c104HalfEEEvRNS_18TensorIteratorBaseENS0_12_GLOBAL__N_16OpTypeET_EUlS5_E_EEvS7_RKSA_EUlibE_EEviT1_, .Lfunc_end117-_ZN2at6native32elementwise_kernel_manual_unrollILi128ELi8EZNS0_22gpu_kernel_impl_nocastIZNS0_21compare_scalar_kernelIN3c104HalfEEEvRNS_18TensorIteratorBaseENS0_12_GLOBAL__N_16OpTypeET_EUlS5_E_EEvS7_RKSA_EUlibE_EEviT1_
                                        ; -- End function
	.set _ZN2at6native32elementwise_kernel_manual_unrollILi128ELi8EZNS0_22gpu_kernel_impl_nocastIZNS0_21compare_scalar_kernelIN3c104HalfEEEvRNS_18TensorIteratorBaseENS0_12_GLOBAL__N_16OpTypeET_EUlS5_E_EEvS7_RKSA_EUlibE_EEviT1_.num_vgpr, 26
	.set _ZN2at6native32elementwise_kernel_manual_unrollILi128ELi8EZNS0_22gpu_kernel_impl_nocastIZNS0_21compare_scalar_kernelIN3c104HalfEEEvRNS_18TensorIteratorBaseENS0_12_GLOBAL__N_16OpTypeET_EUlS5_E_EEvS7_RKSA_EUlibE_EEviT1_.num_agpr, 0
	.set _ZN2at6native32elementwise_kernel_manual_unrollILi128ELi8EZNS0_22gpu_kernel_impl_nocastIZNS0_21compare_scalar_kernelIN3c104HalfEEEvRNS_18TensorIteratorBaseENS0_12_GLOBAL__N_16OpTypeET_EUlS5_E_EEvS7_RKSA_EUlibE_EEviT1_.numbered_sgpr, 62
	.set _ZN2at6native32elementwise_kernel_manual_unrollILi128ELi8EZNS0_22gpu_kernel_impl_nocastIZNS0_21compare_scalar_kernelIN3c104HalfEEEvRNS_18TensorIteratorBaseENS0_12_GLOBAL__N_16OpTypeET_EUlS5_E_EEvS7_RKSA_EUlibE_EEviT1_.num_named_barrier, 0
	.set _ZN2at6native32elementwise_kernel_manual_unrollILi128ELi8EZNS0_22gpu_kernel_impl_nocastIZNS0_21compare_scalar_kernelIN3c104HalfEEEvRNS_18TensorIteratorBaseENS0_12_GLOBAL__N_16OpTypeET_EUlS5_E_EEvS7_RKSA_EUlibE_EEviT1_.private_seg_size, 0
	.set _ZN2at6native32elementwise_kernel_manual_unrollILi128ELi8EZNS0_22gpu_kernel_impl_nocastIZNS0_21compare_scalar_kernelIN3c104HalfEEEvRNS_18TensorIteratorBaseENS0_12_GLOBAL__N_16OpTypeET_EUlS5_E_EEvS7_RKSA_EUlibE_EEviT1_.uses_vcc, 1
	.set _ZN2at6native32elementwise_kernel_manual_unrollILi128ELi8EZNS0_22gpu_kernel_impl_nocastIZNS0_21compare_scalar_kernelIN3c104HalfEEEvRNS_18TensorIteratorBaseENS0_12_GLOBAL__N_16OpTypeET_EUlS5_E_EEvS7_RKSA_EUlibE_EEviT1_.uses_flat_scratch, 0
	.set _ZN2at6native32elementwise_kernel_manual_unrollILi128ELi8EZNS0_22gpu_kernel_impl_nocastIZNS0_21compare_scalar_kernelIN3c104HalfEEEvRNS_18TensorIteratorBaseENS0_12_GLOBAL__N_16OpTypeET_EUlS5_E_EEvS7_RKSA_EUlibE_EEviT1_.has_dyn_sized_stack, 0
	.set _ZN2at6native32elementwise_kernel_manual_unrollILi128ELi8EZNS0_22gpu_kernel_impl_nocastIZNS0_21compare_scalar_kernelIN3c104HalfEEEvRNS_18TensorIteratorBaseENS0_12_GLOBAL__N_16OpTypeET_EUlS5_E_EEvS7_RKSA_EUlibE_EEviT1_.has_recursion, 0
	.set _ZN2at6native32elementwise_kernel_manual_unrollILi128ELi8EZNS0_22gpu_kernel_impl_nocastIZNS0_21compare_scalar_kernelIN3c104HalfEEEvRNS_18TensorIteratorBaseENS0_12_GLOBAL__N_16OpTypeET_EUlS5_E_EEvS7_RKSA_EUlibE_EEviT1_.has_indirect_call, 0
	.section	.AMDGPU.csdata,"",@progbits
; Kernel info:
; codeLenInByte = 14260
; TotalNumSgprs: 66
; NumVgprs: 26
; ScratchSize: 0
; MemoryBound: 0
; FloatMode: 240
; IeeeMode: 1
; LDSByteSize: 0 bytes/workgroup (compile time only)
; SGPRBlocks: 8
; VGPRBlocks: 6
; NumSGPRsForWavesPerEU: 66
; NumVGPRsForWavesPerEU: 26
; Occupancy: 9
; WaveLimiterHint : 1
; COMPUTE_PGM_RSRC2:SCRATCH_EN: 0
; COMPUTE_PGM_RSRC2:USER_SGPR: 6
; COMPUTE_PGM_RSRC2:TRAP_HANDLER: 0
; COMPUTE_PGM_RSRC2:TGID_X_EN: 1
; COMPUTE_PGM_RSRC2:TGID_Y_EN: 0
; COMPUTE_PGM_RSRC2:TGID_Z_EN: 0
; COMPUTE_PGM_RSRC2:TIDIG_COMP_CNT: 0
	.section	.text._ZN2at6native32elementwise_kernel_manual_unrollILi128ELi4EZNS0_15gpu_kernel_implIZNS0_21compare_scalar_kernelIN3c104HalfEEEvRNS_18TensorIteratorBaseENS0_12_GLOBAL__N_16OpTypeET_EUlS5_E_EEvS7_RKSA_EUlibE_EEviT1_,"axG",@progbits,_ZN2at6native32elementwise_kernel_manual_unrollILi128ELi4EZNS0_15gpu_kernel_implIZNS0_21compare_scalar_kernelIN3c104HalfEEEvRNS_18TensorIteratorBaseENS0_12_GLOBAL__N_16OpTypeET_EUlS5_E_EEvS7_RKSA_EUlibE_EEviT1_,comdat
	.globl	_ZN2at6native32elementwise_kernel_manual_unrollILi128ELi4EZNS0_15gpu_kernel_implIZNS0_21compare_scalar_kernelIN3c104HalfEEEvRNS_18TensorIteratorBaseENS0_12_GLOBAL__N_16OpTypeET_EUlS5_E_EEvS7_RKSA_EUlibE_EEviT1_ ; -- Begin function _ZN2at6native32elementwise_kernel_manual_unrollILi128ELi4EZNS0_15gpu_kernel_implIZNS0_21compare_scalar_kernelIN3c104HalfEEEvRNS_18TensorIteratorBaseENS0_12_GLOBAL__N_16OpTypeET_EUlS5_E_EEvS7_RKSA_EUlibE_EEviT1_
	.p2align	8
	.type	_ZN2at6native32elementwise_kernel_manual_unrollILi128ELi4EZNS0_15gpu_kernel_implIZNS0_21compare_scalar_kernelIN3c104HalfEEEvRNS_18TensorIteratorBaseENS0_12_GLOBAL__N_16OpTypeET_EUlS5_E_EEvS7_RKSA_EUlibE_EEviT1_,@function
_ZN2at6native32elementwise_kernel_manual_unrollILi128ELi4EZNS0_15gpu_kernel_implIZNS0_21compare_scalar_kernelIN3c104HalfEEEvRNS_18TensorIteratorBaseENS0_12_GLOBAL__N_16OpTypeET_EUlS5_E_EEvS7_RKSA_EUlibE_EEviT1_: ; @_ZN2at6native32elementwise_kernel_manual_unrollILi128ELi4EZNS0_15gpu_kernel_implIZNS0_21compare_scalar_kernelIN3c104HalfEEEvRNS_18TensorIteratorBaseENS0_12_GLOBAL__N_16OpTypeET_EUlS5_E_EEvS7_RKSA_EUlibE_EEviT1_
; %bb.0:
	s_load_dwordx2 s[2:3], s[4:5], 0x24
	s_load_dword s33, s[4:5], 0x0
	s_load_dwordx8 s[8:15], s[4:5], 0x8
	v_lshl_or_b32 v2, s6, 9, v0
	v_or_b32_e32 v0, 0x180, v2
	s_waitcnt lgkmcnt(0)
	s_bfe_u32 s15, s3, 0x80008
	v_cmp_le_i32_e32 vcc, s33, v0
	s_mov_b64 s[4:5], 0
	s_mov_b64 s[16:17], 0
	s_and_saveexec_b64 s[0:1], vcc
	s_xor_b64 s[6:7], exec, s[0:1]
	s_cbranch_execz .LBB118_1092
; %bb.1:
	v_cmp_gt_i32_e32 vcc, s33, v2
	s_mov_b64 s[22:23], -1
	s_mov_b64 s[24:25], 0
	s_mov_b64 s[18:19], 0
	s_and_saveexec_b64 s[20:21], vcc
	s_cbranch_execz .LBB118_268
; %bb.2:
	v_mul_lo_u32 v0, v2, s13
	v_mov_b32_e32 v1, s11
	s_and_b32 s26, 0xffff, s15
	s_cmp_lt_i32 s26, 11
	v_ashrrev_i32_e32 v3, 31, v0
	v_add_co_u32_e32 v0, vcc, s10, v0
	v_addc_co_u32_e32 v1, vcc, v1, v3, vcc
	s_cbranch_scc1 .LBB118_9
; %bb.3:
	s_cmp_gt_i32 s26, 25
	s_cbranch_scc0 .LBB118_15
; %bb.4:
	s_cmp_gt_i32 s26, 28
	s_cbranch_scc0 .LBB118_17
	;; [unrolled: 3-line block ×4, first 2 shown]
; %bb.7:
	s_cmp_eq_u32 s26, 46
	s_cbranch_scc0 .LBB118_44
; %bb.8:
	global_load_dword v3, v[0:1], off
	s_mov_b64 s[0:1], -1
	s_waitcnt vmcnt(0)
	v_lshlrev_b32_e32 v3, 16, v3
	v_cvt_f16_f32_e32 v3, v3
	s_branch .LBB118_46
.LBB118_9:
                                        ; implicit-def: $vgpr3
	s_mov_b64 s[0:1], 0
	s_cbranch_execnz .LBB118_219
.LBB118_10:
	s_andn2_b64 vcc, exec, s[0:1]
	s_cbranch_vccnz .LBB118_266
.LBB118_11:
	s_cmp_lt_i32 s14, 1
	s_mov_b64 s[0:1], 0
	s_cbranch_scc1 .LBB118_16
; %bb.12:
	s_cmp_gt_i32 s14, 1
	s_cbranch_scc0 .LBB118_18
; %bb.13:
	s_cmp_eq_u32 s14, 2
	s_cbranch_scc0 .LBB118_20
; %bb.14:
	s_waitcnt vmcnt(0)
	v_cmp_ge_f16_e64 s[16:17], s2, v3
	s_mov_b64 s[22:23], 0
	s_branch .LBB118_21
.LBB118_15:
	s_mov_b64 s[0:1], 0
                                        ; implicit-def: $vgpr3
	s_cbranch_execnz .LBB118_184
	s_branch .LBB118_218
.LBB118_16:
                                        ; implicit-def: $sgpr16_sgpr17
	s_mov_b64 s[22:23], 0
	s_cbranch_execnz .LBB118_25
	s_branch .LBB118_26
.LBB118_17:
	s_mov_b64 s[16:17], -1
	s_mov_b64 s[0:1], 0
                                        ; implicit-def: $vgpr3
	s_branch .LBB118_165
.LBB118_18:
	s_mov_b64 s[26:27], -1
	s_mov_b64 s[22:23], 0
                                        ; implicit-def: $sgpr16_sgpr17
	s_branch .LBB118_22
.LBB118_19:
	s_mov_b64 s[16:17], -1
	s_mov_b64 s[0:1], 0
                                        ; implicit-def: $vgpr3
	s_branch .LBB118_160
.LBB118_20:
	s_mov_b64 s[22:23], -1
                                        ; implicit-def: $sgpr16_sgpr17
.LBB118_21:
	s_mov_b64 s[26:27], 0
.LBB118_22:
	s_and_b64 vcc, exec, s[26:27]
	s_cbranch_vccz .LBB118_24
; %bb.23:
	s_waitcnt vmcnt(0)
	v_cmp_lt_f16_e32 vcc, s2, v3
	s_andn2_b64 s[16:17], s[16:17], exec
	s_and_b64 s[26:27], vcc, exec
	s_or_b64 s[16:17], s[16:17], s[26:27]
.LBB118_24:
	s_branch .LBB118_26
.LBB118_25:
	s_cmp_lg_u32 s14, 0
	s_mov_b64 s[0:1], -1
	s_cselect_b64 s[22:23], -1, 0
.LBB118_26:
	s_andn2_b64 vcc, exec, s[22:23]
	s_cbranch_vccnz .LBB118_28
; %bb.27:
	s_waitcnt vmcnt(0)
	v_cmp_gt_f16_e32 vcc, s2, v3
	s_andn2_b64 s[16:17], s[16:17], exec
	s_and_b64 s[22:23], vcc, exec
	s_or_b64 s[16:17], s[16:17], s[22:23]
	s_cbranch_execz .LBB118_29
	s_branch .LBB118_30
.LBB118_28:
	s_andn2_b64 vcc, exec, s[0:1]
	s_cbranch_vccnz .LBB118_30
.LBB118_29:
	s_waitcnt vmcnt(0)
	v_cmp_le_f16_e32 vcc, s2, v3
	s_andn2_b64 s[0:1], s[16:17], exec
	s_and_b64 s[16:17], vcc, exec
	s_or_b64 s[16:17], s[0:1], s[16:17]
.LBB118_30:
	v_mul_lo_u32 v0, v2, s12
	v_mov_b32_e32 v1, s9
	s_and_b32 s30, s3, 0xff
	s_cmp_lt_i32 s30, 11
	s_waitcnt vmcnt(0)
	v_ashrrev_i32_e32 v3, 31, v0
	v_add_co_u32_e32 v0, vcc, s8, v0
	v_addc_co_u32_e32 v1, vcc, v1, v3, vcc
	s_cbranch_scc1 .LBB118_37
; %bb.31:
	s_and_b32 s31, 0xffff, s30
	s_cmp_gt_i32 s31, 25
	s_cbranch_scc0 .LBB118_40
; %bb.32:
	s_cmp_gt_i32 s31, 28
	s_cbranch_scc0 .LBB118_41
; %bb.33:
	;; [unrolled: 3-line block ×4, first 2 shown]
	s_mov_b64 s[26:27], 0
	s_mov_b64 s[0:1], -1
	s_cmp_eq_u32 s31, 46
	s_mov_b64 s[22:23], 0
	s_cbranch_scc0 .LBB118_50
; %bb.36:
	v_cndmask_b32_e64 v3, 0, 1.0, s[16:17]
	v_bfe_u32 v4, v3, 16, 1
	s_movk_i32 s0, 0x7fff
	v_add3_u32 v3, v3, v4, s0
	v_lshrrev_b32_e32 v3, 16, v3
	global_store_dword v[0:1], v3, off
	s_mov_b64 s[22:23], -1
	s_mov_b64 s[0:1], 0
	s_branch .LBB118_50
.LBB118_37:
	s_mov_b64 s[0:1], 0
	s_mov_b64 s[22:23], 0
	s_cbranch_execnz .LBB118_119
.LBB118_38:
	s_andn2_b64 vcc, exec, s[22:23]
	s_cbranch_vccnz .LBB118_157
.LBB118_39:
	v_add_u32_e32 v2, 0x80, v2
	s_mov_b64 s[22:23], -1
	s_branch .LBB118_267
.LBB118_40:
	s_mov_b64 s[26:27], -1
	s_mov_b64 s[0:1], 0
	s_mov_b64 s[22:23], 0
	s_branch .LBB118_77
.LBB118_41:
	s_mov_b64 s[26:27], -1
	s_mov_b64 s[0:1], 0
	s_mov_b64 s[22:23], 0
	s_branch .LBB118_60
.LBB118_42:
	s_mov_b64 s[16:17], -1
	s_branch .LBB118_45
.LBB118_43:
	s_mov_b64 s[26:27], -1
	s_mov_b64 s[0:1], 0
	s_mov_b64 s[22:23], 0
	s_branch .LBB118_56
.LBB118_44:
	s_mov_b64 s[18:19], -1
.LBB118_45:
	s_mov_b64 s[0:1], 0
                                        ; implicit-def: $vgpr3
.LBB118_46:
	s_and_b64 vcc, exec, s[16:17]
	s_cbranch_vccz .LBB118_159
; %bb.47:
	s_cmp_eq_u32 s26, 44
	s_cbranch_scc0 .LBB118_158
; %bb.48:
	global_load_ubyte v3, v[0:1], off
	s_movk_i32 s16, 0xff
	v_mov_b32_e32 v5, 0x7e00
	s_mov_b64 s[0:1], -1
	s_mov_b64 s[18:19], 0
	s_waitcnt vmcnt(0)
	v_lshlrev_b32_e32 v4, 23, v3
	v_cvt_f16_f32_e32 v4, v4
	v_cmp_ne_u32_e32 vcc, s16, v3
	v_cndmask_b32_e32 v4, v5, v4, vcc
	v_cmp_ne_u32_e32 vcc, 0, v3
	v_cndmask_b32_e32 v3, 0, v4, vcc
	s_branch .LBB118_159
.LBB118_49:
	s_mov_b64 s[26:27], -1
	s_mov_b64 s[0:1], 0
	s_mov_b64 s[22:23], 0
.LBB118_50:
	s_and_b64 vcc, exec, s[26:27]
	s_cbranch_vccz .LBB118_55
; %bb.51:
	s_cmp_eq_u32 s31, 44
	s_mov_b64 s[0:1], -1
	s_cbranch_scc0 .LBB118_55
; %bb.52:
	v_cndmask_b32_e64 v4, 0, 1.0, s[16:17]
	v_lshrrev_b32_e32 v3, 23, v4
	s_movk_i32 s0, 0xff
	v_cmp_ne_u32_e32 vcc, s0, v3
	v_mov_b32_e32 v5, 0xff
	s_and_saveexec_b64 s[22:23], vcc
; %bb.53:
	s_mov_b32 s0, 0x3fffff
	v_and_b32_e32 v5, 0x400000, v4
	v_and_or_b32 v4, v4, s0, v3
	v_cmp_ne_u32_e32 vcc, 0, v5
	v_cmp_ne_u32_e64 s[0:1], 0, v4
	s_and_b64 s[0:1], vcc, s[0:1]
	v_cndmask_b32_e64 v4, 0, 1, s[0:1]
	v_add_u32_e32 v5, v3, v4
; %bb.54:
	s_or_b64 exec, exec, s[22:23]
	s_mov_b64 s[22:23], -1
	s_mov_b64 s[0:1], 0
	global_store_byte v[0:1], v5, off
.LBB118_55:
	s_mov_b64 s[26:27], 0
.LBB118_56:
	s_and_b64 vcc, exec, s[26:27]
	s_cbranch_vccz .LBB118_59
; %bb.57:
	s_cmp_eq_u32 s31, 29
	s_mov_b64 s[0:1], -1
	s_cbranch_scc0 .LBB118_59
; %bb.58:
	s_mov_b32 s0, 0
	v_cndmask_b32_e64 v3, 0, 1, s[16:17]
	v_mov_b32_e32 v4, s0
	global_store_dwordx2 v[0:1], v[3:4], off
	s_mov_b64 s[22:23], -1
	s_mov_b64 s[0:1], 0
.LBB118_59:
	s_mov_b64 s[26:27], 0
.LBB118_60:
	s_and_b64 vcc, exec, s[26:27]
	s_cbranch_vccz .LBB118_76
; %bb.61:
	s_cmp_lt_i32 s31, 27
	s_mov_b64 s[22:23], -1
	s_cbranch_scc1 .LBB118_67
; %bb.62:
	s_cmp_gt_i32 s31, 27
	s_cbranch_scc0 .LBB118_64
; %bb.63:
	v_cndmask_b32_e64 v3, 0, 1, s[16:17]
	s_mov_b64 s[22:23], 0
	global_store_dword v[0:1], v3, off
.LBB118_64:
	s_andn2_b64 vcc, exec, s[22:23]
	s_cbranch_vccnz .LBB118_66
; %bb.65:
	v_cndmask_b32_e64 v3, 0, 1, s[16:17]
	global_store_short v[0:1], v3, off
.LBB118_66:
	s_mov_b64 s[22:23], 0
.LBB118_67:
	s_andn2_b64 vcc, exec, s[22:23]
	s_cbranch_vccnz .LBB118_75
; %bb.68:
	v_cndmask_b32_e64 v4, 0, 1.0, s[16:17]
	s_mov_b32 s22, 0x43800000
	v_cmp_gt_u32_e32 vcc, s22, v4
	v_mov_b32_e32 v5, 0x80
	s_and_saveexec_b64 s[22:23], vcc
	s_cbranch_execz .LBB118_74
; %bb.69:
	s_mov_b32 s26, 0x3bffffff
	v_cmp_lt_u32_e32 vcc, s26, v4
	s_mov_b64 s[26:27], 0
                                        ; implicit-def: $vgpr3
	s_and_saveexec_b64 s[28:29], vcc
	s_xor_b64 s[28:29], exec, s[28:29]
	s_cbranch_execz .LBB118_311
; %bb.70:
	v_bfe_u32 v3, v4, 20, 1
	s_mov_b32 s34, 0x487ffff
	v_add3_u32 v3, v4, v3, s34
	s_mov_b64 s[26:27], exec
	v_lshrrev_b32_e32 v3, 20, v3
                                        ; implicit-def: $vgpr4
	s_andn2_saveexec_b64 s[28:29], s[28:29]
	s_cbranch_execnz .LBB118_312
.LBB118_71:
	s_or_b64 exec, exec, s[28:29]
	v_mov_b32_e32 v5, 0
	s_and_saveexec_b64 s[28:29], s[26:27]
.LBB118_72:
	v_mov_b32_e32 v5, v3
.LBB118_73:
	s_or_b64 exec, exec, s[28:29]
.LBB118_74:
	s_or_b64 exec, exec, s[22:23]
	global_store_byte v[0:1], v5, off
.LBB118_75:
	s_mov_b64 s[22:23], -1
.LBB118_76:
	s_mov_b64 s[26:27], 0
.LBB118_77:
	s_and_b64 vcc, exec, s[26:27]
	s_cbranch_vccz .LBB118_118
; %bb.78:
	s_cmp_gt_i32 s31, 22
	s_mov_b64 s[26:27], -1
	s_cbranch_scc0 .LBB118_110
; %bb.79:
	s_cmp_lt_i32 s31, 24
	s_mov_b64 s[22:23], -1
	s_cbranch_scc1 .LBB118_99
; %bb.80:
	s_cmp_gt_i32 s31, 24
	s_cbranch_scc0 .LBB118_88
; %bb.81:
	v_cndmask_b32_e64 v4, 0, 1.0, s[16:17]
	s_mov_b32 s22, 0x47800000
	v_cmp_gt_u32_e32 vcc, s22, v4
	v_mov_b32_e32 v5, 0x80
	s_and_saveexec_b64 s[22:23], vcc
	s_cbranch_execz .LBB118_87
; %bb.82:
	s_mov_b32 s26, 0x37ffffff
	v_cmp_lt_u32_e32 vcc, s26, v4
	s_mov_b64 s[26:27], 0
                                        ; implicit-def: $vgpr3
	s_and_saveexec_b64 s[28:29], vcc
	s_xor_b64 s[28:29], exec, s[28:29]
	s_cbranch_execz .LBB118_315
; %bb.83:
	v_bfe_u32 v3, v4, 21, 1
	s_mov_b32 s34, 0x88fffff
	v_add3_u32 v3, v4, v3, s34
	s_mov_b64 s[26:27], exec
	v_lshrrev_b32_e32 v3, 21, v3
                                        ; implicit-def: $vgpr4
	s_andn2_saveexec_b64 s[28:29], s[28:29]
	s_cbranch_execnz .LBB118_316
.LBB118_84:
	s_or_b64 exec, exec, s[28:29]
	v_mov_b32_e32 v5, 0
	s_and_saveexec_b64 s[28:29], s[26:27]
.LBB118_85:
	v_mov_b32_e32 v5, v3
.LBB118_86:
	s_or_b64 exec, exec, s[28:29]
.LBB118_87:
	s_or_b64 exec, exec, s[22:23]
	s_mov_b64 s[22:23], 0
	global_store_byte v[0:1], v5, off
.LBB118_88:
	s_and_b64 vcc, exec, s[22:23]
	s_cbranch_vccz .LBB118_98
; %bb.89:
	v_cndmask_b32_e64 v3, 0, 1.0, s[16:17]
	s_mov_b32 s22, 0x43f00000
	v_cmp_gt_u32_e32 vcc, s22, v3
                                        ; implicit-def: $vgpr4
	s_and_saveexec_b64 s[22:23], vcc
	s_xor_b64 s[22:23], exec, s[22:23]
	s_cbranch_execz .LBB118_95
; %bb.90:
	s_mov_b32 s26, 0x3c7fffff
	v_cmp_lt_u32_e32 vcc, s26, v3
                                        ; implicit-def: $vgpr4
	s_and_saveexec_b64 s[26:27], vcc
	s_xor_b64 s[26:27], exec, s[26:27]
; %bb.91:
	v_bfe_u32 v4, v3, 20, 1
	s_mov_b32 s28, 0x407ffff
	v_add3_u32 v3, v3, v4, s28
	v_lshrrev_b32_e32 v4, 20, v3
	v_and_b32_e32 v3, 0xff00000, v3
	s_mov_b32 s28, 0x7f00000
	v_mov_b32_e32 v5, 0x7e
	v_cmp_ne_u32_e32 vcc, s28, v3
	v_cndmask_b32_e32 v4, v5, v4, vcc
                                        ; implicit-def: $vgpr3
; %bb.92:
	s_andn2_saveexec_b64 s[26:27], s[26:27]
; %bb.93:
	v_add_f32_e32 v4, 0x46800000, v3
; %bb.94:
	s_or_b64 exec, exec, s[26:27]
                                        ; implicit-def: $vgpr3
.LBB118_95:
	s_andn2_saveexec_b64 s[22:23], s[22:23]
; %bb.96:
	s_mov_b32 s26, 0x7f800000
	v_mov_b32_e32 v4, 0x7e
	v_mov_b32_e32 v5, 0x7f
	v_cmp_lt_u32_e32 vcc, s26, v3
	v_cndmask_b32_e32 v4, v4, v5, vcc
; %bb.97:
	s_or_b64 exec, exec, s[22:23]
	global_store_byte v[0:1], v4, off
.LBB118_98:
	s_mov_b64 s[22:23], 0
.LBB118_99:
	s_andn2_b64 vcc, exec, s[22:23]
	s_cbranch_vccnz .LBB118_109
; %bb.100:
	v_cndmask_b32_e64 v3, 0, 1.0, s[16:17]
	s_mov_b32 s22, 0x47800000
	v_cmp_gt_u32_e32 vcc, s22, v3
                                        ; implicit-def: $vgpr4
	s_and_saveexec_b64 s[22:23], vcc
	s_xor_b64 s[22:23], exec, s[22:23]
	s_cbranch_execz .LBB118_106
; %bb.101:
	s_mov_b32 s26, 0x387fffff
	v_cmp_lt_u32_e32 vcc, s26, v3
                                        ; implicit-def: $vgpr4
	s_and_saveexec_b64 s[26:27], vcc
	s_xor_b64 s[26:27], exec, s[26:27]
; %bb.102:
	v_bfe_u32 v4, v3, 21, 1
	s_mov_b32 s28, 0x80fffff
	v_add3_u32 v3, v3, v4, s28
	v_lshrrev_b32_e32 v4, 21, v3
                                        ; implicit-def: $vgpr3
; %bb.103:
	s_andn2_saveexec_b64 s[26:27], s[26:27]
; %bb.104:
	v_add_f32_e32 v4, 0x43000000, v3
; %bb.105:
	s_or_b64 exec, exec, s[26:27]
                                        ; implicit-def: $vgpr3
.LBB118_106:
	s_andn2_saveexec_b64 s[22:23], s[22:23]
; %bb.107:
	s_mov_b32 s26, 0x7f800000
	v_mov_b32_e32 v4, 0x7c
	v_mov_b32_e32 v5, 0x7f
	v_cmp_lt_u32_e32 vcc, s26, v3
	v_cndmask_b32_e32 v4, v4, v5, vcc
; %bb.108:
	s_or_b64 exec, exec, s[22:23]
	global_store_byte v[0:1], v4, off
.LBB118_109:
	s_mov_b64 s[26:27], 0
	s_mov_b64 s[22:23], -1
.LBB118_110:
	s_andn2_b64 vcc, exec, s[26:27]
	s_cbranch_vccnz .LBB118_118
; %bb.111:
	s_cmp_gt_i32 s31, 14
	s_mov_b64 s[26:27], -1
	s_cbranch_scc0 .LBB118_115
; %bb.112:
	s_cmp_eq_u32 s31, 15
	s_mov_b64 s[0:1], -1
	s_cbranch_scc0 .LBB118_114
; %bb.113:
	v_cndmask_b32_e64 v3, 0, 1.0, s[16:17]
	v_bfe_u32 v4, v3, 16, 1
	s_movk_i32 s0, 0x7fff
	v_add3_u32 v3, v3, v4, s0
	global_store_short_d16_hi v[0:1], v3, off
	s_mov_b64 s[22:23], -1
	s_mov_b64 s[0:1], 0
.LBB118_114:
	s_mov_b64 s[26:27], 0
.LBB118_115:
	s_and_b64 vcc, exec, s[26:27]
	s_cbranch_vccz .LBB118_118
; %bb.116:
	s_cmp_eq_u32 s31, 11
	s_mov_b64 s[0:1], -1
	s_cbranch_scc0 .LBB118_118
; %bb.117:
	v_cndmask_b32_e64 v3, 0, 1, s[16:17]
	s_mov_b64 s[22:23], -1
	s_mov_b64 s[0:1], 0
	global_store_byte v[0:1], v3, off
.LBB118_118:
	s_branch .LBB118_38
.LBB118_119:
	s_and_b32 s26, 0xffff, s30
	s_cmp_lt_i32 s26, 5
	s_mov_b64 s[22:23], -1
	s_cbranch_scc1 .LBB118_140
; %bb.120:
	s_cmp_lt_i32 s26, 8
	s_cbranch_scc1 .LBB118_130
; %bb.121:
	s_cmp_lt_i32 s26, 9
	s_cbranch_scc1 .LBB118_127
; %bb.122:
	s_cmp_gt_i32 s26, 9
	s_cbranch_scc0 .LBB118_124
; %bb.123:
	v_cndmask_b32_e64 v3, 0, 1, s[16:17]
	v_cvt_f64_u32_e32 v[3:4], v3
	v_mov_b32_e32 v5, 0
	v_mov_b32_e32 v6, v5
	s_mov_b64 s[22:23], 0
	global_store_dwordx4 v[0:1], v[3:6], off
.LBB118_124:
	s_andn2_b64 vcc, exec, s[22:23]
	s_cbranch_vccnz .LBB118_126
; %bb.125:
	v_cndmask_b32_e64 v3, 0, 1.0, s[16:17]
	v_mov_b32_e32 v4, 0
	global_store_dwordx2 v[0:1], v[3:4], off
.LBB118_126:
	s_mov_b64 s[22:23], 0
.LBB118_127:
	s_andn2_b64 vcc, exec, s[22:23]
	s_cbranch_vccnz .LBB118_129
; %bb.128:
	v_cndmask_b32_e64 v3, 0, 1.0, s[16:17]
	v_cvt_f16_f32_e32 v3, v3
	global_store_dword v[0:1], v3, off
.LBB118_129:
	s_mov_b64 s[22:23], 0
.LBB118_130:
	s_andn2_b64 vcc, exec, s[22:23]
	s_cbranch_vccnz .LBB118_139
; %bb.131:
	s_cmp_lt_i32 s26, 6
	s_mov_b64 s[22:23], -1
	s_cbranch_scc1 .LBB118_137
; %bb.132:
	s_cmp_gt_i32 s26, 6
	s_cbranch_scc0 .LBB118_134
; %bb.133:
	v_cndmask_b32_e64 v3, 0, 1, s[16:17]
	v_cvt_f64_u32_e32 v[3:4], v3
	s_mov_b64 s[22:23], 0
	global_store_dwordx2 v[0:1], v[3:4], off
.LBB118_134:
	s_andn2_b64 vcc, exec, s[22:23]
	s_cbranch_vccnz .LBB118_136
; %bb.135:
	v_cndmask_b32_e64 v3, 0, 1.0, s[16:17]
	global_store_dword v[0:1], v3, off
.LBB118_136:
	s_mov_b64 s[22:23], 0
.LBB118_137:
	s_andn2_b64 vcc, exec, s[22:23]
	s_cbranch_vccnz .LBB118_139
; %bb.138:
	v_cndmask_b32_e64 v3, 0, 1.0, s[16:17]
	v_cvt_f16_f32_e32 v3, v3
	global_store_short v[0:1], v3, off
.LBB118_139:
	s_mov_b64 s[22:23], 0
.LBB118_140:
	s_andn2_b64 vcc, exec, s[22:23]
	s_cbranch_vccnz .LBB118_156
; %bb.141:
	s_cmp_lt_i32 s26, 2
	s_mov_b64 s[22:23], -1
	s_cbranch_scc1 .LBB118_151
; %bb.142:
	s_cmp_lt_i32 s26, 3
	s_cbranch_scc1 .LBB118_148
; %bb.143:
	s_cmp_gt_i32 s26, 3
	s_cbranch_scc0 .LBB118_145
; %bb.144:
	s_mov_b32 s22, 0
	v_cndmask_b32_e64 v3, 0, 1, s[16:17]
	v_mov_b32_e32 v4, s22
	global_store_dwordx2 v[0:1], v[3:4], off
	s_mov_b64 s[22:23], 0
.LBB118_145:
	s_andn2_b64 vcc, exec, s[22:23]
	s_cbranch_vccnz .LBB118_147
; %bb.146:
	v_cndmask_b32_e64 v3, 0, 1, s[16:17]
	global_store_dword v[0:1], v3, off
.LBB118_147:
	s_mov_b64 s[22:23], 0
.LBB118_148:
	s_andn2_b64 vcc, exec, s[22:23]
	s_cbranch_vccnz .LBB118_150
; %bb.149:
	v_cndmask_b32_e64 v3, 0, 1, s[16:17]
	global_store_short v[0:1], v3, off
.LBB118_150:
	s_mov_b64 s[22:23], 0
.LBB118_151:
	s_andn2_b64 vcc, exec, s[22:23]
	s_cbranch_vccnz .LBB118_156
; %bb.152:
	s_mov_b64 s[22:23], -1
	s_cmp_gt_i32 s26, 0
	v_cndmask_b32_e64 v3, 0, 1, s[16:17]
	s_cbranch_scc0 .LBB118_154
; %bb.153:
	global_store_byte v[0:1], v3, off
	s_mov_b64 s[22:23], 0
.LBB118_154:
	s_andn2_b64 vcc, exec, s[22:23]
	s_cbranch_vccnz .LBB118_156
; %bb.155:
	global_store_byte v[0:1], v3, off
.LBB118_156:
	s_branch .LBB118_39
.LBB118_157:
	s_mov_b64 s[22:23], 0
                                        ; implicit-def: $vgpr2
	s_branch .LBB118_267
.LBB118_158:
	s_mov_b64 s[18:19], -1
                                        ; implicit-def: $vgpr3
.LBB118_159:
	s_mov_b64 s[16:17], 0
.LBB118_160:
	s_and_b64 vcc, exec, s[16:17]
	s_cbranch_vccz .LBB118_164
; %bb.161:
	s_cmp_eq_u32 s26, 29
	s_cbranch_scc0 .LBB118_163
; %bb.162:
	global_load_dwordx2 v[3:4], v[0:1], off
	s_mov_b64 s[0:1], -1
	s_mov_b64 s[18:19], 0
	s_mov_b64 s[16:17], 0
	s_waitcnt vmcnt(0)
	v_ffbh_u32_e32 v5, v4
	v_min_u32_e32 v5, 32, v5
	v_lshlrev_b64 v[3:4], v5, v[3:4]
	v_min_u32_e32 v3, 1, v3
	v_or_b32_e32 v3, v4, v3
	v_cvt_f32_u32_e32 v3, v3
	v_sub_u32_e32 v4, 32, v5
	v_ldexp_f32 v3, v3, v4
	v_cvt_f16_f32_e32 v3, v3
	s_branch .LBB118_165
.LBB118_163:
	s_mov_b64 s[18:19], -1
                                        ; implicit-def: $vgpr3
.LBB118_164:
	s_mov_b64 s[16:17], 0
.LBB118_165:
	s_and_b64 vcc, exec, s[16:17]
	s_cbranch_vccz .LBB118_183
; %bb.166:
	s_cmp_lt_i32 s26, 27
	s_cbranch_scc1 .LBB118_169
; %bb.167:
	s_cmp_gt_i32 s26, 27
	s_cbranch_scc0 .LBB118_170
; %bb.168:
	global_load_dword v3, v[0:1], off
	s_mov_b64 s[0:1], 0
	s_waitcnt vmcnt(0)
	v_cvt_f32_u32_e32 v3, v3
	v_cvt_f16_f32_e32 v3, v3
	s_branch .LBB118_171
.LBB118_169:
	s_mov_b64 s[0:1], -1
                                        ; implicit-def: $vgpr3
	s_branch .LBB118_174
.LBB118_170:
	s_mov_b64 s[0:1], -1
                                        ; implicit-def: $vgpr3
.LBB118_171:
	s_andn2_b64 vcc, exec, s[0:1]
	s_cbranch_vccnz .LBB118_173
; %bb.172:
	global_load_ushort v3, v[0:1], off
	s_waitcnt vmcnt(0)
	v_cvt_f16_u16_e32 v3, v3
.LBB118_173:
	s_mov_b64 s[0:1], 0
.LBB118_174:
	s_andn2_b64 vcc, exec, s[0:1]
	s_cbranch_vccnz .LBB118_182
; %bb.175:
	global_load_ubyte v4, v[0:1], off
	s_movk_i32 s0, 0x7f
	s_waitcnt vmcnt(0)
	v_cmp_lt_i16_e32 vcc, s0, v4
	s_mov_b64 s[0:1], 0
	s_and_saveexec_b64 s[16:17], vcc
	s_xor_b64 s[16:17], exec, s[16:17]
	s_cbranch_execz .LBB118_195
; %bb.176:
	s_movk_i32 s0, 0x80
	v_cmp_eq_u16_e32 vcc, s0, v4
	s_mov_b64 s[0:1], -1
	s_and_saveexec_b64 s[22:23], vcc
; %bb.177:
	s_xor_b64 s[0:1], exec, -1
; %bb.178:
	s_or_b64 exec, exec, s[22:23]
	s_and_b64 s[0:1], s[0:1], exec
	s_or_saveexec_b64 s[16:17], s[16:17]
	v_mov_b32_e32 v3, 0x7e00
	s_xor_b64 exec, exec, s[16:17]
	s_cbranch_execnz .LBB118_196
.LBB118_179:
	s_or_b64 exec, exec, s[16:17]
	s_and_saveexec_b64 s[16:17], s[0:1]
	s_cbranch_execz .LBB118_181
.LBB118_180:
	v_lshlrev_b32_e32 v3, 24, v4
	v_and_b32_e32 v4, 0xffff, v4
	v_and_b32_e32 v5, 7, v4
	v_ffbh_u32_e32 v7, v5
	v_min_u32_e32 v7, 32, v7
	v_subrev_u32_e32 v8, 28, v7
	v_bfe_u32 v6, v4, 3, 4
	v_lshlrev_b32_e32 v4, v8, v4
	v_sub_u32_e32 v7, 29, v7
	v_and_b32_e32 v4, 7, v4
	v_cmp_eq_u32_e32 vcc, 0, v6
	v_cndmask_b32_e32 v6, v6, v7, vcc
	v_cndmask_b32_e32 v4, v5, v4, vcc
	v_mov_b32_e32 v5, 0x3b800000
	v_lshlrev_b32_e32 v4, 20, v4
	v_and_b32_e32 v3, 0x80000000, v3
	v_lshl_add_u32 v5, v6, 23, v5
	v_or3_b32 v3, v3, v5, v4
	v_cvt_f16_f32_e32 v3, v3
.LBB118_181:
	s_or_b64 exec, exec, s[16:17]
.LBB118_182:
	s_mov_b64 s[0:1], -1
.LBB118_183:
	s_branch .LBB118_218
.LBB118_184:
	s_cmp_gt_i32 s26, 22
	s_cbranch_scc0 .LBB118_194
; %bb.185:
	s_cmp_lt_i32 s26, 24
	s_cbranch_scc1 .LBB118_197
; %bb.186:
	s_cmp_gt_i32 s26, 24
	s_cbranch_scc0 .LBB118_198
; %bb.187:
	global_load_ubyte v4, v[0:1], off
	s_movk_i32 s0, 0x7f
	s_waitcnt vmcnt(0)
	v_cmp_lt_i16_e32 vcc, s0, v4
	s_mov_b64 s[0:1], 0
	s_and_saveexec_b64 s[16:17], vcc
	s_xor_b64 s[16:17], exec, s[16:17]
	s_cbranch_execz .LBB118_210
; %bb.188:
	s_movk_i32 s0, 0x80
	v_cmp_eq_u16_e32 vcc, s0, v4
	s_mov_b64 s[0:1], -1
	s_and_saveexec_b64 s[22:23], vcc
; %bb.189:
	s_xor_b64 s[0:1], exec, -1
; %bb.190:
	s_or_b64 exec, exec, s[22:23]
	s_and_b64 s[0:1], s[0:1], exec
	s_or_saveexec_b64 s[16:17], s[16:17]
	v_mov_b32_e32 v3, 0x7e00
	s_xor_b64 exec, exec, s[16:17]
	s_cbranch_execnz .LBB118_211
.LBB118_191:
	s_or_b64 exec, exec, s[16:17]
	s_and_saveexec_b64 s[16:17], s[0:1]
	s_cbranch_execz .LBB118_193
.LBB118_192:
	v_lshlrev_b32_e32 v3, 24, v4
	v_and_b32_e32 v4, 0xffff, v4
	v_and_b32_e32 v5, 3, v4
	v_ffbh_u32_e32 v7, v5
	v_min_u32_e32 v7, 32, v7
	v_subrev_u32_e32 v8, 29, v7
	v_bfe_u32 v6, v4, 2, 5
	v_lshlrev_b32_e32 v4, v8, v4
	v_sub_u32_e32 v7, 30, v7
	v_and_b32_e32 v4, 3, v4
	v_cmp_eq_u32_e32 vcc, 0, v6
	v_cndmask_b32_e32 v6, v6, v7, vcc
	v_cndmask_b32_e32 v4, v5, v4, vcc
	v_mov_b32_e32 v5, 0x37800000
	v_lshlrev_b32_e32 v4, 21, v4
	v_and_b32_e32 v3, 0x80000000, v3
	v_lshl_add_u32 v5, v6, 23, v5
	v_or3_b32 v3, v3, v5, v4
	v_cvt_f16_f32_e32 v3, v3
.LBB118_193:
	s_or_b64 exec, exec, s[16:17]
	s_mov_b64 s[0:1], 0
	s_branch .LBB118_199
.LBB118_194:
	s_mov_b64 s[16:17], -1
                                        ; implicit-def: $vgpr3
	s_branch .LBB118_205
.LBB118_195:
	s_or_saveexec_b64 s[16:17], s[16:17]
	v_mov_b32_e32 v3, 0x7e00
	s_xor_b64 exec, exec, s[16:17]
	s_cbranch_execz .LBB118_179
.LBB118_196:
	v_cmp_ne_u16_e32 vcc, 0, v4
	s_andn2_b64 s[0:1], s[0:1], exec
	s_and_b64 s[22:23], vcc, exec
	s_or_b64 s[0:1], s[0:1], s[22:23]
	v_mov_b32_e32 v3, v4
	s_or_b64 exec, exec, s[16:17]
	s_and_saveexec_b64 s[16:17], s[0:1]
	s_cbranch_execnz .LBB118_180
	s_branch .LBB118_181
.LBB118_197:
	s_mov_b64 s[0:1], -1
                                        ; implicit-def: $vgpr3
	s_branch .LBB118_202
.LBB118_198:
	s_mov_b64 s[0:1], -1
                                        ; implicit-def: $vgpr3
.LBB118_199:
	s_and_b64 vcc, exec, s[0:1]
	s_cbranch_vccz .LBB118_201
; %bb.200:
	global_load_ubyte v3, v[0:1], off
	s_mov_b32 s0, 0x7f800000
	s_waitcnt vmcnt(0)
	v_lshlrev_b32_e32 v3, 24, v3
	v_and_b32_e32 v4, 0x7f000000, v3
	v_ffbh_u32_e32 v5, v4
	v_min_u32_e32 v5, 32, v5
	v_sub_u32_e64 v5, v5, 4 clamp
	v_lshlrev_b32_e32 v7, v5, v4
	v_lshlrev_b32_e32 v5, 23, v5
	v_lshrrev_b32_e32 v7, 4, v7
	v_add_u32_e32 v6, 0x1000000, v4
	v_sub_u32_e32 v5, v7, v5
	v_ashrrev_i32_e32 v6, 8, v6
	v_add_u32_e32 v5, 0x3c000000, v5
	v_and_or_b32 v5, v6, s0, v5
	v_cmp_ne_u32_e32 vcc, 0, v4
	v_cndmask_b32_e32 v4, 0, v5, vcc
	s_brev_b32 s0, 1
	v_and_or_b32 v3, v3, s0, v4
	v_cvt_f16_f32_e32 v3, v3
.LBB118_201:
	s_mov_b64 s[0:1], 0
.LBB118_202:
	s_andn2_b64 vcc, exec, s[0:1]
	s_cbranch_vccnz .LBB118_204
; %bb.203:
	global_load_ubyte v3, v[0:1], off
	s_movk_i32 s0, 0x7f00
	s_brev_b32 s1, 16
	s_waitcnt vmcnt(0)
	v_lshlrev_b16_e32 v4, 8, v3
	v_lshlrev_b32_e32 v3, 25, v3
	v_lshrrev_b32_e32 v5, 4, v3
	v_and_or_b32 v6, v4, s0, 0.5
	v_or_b32_e32 v5, 0x70000000, v5
	v_add_f32_e32 v6, -0.5, v6
	v_mul_f32_e32 v5, 0x7800000, v5
	v_cmp_gt_u32_e32 vcc, s1, v3
	v_bfe_i32 v4, v4, 0, 16
	v_cndmask_b32_e32 v3, v5, v6, vcc
	s_brev_b32 s0, 1
	v_and_or_b32 v3, v4, s0, v3
	v_cvt_f16_f32_e32 v3, v3
.LBB118_204:
	s_mov_b64 s[16:17], 0
	s_mov_b64 s[0:1], -1
.LBB118_205:
	s_andn2_b64 vcc, exec, s[16:17]
	s_cbranch_vccnz .LBB118_218
; %bb.206:
	s_cmp_gt_i32 s26, 14
	s_cbranch_scc0 .LBB118_209
; %bb.207:
	s_cmp_eq_u32 s26, 15
	s_cbranch_scc0 .LBB118_212
; %bb.208:
	global_load_ushort v3, v[0:1], off
	s_mov_b64 s[0:1], -1
	s_mov_b64 s[18:19], 0
	s_waitcnt vmcnt(0)
	v_lshlrev_b32_e32 v3, 16, v3
	v_cvt_f16_f32_e32 v3, v3
	s_branch .LBB118_213
.LBB118_209:
	s_mov_b64 s[16:17], -1
                                        ; implicit-def: $vgpr3
	s_branch .LBB118_214
.LBB118_210:
	s_or_saveexec_b64 s[16:17], s[16:17]
	v_mov_b32_e32 v3, 0x7e00
	s_xor_b64 exec, exec, s[16:17]
	s_cbranch_execz .LBB118_191
.LBB118_211:
	v_cmp_ne_u16_e32 vcc, 0, v4
	s_andn2_b64 s[0:1], s[0:1], exec
	s_and_b64 s[22:23], vcc, exec
	s_or_b64 s[0:1], s[0:1], s[22:23]
	v_mov_b32_e32 v3, v4
	s_or_b64 exec, exec, s[16:17]
	s_and_saveexec_b64 s[16:17], s[0:1]
	s_cbranch_execnz .LBB118_192
	s_branch .LBB118_193
.LBB118_212:
	s_mov_b64 s[18:19], -1
                                        ; implicit-def: $vgpr3
.LBB118_213:
	s_mov_b64 s[16:17], 0
.LBB118_214:
	s_and_b64 vcc, exec, s[16:17]
	s_cbranch_vccz .LBB118_218
; %bb.215:
	s_cmp_eq_u32 s26, 11
	s_cbranch_scc0 .LBB118_217
; %bb.216:
	global_load_ubyte v3, v[0:1], off
	v_mov_b32_e32 v4, 0x3c00
	s_mov_b64 s[0:1], -1
	s_mov_b64 s[18:19], 0
	s_waitcnt vmcnt(0)
	v_cmp_ne_u16_e32 vcc, 0, v3
	v_cndmask_b32_e32 v3, 0, v4, vcc
	s_branch .LBB118_218
.LBB118_217:
	s_mov_b64 s[18:19], -1
                                        ; implicit-def: $vgpr3
.LBB118_218:
	s_branch .LBB118_10
.LBB118_219:
	s_cmp_lt_i32 s26, 5
	s_cbranch_scc1 .LBB118_224
; %bb.220:
	s_cmp_lt_i32 s26, 8
	s_cbranch_scc1 .LBB118_225
; %bb.221:
	;; [unrolled: 3-line block ×3, first 2 shown]
	s_cmp_gt_i32 s26, 9
	s_cbranch_scc0 .LBB118_227
; %bb.223:
	global_load_dwordx2 v[3:4], v[0:1], off
	s_movk_i32 s0, 0x1ff
	s_movk_i32 s1, 0xffe
	v_mov_b32_e32 v5, 0x7c00
	v_mov_b32_e32 v6, 0x7e00
	s_movk_i32 s16, 0x40f
	s_mov_b32 s17, 0x8000
	s_waitcnt vmcnt(0)
	v_and_or_b32 v3, v4, s0, v3
	v_cmp_ne_u32_e32 vcc, 0, v3
	v_lshrrev_b32_e32 v7, 8, v4
	v_bfe_u32 v8, v4, 20, 11
	v_cndmask_b32_e64 v3, 0, 1, vcc
	v_sub_u32_e32 v9, 0x3f1, v8
	v_and_or_b32 v3, v7, s1, v3
	v_add_u32_e32 v8, 0xfffffc10, v8
	v_med3_i32 v7, v9, 0, 13
	v_or_b32_e32 v9, 0x1000, v3
	v_cmp_ne_u32_e32 vcc, 0, v3
	v_lshl_or_b32 v10, v8, 12, v3
	v_cndmask_b32_e32 v3, v5, v6, vcc
	v_lshrrev_b32_e32 v6, v7, v9
	v_lshlrev_b32_e32 v7, v7, v6
	v_cmp_ne_u32_e32 vcc, v7, v9
	v_cndmask_b32_e64 v7, 0, 1, vcc
	v_or_b32_e32 v6, v6, v7
	v_cmp_gt_i32_e32 vcc, 1, v8
	v_cndmask_b32_e32 v6, v10, v6, vcc
	v_and_b32_e32 v7, 7, v6
	v_cmp_lt_i32_e32 vcc, 5, v7
	v_cndmask_b32_e64 v9, 0, 1, vcc
	v_cmp_eq_u32_e32 vcc, 3, v7
	v_cndmask_b32_e64 v7, 0, 1, vcc
	v_lshrrev_b32_e32 v6, 2, v6
	v_or_b32_e32 v7, v7, v9
	v_add_u32_e32 v6, v6, v7
	v_cmp_gt_i32_e32 vcc, 31, v8
	v_cndmask_b32_e32 v5, v5, v6, vcc
	v_cmp_eq_u32_e32 vcc, s16, v8
	v_lshrrev_b32_e32 v4, 16, v4
	v_cndmask_b32_e32 v3, v5, v3, vcc
	v_and_or_b32 v3, v4, s17, v3
	s_mov_b64 s[0:1], 0
	s_branch .LBB118_228
.LBB118_224:
                                        ; implicit-def: $vgpr3
	s_branch .LBB118_246
.LBB118_225:
	s_mov_b64 s[0:1], -1
                                        ; implicit-def: $vgpr3
	s_branch .LBB118_234
.LBB118_226:
	s_mov_b64 s[0:1], -1
                                        ; implicit-def: $vgpr3
	s_branch .LBB118_231
.LBB118_227:
	s_mov_b64 s[0:1], -1
                                        ; implicit-def: $vgpr3
.LBB118_228:
	s_andn2_b64 vcc, exec, s[0:1]
	s_cbranch_vccnz .LBB118_230
; %bb.229:
	global_load_dword v3, v[0:1], off
	s_waitcnt vmcnt(0)
	v_cvt_f16_f32_e32 v3, v3
.LBB118_230:
	s_mov_b64 s[0:1], 0
.LBB118_231:
	s_andn2_b64 vcc, exec, s[0:1]
	s_cbranch_vccnz .LBB118_233
; %bb.232:
	global_load_dword v3, v[0:1], off
.LBB118_233:
	s_mov_b64 s[0:1], 0
.LBB118_234:
	s_andn2_b64 vcc, exec, s[0:1]
	s_cbranch_vccnz .LBB118_245
; %bb.235:
	s_cmp_lt_i32 s26, 6
	s_cbranch_scc1 .LBB118_238
; %bb.236:
	s_cmp_gt_i32 s26, 6
	s_cbranch_scc0 .LBB118_239
; %bb.237:
	global_load_dwordx2 v[3:4], v[0:1], off
	s_movk_i32 s0, 0x1ff
	s_movk_i32 s1, 0xffe
	v_mov_b32_e32 v5, 0x7c00
	v_mov_b32_e32 v6, 0x7e00
	s_movk_i32 s16, 0x40f
	s_mov_b32 s17, 0x8000
	s_waitcnt vmcnt(0)
	v_and_or_b32 v3, v4, s0, v3
	v_cmp_ne_u32_e32 vcc, 0, v3
	v_lshrrev_b32_e32 v7, 8, v4
	v_bfe_u32 v8, v4, 20, 11
	v_cndmask_b32_e64 v3, 0, 1, vcc
	v_sub_u32_e32 v9, 0x3f1, v8
	v_and_or_b32 v3, v7, s1, v3
	v_add_u32_e32 v8, 0xfffffc10, v8
	v_med3_i32 v7, v9, 0, 13
	v_or_b32_e32 v9, 0x1000, v3
	v_cmp_ne_u32_e32 vcc, 0, v3
	v_lshl_or_b32 v10, v8, 12, v3
	v_cndmask_b32_e32 v3, v5, v6, vcc
	v_lshrrev_b32_e32 v6, v7, v9
	v_lshlrev_b32_e32 v7, v7, v6
	v_cmp_ne_u32_e32 vcc, v7, v9
	v_cndmask_b32_e64 v7, 0, 1, vcc
	v_or_b32_e32 v6, v6, v7
	v_cmp_gt_i32_e32 vcc, 1, v8
	v_cndmask_b32_e32 v6, v10, v6, vcc
	v_and_b32_e32 v7, 7, v6
	v_cmp_lt_i32_e32 vcc, 5, v7
	v_cndmask_b32_e64 v9, 0, 1, vcc
	v_cmp_eq_u32_e32 vcc, 3, v7
	v_cndmask_b32_e64 v7, 0, 1, vcc
	v_lshrrev_b32_e32 v6, 2, v6
	v_or_b32_e32 v7, v7, v9
	v_add_u32_e32 v6, v6, v7
	v_cmp_gt_i32_e32 vcc, 31, v8
	v_cndmask_b32_e32 v5, v5, v6, vcc
	v_cmp_eq_u32_e32 vcc, s16, v8
	v_lshrrev_b32_e32 v4, 16, v4
	v_cndmask_b32_e32 v3, v5, v3, vcc
	v_and_or_b32 v3, v4, s17, v3
	s_mov_b64 s[0:1], 0
	s_branch .LBB118_240
.LBB118_238:
	s_mov_b64 s[0:1], -1
                                        ; implicit-def: $vgpr3
	s_branch .LBB118_243
.LBB118_239:
	s_mov_b64 s[0:1], -1
                                        ; implicit-def: $vgpr3
.LBB118_240:
	s_andn2_b64 vcc, exec, s[0:1]
	s_cbranch_vccnz .LBB118_242
; %bb.241:
	global_load_dword v3, v[0:1], off
	s_waitcnt vmcnt(0)
	v_cvt_f16_f32_e32 v3, v3
.LBB118_242:
	s_mov_b64 s[0:1], 0
.LBB118_243:
	s_andn2_b64 vcc, exec, s[0:1]
	s_cbranch_vccnz .LBB118_245
; %bb.244:
	global_load_ushort v3, v[0:1], off
.LBB118_245:
	s_cbranch_execnz .LBB118_265
.LBB118_246:
	s_cmp_lt_i32 s26, 2
	s_cbranch_scc1 .LBB118_250
; %bb.247:
	s_cmp_lt_i32 s26, 3
	s_cbranch_scc1 .LBB118_251
; %bb.248:
	s_cmp_gt_i32 s26, 3
	s_cbranch_scc0 .LBB118_252
; %bb.249:
	global_load_dwordx2 v[3:4], v[0:1], off
	s_mov_b64 s[0:1], 0
	s_waitcnt vmcnt(0)
	v_xor_b32_e32 v6, v3, v4
	v_ffbh_i32_e32 v5, v4
	v_ashrrev_i32_e32 v6, 31, v6
	v_add_u32_e32 v5, -1, v5
	v_add_u32_e32 v6, 32, v6
	v_min_u32_e32 v5, v5, v6
	v_lshlrev_b64 v[3:4], v5, v[3:4]
	v_min_u32_e32 v3, 1, v3
	v_or_b32_e32 v3, v4, v3
	v_cvt_f32_i32_e32 v3, v3
	v_sub_u32_e32 v4, 32, v5
	v_ldexp_f32 v3, v3, v4
	v_cvt_f16_f32_e32 v3, v3
	s_branch .LBB118_253
.LBB118_250:
	s_mov_b64 s[0:1], -1
                                        ; implicit-def: $vgpr3
	s_branch .LBB118_259
.LBB118_251:
	s_mov_b64 s[0:1], -1
                                        ; implicit-def: $vgpr3
	s_branch .LBB118_256
.LBB118_252:
	s_mov_b64 s[0:1], -1
                                        ; implicit-def: $vgpr3
.LBB118_253:
	s_andn2_b64 vcc, exec, s[0:1]
	s_cbranch_vccnz .LBB118_255
; %bb.254:
	global_load_dword v3, v[0:1], off
	s_waitcnt vmcnt(0)
	v_cvt_f32_i32_e32 v3, v3
	v_cvt_f16_f32_e32 v3, v3
.LBB118_255:
	s_mov_b64 s[0:1], 0
.LBB118_256:
	s_andn2_b64 vcc, exec, s[0:1]
	s_cbranch_vccnz .LBB118_258
; %bb.257:
	global_load_ushort v3, v[0:1], off
	s_waitcnt vmcnt(0)
	v_cvt_f16_i16_e32 v3, v3
.LBB118_258:
	s_mov_b64 s[0:1], 0
.LBB118_259:
	s_andn2_b64 vcc, exec, s[0:1]
	s_cbranch_vccnz .LBB118_265
; %bb.260:
	s_cmp_gt_i32 s26, 0
	s_cbranch_scc0 .LBB118_262
; %bb.261:
	global_load_sbyte v3, v[0:1], off
	s_mov_b64 s[0:1], 0
	s_waitcnt vmcnt(0)
	v_cvt_f16_i16_e32 v3, v3
	s_branch .LBB118_263
.LBB118_262:
	s_mov_b64 s[0:1], -1
                                        ; implicit-def: $vgpr3
.LBB118_263:
	s_andn2_b64 vcc, exec, s[0:1]
	s_cbranch_vccnz .LBB118_265
; %bb.264:
	global_load_ubyte v0, v[0:1], off
	s_waitcnt vmcnt(0)
	v_cvt_f16_u16_e32 v3, v0
.LBB118_265:
	s_branch .LBB118_11
.LBB118_266:
	s_mov_b64 s[0:1], 0
                                        ; implicit-def: $vgpr2
	s_mov_b64 s[22:23], 0
.LBB118_267:
	s_and_b64 s[16:17], s[0:1], exec
	s_and_b64 s[18:19], s[18:19], exec
	s_orn2_b64 s[22:23], s[22:23], exec
.LBB118_268:
	s_or_b64 exec, exec, s[20:21]
	s_mov_b64 s[26:27], 0
	s_mov_b64 s[0:1], 0
                                        ; implicit-def: $vgpr0_vgpr1
                                        ; implicit-def: $vgpr3
	s_and_saveexec_b64 s[20:21], s[22:23]
	s_cbranch_execz .LBB118_277
; %bb.269:
	v_cmp_gt_i32_e32 vcc, s33, v2
	s_mov_b64 s[0:1], -1
	s_mov_b64 s[22:23], s[18:19]
	s_mov_b64 s[24:25], s[16:17]
	s_and_saveexec_b64 s[26:27], vcc
	s_cbranch_execz .LBB118_545
; %bb.270:
	v_mul_lo_u32 v0, v2, s13
	v_mov_b32_e32 v1, s11
	s_and_b32 s30, 0xffff, s15
	s_cmp_lt_i32 s30, 11
	s_waitcnt vmcnt(0)
	v_ashrrev_i32_e32 v3, 31, v0
	v_add_co_u32_e32 v0, vcc, s10, v0
	v_addc_co_u32_e32 v1, vcc, v1, v3, vcc
	s_cbranch_scc1 .LBB118_280
; %bb.271:
	s_cmp_gt_i32 s30, 25
	s_cbranch_scc0 .LBB118_286
; %bb.272:
	s_cmp_gt_i32 s30, 28
	s_cbranch_scc0 .LBB118_290
	;; [unrolled: 3-line block ×4, first 2 shown]
; %bb.275:
	s_cmp_eq_u32 s30, 46
	s_mov_b64 s[24:25], 0
	s_cbranch_scc0 .LBB118_317
; %bb.276:
	global_load_dword v3, v[0:1], off
	s_mov_b64 s[22:23], 0
	s_waitcnt vmcnt(0)
	v_lshlrev_b32_e32 v3, 16, v3
	v_cvt_f16_f32_e32 v3, v3
	s_branch .LBB118_318
.LBB118_277:
	s_or_b64 exec, exec, s[20:21]
	s_mov_b64 s[20:21], 0
	s_and_saveexec_b64 s[22:23], s[18:19]
	s_cbranch_execnz .LBB118_908
.LBB118_278:
	s_or_b64 exec, exec, s[22:23]
	s_and_saveexec_b64 s[18:19], s[24:25]
	s_xor_b64 s[18:19], exec, s[18:19]
	s_cbranch_execz .LBB118_909
.LBB118_279:
	global_load_ubyte v3, v[0:1], off
	v_mov_b32_e32 v4, 0x3c00
	s_or_b64 s[0:1], s[0:1], exec
	s_waitcnt vmcnt(0)
	v_cmp_ne_u16_e32 vcc, 0, v3
	v_cndmask_b32_e32 v3, 0, v4, vcc
	s_or_b64 exec, exec, s[18:19]
	s_and_saveexec_b64 s[18:19], s[26:27]
	s_cbranch_execz .LBB118_955
	s_branch .LBB118_910
.LBB118_280:
	s_mov_b64 s[0:1], 0
                                        ; implicit-def: $vgpr3
	s_mov_b64 s[22:23], s[18:19]
	s_cbranch_execnz .LBB118_495
.LBB118_281:
	s_andn2_b64 vcc, exec, s[0:1]
	s_cbranch_vccnz .LBB118_543
.LBB118_282:
	s_cmp_lt_i32 s14, 1
	s_mov_b64 s[0:1], 0
	s_cbranch_scc1 .LBB118_287
; %bb.283:
	s_cmp_gt_i32 s14, 1
	s_cbranch_scc0 .LBB118_291
; %bb.284:
	s_cmp_eq_u32 s14, 2
	s_cbranch_scc0 .LBB118_293
; %bb.285:
	s_waitcnt vmcnt(0)
	v_cmp_ge_f16_e64 s[24:25], s2, v3
	s_mov_b64 s[28:29], 0
	s_branch .LBB118_294
.LBB118_286:
	s_mov_b64 s[24:25], -1
	s_mov_b64 s[0:1], 0
	s_mov_b64 s[22:23], s[18:19]
                                        ; implicit-def: $vgpr3
	s_branch .LBB118_459
.LBB118_287:
                                        ; implicit-def: $sgpr24_sgpr25
	s_mov_b64 s[28:29], 0
	s_cbranch_execnz .LBB118_298
.LBB118_288:
	s_andn2_b64 vcc, exec, s[28:29]
	s_cbranch_vccnz .LBB118_299
.LBB118_289:
	s_waitcnt vmcnt(0)
	v_cmp_gt_f16_e32 vcc, s2, v3
	s_andn2_b64 s[24:25], s[24:25], exec
	s_and_b64 s[28:29], vcc, exec
	s_or_b64 s[24:25], s[24:25], s[28:29]
	s_cbranch_execz .LBB118_300
	s_branch .LBB118_301
.LBB118_290:
	s_mov_b64 s[24:25], -1
	s_mov_b64 s[0:1], 0
	s_mov_b64 s[22:23], s[18:19]
                                        ; implicit-def: $vgpr3
	s_branch .LBB118_440
.LBB118_291:
	s_mov_b64 s[30:31], -1
	s_mov_b64 s[28:29], 0
                                        ; implicit-def: $sgpr24_sgpr25
	s_branch .LBB118_295
.LBB118_292:
	s_mov_b64 s[24:25], -1
	s_mov_b64 s[0:1], 0
	s_mov_b64 s[22:23], s[18:19]
                                        ; implicit-def: $vgpr3
	s_branch .LBB118_435
.LBB118_293:
	s_mov_b64 s[28:29], -1
                                        ; implicit-def: $sgpr24_sgpr25
.LBB118_294:
	s_mov_b64 s[30:31], 0
.LBB118_295:
	s_and_b64 vcc, exec, s[30:31]
	s_cbranch_vccz .LBB118_297
; %bb.296:
	s_waitcnt vmcnt(0)
	v_cmp_lt_f16_e32 vcc, s2, v3
	s_andn2_b64 s[24:25], s[24:25], exec
	s_and_b64 s[30:31], vcc, exec
	s_or_b64 s[24:25], s[24:25], s[30:31]
.LBB118_297:
	s_branch .LBB118_288
.LBB118_298:
	s_cmp_lg_u32 s14, 0
	s_mov_b64 s[0:1], -1
	s_cselect_b64 s[28:29], -1, 0
	s_andn2_b64 vcc, exec, s[28:29]
	s_cbranch_vccz .LBB118_289
.LBB118_299:
	s_andn2_b64 vcc, exec, s[0:1]
	s_cbranch_vccnz .LBB118_301
.LBB118_300:
	s_waitcnt vmcnt(0)
	v_cmp_le_f16_e32 vcc, s2, v3
	s_andn2_b64 s[0:1], s[24:25], exec
	s_and_b64 s[24:25], vcc, exec
	s_or_b64 s[24:25], s[0:1], s[24:25]
.LBB118_301:
	v_mul_lo_u32 v0, v2, s12
	v_mov_b32_e32 v1, s9
	s_and_b32 s36, s3, 0xff
	s_cmp_lt_i32 s36, 11
	s_waitcnt vmcnt(0)
	v_ashrrev_i32_e32 v3, 31, v0
	v_add_co_u32_e32 v0, vcc, s8, v0
	v_addc_co_u32_e32 v1, vcc, v1, v3, vcc
	s_cbranch_scc1 .LBB118_308
; %bb.302:
	s_and_b32 s37, 0xffff, s36
	s_cmp_gt_i32 s37, 25
	s_cbranch_scc0 .LBB118_309
; %bb.303:
	s_cmp_gt_i32 s37, 28
	s_cbranch_scc0 .LBB118_310
; %bb.304:
	s_cmp_gt_i32 s37, 43
	s_cbranch_scc0 .LBB118_314
; %bb.305:
	s_cmp_gt_i32 s37, 45
	s_cbranch_scc0 .LBB118_321
; %bb.306:
	s_mov_b64 s[30:31], 0
	s_mov_b64 s[0:1], -1
	s_cmp_eq_u32 s37, 46
	s_mov_b64 s[28:29], 0
	s_cbranch_scc0 .LBB118_322
; %bb.307:
	v_cndmask_b32_e64 v3, 0, 1.0, s[24:25]
	v_bfe_u32 v4, v3, 16, 1
	s_movk_i32 s0, 0x7fff
	v_add3_u32 v3, v3, v4, s0
	v_lshrrev_b32_e32 v3, 16, v3
	global_store_dword v[0:1], v3, off
	s_mov_b64 s[28:29], -1
	s_mov_b64 s[0:1], 0
	s_branch .LBB118_322
.LBB118_308:
	s_mov_b64 s[30:31], -1
	s_mov_b64 s[28:29], 0
	s_mov_b64 s[0:1], s[16:17]
	s_branch .LBB118_391
.LBB118_309:
	s_mov_b64 s[30:31], -1
	s_mov_b64 s[28:29], 0
	s_mov_b64 s[0:1], s[16:17]
	s_branch .LBB118_349
.LBB118_310:
	s_mov_b64 s[30:31], -1
	s_mov_b64 s[28:29], 0
	s_mov_b64 s[0:1], s[16:17]
	s_branch .LBB118_332
.LBB118_311:
	s_andn2_saveexec_b64 s[28:29], s[28:29]
	s_cbranch_execz .LBB118_71
.LBB118_312:
	v_add_f32_e32 v3, 0x46000000, v4
	v_and_b32_e32 v3, 0xff, v3
	v_cmp_ne_u32_e32 vcc, 0, v3
	s_andn2_b64 s[26:27], s[26:27], exec
	s_and_b64 s[34:35], vcc, exec
	s_or_b64 s[26:27], s[26:27], s[34:35]
	s_or_b64 exec, exec, s[28:29]
	v_mov_b32_e32 v5, 0
	s_and_saveexec_b64 s[28:29], s[26:27]
	s_cbranch_execnz .LBB118_72
	s_branch .LBB118_73
.LBB118_313:
	s_mov_b64 s[24:25], -1
	s_mov_b64 s[0:1], 0
	s_mov_b64 s[22:23], s[18:19]
                                        ; implicit-def: $vgpr3
	s_branch .LBB118_318
.LBB118_314:
	s_mov_b64 s[30:31], -1
	s_mov_b64 s[28:29], 0
	s_mov_b64 s[0:1], s[16:17]
	s_branch .LBB118_328
.LBB118_315:
	s_andn2_saveexec_b64 s[28:29], s[28:29]
	s_cbranch_execz .LBB118_84
.LBB118_316:
	v_add_f32_e32 v3, 0x42800000, v4
	v_and_b32_e32 v3, 0xff, v3
	v_cmp_ne_u32_e32 vcc, 0, v3
	s_andn2_b64 s[26:27], s[26:27], exec
	s_and_b64 s[34:35], vcc, exec
	s_or_b64 s[26:27], s[26:27], s[34:35]
	s_or_b64 exec, exec, s[28:29]
	v_mov_b32_e32 v5, 0
	s_and_saveexec_b64 s[28:29], s[26:27]
	s_cbranch_execnz .LBB118_85
	s_branch .LBB118_86
.LBB118_317:
	s_mov_b64 s[22:23], -1
                                        ; implicit-def: $vgpr3
	s_mov_b64 s[0:1], 0
.LBB118_318:
	s_and_b64 vcc, exec, s[24:25]
	s_cbranch_vccz .LBB118_434
; %bb.319:
	s_cmp_eq_u32 s30, 44
	s_cbranch_scc0 .LBB118_433
; %bb.320:
	global_load_ubyte v3, v[0:1], off
	s_movk_i32 s22, 0xff
	v_mov_b32_e32 v5, 0x7e00
	s_mov_b64 s[0:1], -1
	s_waitcnt vmcnt(0)
	v_lshlrev_b32_e32 v4, 23, v3
	v_cvt_f16_f32_e32 v4, v4
	v_cmp_ne_u32_e32 vcc, s22, v3
	s_mov_b64 s[22:23], 0
	v_cndmask_b32_e32 v4, v5, v4, vcc
	v_cmp_ne_u32_e32 vcc, 0, v3
	v_cndmask_b32_e32 v3, 0, v4, vcc
	s_branch .LBB118_434
.LBB118_321:
	s_mov_b64 s[30:31], -1
	s_mov_b64 s[28:29], 0
	s_mov_b64 s[0:1], s[16:17]
.LBB118_322:
	s_and_b64 vcc, exec, s[30:31]
	s_cbranch_vccz .LBB118_327
; %bb.323:
	s_cmp_eq_u32 s37, 44
	s_mov_b64 s[0:1], -1
	s_cbranch_scc0 .LBB118_327
; %bb.324:
	v_cndmask_b32_e64 v4, 0, 1.0, s[24:25]
	v_lshrrev_b32_e32 v3, 23, v4
	s_movk_i32 s0, 0xff
	v_cmp_ne_u32_e32 vcc, s0, v3
	v_mov_b32_e32 v5, 0xff
	s_and_saveexec_b64 s[28:29], vcc
; %bb.325:
	s_mov_b32 s0, 0x3fffff
	v_and_b32_e32 v5, 0x400000, v4
	v_and_or_b32 v4, v4, s0, v3
	v_cmp_ne_u32_e32 vcc, 0, v5
	v_cmp_ne_u32_e64 s[0:1], 0, v4
	s_and_b64 s[0:1], vcc, s[0:1]
	v_cndmask_b32_e64 v4, 0, 1, s[0:1]
	v_add_u32_e32 v5, v3, v4
; %bb.326:
	s_or_b64 exec, exec, s[28:29]
	s_mov_b64 s[28:29], -1
	s_mov_b64 s[0:1], 0
	global_store_byte v[0:1], v5, off
.LBB118_327:
	s_mov_b64 s[30:31], 0
.LBB118_328:
	s_and_b64 vcc, exec, s[30:31]
	s_cbranch_vccz .LBB118_331
; %bb.329:
	s_cmp_eq_u32 s37, 29
	s_mov_b64 s[0:1], -1
	s_cbranch_scc0 .LBB118_331
; %bb.330:
	s_mov_b32 s0, 0
	v_cndmask_b32_e64 v3, 0, 1, s[24:25]
	v_mov_b32_e32 v4, s0
	global_store_dwordx2 v[0:1], v[3:4], off
	s_mov_b64 s[28:29], -1
	s_mov_b64 s[0:1], 0
.LBB118_331:
	s_mov_b64 s[30:31], 0
.LBB118_332:
	s_and_b64 vcc, exec, s[30:31]
	s_cbranch_vccz .LBB118_348
; %bb.333:
	s_cmp_lt_i32 s37, 27
	s_mov_b64 s[28:29], -1
	s_cbranch_scc1 .LBB118_339
; %bb.334:
	s_cmp_gt_i32 s37, 27
	s_cbranch_scc0 .LBB118_336
; %bb.335:
	v_cndmask_b32_e64 v3, 0, 1, s[24:25]
	s_mov_b64 s[28:29], 0
	global_store_dword v[0:1], v3, off
.LBB118_336:
	s_andn2_b64 vcc, exec, s[28:29]
	s_cbranch_vccnz .LBB118_338
; %bb.337:
	v_cndmask_b32_e64 v3, 0, 1, s[24:25]
	global_store_short v[0:1], v3, off
.LBB118_338:
	s_mov_b64 s[28:29], 0
.LBB118_339:
	s_andn2_b64 vcc, exec, s[28:29]
	s_cbranch_vccnz .LBB118_347
; %bb.340:
	v_cndmask_b32_e64 v4, 0, 1.0, s[24:25]
	s_mov_b32 s28, 0x43800000
	v_cmp_gt_u32_e32 vcc, s28, v4
	v_mov_b32_e32 v5, 0x80
	s_and_saveexec_b64 s[28:29], vcc
	s_cbranch_execz .LBB118_346
; %bb.341:
	s_mov_b32 s30, 0x3bffffff
	v_cmp_lt_u32_e32 vcc, s30, v4
	s_mov_b64 s[30:31], 0
                                        ; implicit-def: $vgpr3
	s_and_saveexec_b64 s[34:35], vcc
	s_xor_b64 s[34:35], exec, s[34:35]
	s_cbranch_execz .LBB118_558
; %bb.342:
	v_bfe_u32 v3, v4, 20, 1
	s_mov_b32 s38, 0x487ffff
	v_add3_u32 v3, v4, v3, s38
	s_mov_b64 s[30:31], exec
	v_lshrrev_b32_e32 v3, 20, v3
                                        ; implicit-def: $vgpr4
	s_andn2_saveexec_b64 s[34:35], s[34:35]
	s_cbranch_execnz .LBB118_559
.LBB118_343:
	s_or_b64 exec, exec, s[34:35]
	v_mov_b32_e32 v5, 0
	s_and_saveexec_b64 s[34:35], s[30:31]
.LBB118_344:
	v_mov_b32_e32 v5, v3
.LBB118_345:
	s_or_b64 exec, exec, s[34:35]
.LBB118_346:
	s_or_b64 exec, exec, s[28:29]
	global_store_byte v[0:1], v5, off
.LBB118_347:
	s_mov_b64 s[28:29], -1
.LBB118_348:
	s_mov_b64 s[30:31], 0
.LBB118_349:
	s_and_b64 vcc, exec, s[30:31]
	s_cbranch_vccz .LBB118_390
; %bb.350:
	s_cmp_gt_i32 s37, 22
	s_mov_b64 s[30:31], -1
	s_cbranch_scc0 .LBB118_382
; %bb.351:
	s_cmp_lt_i32 s37, 24
	s_mov_b64 s[28:29], -1
	s_cbranch_scc1 .LBB118_371
; %bb.352:
	s_cmp_gt_i32 s37, 24
	s_cbranch_scc0 .LBB118_360
; %bb.353:
	v_cndmask_b32_e64 v4, 0, 1.0, s[24:25]
	s_mov_b32 s28, 0x47800000
	v_cmp_gt_u32_e32 vcc, s28, v4
	v_mov_b32_e32 v5, 0x80
	s_and_saveexec_b64 s[28:29], vcc
	s_cbranch_execz .LBB118_359
; %bb.354:
	s_mov_b32 s30, 0x37ffffff
	v_cmp_lt_u32_e32 vcc, s30, v4
	s_mov_b64 s[30:31], 0
                                        ; implicit-def: $vgpr3
	s_and_saveexec_b64 s[34:35], vcc
	s_xor_b64 s[34:35], exec, s[34:35]
	s_cbranch_execz .LBB118_561
; %bb.355:
	v_bfe_u32 v3, v4, 21, 1
	s_mov_b32 s38, 0x88fffff
	v_add3_u32 v3, v4, v3, s38
	s_mov_b64 s[30:31], exec
	v_lshrrev_b32_e32 v3, 21, v3
                                        ; implicit-def: $vgpr4
	s_andn2_saveexec_b64 s[34:35], s[34:35]
	s_cbranch_execnz .LBB118_562
.LBB118_356:
	s_or_b64 exec, exec, s[34:35]
	v_mov_b32_e32 v5, 0
	s_and_saveexec_b64 s[34:35], s[30:31]
.LBB118_357:
	v_mov_b32_e32 v5, v3
.LBB118_358:
	s_or_b64 exec, exec, s[34:35]
.LBB118_359:
	s_or_b64 exec, exec, s[28:29]
	s_mov_b64 s[28:29], 0
	global_store_byte v[0:1], v5, off
.LBB118_360:
	s_and_b64 vcc, exec, s[28:29]
	s_cbranch_vccz .LBB118_370
; %bb.361:
	v_cndmask_b32_e64 v3, 0, 1.0, s[24:25]
	s_mov_b32 s28, 0x43f00000
	v_cmp_gt_u32_e32 vcc, s28, v3
                                        ; implicit-def: $vgpr4
	s_and_saveexec_b64 s[28:29], vcc
	s_xor_b64 s[28:29], exec, s[28:29]
	s_cbranch_execz .LBB118_367
; %bb.362:
	s_mov_b32 s30, 0x3c7fffff
	v_cmp_lt_u32_e32 vcc, s30, v3
                                        ; implicit-def: $vgpr4
	s_and_saveexec_b64 s[30:31], vcc
	s_xor_b64 s[30:31], exec, s[30:31]
; %bb.363:
	v_bfe_u32 v4, v3, 20, 1
	s_mov_b32 s34, 0x407ffff
	v_add3_u32 v3, v3, v4, s34
	v_lshrrev_b32_e32 v4, 20, v3
	v_and_b32_e32 v3, 0xff00000, v3
	s_mov_b32 s34, 0x7f00000
	v_mov_b32_e32 v5, 0x7e
	v_cmp_ne_u32_e32 vcc, s34, v3
	v_cndmask_b32_e32 v4, v5, v4, vcc
                                        ; implicit-def: $vgpr3
; %bb.364:
	s_andn2_saveexec_b64 s[30:31], s[30:31]
; %bb.365:
	v_add_f32_e32 v4, 0x46800000, v3
; %bb.366:
	s_or_b64 exec, exec, s[30:31]
                                        ; implicit-def: $vgpr3
.LBB118_367:
	s_andn2_saveexec_b64 s[28:29], s[28:29]
; %bb.368:
	s_mov_b32 s30, 0x7f800000
	v_mov_b32_e32 v4, 0x7e
	v_mov_b32_e32 v5, 0x7f
	v_cmp_lt_u32_e32 vcc, s30, v3
	v_cndmask_b32_e32 v4, v4, v5, vcc
; %bb.369:
	s_or_b64 exec, exec, s[28:29]
	global_store_byte v[0:1], v4, off
.LBB118_370:
	s_mov_b64 s[28:29], 0
.LBB118_371:
	s_andn2_b64 vcc, exec, s[28:29]
	s_cbranch_vccnz .LBB118_381
; %bb.372:
	v_cndmask_b32_e64 v3, 0, 1.0, s[24:25]
	s_mov_b32 s28, 0x47800000
	v_cmp_gt_u32_e32 vcc, s28, v3
                                        ; implicit-def: $vgpr4
	s_and_saveexec_b64 s[28:29], vcc
	s_xor_b64 s[28:29], exec, s[28:29]
	s_cbranch_execz .LBB118_378
; %bb.373:
	s_mov_b32 s30, 0x387fffff
	v_cmp_lt_u32_e32 vcc, s30, v3
                                        ; implicit-def: $vgpr4
	s_and_saveexec_b64 s[30:31], vcc
	s_xor_b64 s[30:31], exec, s[30:31]
; %bb.374:
	v_bfe_u32 v4, v3, 21, 1
	s_mov_b32 s34, 0x80fffff
	v_add3_u32 v3, v3, v4, s34
	v_lshrrev_b32_e32 v4, 21, v3
                                        ; implicit-def: $vgpr3
; %bb.375:
	s_andn2_saveexec_b64 s[30:31], s[30:31]
; %bb.376:
	v_add_f32_e32 v4, 0x43000000, v3
; %bb.377:
	s_or_b64 exec, exec, s[30:31]
                                        ; implicit-def: $vgpr3
.LBB118_378:
	s_andn2_saveexec_b64 s[28:29], s[28:29]
; %bb.379:
	s_mov_b32 s30, 0x7f800000
	v_mov_b32_e32 v4, 0x7c
	v_mov_b32_e32 v5, 0x7f
	v_cmp_lt_u32_e32 vcc, s30, v3
	v_cndmask_b32_e32 v4, v4, v5, vcc
; %bb.380:
	s_or_b64 exec, exec, s[28:29]
	global_store_byte v[0:1], v4, off
.LBB118_381:
	s_mov_b64 s[30:31], 0
	s_mov_b64 s[28:29], -1
.LBB118_382:
	s_andn2_b64 vcc, exec, s[30:31]
	s_cbranch_vccnz .LBB118_390
; %bb.383:
	s_cmp_gt_i32 s37, 14
	s_mov_b64 s[30:31], -1
	s_cbranch_scc0 .LBB118_387
; %bb.384:
	s_cmp_eq_u32 s37, 15
	s_mov_b64 s[0:1], -1
	s_cbranch_scc0 .LBB118_386
; %bb.385:
	v_cndmask_b32_e64 v3, 0, 1.0, s[24:25]
	v_bfe_u32 v4, v3, 16, 1
	s_movk_i32 s0, 0x7fff
	v_add3_u32 v3, v3, v4, s0
	global_store_short_d16_hi v[0:1], v3, off
	s_mov_b64 s[28:29], -1
	s_mov_b64 s[0:1], 0
.LBB118_386:
	s_mov_b64 s[30:31], 0
.LBB118_387:
	s_and_b64 vcc, exec, s[30:31]
	s_cbranch_vccz .LBB118_390
; %bb.388:
	s_cmp_eq_u32 s37, 11
	s_mov_b64 s[0:1], -1
	s_cbranch_scc0 .LBB118_390
; %bb.389:
	v_cndmask_b32_e64 v3, 0, 1, s[24:25]
	s_mov_b64 s[28:29], -1
	s_mov_b64 s[0:1], 0
	global_store_byte v[0:1], v3, off
.LBB118_390:
	s_mov_b64 s[30:31], 0
.LBB118_391:
	s_and_b64 vcc, exec, s[30:31]
	s_cbranch_vccz .LBB118_430
; %bb.392:
	s_and_b32 s30, 0xffff, s36
	s_cmp_lt_i32 s30, 5
	s_mov_b64 s[28:29], -1
	s_cbranch_scc1 .LBB118_413
; %bb.393:
	s_cmp_lt_i32 s30, 8
	s_cbranch_scc1 .LBB118_403
; %bb.394:
	s_cmp_lt_i32 s30, 9
	s_cbranch_scc1 .LBB118_400
; %bb.395:
	s_cmp_gt_i32 s30, 9
	s_cbranch_scc0 .LBB118_397
; %bb.396:
	v_cndmask_b32_e64 v3, 0, 1, s[24:25]
	v_cvt_f64_u32_e32 v[3:4], v3
	v_mov_b32_e32 v5, 0
	v_mov_b32_e32 v6, v5
	s_mov_b64 s[28:29], 0
	global_store_dwordx4 v[0:1], v[3:6], off
.LBB118_397:
	s_andn2_b64 vcc, exec, s[28:29]
	s_cbranch_vccnz .LBB118_399
; %bb.398:
	v_cndmask_b32_e64 v3, 0, 1.0, s[24:25]
	v_mov_b32_e32 v4, 0
	global_store_dwordx2 v[0:1], v[3:4], off
.LBB118_399:
	s_mov_b64 s[28:29], 0
.LBB118_400:
	s_andn2_b64 vcc, exec, s[28:29]
	s_cbranch_vccnz .LBB118_402
; %bb.401:
	v_cndmask_b32_e64 v3, 0, 1.0, s[24:25]
	v_cvt_f16_f32_e32 v3, v3
	global_store_dword v[0:1], v3, off
.LBB118_402:
	s_mov_b64 s[28:29], 0
.LBB118_403:
	s_andn2_b64 vcc, exec, s[28:29]
	s_cbranch_vccnz .LBB118_412
; %bb.404:
	s_cmp_lt_i32 s30, 6
	s_mov_b64 s[28:29], -1
	s_cbranch_scc1 .LBB118_410
; %bb.405:
	s_cmp_gt_i32 s30, 6
	s_cbranch_scc0 .LBB118_407
; %bb.406:
	v_cndmask_b32_e64 v3, 0, 1, s[24:25]
	v_cvt_f64_u32_e32 v[3:4], v3
	s_mov_b64 s[28:29], 0
	global_store_dwordx2 v[0:1], v[3:4], off
.LBB118_407:
	s_andn2_b64 vcc, exec, s[28:29]
	s_cbranch_vccnz .LBB118_409
; %bb.408:
	v_cndmask_b32_e64 v3, 0, 1.0, s[24:25]
	global_store_dword v[0:1], v3, off
.LBB118_409:
	s_mov_b64 s[28:29], 0
.LBB118_410:
	s_andn2_b64 vcc, exec, s[28:29]
	s_cbranch_vccnz .LBB118_412
; %bb.411:
	v_cndmask_b32_e64 v3, 0, 1.0, s[24:25]
	v_cvt_f16_f32_e32 v3, v3
	global_store_short v[0:1], v3, off
.LBB118_412:
	s_mov_b64 s[28:29], 0
.LBB118_413:
	s_andn2_b64 vcc, exec, s[28:29]
	s_cbranch_vccnz .LBB118_429
; %bb.414:
	s_cmp_lt_i32 s30, 2
	s_mov_b64 s[28:29], -1
	s_cbranch_scc1 .LBB118_424
; %bb.415:
	s_cmp_lt_i32 s30, 3
	s_cbranch_scc1 .LBB118_421
; %bb.416:
	s_cmp_gt_i32 s30, 3
	s_cbranch_scc0 .LBB118_418
; %bb.417:
	s_mov_b32 s28, 0
	v_cndmask_b32_e64 v3, 0, 1, s[24:25]
	v_mov_b32_e32 v4, s28
	s_mov_b64 s[28:29], 0
	global_store_dwordx2 v[0:1], v[3:4], off
.LBB118_418:
	s_andn2_b64 vcc, exec, s[28:29]
	s_cbranch_vccnz .LBB118_420
; %bb.419:
	v_cndmask_b32_e64 v3, 0, 1, s[24:25]
	global_store_dword v[0:1], v3, off
.LBB118_420:
	s_mov_b64 s[28:29], 0
.LBB118_421:
	s_andn2_b64 vcc, exec, s[28:29]
	s_cbranch_vccnz .LBB118_423
; %bb.422:
	v_cndmask_b32_e64 v3, 0, 1, s[24:25]
	global_store_short v[0:1], v3, off
.LBB118_423:
	s_mov_b64 s[28:29], 0
.LBB118_424:
	s_andn2_b64 vcc, exec, s[28:29]
	s_cbranch_vccnz .LBB118_429
; %bb.425:
	s_mov_b64 s[28:29], -1
	s_cmp_gt_i32 s30, 0
	v_cndmask_b32_e64 v3, 0, 1, s[24:25]
	s_cbranch_scc0 .LBB118_427
; %bb.426:
	s_mov_b64 s[28:29], 0
	global_store_byte v[0:1], v3, off
.LBB118_427:
	s_andn2_b64 vcc, exec, s[28:29]
	s_cbranch_vccnz .LBB118_429
; %bb.428:
	global_store_byte v[0:1], v3, off
.LBB118_429:
	s_mov_b64 s[28:29], -1
.LBB118_430:
	s_andn2_b64 vcc, exec, s[28:29]
	s_cbranch_vccnz .LBB118_432
; %bb.431:
	v_add_u32_e32 v2, 0x80, v2
	s_mov_b64 s[28:29], -1
	s_branch .LBB118_544
.LBB118_432:
	s_mov_b64 s[28:29], 0
                                        ; implicit-def: $vgpr2
	s_branch .LBB118_544
.LBB118_433:
	s_mov_b64 s[22:23], -1
                                        ; implicit-def: $vgpr3
.LBB118_434:
	s_mov_b64 s[24:25], 0
.LBB118_435:
	s_and_b64 vcc, exec, s[24:25]
	s_cbranch_vccz .LBB118_439
; %bb.436:
	s_cmp_eq_u32 s30, 29
	s_cbranch_scc0 .LBB118_438
; %bb.437:
	global_load_dwordx2 v[3:4], v[0:1], off
	s_mov_b64 s[0:1], -1
	s_mov_b64 s[22:23], 0
	s_mov_b64 s[24:25], 0
	s_waitcnt vmcnt(0)
	v_ffbh_u32_e32 v5, v4
	v_min_u32_e32 v5, 32, v5
	v_lshlrev_b64 v[3:4], v5, v[3:4]
	v_min_u32_e32 v3, 1, v3
	v_or_b32_e32 v3, v4, v3
	v_cvt_f32_u32_e32 v3, v3
	v_sub_u32_e32 v4, 32, v5
	v_ldexp_f32 v3, v3, v4
	v_cvt_f16_f32_e32 v3, v3
	s_branch .LBB118_440
.LBB118_438:
	s_mov_b64 s[22:23], -1
                                        ; implicit-def: $vgpr3
.LBB118_439:
	s_mov_b64 s[24:25], 0
.LBB118_440:
	s_and_b64 vcc, exec, s[24:25]
	s_cbranch_vccz .LBB118_458
; %bb.441:
	s_cmp_lt_i32 s30, 27
	s_cbranch_scc1 .LBB118_444
; %bb.442:
	s_cmp_gt_i32 s30, 27
	s_cbranch_scc0 .LBB118_445
; %bb.443:
	global_load_dword v3, v[0:1], off
	s_mov_b64 s[0:1], 0
	s_waitcnt vmcnt(0)
	v_cvt_f32_u32_e32 v3, v3
	v_cvt_f16_f32_e32 v3, v3
	s_branch .LBB118_446
.LBB118_444:
	s_mov_b64 s[0:1], -1
                                        ; implicit-def: $vgpr3
	s_branch .LBB118_449
.LBB118_445:
	s_mov_b64 s[0:1], -1
                                        ; implicit-def: $vgpr3
.LBB118_446:
	s_andn2_b64 vcc, exec, s[0:1]
	s_cbranch_vccnz .LBB118_448
; %bb.447:
	global_load_ushort v3, v[0:1], off
	s_waitcnt vmcnt(0)
	v_cvt_f16_u16_e32 v3, v3
.LBB118_448:
	s_mov_b64 s[0:1], 0
.LBB118_449:
	s_andn2_b64 vcc, exec, s[0:1]
	s_cbranch_vccnz .LBB118_457
; %bb.450:
	global_load_ubyte v4, v[0:1], off
	s_movk_i32 s0, 0x7f
	s_waitcnt vmcnt(0)
	v_cmp_lt_i16_e32 vcc, s0, v4
	s_mov_b64 s[0:1], 0
	s_and_saveexec_b64 s[24:25], vcc
	s_xor_b64 s[24:25], exec, s[24:25]
	s_cbranch_execz .LBB118_471
; %bb.451:
	s_movk_i32 s0, 0x80
	v_cmp_eq_u16_e32 vcc, s0, v4
	s_mov_b64 s[0:1], -1
	s_and_saveexec_b64 s[28:29], vcc
; %bb.452:
	s_xor_b64 s[0:1], exec, -1
; %bb.453:
	s_or_b64 exec, exec, s[28:29]
	s_and_b64 s[0:1], s[0:1], exec
	s_or_saveexec_b64 s[24:25], s[24:25]
	v_mov_b32_e32 v3, 0x7e00
	s_xor_b64 exec, exec, s[24:25]
	s_cbranch_execnz .LBB118_472
.LBB118_454:
	s_or_b64 exec, exec, s[24:25]
	s_and_saveexec_b64 s[24:25], s[0:1]
	s_cbranch_execz .LBB118_456
.LBB118_455:
	v_lshlrev_b32_e32 v3, 24, v4
	v_and_b32_e32 v4, 0xffff, v4
	v_and_b32_e32 v5, 7, v4
	v_ffbh_u32_e32 v7, v5
	v_min_u32_e32 v7, 32, v7
	v_subrev_u32_e32 v8, 28, v7
	v_bfe_u32 v6, v4, 3, 4
	v_lshlrev_b32_e32 v4, v8, v4
	v_sub_u32_e32 v7, 29, v7
	v_and_b32_e32 v4, 7, v4
	v_cmp_eq_u32_e32 vcc, 0, v6
	v_cndmask_b32_e32 v6, v6, v7, vcc
	v_cndmask_b32_e32 v4, v5, v4, vcc
	v_mov_b32_e32 v5, 0x3b800000
	v_lshlrev_b32_e32 v4, 20, v4
	v_and_b32_e32 v3, 0x80000000, v3
	v_lshl_add_u32 v5, v6, 23, v5
	v_or3_b32 v3, v3, v5, v4
	v_cvt_f16_f32_e32 v3, v3
.LBB118_456:
	s_or_b64 exec, exec, s[24:25]
.LBB118_457:
	s_mov_b64 s[0:1], -1
.LBB118_458:
	s_mov_b64 s[24:25], 0
.LBB118_459:
	s_and_b64 vcc, exec, s[24:25]
	s_cbranch_vccz .LBB118_494
; %bb.460:
	s_cmp_gt_i32 s30, 22
	s_cbranch_scc0 .LBB118_470
; %bb.461:
	s_cmp_lt_i32 s30, 24
	s_cbranch_scc1 .LBB118_473
; %bb.462:
	s_cmp_gt_i32 s30, 24
	s_cbranch_scc0 .LBB118_474
; %bb.463:
	global_load_ubyte v4, v[0:1], off
	s_movk_i32 s0, 0x7f
	s_waitcnt vmcnt(0)
	v_cmp_lt_i16_e32 vcc, s0, v4
	s_mov_b64 s[0:1], 0
	s_and_saveexec_b64 s[24:25], vcc
	s_xor_b64 s[24:25], exec, s[24:25]
	s_cbranch_execz .LBB118_486
; %bb.464:
	s_movk_i32 s0, 0x80
	v_cmp_eq_u16_e32 vcc, s0, v4
	s_mov_b64 s[0:1], -1
	s_and_saveexec_b64 s[28:29], vcc
; %bb.465:
	s_xor_b64 s[0:1], exec, -1
; %bb.466:
	s_or_b64 exec, exec, s[28:29]
	s_and_b64 s[0:1], s[0:1], exec
	s_or_saveexec_b64 s[24:25], s[24:25]
	v_mov_b32_e32 v3, 0x7e00
	s_xor_b64 exec, exec, s[24:25]
	s_cbranch_execnz .LBB118_487
.LBB118_467:
	s_or_b64 exec, exec, s[24:25]
	s_and_saveexec_b64 s[24:25], s[0:1]
	s_cbranch_execz .LBB118_469
.LBB118_468:
	v_lshlrev_b32_e32 v3, 24, v4
	v_and_b32_e32 v4, 0xffff, v4
	v_and_b32_e32 v5, 3, v4
	v_ffbh_u32_e32 v7, v5
	v_min_u32_e32 v7, 32, v7
	v_subrev_u32_e32 v8, 29, v7
	v_bfe_u32 v6, v4, 2, 5
	v_lshlrev_b32_e32 v4, v8, v4
	v_sub_u32_e32 v7, 30, v7
	v_and_b32_e32 v4, 3, v4
	v_cmp_eq_u32_e32 vcc, 0, v6
	v_cndmask_b32_e32 v6, v6, v7, vcc
	v_cndmask_b32_e32 v4, v5, v4, vcc
	v_mov_b32_e32 v5, 0x37800000
	v_lshlrev_b32_e32 v4, 21, v4
	v_and_b32_e32 v3, 0x80000000, v3
	v_lshl_add_u32 v5, v6, 23, v5
	v_or3_b32 v3, v3, v5, v4
	v_cvt_f16_f32_e32 v3, v3
.LBB118_469:
	s_or_b64 exec, exec, s[24:25]
	s_mov_b64 s[0:1], 0
	s_branch .LBB118_475
.LBB118_470:
	s_mov_b64 s[24:25], -1
                                        ; implicit-def: $vgpr3
	s_branch .LBB118_481
.LBB118_471:
	s_or_saveexec_b64 s[24:25], s[24:25]
	v_mov_b32_e32 v3, 0x7e00
	s_xor_b64 exec, exec, s[24:25]
	s_cbranch_execz .LBB118_454
.LBB118_472:
	v_cmp_ne_u16_e32 vcc, 0, v4
	s_andn2_b64 s[0:1], s[0:1], exec
	s_and_b64 s[28:29], vcc, exec
	s_or_b64 s[0:1], s[0:1], s[28:29]
	v_mov_b32_e32 v3, v4
	s_or_b64 exec, exec, s[24:25]
	s_and_saveexec_b64 s[24:25], s[0:1]
	s_cbranch_execnz .LBB118_455
	s_branch .LBB118_456
.LBB118_473:
	s_mov_b64 s[0:1], -1
                                        ; implicit-def: $vgpr3
	s_branch .LBB118_478
.LBB118_474:
	s_mov_b64 s[0:1], -1
                                        ; implicit-def: $vgpr3
.LBB118_475:
	s_and_b64 vcc, exec, s[0:1]
	s_cbranch_vccz .LBB118_477
; %bb.476:
	global_load_ubyte v3, v[0:1], off
	s_mov_b32 s0, 0x7f800000
	s_waitcnt vmcnt(0)
	v_lshlrev_b32_e32 v3, 24, v3
	v_and_b32_e32 v4, 0x7f000000, v3
	v_ffbh_u32_e32 v5, v4
	v_min_u32_e32 v5, 32, v5
	v_sub_u32_e64 v5, v5, 4 clamp
	v_lshlrev_b32_e32 v7, v5, v4
	v_lshlrev_b32_e32 v5, 23, v5
	v_lshrrev_b32_e32 v7, 4, v7
	v_add_u32_e32 v6, 0x1000000, v4
	v_sub_u32_e32 v5, v7, v5
	v_ashrrev_i32_e32 v6, 8, v6
	v_add_u32_e32 v5, 0x3c000000, v5
	v_and_or_b32 v5, v6, s0, v5
	v_cmp_ne_u32_e32 vcc, 0, v4
	v_cndmask_b32_e32 v4, 0, v5, vcc
	s_brev_b32 s0, 1
	v_and_or_b32 v3, v3, s0, v4
	v_cvt_f16_f32_e32 v3, v3
.LBB118_477:
	s_mov_b64 s[0:1], 0
.LBB118_478:
	s_andn2_b64 vcc, exec, s[0:1]
	s_cbranch_vccnz .LBB118_480
; %bb.479:
	global_load_ubyte v3, v[0:1], off
	s_movk_i32 s0, 0x7f00
	s_brev_b32 s1, 16
	s_waitcnt vmcnt(0)
	v_lshlrev_b16_e32 v4, 8, v3
	v_lshlrev_b32_e32 v3, 25, v3
	v_lshrrev_b32_e32 v5, 4, v3
	v_and_or_b32 v6, v4, s0, 0.5
	v_or_b32_e32 v5, 0x70000000, v5
	v_add_f32_e32 v6, -0.5, v6
	v_mul_f32_e32 v5, 0x7800000, v5
	v_cmp_gt_u32_e32 vcc, s1, v3
	v_bfe_i32 v4, v4, 0, 16
	v_cndmask_b32_e32 v3, v5, v6, vcc
	s_brev_b32 s0, 1
	v_and_or_b32 v3, v4, s0, v3
	v_cvt_f16_f32_e32 v3, v3
.LBB118_480:
	s_mov_b64 s[24:25], 0
	s_mov_b64 s[0:1], -1
.LBB118_481:
	s_andn2_b64 vcc, exec, s[24:25]
	s_cbranch_vccnz .LBB118_494
; %bb.482:
	s_cmp_gt_i32 s30, 14
	s_cbranch_scc0 .LBB118_485
; %bb.483:
	s_cmp_eq_u32 s30, 15
	s_cbranch_scc0 .LBB118_488
; %bb.484:
	global_load_ushort v3, v[0:1], off
	s_mov_b64 s[0:1], -1
	s_mov_b64 s[22:23], 0
	s_waitcnt vmcnt(0)
	v_lshlrev_b32_e32 v3, 16, v3
	v_cvt_f16_f32_e32 v3, v3
	s_branch .LBB118_489
.LBB118_485:
	s_mov_b64 s[24:25], -1
                                        ; implicit-def: $vgpr3
	s_branch .LBB118_490
.LBB118_486:
	s_or_saveexec_b64 s[24:25], s[24:25]
	v_mov_b32_e32 v3, 0x7e00
	s_xor_b64 exec, exec, s[24:25]
	s_cbranch_execz .LBB118_467
.LBB118_487:
	v_cmp_ne_u16_e32 vcc, 0, v4
	s_andn2_b64 s[0:1], s[0:1], exec
	s_and_b64 s[28:29], vcc, exec
	s_or_b64 s[0:1], s[0:1], s[28:29]
	v_mov_b32_e32 v3, v4
	s_or_b64 exec, exec, s[24:25]
	s_and_saveexec_b64 s[24:25], s[0:1]
	s_cbranch_execnz .LBB118_468
	s_branch .LBB118_469
.LBB118_488:
	s_mov_b64 s[22:23], -1
                                        ; implicit-def: $vgpr3
.LBB118_489:
	s_mov_b64 s[24:25], 0
.LBB118_490:
	s_and_b64 vcc, exec, s[24:25]
	s_cbranch_vccz .LBB118_494
; %bb.491:
	s_cmp_eq_u32 s30, 11
	s_cbranch_scc0 .LBB118_493
; %bb.492:
	global_load_ubyte v3, v[0:1], off
	v_mov_b32_e32 v4, 0x3c00
	s_mov_b64 s[0:1], -1
	s_mov_b64 s[22:23], 0
	s_waitcnt vmcnt(0)
	v_cmp_ne_u16_e32 vcc, 0, v3
	v_cndmask_b32_e32 v3, 0, v4, vcc
	s_branch .LBB118_494
.LBB118_493:
	s_mov_b64 s[22:23], -1
                                        ; implicit-def: $vgpr3
.LBB118_494:
	s_branch .LBB118_281
.LBB118_495:
	s_cmp_lt_i32 s30, 5
	s_cbranch_scc1 .LBB118_500
; %bb.496:
	s_cmp_lt_i32 s30, 8
	s_cbranch_scc1 .LBB118_501
; %bb.497:
	;; [unrolled: 3-line block ×3, first 2 shown]
	s_cmp_gt_i32 s30, 9
	s_cbranch_scc0 .LBB118_503
; %bb.499:
	global_load_dwordx2 v[3:4], v[0:1], off
	s_movk_i32 s0, 0x1ff
	s_movk_i32 s1, 0xffe
	v_mov_b32_e32 v5, 0x7c00
	v_mov_b32_e32 v6, 0x7e00
	s_movk_i32 s24, 0x40f
	s_mov_b32 s25, 0x8000
	s_waitcnt vmcnt(0)
	v_and_or_b32 v3, v4, s0, v3
	v_cmp_ne_u32_e32 vcc, 0, v3
	v_lshrrev_b32_e32 v7, 8, v4
	v_bfe_u32 v8, v4, 20, 11
	v_cndmask_b32_e64 v3, 0, 1, vcc
	v_sub_u32_e32 v9, 0x3f1, v8
	v_and_or_b32 v3, v7, s1, v3
	v_add_u32_e32 v8, 0xfffffc10, v8
	v_med3_i32 v7, v9, 0, 13
	v_or_b32_e32 v9, 0x1000, v3
	v_cmp_ne_u32_e32 vcc, 0, v3
	v_lshl_or_b32 v10, v8, 12, v3
	v_cndmask_b32_e32 v3, v5, v6, vcc
	v_lshrrev_b32_e32 v6, v7, v9
	v_lshlrev_b32_e32 v7, v7, v6
	v_cmp_ne_u32_e32 vcc, v7, v9
	v_cndmask_b32_e64 v7, 0, 1, vcc
	v_or_b32_e32 v6, v6, v7
	v_cmp_gt_i32_e32 vcc, 1, v8
	v_cndmask_b32_e32 v6, v10, v6, vcc
	v_and_b32_e32 v7, 7, v6
	v_cmp_lt_i32_e32 vcc, 5, v7
	v_cndmask_b32_e64 v9, 0, 1, vcc
	v_cmp_eq_u32_e32 vcc, 3, v7
	v_cndmask_b32_e64 v7, 0, 1, vcc
	v_lshrrev_b32_e32 v6, 2, v6
	v_or_b32_e32 v7, v7, v9
	v_add_u32_e32 v6, v6, v7
	v_cmp_gt_i32_e32 vcc, 31, v8
	v_cndmask_b32_e32 v5, v5, v6, vcc
	v_cmp_eq_u32_e32 vcc, s24, v8
	v_lshrrev_b32_e32 v4, 16, v4
	v_cndmask_b32_e32 v3, v5, v3, vcc
	v_and_or_b32 v3, v4, s25, v3
	s_mov_b64 s[0:1], 0
	s_branch .LBB118_504
.LBB118_500:
	s_mov_b64 s[0:1], -1
                                        ; implicit-def: $vgpr3
	s_branch .LBB118_522
.LBB118_501:
	s_mov_b64 s[0:1], -1
                                        ; implicit-def: $vgpr3
	s_branch .LBB118_510
.LBB118_502:
	s_mov_b64 s[0:1], -1
                                        ; implicit-def: $vgpr3
	s_branch .LBB118_507
.LBB118_503:
	s_mov_b64 s[0:1], -1
                                        ; implicit-def: $vgpr3
.LBB118_504:
	s_andn2_b64 vcc, exec, s[0:1]
	s_cbranch_vccnz .LBB118_506
; %bb.505:
	global_load_dword v3, v[0:1], off
	s_waitcnt vmcnt(0)
	v_cvt_f16_f32_e32 v3, v3
.LBB118_506:
	s_mov_b64 s[0:1], 0
.LBB118_507:
	s_andn2_b64 vcc, exec, s[0:1]
	s_cbranch_vccnz .LBB118_509
; %bb.508:
	global_load_dword v3, v[0:1], off
.LBB118_509:
	s_mov_b64 s[0:1], 0
.LBB118_510:
	s_andn2_b64 vcc, exec, s[0:1]
	s_cbranch_vccnz .LBB118_521
; %bb.511:
	s_cmp_lt_i32 s30, 6
	s_cbranch_scc1 .LBB118_514
; %bb.512:
	s_cmp_gt_i32 s30, 6
	s_cbranch_scc0 .LBB118_515
; %bb.513:
	global_load_dwordx2 v[3:4], v[0:1], off
	s_movk_i32 s0, 0x1ff
	s_movk_i32 s1, 0xffe
	v_mov_b32_e32 v5, 0x7c00
	v_mov_b32_e32 v6, 0x7e00
	s_movk_i32 s24, 0x40f
	s_mov_b32 s25, 0x8000
	s_waitcnt vmcnt(0)
	v_and_or_b32 v3, v4, s0, v3
	v_cmp_ne_u32_e32 vcc, 0, v3
	v_lshrrev_b32_e32 v7, 8, v4
	v_bfe_u32 v8, v4, 20, 11
	v_cndmask_b32_e64 v3, 0, 1, vcc
	v_sub_u32_e32 v9, 0x3f1, v8
	v_and_or_b32 v3, v7, s1, v3
	v_add_u32_e32 v8, 0xfffffc10, v8
	v_med3_i32 v7, v9, 0, 13
	v_or_b32_e32 v9, 0x1000, v3
	v_cmp_ne_u32_e32 vcc, 0, v3
	v_lshl_or_b32 v10, v8, 12, v3
	v_cndmask_b32_e32 v3, v5, v6, vcc
	v_lshrrev_b32_e32 v6, v7, v9
	v_lshlrev_b32_e32 v7, v7, v6
	v_cmp_ne_u32_e32 vcc, v7, v9
	v_cndmask_b32_e64 v7, 0, 1, vcc
	v_or_b32_e32 v6, v6, v7
	v_cmp_gt_i32_e32 vcc, 1, v8
	v_cndmask_b32_e32 v6, v10, v6, vcc
	v_and_b32_e32 v7, 7, v6
	v_cmp_lt_i32_e32 vcc, 5, v7
	v_cndmask_b32_e64 v9, 0, 1, vcc
	v_cmp_eq_u32_e32 vcc, 3, v7
	v_cndmask_b32_e64 v7, 0, 1, vcc
	v_lshrrev_b32_e32 v6, 2, v6
	v_or_b32_e32 v7, v7, v9
	v_add_u32_e32 v6, v6, v7
	v_cmp_gt_i32_e32 vcc, 31, v8
	v_cndmask_b32_e32 v5, v5, v6, vcc
	v_cmp_eq_u32_e32 vcc, s24, v8
	v_lshrrev_b32_e32 v4, 16, v4
	v_cndmask_b32_e32 v3, v5, v3, vcc
	v_and_or_b32 v3, v4, s25, v3
	s_mov_b64 s[0:1], 0
	s_branch .LBB118_516
.LBB118_514:
	s_mov_b64 s[0:1], -1
                                        ; implicit-def: $vgpr3
	s_branch .LBB118_519
.LBB118_515:
	s_mov_b64 s[0:1], -1
                                        ; implicit-def: $vgpr3
.LBB118_516:
	s_andn2_b64 vcc, exec, s[0:1]
	s_cbranch_vccnz .LBB118_518
; %bb.517:
	global_load_dword v3, v[0:1], off
	s_waitcnt vmcnt(0)
	v_cvt_f16_f32_e32 v3, v3
.LBB118_518:
	s_mov_b64 s[0:1], 0
.LBB118_519:
	s_andn2_b64 vcc, exec, s[0:1]
	s_cbranch_vccnz .LBB118_521
; %bb.520:
	global_load_ushort v3, v[0:1], off
.LBB118_521:
	s_mov_b64 s[0:1], 0
.LBB118_522:
	s_andn2_b64 vcc, exec, s[0:1]
	s_cbranch_vccnz .LBB118_542
; %bb.523:
	s_cmp_lt_i32 s30, 2
	s_cbranch_scc1 .LBB118_527
; %bb.524:
	s_cmp_lt_i32 s30, 3
	s_cbranch_scc1 .LBB118_528
; %bb.525:
	s_cmp_gt_i32 s30, 3
	s_cbranch_scc0 .LBB118_529
; %bb.526:
	global_load_dwordx2 v[3:4], v[0:1], off
	s_mov_b64 s[0:1], 0
	s_waitcnt vmcnt(0)
	v_xor_b32_e32 v6, v3, v4
	v_ffbh_i32_e32 v5, v4
	v_ashrrev_i32_e32 v6, 31, v6
	v_add_u32_e32 v5, -1, v5
	v_add_u32_e32 v6, 32, v6
	v_min_u32_e32 v5, v5, v6
	v_lshlrev_b64 v[3:4], v5, v[3:4]
	v_min_u32_e32 v3, 1, v3
	v_or_b32_e32 v3, v4, v3
	v_cvt_f32_i32_e32 v3, v3
	v_sub_u32_e32 v4, 32, v5
	v_ldexp_f32 v3, v3, v4
	v_cvt_f16_f32_e32 v3, v3
	s_branch .LBB118_530
.LBB118_527:
	s_mov_b64 s[0:1], -1
                                        ; implicit-def: $vgpr3
	s_branch .LBB118_536
.LBB118_528:
	s_mov_b64 s[0:1], -1
                                        ; implicit-def: $vgpr3
	s_branch .LBB118_533
.LBB118_529:
	s_mov_b64 s[0:1], -1
                                        ; implicit-def: $vgpr3
.LBB118_530:
	s_andn2_b64 vcc, exec, s[0:1]
	s_cbranch_vccnz .LBB118_532
; %bb.531:
	global_load_dword v3, v[0:1], off
	s_waitcnt vmcnt(0)
	v_cvt_f32_i32_e32 v3, v3
	v_cvt_f16_f32_e32 v3, v3
.LBB118_532:
	s_mov_b64 s[0:1], 0
.LBB118_533:
	s_andn2_b64 vcc, exec, s[0:1]
	s_cbranch_vccnz .LBB118_535
; %bb.534:
	global_load_ushort v3, v[0:1], off
	s_waitcnt vmcnt(0)
	v_cvt_f16_i16_e32 v3, v3
.LBB118_535:
	s_mov_b64 s[0:1], 0
.LBB118_536:
	s_andn2_b64 vcc, exec, s[0:1]
	s_cbranch_vccnz .LBB118_542
; %bb.537:
	s_cmp_gt_i32 s30, 0
	s_cbranch_scc0 .LBB118_539
; %bb.538:
	global_load_sbyte v3, v[0:1], off
	s_mov_b64 s[0:1], 0
	s_waitcnt vmcnt(0)
	v_cvt_f16_i16_e32 v3, v3
	s_branch .LBB118_540
.LBB118_539:
	s_mov_b64 s[0:1], -1
                                        ; implicit-def: $vgpr3
.LBB118_540:
	s_andn2_b64 vcc, exec, s[0:1]
	s_cbranch_vccnz .LBB118_542
; %bb.541:
	global_load_ubyte v0, v[0:1], off
	s_waitcnt vmcnt(0)
	v_cvt_f16_u16_e32 v3, v0
.LBB118_542:
	s_branch .LBB118_282
.LBB118_543:
	s_mov_b64 s[28:29], 0
                                        ; implicit-def: $vgpr2
	s_mov_b64 s[0:1], s[16:17]
.LBB118_544:
	s_andn2_b64 s[24:25], s[16:17], exec
	s_and_b64 s[0:1], s[0:1], exec
	s_or_b64 s[24:25], s[24:25], s[0:1]
	s_andn2_b64 s[0:1], s[18:19], exec
	s_and_b64 s[22:23], s[22:23], exec
	s_or_b64 s[22:23], s[0:1], s[22:23]
	s_orn2_b64 s[0:1], s[28:29], exec
.LBB118_545:
	s_or_b64 exec, exec, s[26:27]
	s_mov_b64 s[28:29], 0
	s_mov_b64 s[30:31], 0
	;; [unrolled: 1-line block ×3, first 2 shown]
                                        ; implicit-def: $vgpr0_vgpr1
                                        ; implicit-def: $vgpr3
	s_and_saveexec_b64 s[26:27], s[0:1]
	s_cbranch_execz .LBB118_907
; %bb.546:
	v_cmp_gt_i32_e32 vcc, s33, v2
	s_mov_b64 s[38:39], -1
	s_mov_b64 s[0:1], s[22:23]
	s_mov_b64 s[34:35], s[24:25]
	s_and_saveexec_b64 s[28:29], vcc
	s_cbranch_execz .LBB118_821
; %bb.547:
	v_mul_lo_u32 v0, v2, s13
	v_mov_b32_e32 v1, s11
	s_and_b32 s38, 0xffff, s15
	s_cmp_lt_i32 s38, 11
	s_waitcnt vmcnt(0)
	v_ashrrev_i32_e32 v3, 31, v0
	v_add_co_u32_e32 v0, vcc, s10, v0
	v_addc_co_u32_e32 v1, vcc, v1, v3, vcc
	s_cbranch_scc1 .LBB118_554
; %bb.548:
	s_cmp_gt_i32 s38, 25
	s_cbranch_scc0 .LBB118_555
; %bb.549:
	s_cmp_gt_i32 s38, 28
	s_cbranch_scc0 .LBB118_556
	;; [unrolled: 3-line block ×4, first 2 shown]
; %bb.552:
	s_cmp_eq_u32 s38, 46
	s_mov_b64 s[34:35], 0
	s_cbranch_scc0 .LBB118_563
; %bb.553:
	global_load_dword v3, v[0:1], off
	s_mov_b64 s[0:1], -1
	s_waitcnt vmcnt(0)
	v_lshlrev_b32_e32 v3, 16, v3
	v_cvt_f16_f32_e32 v3, v3
	s_branch .LBB118_564
.LBB118_554:
	s_mov_b64 s[34:35], -1
	s_mov_b64 s[0:1], 0
                                        ; implicit-def: $vgpr3
	s_mov_b64 s[30:31], s[22:23]
	s_branch .LBB118_629
.LBB118_555:
	s_mov_b64 s[34:35], -1
	s_mov_b64 s[0:1], 0
	s_mov_b64 s[30:31], s[22:23]
                                        ; implicit-def: $vgpr3
	s_branch .LBB118_593
.LBB118_556:
	s_mov_b64 s[34:35], -1
	s_mov_b64 s[0:1], 0
	s_mov_b64 s[30:31], s[22:23]
                                        ; implicit-def: $vgpr3
	s_branch .LBB118_574
.LBB118_557:
	s_mov_b64 s[34:35], -1
	s_mov_b64 s[0:1], 0
	s_mov_b64 s[30:31], s[22:23]
                                        ; implicit-def: $vgpr3
	s_branch .LBB118_569
.LBB118_558:
	s_andn2_saveexec_b64 s[34:35], s[34:35]
	s_cbranch_execz .LBB118_343
.LBB118_559:
	v_add_f32_e32 v3, 0x46000000, v4
	v_and_b32_e32 v3, 0xff, v3
	v_cmp_ne_u32_e32 vcc, 0, v3
	s_andn2_b64 s[30:31], s[30:31], exec
	s_and_b64 s[38:39], vcc, exec
	s_or_b64 s[30:31], s[30:31], s[38:39]
	s_or_b64 exec, exec, s[34:35]
	v_mov_b32_e32 v5, 0
	s_and_saveexec_b64 s[34:35], s[30:31]
	s_cbranch_execnz .LBB118_344
	s_branch .LBB118_345
.LBB118_560:
	s_mov_b64 s[34:35], -1
	s_mov_b64 s[0:1], 0
	s_mov_b64 s[30:31], s[22:23]
                                        ; implicit-def: $vgpr3
	s_branch .LBB118_564
.LBB118_561:
	s_andn2_saveexec_b64 s[34:35], s[34:35]
	s_cbranch_execz .LBB118_356
.LBB118_562:
	v_add_f32_e32 v3, 0x42800000, v4
	v_and_b32_e32 v3, 0xff, v3
	v_cmp_ne_u32_e32 vcc, 0, v3
	s_andn2_b64 s[30:31], s[30:31], exec
	s_and_b64 s[38:39], vcc, exec
	s_or_b64 s[30:31], s[30:31], s[38:39]
	s_or_b64 exec, exec, s[34:35]
	v_mov_b32_e32 v5, 0
	s_and_saveexec_b64 s[34:35], s[30:31]
	s_cbranch_execnz .LBB118_357
	s_branch .LBB118_358
.LBB118_563:
	s_mov_b64 s[30:31], -1
                                        ; implicit-def: $vgpr3
	s_mov_b64 s[0:1], 0
.LBB118_564:
	s_and_b64 vcc, exec, s[34:35]
	s_cbranch_vccz .LBB118_568
; %bb.565:
	s_cmp_eq_u32 s38, 44
	s_cbranch_scc0 .LBB118_567
; %bb.566:
	global_load_ubyte v3, v[0:1], off
	s_movk_i32 s30, 0xff
	v_mov_b32_e32 v5, 0x7e00
	s_mov_b64 s[0:1], -1
	s_waitcnt vmcnt(0)
	v_lshlrev_b32_e32 v4, 23, v3
	v_cvt_f16_f32_e32 v4, v4
	v_cmp_ne_u32_e32 vcc, s30, v3
	s_mov_b64 s[30:31], 0
	v_cndmask_b32_e32 v4, v5, v4, vcc
	v_cmp_ne_u32_e32 vcc, 0, v3
	v_cndmask_b32_e32 v3, 0, v4, vcc
	s_branch .LBB118_568
.LBB118_567:
	s_mov_b64 s[30:31], -1
                                        ; implicit-def: $vgpr3
.LBB118_568:
	s_mov_b64 s[34:35], 0
.LBB118_569:
	s_and_b64 vcc, exec, s[34:35]
	s_cbranch_vccz .LBB118_573
; %bb.570:
	s_cmp_eq_u32 s38, 29
	s_cbranch_scc0 .LBB118_572
; %bb.571:
	global_load_dwordx2 v[3:4], v[0:1], off
	s_mov_b64 s[0:1], -1
	s_mov_b64 s[30:31], 0
	s_mov_b64 s[34:35], 0
	s_waitcnt vmcnt(0)
	v_ffbh_u32_e32 v5, v4
	v_min_u32_e32 v5, 32, v5
	v_lshlrev_b64 v[3:4], v5, v[3:4]
	v_min_u32_e32 v3, 1, v3
	v_or_b32_e32 v3, v4, v3
	v_cvt_f32_u32_e32 v3, v3
	v_sub_u32_e32 v4, 32, v5
	v_ldexp_f32 v3, v3, v4
	v_cvt_f16_f32_e32 v3, v3
	s_branch .LBB118_574
.LBB118_572:
	s_mov_b64 s[30:31], -1
                                        ; implicit-def: $vgpr3
.LBB118_573:
	s_mov_b64 s[34:35], 0
.LBB118_574:
	s_and_b64 vcc, exec, s[34:35]
	s_cbranch_vccz .LBB118_592
; %bb.575:
	s_cmp_lt_i32 s38, 27
	s_cbranch_scc1 .LBB118_578
; %bb.576:
	s_cmp_gt_i32 s38, 27
	s_cbranch_scc0 .LBB118_579
; %bb.577:
	global_load_dword v3, v[0:1], off
	s_mov_b64 s[0:1], 0
	s_waitcnt vmcnt(0)
	v_cvt_f32_u32_e32 v3, v3
	v_cvt_f16_f32_e32 v3, v3
	s_branch .LBB118_580
.LBB118_578:
	s_mov_b64 s[0:1], -1
                                        ; implicit-def: $vgpr3
	s_branch .LBB118_583
.LBB118_579:
	s_mov_b64 s[0:1], -1
                                        ; implicit-def: $vgpr3
.LBB118_580:
	s_andn2_b64 vcc, exec, s[0:1]
	s_cbranch_vccnz .LBB118_582
; %bb.581:
	global_load_ushort v3, v[0:1], off
	s_waitcnt vmcnt(0)
	v_cvt_f16_u16_e32 v3, v3
.LBB118_582:
	s_mov_b64 s[0:1], 0
.LBB118_583:
	s_andn2_b64 vcc, exec, s[0:1]
	s_cbranch_vccnz .LBB118_591
; %bb.584:
	global_load_ubyte v4, v[0:1], off
	s_movk_i32 s0, 0x7f
	s_waitcnt vmcnt(0)
	v_cmp_lt_i16_e32 vcc, s0, v4
	s_mov_b64 s[0:1], 0
	s_and_saveexec_b64 s[34:35], vcc
	s_xor_b64 s[34:35], exec, s[34:35]
	s_cbranch_execz .LBB118_605
; %bb.585:
	s_movk_i32 s0, 0x80
	v_cmp_eq_u16_e32 vcc, s0, v4
	s_mov_b64 s[0:1], -1
	s_and_saveexec_b64 s[36:37], vcc
; %bb.586:
	s_xor_b64 s[0:1], exec, -1
; %bb.587:
	s_or_b64 exec, exec, s[36:37]
	s_and_b64 s[0:1], s[0:1], exec
	s_or_saveexec_b64 s[34:35], s[34:35]
	v_mov_b32_e32 v3, 0x7e00
	s_xor_b64 exec, exec, s[34:35]
	s_cbranch_execnz .LBB118_606
.LBB118_588:
	s_or_b64 exec, exec, s[34:35]
	s_and_saveexec_b64 s[34:35], s[0:1]
	s_cbranch_execz .LBB118_590
.LBB118_589:
	v_lshlrev_b32_e32 v3, 24, v4
	v_and_b32_e32 v4, 0xffff, v4
	v_and_b32_e32 v5, 7, v4
	v_ffbh_u32_e32 v7, v5
	v_min_u32_e32 v7, 32, v7
	v_subrev_u32_e32 v8, 28, v7
	v_bfe_u32 v6, v4, 3, 4
	v_lshlrev_b32_e32 v4, v8, v4
	v_sub_u32_e32 v7, 29, v7
	v_and_b32_e32 v4, 7, v4
	v_cmp_eq_u32_e32 vcc, 0, v6
	v_cndmask_b32_e32 v6, v6, v7, vcc
	v_cndmask_b32_e32 v4, v5, v4, vcc
	v_mov_b32_e32 v5, 0x3b800000
	v_lshlrev_b32_e32 v4, 20, v4
	v_and_b32_e32 v3, 0x80000000, v3
	v_lshl_add_u32 v5, v6, 23, v5
	v_or3_b32 v3, v3, v5, v4
	v_cvt_f16_f32_e32 v3, v3
.LBB118_590:
	s_or_b64 exec, exec, s[34:35]
.LBB118_591:
	s_mov_b64 s[0:1], -1
.LBB118_592:
	s_mov_b64 s[34:35], 0
.LBB118_593:
	s_and_b64 vcc, exec, s[34:35]
	s_cbranch_vccz .LBB118_628
; %bb.594:
	s_cmp_gt_i32 s38, 22
	s_cbranch_scc0 .LBB118_604
; %bb.595:
	s_cmp_lt_i32 s38, 24
	s_cbranch_scc1 .LBB118_607
; %bb.596:
	s_cmp_gt_i32 s38, 24
	s_cbranch_scc0 .LBB118_608
; %bb.597:
	global_load_ubyte v4, v[0:1], off
	s_movk_i32 s0, 0x7f
	s_waitcnt vmcnt(0)
	v_cmp_lt_i16_e32 vcc, s0, v4
	s_mov_b64 s[0:1], 0
	s_and_saveexec_b64 s[34:35], vcc
	s_xor_b64 s[34:35], exec, s[34:35]
	s_cbranch_execz .LBB118_620
; %bb.598:
	s_movk_i32 s0, 0x80
	v_cmp_eq_u16_e32 vcc, s0, v4
	s_mov_b64 s[0:1], -1
	s_and_saveexec_b64 s[36:37], vcc
; %bb.599:
	s_xor_b64 s[0:1], exec, -1
; %bb.600:
	s_or_b64 exec, exec, s[36:37]
	s_and_b64 s[0:1], s[0:1], exec
	s_or_saveexec_b64 s[34:35], s[34:35]
	v_mov_b32_e32 v3, 0x7e00
	s_xor_b64 exec, exec, s[34:35]
	s_cbranch_execnz .LBB118_621
.LBB118_601:
	s_or_b64 exec, exec, s[34:35]
	s_and_saveexec_b64 s[34:35], s[0:1]
	s_cbranch_execz .LBB118_603
.LBB118_602:
	v_lshlrev_b32_e32 v3, 24, v4
	v_and_b32_e32 v4, 0xffff, v4
	v_and_b32_e32 v5, 3, v4
	v_ffbh_u32_e32 v7, v5
	v_min_u32_e32 v7, 32, v7
	v_subrev_u32_e32 v8, 29, v7
	v_bfe_u32 v6, v4, 2, 5
	v_lshlrev_b32_e32 v4, v8, v4
	v_sub_u32_e32 v7, 30, v7
	v_and_b32_e32 v4, 3, v4
	v_cmp_eq_u32_e32 vcc, 0, v6
	v_cndmask_b32_e32 v6, v6, v7, vcc
	v_cndmask_b32_e32 v4, v5, v4, vcc
	v_mov_b32_e32 v5, 0x37800000
	v_lshlrev_b32_e32 v4, 21, v4
	v_and_b32_e32 v3, 0x80000000, v3
	v_lshl_add_u32 v5, v6, 23, v5
	v_or3_b32 v3, v3, v5, v4
	v_cvt_f16_f32_e32 v3, v3
.LBB118_603:
	s_or_b64 exec, exec, s[34:35]
	s_mov_b64 s[0:1], 0
	s_branch .LBB118_609
.LBB118_604:
	s_mov_b64 s[34:35], -1
                                        ; implicit-def: $vgpr3
	s_branch .LBB118_615
.LBB118_605:
	s_or_saveexec_b64 s[34:35], s[34:35]
	v_mov_b32_e32 v3, 0x7e00
	s_xor_b64 exec, exec, s[34:35]
	s_cbranch_execz .LBB118_588
.LBB118_606:
	v_cmp_ne_u16_e32 vcc, 0, v4
	s_andn2_b64 s[0:1], s[0:1], exec
	s_and_b64 s[36:37], vcc, exec
	s_or_b64 s[0:1], s[0:1], s[36:37]
	v_mov_b32_e32 v3, v4
	s_or_b64 exec, exec, s[34:35]
	s_and_saveexec_b64 s[34:35], s[0:1]
	s_cbranch_execnz .LBB118_589
	s_branch .LBB118_590
.LBB118_607:
	s_mov_b64 s[0:1], -1
                                        ; implicit-def: $vgpr3
	s_branch .LBB118_612
.LBB118_608:
	s_mov_b64 s[0:1], -1
                                        ; implicit-def: $vgpr3
.LBB118_609:
	s_and_b64 vcc, exec, s[0:1]
	s_cbranch_vccz .LBB118_611
; %bb.610:
	global_load_ubyte v3, v[0:1], off
	s_mov_b32 s0, 0x7f800000
	s_waitcnt vmcnt(0)
	v_lshlrev_b32_e32 v3, 24, v3
	v_and_b32_e32 v4, 0x7f000000, v3
	v_ffbh_u32_e32 v5, v4
	v_min_u32_e32 v5, 32, v5
	v_sub_u32_e64 v5, v5, 4 clamp
	v_lshlrev_b32_e32 v7, v5, v4
	v_lshlrev_b32_e32 v5, 23, v5
	v_lshrrev_b32_e32 v7, 4, v7
	v_add_u32_e32 v6, 0x1000000, v4
	v_sub_u32_e32 v5, v7, v5
	v_ashrrev_i32_e32 v6, 8, v6
	v_add_u32_e32 v5, 0x3c000000, v5
	v_and_or_b32 v5, v6, s0, v5
	v_cmp_ne_u32_e32 vcc, 0, v4
	v_cndmask_b32_e32 v4, 0, v5, vcc
	s_brev_b32 s0, 1
	v_and_or_b32 v3, v3, s0, v4
	v_cvt_f16_f32_e32 v3, v3
.LBB118_611:
	s_mov_b64 s[0:1], 0
.LBB118_612:
	s_andn2_b64 vcc, exec, s[0:1]
	s_cbranch_vccnz .LBB118_614
; %bb.613:
	global_load_ubyte v3, v[0:1], off
	s_movk_i32 s0, 0x7f00
	s_brev_b32 s1, 16
	s_waitcnt vmcnt(0)
	v_lshlrev_b16_e32 v4, 8, v3
	v_lshlrev_b32_e32 v3, 25, v3
	v_lshrrev_b32_e32 v5, 4, v3
	v_and_or_b32 v6, v4, s0, 0.5
	v_or_b32_e32 v5, 0x70000000, v5
	v_add_f32_e32 v6, -0.5, v6
	v_mul_f32_e32 v5, 0x7800000, v5
	v_cmp_gt_u32_e32 vcc, s1, v3
	v_bfe_i32 v4, v4, 0, 16
	v_cndmask_b32_e32 v3, v5, v6, vcc
	s_brev_b32 s0, 1
	v_and_or_b32 v3, v4, s0, v3
	v_cvt_f16_f32_e32 v3, v3
.LBB118_614:
	s_mov_b64 s[34:35], 0
	s_mov_b64 s[0:1], -1
.LBB118_615:
	s_andn2_b64 vcc, exec, s[34:35]
	s_cbranch_vccnz .LBB118_628
; %bb.616:
	s_cmp_gt_i32 s38, 14
	s_cbranch_scc0 .LBB118_619
; %bb.617:
	s_cmp_eq_u32 s38, 15
	s_cbranch_scc0 .LBB118_622
; %bb.618:
	global_load_ushort v3, v[0:1], off
	s_mov_b64 s[0:1], -1
	s_mov_b64 s[30:31], 0
	s_waitcnt vmcnt(0)
	v_lshlrev_b32_e32 v3, 16, v3
	v_cvt_f16_f32_e32 v3, v3
	s_branch .LBB118_623
.LBB118_619:
	s_mov_b64 s[34:35], -1
                                        ; implicit-def: $vgpr3
	s_branch .LBB118_624
.LBB118_620:
	s_or_saveexec_b64 s[34:35], s[34:35]
	v_mov_b32_e32 v3, 0x7e00
	s_xor_b64 exec, exec, s[34:35]
	s_cbranch_execz .LBB118_601
.LBB118_621:
	v_cmp_ne_u16_e32 vcc, 0, v4
	s_andn2_b64 s[0:1], s[0:1], exec
	s_and_b64 s[36:37], vcc, exec
	s_or_b64 s[0:1], s[0:1], s[36:37]
	v_mov_b32_e32 v3, v4
	s_or_b64 exec, exec, s[34:35]
	s_and_saveexec_b64 s[34:35], s[0:1]
	s_cbranch_execnz .LBB118_602
	s_branch .LBB118_603
.LBB118_622:
	s_mov_b64 s[30:31], -1
                                        ; implicit-def: $vgpr3
.LBB118_623:
	s_mov_b64 s[34:35], 0
.LBB118_624:
	s_and_b64 vcc, exec, s[34:35]
	s_cbranch_vccz .LBB118_628
; %bb.625:
	s_cmp_eq_u32 s38, 11
	s_cbranch_scc0 .LBB118_627
; %bb.626:
	global_load_ubyte v3, v[0:1], off
	v_mov_b32_e32 v4, 0x3c00
	s_mov_b64 s[0:1], -1
	s_mov_b64 s[30:31], 0
	s_waitcnt vmcnt(0)
	v_cmp_ne_u16_e32 vcc, 0, v3
	v_cndmask_b32_e32 v3, 0, v4, vcc
	s_branch .LBB118_628
.LBB118_627:
	s_mov_b64 s[30:31], -1
                                        ; implicit-def: $vgpr3
.LBB118_628:
	s_mov_b64 s[34:35], 0
.LBB118_629:
	s_and_b64 vcc, exec, s[34:35]
	s_cbranch_vccz .LBB118_678
; %bb.630:
	s_cmp_lt_i32 s38, 5
	s_cbranch_scc1 .LBB118_635
; %bb.631:
	s_cmp_lt_i32 s38, 8
	s_cbranch_scc1 .LBB118_636
	;; [unrolled: 3-line block ×3, first 2 shown]
; %bb.633:
	s_cmp_gt_i32 s38, 9
	s_cbranch_scc0 .LBB118_638
; %bb.634:
	global_load_dwordx2 v[3:4], v[0:1], off
	s_movk_i32 s0, 0x1ff
	s_movk_i32 s1, 0xffe
	v_mov_b32_e32 v5, 0x7c00
	v_mov_b32_e32 v6, 0x7e00
	s_movk_i32 s34, 0x40f
	s_mov_b32 s35, 0x8000
	s_waitcnt vmcnt(0)
	v_and_or_b32 v3, v4, s0, v3
	v_cmp_ne_u32_e32 vcc, 0, v3
	v_lshrrev_b32_e32 v7, 8, v4
	v_bfe_u32 v8, v4, 20, 11
	v_cndmask_b32_e64 v3, 0, 1, vcc
	v_sub_u32_e32 v9, 0x3f1, v8
	v_and_or_b32 v3, v7, s1, v3
	v_add_u32_e32 v8, 0xfffffc10, v8
	v_med3_i32 v7, v9, 0, 13
	v_or_b32_e32 v9, 0x1000, v3
	v_cmp_ne_u32_e32 vcc, 0, v3
	v_lshl_or_b32 v10, v8, 12, v3
	v_cndmask_b32_e32 v3, v5, v6, vcc
	v_lshrrev_b32_e32 v6, v7, v9
	v_lshlrev_b32_e32 v7, v7, v6
	v_cmp_ne_u32_e32 vcc, v7, v9
	v_cndmask_b32_e64 v7, 0, 1, vcc
	v_or_b32_e32 v6, v6, v7
	v_cmp_gt_i32_e32 vcc, 1, v8
	v_cndmask_b32_e32 v6, v10, v6, vcc
	v_and_b32_e32 v7, 7, v6
	v_cmp_lt_i32_e32 vcc, 5, v7
	v_cndmask_b32_e64 v9, 0, 1, vcc
	v_cmp_eq_u32_e32 vcc, 3, v7
	v_cndmask_b32_e64 v7, 0, 1, vcc
	v_lshrrev_b32_e32 v6, 2, v6
	v_or_b32_e32 v7, v7, v9
	v_add_u32_e32 v6, v6, v7
	v_cmp_gt_i32_e32 vcc, 31, v8
	v_cndmask_b32_e32 v5, v5, v6, vcc
	v_cmp_eq_u32_e32 vcc, s34, v8
	v_lshrrev_b32_e32 v4, 16, v4
	v_cndmask_b32_e32 v3, v5, v3, vcc
	v_and_or_b32 v3, v4, s35, v3
	s_mov_b64 s[0:1], 0
	s_branch .LBB118_639
.LBB118_635:
	s_mov_b64 s[0:1], -1
                                        ; implicit-def: $vgpr3
	s_branch .LBB118_657
.LBB118_636:
	s_mov_b64 s[0:1], -1
                                        ; implicit-def: $vgpr3
	s_branch .LBB118_645
.LBB118_637:
	s_mov_b64 s[0:1], -1
                                        ; implicit-def: $vgpr3
	s_branch .LBB118_642
.LBB118_638:
	s_mov_b64 s[0:1], -1
                                        ; implicit-def: $vgpr3
.LBB118_639:
	s_andn2_b64 vcc, exec, s[0:1]
	s_cbranch_vccnz .LBB118_641
; %bb.640:
	global_load_dword v3, v[0:1], off
	s_waitcnt vmcnt(0)
	v_cvt_f16_f32_e32 v3, v3
.LBB118_641:
	s_mov_b64 s[0:1], 0
.LBB118_642:
	s_andn2_b64 vcc, exec, s[0:1]
	s_cbranch_vccnz .LBB118_644
; %bb.643:
	global_load_dword v3, v[0:1], off
.LBB118_644:
	s_mov_b64 s[0:1], 0
.LBB118_645:
	s_andn2_b64 vcc, exec, s[0:1]
	s_cbranch_vccnz .LBB118_656
; %bb.646:
	s_cmp_lt_i32 s38, 6
	s_cbranch_scc1 .LBB118_649
; %bb.647:
	s_cmp_gt_i32 s38, 6
	s_cbranch_scc0 .LBB118_650
; %bb.648:
	global_load_dwordx2 v[3:4], v[0:1], off
	s_movk_i32 s0, 0x1ff
	s_movk_i32 s1, 0xffe
	v_mov_b32_e32 v5, 0x7c00
	v_mov_b32_e32 v6, 0x7e00
	s_movk_i32 s34, 0x40f
	s_mov_b32 s35, 0x8000
	s_waitcnt vmcnt(0)
	v_and_or_b32 v3, v4, s0, v3
	v_cmp_ne_u32_e32 vcc, 0, v3
	v_lshrrev_b32_e32 v7, 8, v4
	v_bfe_u32 v8, v4, 20, 11
	v_cndmask_b32_e64 v3, 0, 1, vcc
	v_sub_u32_e32 v9, 0x3f1, v8
	v_and_or_b32 v3, v7, s1, v3
	v_add_u32_e32 v8, 0xfffffc10, v8
	v_med3_i32 v7, v9, 0, 13
	v_or_b32_e32 v9, 0x1000, v3
	v_cmp_ne_u32_e32 vcc, 0, v3
	v_lshl_or_b32 v10, v8, 12, v3
	v_cndmask_b32_e32 v3, v5, v6, vcc
	v_lshrrev_b32_e32 v6, v7, v9
	v_lshlrev_b32_e32 v7, v7, v6
	v_cmp_ne_u32_e32 vcc, v7, v9
	v_cndmask_b32_e64 v7, 0, 1, vcc
	v_or_b32_e32 v6, v6, v7
	v_cmp_gt_i32_e32 vcc, 1, v8
	v_cndmask_b32_e32 v6, v10, v6, vcc
	v_and_b32_e32 v7, 7, v6
	v_cmp_lt_i32_e32 vcc, 5, v7
	v_cndmask_b32_e64 v9, 0, 1, vcc
	v_cmp_eq_u32_e32 vcc, 3, v7
	v_cndmask_b32_e64 v7, 0, 1, vcc
	v_lshrrev_b32_e32 v6, 2, v6
	v_or_b32_e32 v7, v7, v9
	v_add_u32_e32 v6, v6, v7
	v_cmp_gt_i32_e32 vcc, 31, v8
	v_cndmask_b32_e32 v5, v5, v6, vcc
	v_cmp_eq_u32_e32 vcc, s34, v8
	v_lshrrev_b32_e32 v4, 16, v4
	v_cndmask_b32_e32 v3, v5, v3, vcc
	v_and_or_b32 v3, v4, s35, v3
	s_mov_b64 s[0:1], 0
	s_branch .LBB118_651
.LBB118_649:
	s_mov_b64 s[0:1], -1
                                        ; implicit-def: $vgpr3
	s_branch .LBB118_654
.LBB118_650:
	s_mov_b64 s[0:1], -1
                                        ; implicit-def: $vgpr3
.LBB118_651:
	s_andn2_b64 vcc, exec, s[0:1]
	s_cbranch_vccnz .LBB118_653
; %bb.652:
	global_load_dword v3, v[0:1], off
	s_waitcnt vmcnt(0)
	v_cvt_f16_f32_e32 v3, v3
.LBB118_653:
	s_mov_b64 s[0:1], 0
.LBB118_654:
	s_andn2_b64 vcc, exec, s[0:1]
	s_cbranch_vccnz .LBB118_656
; %bb.655:
	global_load_ushort v3, v[0:1], off
.LBB118_656:
	s_mov_b64 s[0:1], 0
.LBB118_657:
	s_andn2_b64 vcc, exec, s[0:1]
	s_cbranch_vccnz .LBB118_677
; %bb.658:
	s_cmp_lt_i32 s38, 2
	s_cbranch_scc1 .LBB118_662
; %bb.659:
	s_cmp_lt_i32 s38, 3
	s_cbranch_scc1 .LBB118_663
; %bb.660:
	s_cmp_gt_i32 s38, 3
	s_cbranch_scc0 .LBB118_664
; %bb.661:
	global_load_dwordx2 v[3:4], v[0:1], off
	s_mov_b64 s[0:1], 0
	s_waitcnt vmcnt(0)
	v_xor_b32_e32 v6, v3, v4
	v_ffbh_i32_e32 v5, v4
	v_ashrrev_i32_e32 v6, 31, v6
	v_add_u32_e32 v5, -1, v5
	v_add_u32_e32 v6, 32, v6
	v_min_u32_e32 v5, v5, v6
	v_lshlrev_b64 v[3:4], v5, v[3:4]
	v_min_u32_e32 v3, 1, v3
	v_or_b32_e32 v3, v4, v3
	v_cvt_f32_i32_e32 v3, v3
	v_sub_u32_e32 v4, 32, v5
	v_ldexp_f32 v3, v3, v4
	v_cvt_f16_f32_e32 v3, v3
	s_branch .LBB118_665
.LBB118_662:
	s_mov_b64 s[0:1], -1
                                        ; implicit-def: $vgpr3
	s_branch .LBB118_671
.LBB118_663:
	s_mov_b64 s[0:1], -1
                                        ; implicit-def: $vgpr3
	s_branch .LBB118_668
.LBB118_664:
	s_mov_b64 s[0:1], -1
                                        ; implicit-def: $vgpr3
.LBB118_665:
	s_andn2_b64 vcc, exec, s[0:1]
	s_cbranch_vccnz .LBB118_667
; %bb.666:
	global_load_dword v3, v[0:1], off
	s_waitcnt vmcnt(0)
	v_cvt_f32_i32_e32 v3, v3
	v_cvt_f16_f32_e32 v3, v3
.LBB118_667:
	s_mov_b64 s[0:1], 0
.LBB118_668:
	s_andn2_b64 vcc, exec, s[0:1]
	s_cbranch_vccnz .LBB118_670
; %bb.669:
	global_load_ushort v3, v[0:1], off
	s_waitcnt vmcnt(0)
	v_cvt_f16_i16_e32 v3, v3
.LBB118_670:
	s_mov_b64 s[0:1], 0
.LBB118_671:
	s_andn2_b64 vcc, exec, s[0:1]
	s_cbranch_vccnz .LBB118_677
; %bb.672:
	s_cmp_gt_i32 s38, 0
	s_cbranch_scc0 .LBB118_674
; %bb.673:
	global_load_sbyte v3, v[0:1], off
	s_mov_b64 s[0:1], 0
	s_waitcnt vmcnt(0)
	v_cvt_f16_i16_e32 v3, v3
	s_branch .LBB118_675
.LBB118_674:
	s_mov_b64 s[0:1], -1
                                        ; implicit-def: $vgpr3
.LBB118_675:
	s_andn2_b64 vcc, exec, s[0:1]
	s_cbranch_vccnz .LBB118_677
; %bb.676:
	global_load_ubyte v0, v[0:1], off
	s_waitcnt vmcnt(0)
	v_cvt_f16_u16_e32 v3, v0
.LBB118_677:
	s_mov_b64 s[0:1], -1
.LBB118_678:
	s_andn2_b64 vcc, exec, s[0:1]
	s_cbranch_vccnz .LBB118_683
; %bb.679:
	s_cmp_lt_i32 s14, 1
	s_mov_b64 s[0:1], 0
	s_cbranch_scc1 .LBB118_684
; %bb.680:
	s_cmp_gt_i32 s14, 1
	s_cbranch_scc0 .LBB118_685
; %bb.681:
	s_cmp_eq_u32 s14, 2
	s_cbranch_scc0 .LBB118_686
; %bb.682:
	s_waitcnt vmcnt(0)
	v_cmp_ge_f16_e64 s[34:35], s2, v3
	s_mov_b64 s[36:37], 0
	s_branch .LBB118_687
.LBB118_683:
	s_mov_b64 s[36:37], 0
                                        ; implicit-def: $vgpr2
	s_mov_b64 s[0:1], s[24:25]
	s_branch .LBB118_820
.LBB118_684:
	s_mov_b64 s[38:39], -1
                                        ; implicit-def: $sgpr34_sgpr35
	s_mov_b64 s[36:37], 0
	s_branch .LBB118_691
.LBB118_685:
	s_mov_b64 s[38:39], -1
	s_mov_b64 s[36:37], 0
                                        ; implicit-def: $sgpr34_sgpr35
	s_branch .LBB118_688
.LBB118_686:
	s_mov_b64 s[36:37], -1
                                        ; implicit-def: $sgpr34_sgpr35
.LBB118_687:
	s_mov_b64 s[38:39], 0
.LBB118_688:
	s_and_b64 vcc, exec, s[38:39]
	s_cbranch_vccz .LBB118_690
; %bb.689:
	s_waitcnt vmcnt(0)
	v_cmp_lt_f16_e32 vcc, s2, v3
	s_andn2_b64 s[34:35], s[34:35], exec
	s_and_b64 s[38:39], vcc, exec
	s_or_b64 s[34:35], s[34:35], s[38:39]
.LBB118_690:
	s_mov_b64 s[38:39], 0
.LBB118_691:
	s_and_b64 vcc, exec, s[38:39]
	s_cbranch_vccz .LBB118_702
; %bb.692:
	s_cmp_lg_u32 s14, 0
	s_mov_b64 s[0:1], -1
	s_cselect_b64 s[36:37], -1, 0
	s_andn2_b64 vcc, exec, s[36:37]
	s_cbranch_vccz .LBB118_703
.LBB118_693:
	s_andn2_b64 vcc, exec, s[0:1]
	s_cbranch_vccnz .LBB118_695
.LBB118_694:
	s_waitcnt vmcnt(0)
	v_cmp_le_f16_e32 vcc, s2, v3
	s_andn2_b64 s[0:1], s[34:35], exec
	s_and_b64 s[34:35], vcc, exec
	s_or_b64 s[34:35], s[0:1], s[34:35]
.LBB118_695:
	v_mul_lo_u32 v0, v2, s12
	v_mov_b32_e32 v1, s9
	s_and_b32 s42, s3, 0xff
	s_cmp_lt_i32 s42, 11
	s_waitcnt vmcnt(0)
	v_ashrrev_i32_e32 v3, 31, v0
	v_add_co_u32_e32 v0, vcc, s8, v0
	v_addc_co_u32_e32 v1, vcc, v1, v3, vcc
	s_cbranch_scc1 .LBB118_704
; %bb.696:
	s_and_b32 s43, 0xffff, s42
	s_cmp_gt_i32 s43, 25
	s_cbranch_scc0 .LBB118_705
; %bb.697:
	s_cmp_gt_i32 s43, 28
	s_cbranch_scc0 .LBB118_706
; %bb.698:
	s_cmp_gt_i32 s43, 43
	s_cbranch_scc0 .LBB118_707
; %bb.699:
	s_cmp_gt_i32 s43, 45
	s_cbranch_scc0 .LBB118_708
; %bb.700:
	s_mov_b64 s[38:39], 0
	s_mov_b64 s[0:1], -1
	s_cmp_eq_u32 s43, 46
	s_mov_b64 s[36:37], 0
	s_cbranch_scc0 .LBB118_709
; %bb.701:
	v_cndmask_b32_e64 v3, 0, 1.0, s[34:35]
	v_bfe_u32 v4, v3, 16, 1
	s_movk_i32 s0, 0x7fff
	v_add3_u32 v3, v3, v4, s0
	v_lshrrev_b32_e32 v3, 16, v3
	global_store_dword v[0:1], v3, off
	s_mov_b64 s[36:37], -1
	s_mov_b64 s[0:1], 0
	s_branch .LBB118_709
.LBB118_702:
	s_andn2_b64 vcc, exec, s[36:37]
	s_cbranch_vccnz .LBB118_693
.LBB118_703:
	s_waitcnt vmcnt(0)
	v_cmp_gt_f16_e32 vcc, s2, v3
	s_andn2_b64 s[34:35], s[34:35], exec
	s_and_b64 s[36:37], vcc, exec
	s_or_b64 s[34:35], s[34:35], s[36:37]
	s_cbranch_execz .LBB118_694
	s_branch .LBB118_695
.LBB118_704:
	s_mov_b64 s[38:39], -1
	s_mov_b64 s[36:37], 0
	s_mov_b64 s[0:1], s[24:25]
	s_branch .LBB118_778
.LBB118_705:
	s_mov_b64 s[38:39], -1
	s_mov_b64 s[36:37], 0
	s_mov_b64 s[0:1], s[24:25]
	s_branch .LBB118_736
.LBB118_706:
	s_mov_b64 s[38:39], -1
	s_mov_b64 s[36:37], 0
	s_mov_b64 s[0:1], s[24:25]
	s_branch .LBB118_719
.LBB118_707:
	s_mov_b64 s[38:39], -1
	s_mov_b64 s[36:37], 0
	s_mov_b64 s[0:1], s[24:25]
	s_branch .LBB118_715
.LBB118_708:
	s_mov_b64 s[38:39], -1
	s_mov_b64 s[36:37], 0
	s_mov_b64 s[0:1], s[24:25]
.LBB118_709:
	s_and_b64 vcc, exec, s[38:39]
	s_cbranch_vccz .LBB118_714
; %bb.710:
	s_cmp_eq_u32 s43, 44
	s_mov_b64 s[0:1], -1
	s_cbranch_scc0 .LBB118_714
; %bb.711:
	v_cndmask_b32_e64 v4, 0, 1.0, s[34:35]
	v_lshrrev_b32_e32 v3, 23, v4
	s_movk_i32 s0, 0xff
	v_cmp_ne_u32_e32 vcc, s0, v3
	v_mov_b32_e32 v5, 0xff
	s_and_saveexec_b64 s[36:37], vcc
; %bb.712:
	s_mov_b32 s0, 0x3fffff
	v_and_b32_e32 v5, 0x400000, v4
	v_and_or_b32 v4, v4, s0, v3
	v_cmp_ne_u32_e32 vcc, 0, v5
	v_cmp_ne_u32_e64 s[0:1], 0, v4
	s_and_b64 s[0:1], vcc, s[0:1]
	v_cndmask_b32_e64 v4, 0, 1, s[0:1]
	v_add_u32_e32 v5, v3, v4
; %bb.713:
	s_or_b64 exec, exec, s[36:37]
	s_mov_b64 s[36:37], -1
	s_mov_b64 s[0:1], 0
	global_store_byte v[0:1], v5, off
.LBB118_714:
	s_mov_b64 s[38:39], 0
.LBB118_715:
	s_and_b64 vcc, exec, s[38:39]
	s_cbranch_vccz .LBB118_718
; %bb.716:
	s_cmp_eq_u32 s43, 29
	s_mov_b64 s[0:1], -1
	s_cbranch_scc0 .LBB118_718
; %bb.717:
	s_mov_b32 s0, 0
	v_cndmask_b32_e64 v3, 0, 1, s[34:35]
	v_mov_b32_e32 v4, s0
	global_store_dwordx2 v[0:1], v[3:4], off
	s_mov_b64 s[36:37], -1
	s_mov_b64 s[0:1], 0
.LBB118_718:
	s_mov_b64 s[38:39], 0
.LBB118_719:
	s_and_b64 vcc, exec, s[38:39]
	s_cbranch_vccz .LBB118_735
; %bb.720:
	s_cmp_lt_i32 s43, 27
	s_mov_b64 s[36:37], -1
	s_cbranch_scc1 .LBB118_726
; %bb.721:
	s_cmp_gt_i32 s43, 27
	s_cbranch_scc0 .LBB118_723
; %bb.722:
	v_cndmask_b32_e64 v3, 0, 1, s[34:35]
	s_mov_b64 s[36:37], 0
	global_store_dword v[0:1], v3, off
.LBB118_723:
	s_andn2_b64 vcc, exec, s[36:37]
	s_cbranch_vccnz .LBB118_725
; %bb.724:
	v_cndmask_b32_e64 v3, 0, 1, s[34:35]
	global_store_short v[0:1], v3, off
.LBB118_725:
	s_mov_b64 s[36:37], 0
.LBB118_726:
	s_andn2_b64 vcc, exec, s[36:37]
	s_cbranch_vccnz .LBB118_734
; %bb.727:
	v_cndmask_b32_e64 v4, 0, 1.0, s[34:35]
	s_mov_b32 s36, 0x43800000
	v_cmp_gt_u32_e32 vcc, s36, v4
	v_mov_b32_e32 v5, 0x80
	s_and_saveexec_b64 s[36:37], vcc
	s_cbranch_execz .LBB118_733
; %bb.728:
	s_mov_b32 s38, 0x3bffffff
	v_cmp_lt_u32_e32 vcc, s38, v4
	s_mov_b64 s[38:39], 0
                                        ; implicit-def: $vgpr3
	s_and_saveexec_b64 s[40:41], vcc
	s_xor_b64 s[40:41], exec, s[40:41]
	s_cbranch_execz .LBB118_834
; %bb.729:
	v_bfe_u32 v3, v4, 20, 1
	s_mov_b32 s44, 0x487ffff
	v_add3_u32 v3, v4, v3, s44
	s_mov_b64 s[38:39], exec
	v_lshrrev_b32_e32 v3, 20, v3
                                        ; implicit-def: $vgpr4
	s_andn2_saveexec_b64 s[40:41], s[40:41]
	s_cbranch_execnz .LBB118_835
.LBB118_730:
	s_or_b64 exec, exec, s[40:41]
	v_mov_b32_e32 v5, 0
	s_and_saveexec_b64 s[40:41], s[38:39]
.LBB118_731:
	v_mov_b32_e32 v5, v3
.LBB118_732:
	s_or_b64 exec, exec, s[40:41]
.LBB118_733:
	s_or_b64 exec, exec, s[36:37]
	global_store_byte v[0:1], v5, off
.LBB118_734:
	s_mov_b64 s[36:37], -1
.LBB118_735:
	s_mov_b64 s[38:39], 0
.LBB118_736:
	s_and_b64 vcc, exec, s[38:39]
	s_cbranch_vccz .LBB118_777
; %bb.737:
	s_cmp_gt_i32 s43, 22
	s_mov_b64 s[38:39], -1
	s_cbranch_scc0 .LBB118_769
; %bb.738:
	s_cmp_lt_i32 s43, 24
	s_mov_b64 s[36:37], -1
	s_cbranch_scc1 .LBB118_758
; %bb.739:
	s_cmp_gt_i32 s43, 24
	s_cbranch_scc0 .LBB118_747
; %bb.740:
	v_cndmask_b32_e64 v4, 0, 1.0, s[34:35]
	s_mov_b32 s36, 0x47800000
	v_cmp_gt_u32_e32 vcc, s36, v4
	v_mov_b32_e32 v5, 0x80
	s_and_saveexec_b64 s[36:37], vcc
	s_cbranch_execz .LBB118_746
; %bb.741:
	s_mov_b32 s38, 0x37ffffff
	v_cmp_lt_u32_e32 vcc, s38, v4
	s_mov_b64 s[38:39], 0
                                        ; implicit-def: $vgpr3
	s_and_saveexec_b64 s[40:41], vcc
	s_xor_b64 s[40:41], exec, s[40:41]
	s_cbranch_execz .LBB118_837
; %bb.742:
	v_bfe_u32 v3, v4, 21, 1
	s_mov_b32 s44, 0x88fffff
	v_add3_u32 v3, v4, v3, s44
	s_mov_b64 s[38:39], exec
	v_lshrrev_b32_e32 v3, 21, v3
                                        ; implicit-def: $vgpr4
	s_andn2_saveexec_b64 s[40:41], s[40:41]
	s_cbranch_execnz .LBB118_838
.LBB118_743:
	s_or_b64 exec, exec, s[40:41]
	v_mov_b32_e32 v5, 0
	s_and_saveexec_b64 s[40:41], s[38:39]
.LBB118_744:
	v_mov_b32_e32 v5, v3
.LBB118_745:
	s_or_b64 exec, exec, s[40:41]
.LBB118_746:
	s_or_b64 exec, exec, s[36:37]
	s_mov_b64 s[36:37], 0
	global_store_byte v[0:1], v5, off
.LBB118_747:
	s_and_b64 vcc, exec, s[36:37]
	s_cbranch_vccz .LBB118_757
; %bb.748:
	v_cndmask_b32_e64 v3, 0, 1.0, s[34:35]
	s_mov_b32 s36, 0x43f00000
	v_cmp_gt_u32_e32 vcc, s36, v3
                                        ; implicit-def: $vgpr4
	s_and_saveexec_b64 s[36:37], vcc
	s_xor_b64 s[36:37], exec, s[36:37]
	s_cbranch_execz .LBB118_754
; %bb.749:
	s_mov_b32 s38, 0x3c7fffff
	v_cmp_lt_u32_e32 vcc, s38, v3
                                        ; implicit-def: $vgpr4
	s_and_saveexec_b64 s[38:39], vcc
	s_xor_b64 s[38:39], exec, s[38:39]
; %bb.750:
	v_bfe_u32 v4, v3, 20, 1
	s_mov_b32 s40, 0x407ffff
	v_add3_u32 v3, v3, v4, s40
	v_lshrrev_b32_e32 v4, 20, v3
	v_and_b32_e32 v3, 0xff00000, v3
	s_mov_b32 s40, 0x7f00000
	v_mov_b32_e32 v5, 0x7e
	v_cmp_ne_u32_e32 vcc, s40, v3
	v_cndmask_b32_e32 v4, v5, v4, vcc
                                        ; implicit-def: $vgpr3
; %bb.751:
	s_andn2_saveexec_b64 s[38:39], s[38:39]
; %bb.752:
	v_add_f32_e32 v4, 0x46800000, v3
; %bb.753:
	s_or_b64 exec, exec, s[38:39]
                                        ; implicit-def: $vgpr3
.LBB118_754:
	s_andn2_saveexec_b64 s[36:37], s[36:37]
; %bb.755:
	s_mov_b32 s38, 0x7f800000
	v_mov_b32_e32 v4, 0x7e
	v_mov_b32_e32 v5, 0x7f
	v_cmp_lt_u32_e32 vcc, s38, v3
	v_cndmask_b32_e32 v4, v4, v5, vcc
; %bb.756:
	s_or_b64 exec, exec, s[36:37]
	global_store_byte v[0:1], v4, off
.LBB118_757:
	s_mov_b64 s[36:37], 0
.LBB118_758:
	s_andn2_b64 vcc, exec, s[36:37]
	s_cbranch_vccnz .LBB118_768
; %bb.759:
	v_cndmask_b32_e64 v3, 0, 1.0, s[34:35]
	s_mov_b32 s36, 0x47800000
	v_cmp_gt_u32_e32 vcc, s36, v3
                                        ; implicit-def: $vgpr4
	s_and_saveexec_b64 s[36:37], vcc
	s_xor_b64 s[36:37], exec, s[36:37]
	s_cbranch_execz .LBB118_765
; %bb.760:
	s_mov_b32 s38, 0x387fffff
	v_cmp_lt_u32_e32 vcc, s38, v3
                                        ; implicit-def: $vgpr4
	s_and_saveexec_b64 s[38:39], vcc
	s_xor_b64 s[38:39], exec, s[38:39]
; %bb.761:
	v_bfe_u32 v4, v3, 21, 1
	s_mov_b32 s40, 0x80fffff
	v_add3_u32 v3, v3, v4, s40
	v_lshrrev_b32_e32 v4, 21, v3
                                        ; implicit-def: $vgpr3
; %bb.762:
	s_andn2_saveexec_b64 s[38:39], s[38:39]
; %bb.763:
	v_add_f32_e32 v4, 0x43000000, v3
; %bb.764:
	s_or_b64 exec, exec, s[38:39]
                                        ; implicit-def: $vgpr3
.LBB118_765:
	s_andn2_saveexec_b64 s[36:37], s[36:37]
; %bb.766:
	s_mov_b32 s38, 0x7f800000
	v_mov_b32_e32 v4, 0x7c
	v_mov_b32_e32 v5, 0x7f
	v_cmp_lt_u32_e32 vcc, s38, v3
	v_cndmask_b32_e32 v4, v4, v5, vcc
; %bb.767:
	s_or_b64 exec, exec, s[36:37]
	global_store_byte v[0:1], v4, off
.LBB118_768:
	s_mov_b64 s[38:39], 0
	s_mov_b64 s[36:37], -1
.LBB118_769:
	s_andn2_b64 vcc, exec, s[38:39]
	s_cbranch_vccnz .LBB118_777
; %bb.770:
	s_cmp_gt_i32 s43, 14
	s_mov_b64 s[38:39], -1
	s_cbranch_scc0 .LBB118_774
; %bb.771:
	s_cmp_eq_u32 s43, 15
	s_mov_b64 s[0:1], -1
	s_cbranch_scc0 .LBB118_773
; %bb.772:
	v_cndmask_b32_e64 v3, 0, 1.0, s[34:35]
	v_bfe_u32 v4, v3, 16, 1
	s_movk_i32 s0, 0x7fff
	v_add3_u32 v3, v3, v4, s0
	global_store_short_d16_hi v[0:1], v3, off
	s_mov_b64 s[36:37], -1
	s_mov_b64 s[0:1], 0
.LBB118_773:
	s_mov_b64 s[38:39], 0
.LBB118_774:
	s_and_b64 vcc, exec, s[38:39]
	s_cbranch_vccz .LBB118_777
; %bb.775:
	s_cmp_eq_u32 s43, 11
	s_mov_b64 s[0:1], -1
	s_cbranch_scc0 .LBB118_777
; %bb.776:
	v_cndmask_b32_e64 v3, 0, 1, s[34:35]
	s_mov_b64 s[36:37], -1
	s_mov_b64 s[0:1], 0
	global_store_byte v[0:1], v3, off
.LBB118_777:
	s_mov_b64 s[38:39], 0
.LBB118_778:
	s_and_b64 vcc, exec, s[38:39]
	s_cbranch_vccz .LBB118_817
; %bb.779:
	s_and_b32 s38, 0xffff, s42
	s_cmp_lt_i32 s38, 5
	s_mov_b64 s[36:37], -1
	s_cbranch_scc1 .LBB118_800
; %bb.780:
	s_cmp_lt_i32 s38, 8
	s_cbranch_scc1 .LBB118_790
; %bb.781:
	s_cmp_lt_i32 s38, 9
	s_cbranch_scc1 .LBB118_787
; %bb.782:
	s_cmp_gt_i32 s38, 9
	s_cbranch_scc0 .LBB118_784
; %bb.783:
	v_cndmask_b32_e64 v3, 0, 1, s[34:35]
	v_cvt_f64_u32_e32 v[3:4], v3
	v_mov_b32_e32 v5, 0
	v_mov_b32_e32 v6, v5
	s_mov_b64 s[36:37], 0
	global_store_dwordx4 v[0:1], v[3:6], off
.LBB118_784:
	s_andn2_b64 vcc, exec, s[36:37]
	s_cbranch_vccnz .LBB118_786
; %bb.785:
	v_cndmask_b32_e64 v3, 0, 1.0, s[34:35]
	v_mov_b32_e32 v4, 0
	global_store_dwordx2 v[0:1], v[3:4], off
.LBB118_786:
	s_mov_b64 s[36:37], 0
.LBB118_787:
	s_andn2_b64 vcc, exec, s[36:37]
	s_cbranch_vccnz .LBB118_789
; %bb.788:
	v_cndmask_b32_e64 v3, 0, 1.0, s[34:35]
	v_cvt_f16_f32_e32 v3, v3
	global_store_dword v[0:1], v3, off
.LBB118_789:
	s_mov_b64 s[36:37], 0
.LBB118_790:
	s_andn2_b64 vcc, exec, s[36:37]
	s_cbranch_vccnz .LBB118_799
; %bb.791:
	s_cmp_lt_i32 s38, 6
	s_mov_b64 s[36:37], -1
	s_cbranch_scc1 .LBB118_797
; %bb.792:
	s_cmp_gt_i32 s38, 6
	s_cbranch_scc0 .LBB118_794
; %bb.793:
	v_cndmask_b32_e64 v3, 0, 1, s[34:35]
	v_cvt_f64_u32_e32 v[3:4], v3
	s_mov_b64 s[36:37], 0
	global_store_dwordx2 v[0:1], v[3:4], off
.LBB118_794:
	s_andn2_b64 vcc, exec, s[36:37]
	s_cbranch_vccnz .LBB118_796
; %bb.795:
	v_cndmask_b32_e64 v3, 0, 1.0, s[34:35]
	global_store_dword v[0:1], v3, off
.LBB118_796:
	s_mov_b64 s[36:37], 0
.LBB118_797:
	s_andn2_b64 vcc, exec, s[36:37]
	s_cbranch_vccnz .LBB118_799
; %bb.798:
	v_cndmask_b32_e64 v3, 0, 1.0, s[34:35]
	v_cvt_f16_f32_e32 v3, v3
	global_store_short v[0:1], v3, off
.LBB118_799:
	s_mov_b64 s[36:37], 0
.LBB118_800:
	s_andn2_b64 vcc, exec, s[36:37]
	s_cbranch_vccnz .LBB118_816
; %bb.801:
	s_cmp_lt_i32 s38, 2
	s_mov_b64 s[36:37], -1
	s_cbranch_scc1 .LBB118_811
; %bb.802:
	s_cmp_lt_i32 s38, 3
	s_cbranch_scc1 .LBB118_808
; %bb.803:
	s_cmp_gt_i32 s38, 3
	s_cbranch_scc0 .LBB118_805
; %bb.804:
	s_mov_b32 s36, 0
	v_cndmask_b32_e64 v3, 0, 1, s[34:35]
	v_mov_b32_e32 v4, s36
	s_mov_b64 s[36:37], 0
	global_store_dwordx2 v[0:1], v[3:4], off
.LBB118_805:
	s_andn2_b64 vcc, exec, s[36:37]
	s_cbranch_vccnz .LBB118_807
; %bb.806:
	v_cndmask_b32_e64 v3, 0, 1, s[34:35]
	global_store_dword v[0:1], v3, off
.LBB118_807:
	s_mov_b64 s[36:37], 0
.LBB118_808:
	s_andn2_b64 vcc, exec, s[36:37]
	s_cbranch_vccnz .LBB118_810
; %bb.809:
	v_cndmask_b32_e64 v3, 0, 1, s[34:35]
	global_store_short v[0:1], v3, off
.LBB118_810:
	s_mov_b64 s[36:37], 0
.LBB118_811:
	s_andn2_b64 vcc, exec, s[36:37]
	s_cbranch_vccnz .LBB118_816
; %bb.812:
	s_mov_b64 s[36:37], -1
	s_cmp_gt_i32 s38, 0
	v_cndmask_b32_e64 v3, 0, 1, s[34:35]
	s_cbranch_scc0 .LBB118_814
; %bb.813:
	s_mov_b64 s[36:37], 0
	global_store_byte v[0:1], v3, off
.LBB118_814:
	s_andn2_b64 vcc, exec, s[36:37]
	s_cbranch_vccnz .LBB118_816
; %bb.815:
	global_store_byte v[0:1], v3, off
.LBB118_816:
	s_mov_b64 s[36:37], -1
.LBB118_817:
	s_andn2_b64 vcc, exec, s[36:37]
	s_cbranch_vccnz .LBB118_819
; %bb.818:
	v_add_u32_e32 v2, 0x80, v2
	s_mov_b64 s[36:37], -1
	s_branch .LBB118_820
.LBB118_819:
	s_mov_b64 s[36:37], 0
                                        ; implicit-def: $vgpr2
.LBB118_820:
	s_andn2_b64 s[34:35], s[24:25], exec
	s_and_b64 s[0:1], s[0:1], exec
	s_or_b64 s[34:35], s[34:35], s[0:1]
	s_andn2_b64 s[0:1], s[22:23], exec
	s_and_b64 s[30:31], s[30:31], exec
	s_or_b64 s[0:1], s[0:1], s[30:31]
	s_orn2_b64 s[38:39], s[36:37], exec
.LBB118_821:
	s_or_b64 exec, exec, s[28:29]
	s_mov_b64 s[36:37], 0
	s_mov_b64 s[30:31], 0
	;; [unrolled: 1-line block ×3, first 2 shown]
                                        ; implicit-def: $vgpr0_vgpr1
                                        ; implicit-def: $vgpr3
	s_and_saveexec_b64 s[28:29], s[38:39]
	s_cbranch_execz .LBB118_906
; %bb.822:
	v_cmp_gt_i32_e32 vcc, s33, v2
	s_mov_b64 s[38:39], 0
	s_mov_b64 s[42:43], s[0:1]
	;; [unrolled: 1-line block ×3, first 2 shown]
                                        ; implicit-def: $vgpr0_vgpr1
                                        ; implicit-def: $vgpr3
	s_and_saveexec_b64 s[30:31], vcc
	s_cbranch_execz .LBB118_905
; %bb.823:
	v_mul_lo_u32 v0, v2, s13
	v_mov_b32_e32 v1, s11
	s_and_b32 s33, 0xffff, s15
	s_cmp_lt_i32 s33, 11
	s_waitcnt vmcnt(0)
	v_ashrrev_i32_e32 v3, 31, v0
	v_add_co_u32_e32 v0, vcc, s10, v0
	v_addc_co_u32_e32 v1, vcc, v1, v3, vcc
	s_cbranch_scc1 .LBB118_830
; %bb.824:
	s_cmp_gt_i32 s33, 25
	s_cbranch_scc0 .LBB118_831
; %bb.825:
	s_cmp_gt_i32 s33, 28
	s_cbranch_scc0 .LBB118_832
	;; [unrolled: 3-line block ×4, first 2 shown]
; %bb.828:
	s_cmp_eq_u32 s33, 46
	s_mov_b64 s[42:43], 0
	s_cbranch_scc0 .LBB118_839
; %bb.829:
	global_load_dword v3, v[0:1], off
	s_mov_b64 s[40:41], -1
	s_waitcnt vmcnt(0)
	v_lshlrev_b32_e32 v3, 16, v3
	v_cvt_f16_f32_e32 v3, v3
	s_branch .LBB118_841
.LBB118_830:
	s_mov_b64 s[42:43], -1
                                        ; implicit-def: $vgpr3
	s_mov_b64 s[36:37], s[0:1]
	s_branch .LBB118_904
.LBB118_831:
	s_mov_b64 s[42:43], -1
	s_mov_b64 s[36:37], s[0:1]
                                        ; implicit-def: $vgpr3
	s_branch .LBB118_870
.LBB118_832:
	s_mov_b64 s[42:43], -1
	s_mov_b64 s[36:37], s[0:1]
                                        ; implicit-def: $vgpr3
	s_branch .LBB118_851
.LBB118_833:
	s_mov_b64 s[42:43], -1
	s_mov_b64 s[36:37], s[0:1]
                                        ; implicit-def: $vgpr3
	s_branch .LBB118_846
.LBB118_834:
	s_andn2_saveexec_b64 s[40:41], s[40:41]
	s_cbranch_execz .LBB118_730
.LBB118_835:
	v_add_f32_e32 v3, 0x46000000, v4
	v_and_b32_e32 v3, 0xff, v3
	v_cmp_ne_u32_e32 vcc, 0, v3
	s_andn2_b64 s[38:39], s[38:39], exec
	s_and_b64 s[44:45], vcc, exec
	s_or_b64 s[38:39], s[38:39], s[44:45]
	s_or_b64 exec, exec, s[40:41]
	v_mov_b32_e32 v5, 0
	s_and_saveexec_b64 s[40:41], s[38:39]
	s_cbranch_execnz .LBB118_731
	s_branch .LBB118_732
.LBB118_836:
	s_mov_b64 s[42:43], -1
	s_mov_b64 s[36:37], s[0:1]
	s_branch .LBB118_840
.LBB118_837:
	s_andn2_saveexec_b64 s[40:41], s[40:41]
	s_cbranch_execz .LBB118_743
.LBB118_838:
	v_add_f32_e32 v3, 0x42800000, v4
	v_and_b32_e32 v3, 0xff, v3
	v_cmp_ne_u32_e32 vcc, 0, v3
	s_andn2_b64 s[38:39], s[38:39], exec
	s_and_b64 s[44:45], vcc, exec
	s_or_b64 s[38:39], s[38:39], s[44:45]
	s_or_b64 exec, exec, s[40:41]
	v_mov_b32_e32 v5, 0
	s_and_saveexec_b64 s[40:41], s[38:39]
	s_cbranch_execnz .LBB118_744
	s_branch .LBB118_745
.LBB118_839:
	s_mov_b64 s[36:37], -1
.LBB118_840:
                                        ; implicit-def: $vgpr3
.LBB118_841:
	s_and_b64 vcc, exec, s[42:43]
	s_cbranch_vccz .LBB118_845
; %bb.842:
	s_cmp_eq_u32 s33, 44
	s_cbranch_scc0 .LBB118_844
; %bb.843:
	global_load_ubyte v3, v[0:1], off
	s_movk_i32 s40, 0xff
	v_mov_b32_e32 v5, 0x7e00
	s_mov_b64 s[36:37], 0
	s_waitcnt vmcnt(0)
	v_lshlrev_b32_e32 v4, 23, v3
	v_cvt_f16_f32_e32 v4, v4
	v_cmp_ne_u32_e32 vcc, s40, v3
	s_mov_b64 s[40:41], -1
	v_cndmask_b32_e32 v4, v5, v4, vcc
	v_cmp_ne_u32_e32 vcc, 0, v3
	v_cndmask_b32_e32 v3, 0, v4, vcc
	s_branch .LBB118_845
.LBB118_844:
	s_mov_b64 s[36:37], -1
                                        ; implicit-def: $vgpr3
.LBB118_845:
	s_mov_b64 s[42:43], 0
.LBB118_846:
	s_and_b64 vcc, exec, s[42:43]
	s_cbranch_vccz .LBB118_850
; %bb.847:
	s_cmp_eq_u32 s33, 29
	s_cbranch_scc0 .LBB118_849
; %bb.848:
	global_load_dwordx2 v[3:4], v[0:1], off
	s_mov_b64 s[36:37], 0
	s_mov_b64 s[40:41], -1
	s_mov_b64 s[42:43], 0
	s_waitcnt vmcnt(0)
	v_ffbh_u32_e32 v5, v4
	v_min_u32_e32 v5, 32, v5
	v_lshlrev_b64 v[3:4], v5, v[3:4]
	v_min_u32_e32 v3, 1, v3
	v_or_b32_e32 v3, v4, v3
	v_cvt_f32_u32_e32 v3, v3
	v_sub_u32_e32 v4, 32, v5
	v_ldexp_f32 v3, v3, v4
	v_cvt_f16_f32_e32 v3, v3
	s_branch .LBB118_851
.LBB118_849:
	s_mov_b64 s[36:37], -1
                                        ; implicit-def: $vgpr3
.LBB118_850:
	s_mov_b64 s[42:43], 0
.LBB118_851:
	s_and_b64 vcc, exec, s[42:43]
	s_cbranch_vccz .LBB118_869
; %bb.852:
	s_cmp_lt_i32 s33, 27
	s_cbranch_scc1 .LBB118_855
; %bb.853:
	s_cmp_gt_i32 s33, 27
	s_cbranch_scc0 .LBB118_856
; %bb.854:
	global_load_dword v3, v[0:1], off
	s_mov_b64 s[40:41], 0
	s_waitcnt vmcnt(0)
	v_cvt_f32_u32_e32 v3, v3
	v_cvt_f16_f32_e32 v3, v3
	s_branch .LBB118_857
.LBB118_855:
	s_mov_b64 s[40:41], -1
                                        ; implicit-def: $vgpr3
	s_branch .LBB118_860
.LBB118_856:
	s_mov_b64 s[40:41], -1
                                        ; implicit-def: $vgpr3
.LBB118_857:
	s_andn2_b64 vcc, exec, s[40:41]
	s_cbranch_vccnz .LBB118_859
; %bb.858:
	global_load_ushort v3, v[0:1], off
	s_waitcnt vmcnt(0)
	v_cvt_f16_u16_e32 v3, v3
.LBB118_859:
	s_mov_b64 s[40:41], 0
.LBB118_860:
	s_andn2_b64 vcc, exec, s[40:41]
	s_cbranch_vccnz .LBB118_868
; %bb.861:
	global_load_ubyte v4, v[0:1], off
	s_movk_i32 s40, 0x7f
	s_waitcnt vmcnt(0)
	v_cmp_lt_i16_e32 vcc, s40, v4
	s_mov_b64 s[40:41], 0
	s_and_saveexec_b64 s[42:43], vcc
	s_xor_b64 s[42:43], exec, s[42:43]
	s_cbranch_execz .LBB118_882
; %bb.862:
	s_movk_i32 s40, 0x80
	v_cmp_eq_u16_e32 vcc, s40, v4
	s_mov_b64 s[40:41], -1
	s_and_saveexec_b64 s[44:45], vcc
; %bb.863:
	s_xor_b64 s[40:41], exec, -1
; %bb.864:
	s_or_b64 exec, exec, s[44:45]
	s_and_b64 s[40:41], s[40:41], exec
	s_or_saveexec_b64 s[42:43], s[42:43]
	v_mov_b32_e32 v3, 0x7e00
	s_xor_b64 exec, exec, s[42:43]
	s_cbranch_execnz .LBB118_883
.LBB118_865:
	s_or_b64 exec, exec, s[42:43]
	s_and_saveexec_b64 s[42:43], s[40:41]
	s_cbranch_execz .LBB118_867
.LBB118_866:
	v_lshlrev_b32_e32 v3, 24, v4
	v_and_b32_e32 v4, 0xffff, v4
	v_and_b32_e32 v5, 7, v4
	v_ffbh_u32_e32 v7, v5
	v_min_u32_e32 v7, 32, v7
	v_subrev_u32_e32 v8, 28, v7
	v_bfe_u32 v6, v4, 3, 4
	v_lshlrev_b32_e32 v4, v8, v4
	v_sub_u32_e32 v7, 29, v7
	v_and_b32_e32 v4, 7, v4
	v_cmp_eq_u32_e32 vcc, 0, v6
	v_cndmask_b32_e32 v6, v6, v7, vcc
	v_cndmask_b32_e32 v4, v5, v4, vcc
	v_mov_b32_e32 v5, 0x3b800000
	v_lshlrev_b32_e32 v4, 20, v4
	v_and_b32_e32 v3, 0x80000000, v3
	v_lshl_add_u32 v5, v6, 23, v5
	v_or3_b32 v3, v3, v5, v4
	v_cvt_f16_f32_e32 v3, v3
.LBB118_867:
	s_or_b64 exec, exec, s[42:43]
.LBB118_868:
	s_mov_b64 s[40:41], -1
.LBB118_869:
	s_mov_b64 s[42:43], 0
.LBB118_870:
	s_and_b64 vcc, exec, s[42:43]
	s_cbranch_vccz .LBB118_903
; %bb.871:
	s_cmp_gt_i32 s33, 22
	s_cbranch_scc0 .LBB118_881
; %bb.872:
	s_cmp_lt_i32 s33, 24
	s_cbranch_scc1 .LBB118_884
; %bb.873:
	s_cmp_gt_i32 s33, 24
	s_cbranch_scc0 .LBB118_885
; %bb.874:
	global_load_ubyte v4, v[0:1], off
	s_movk_i32 s38, 0x7f
	s_waitcnt vmcnt(0)
	v_cmp_lt_i16_e32 vcc, s38, v4
	s_mov_b64 s[38:39], 0
	s_and_saveexec_b64 s[40:41], vcc
	s_xor_b64 s[40:41], exec, s[40:41]
	s_cbranch_execz .LBB118_897
; %bb.875:
	s_movk_i32 s38, 0x80
	v_cmp_eq_u16_e32 vcc, s38, v4
	s_mov_b64 s[38:39], -1
	s_and_saveexec_b64 s[42:43], vcc
; %bb.876:
	s_xor_b64 s[38:39], exec, -1
; %bb.877:
	s_or_b64 exec, exec, s[42:43]
	s_and_b64 s[38:39], s[38:39], exec
	s_or_saveexec_b64 s[40:41], s[40:41]
	v_mov_b32_e32 v3, 0x7e00
	s_xor_b64 exec, exec, s[40:41]
	s_cbranch_execnz .LBB118_898
.LBB118_878:
	s_or_b64 exec, exec, s[40:41]
	s_and_saveexec_b64 s[40:41], s[38:39]
	s_cbranch_execz .LBB118_880
.LBB118_879:
	v_lshlrev_b32_e32 v3, 24, v4
	v_and_b32_e32 v4, 0xffff, v4
	v_and_b32_e32 v5, 3, v4
	v_ffbh_u32_e32 v7, v5
	v_min_u32_e32 v7, 32, v7
	v_subrev_u32_e32 v8, 29, v7
	v_bfe_u32 v6, v4, 2, 5
	v_lshlrev_b32_e32 v4, v8, v4
	v_sub_u32_e32 v7, 30, v7
	v_and_b32_e32 v4, 3, v4
	v_cmp_eq_u32_e32 vcc, 0, v6
	v_cndmask_b32_e32 v6, v6, v7, vcc
	v_cndmask_b32_e32 v4, v5, v4, vcc
	v_mov_b32_e32 v5, 0x37800000
	v_lshlrev_b32_e32 v4, 21, v4
	v_and_b32_e32 v3, 0x80000000, v3
	v_lshl_add_u32 v5, v6, 23, v5
	v_or3_b32 v3, v3, v5, v4
	v_cvt_f16_f32_e32 v3, v3
.LBB118_880:
	s_or_b64 exec, exec, s[40:41]
	s_mov_b64 s[38:39], 0
	s_branch .LBB118_886
.LBB118_881:
	s_mov_b64 s[38:39], -1
                                        ; implicit-def: $vgpr3
	s_branch .LBB118_892
.LBB118_882:
	s_or_saveexec_b64 s[42:43], s[42:43]
	v_mov_b32_e32 v3, 0x7e00
	s_xor_b64 exec, exec, s[42:43]
	s_cbranch_execz .LBB118_865
.LBB118_883:
	v_cmp_ne_u16_e32 vcc, 0, v4
	s_andn2_b64 s[40:41], s[40:41], exec
	s_and_b64 s[44:45], vcc, exec
	s_or_b64 s[40:41], s[40:41], s[44:45]
	v_mov_b32_e32 v3, v4
	s_or_b64 exec, exec, s[42:43]
	s_and_saveexec_b64 s[42:43], s[40:41]
	s_cbranch_execnz .LBB118_866
	s_branch .LBB118_867
.LBB118_884:
	s_mov_b64 s[38:39], -1
                                        ; implicit-def: $vgpr3
	s_branch .LBB118_889
.LBB118_885:
	s_mov_b64 s[38:39], -1
                                        ; implicit-def: $vgpr3
.LBB118_886:
	s_and_b64 vcc, exec, s[38:39]
	s_cbranch_vccz .LBB118_888
; %bb.887:
	global_load_ubyte v3, v[0:1], off
	s_mov_b32 s38, 0x7f800000
	s_waitcnt vmcnt(0)
	v_lshlrev_b32_e32 v3, 24, v3
	v_and_b32_e32 v4, 0x7f000000, v3
	v_ffbh_u32_e32 v5, v4
	v_min_u32_e32 v5, 32, v5
	v_sub_u32_e64 v5, v5, 4 clamp
	v_lshlrev_b32_e32 v7, v5, v4
	v_lshlrev_b32_e32 v5, 23, v5
	v_lshrrev_b32_e32 v7, 4, v7
	v_add_u32_e32 v6, 0x1000000, v4
	v_sub_u32_e32 v5, v7, v5
	v_ashrrev_i32_e32 v6, 8, v6
	v_add_u32_e32 v5, 0x3c000000, v5
	v_and_or_b32 v5, v6, s38, v5
	v_cmp_ne_u32_e32 vcc, 0, v4
	v_cndmask_b32_e32 v4, 0, v5, vcc
	s_brev_b32 s38, 1
	v_and_or_b32 v3, v3, s38, v4
	v_cvt_f16_f32_e32 v3, v3
.LBB118_888:
	s_mov_b64 s[38:39], 0
.LBB118_889:
	s_andn2_b64 vcc, exec, s[38:39]
	s_cbranch_vccnz .LBB118_891
; %bb.890:
	global_load_ubyte v3, v[0:1], off
	s_movk_i32 s38, 0x7f00
	s_brev_b32 s39, 16
	s_waitcnt vmcnt(0)
	v_lshlrev_b16_e32 v4, 8, v3
	v_lshlrev_b32_e32 v3, 25, v3
	v_lshrrev_b32_e32 v5, 4, v3
	v_and_or_b32 v6, v4, s38, 0.5
	v_or_b32_e32 v5, 0x70000000, v5
	v_add_f32_e32 v6, -0.5, v6
	v_mul_f32_e32 v5, 0x7800000, v5
	v_cmp_gt_u32_e32 vcc, s39, v3
	v_bfe_i32 v4, v4, 0, 16
	v_cndmask_b32_e32 v3, v5, v6, vcc
	s_brev_b32 s38, 1
	v_and_or_b32 v3, v4, s38, v3
	v_cvt_f16_f32_e32 v3, v3
.LBB118_891:
	s_mov_b64 s[38:39], 0
	s_mov_b64 s[40:41], -1
.LBB118_892:
	s_andn2_b64 vcc, exec, s[38:39]
	s_mov_b64 s[38:39], 0
	s_cbranch_vccnz .LBB118_903
; %bb.893:
	s_cmp_gt_i32 s33, 14
	s_cbranch_scc0 .LBB118_896
; %bb.894:
	s_cmp_eq_u32 s33, 15
	s_cbranch_scc0 .LBB118_899
; %bb.895:
	global_load_ushort v3, v[0:1], off
	s_mov_b64 s[36:37], 0
	s_mov_b64 s[40:41], -1
	s_waitcnt vmcnt(0)
	v_lshlrev_b32_e32 v3, 16, v3
	v_cvt_f16_f32_e32 v3, v3
	s_branch .LBB118_900
.LBB118_896:
	s_mov_b64 s[42:43], -1
                                        ; implicit-def: $vgpr3
	s_branch .LBB118_901
.LBB118_897:
	s_or_saveexec_b64 s[40:41], s[40:41]
	v_mov_b32_e32 v3, 0x7e00
	s_xor_b64 exec, exec, s[40:41]
	s_cbranch_execz .LBB118_878
.LBB118_898:
	v_cmp_ne_u16_e32 vcc, 0, v4
	s_andn2_b64 s[38:39], s[38:39], exec
	s_and_b64 s[42:43], vcc, exec
	s_or_b64 s[38:39], s[38:39], s[42:43]
	v_mov_b32_e32 v3, v4
	s_or_b64 exec, exec, s[40:41]
	s_and_saveexec_b64 s[40:41], s[38:39]
	s_cbranch_execnz .LBB118_879
	s_branch .LBB118_880
.LBB118_899:
	s_mov_b64 s[36:37], -1
                                        ; implicit-def: $vgpr3
.LBB118_900:
	s_mov_b64 s[42:43], 0
.LBB118_901:
	s_and_b64 vcc, exec, s[42:43]
	s_cbranch_vccz .LBB118_903
; %bb.902:
	s_cmp_lg_u32 s33, 11
	s_cselect_b64 s[42:43], -1, 0
	s_andn2_b64 s[36:37], s[36:37], exec
	s_and_b64 s[42:43], s[42:43], exec
	s_mov_b64 s[38:39], -1
	s_or_b64 s[36:37], s[36:37], s[42:43]
.LBB118_903:
	s_mov_b64 s[42:43], 0
.LBB118_904:
	s_and_b64 s[44:45], s[42:43], exec
	s_andn2_b64 s[42:43], s[0:1], exec
	s_and_b64 s[36:37], s[36:37], exec
	s_and_b64 s[40:41], s[40:41], exec
	;; [unrolled: 1-line block ×3, first 2 shown]
	s_or_b64 s[42:43], s[42:43], s[36:37]
.LBB118_905:
	s_or_b64 exec, exec, s[30:31]
	s_and_b64 s[36:37], s[38:39], exec
	s_andn2_b64 s[0:1], s[0:1], exec
	s_and_b64 s[38:39], s[42:43], exec
	s_and_b64 s[40:41], s[40:41], exec
	s_and_b64 s[30:31], s[44:45], exec
	s_or_b64 s[0:1], s[0:1], s[38:39]
.LBB118_906:
	s_or_b64 exec, exec, s[28:29]
	s_andn2_b64 s[24:25], s[24:25], exec
	s_and_b64 s[28:29], s[34:35], exec
	s_andn2_b64 s[22:23], s[22:23], exec
	s_and_b64 s[0:1], s[0:1], exec
	s_or_b64 s[24:25], s[24:25], s[28:29]
	s_and_b64 s[34:35], s[40:41], exec
	s_and_b64 s[30:31], s[30:31], exec
	;; [unrolled: 1-line block ×3, first 2 shown]
	s_or_b64 s[22:23], s[22:23], s[0:1]
.LBB118_907:
	s_or_b64 exec, exec, s[26:27]
	s_andn2_b64 s[0:1], s[16:17], exec
	s_and_b64 s[16:17], s[24:25], exec
	s_andn2_b64 s[18:19], s[18:19], exec
	s_and_b64 s[22:23], s[22:23], exec
	s_or_b64 s[16:17], s[0:1], s[16:17]
	s_and_b64 s[0:1], s[34:35], exec
	s_and_b64 s[26:27], s[30:31], exec
	;; [unrolled: 1-line block ×3, first 2 shown]
	s_or_b64 s[18:19], s[18:19], s[22:23]
	s_or_b64 exec, exec, s[20:21]
	s_mov_b64 s[20:21], 0
	s_and_saveexec_b64 s[22:23], s[18:19]
	s_cbranch_execz .LBB118_278
.LBB118_908:
	s_mov_b64 s[20:21], exec
	s_andn2_b64 s[24:25], s[24:25], exec
	s_trap 2
	s_or_b64 exec, exec, s[22:23]
	s_and_saveexec_b64 s[18:19], s[24:25]
	s_xor_b64 s[18:19], exec, s[18:19]
	s_cbranch_execnz .LBB118_279
.LBB118_909:
	s_or_b64 exec, exec, s[18:19]
	s_and_saveexec_b64 s[18:19], s[26:27]
	s_cbranch_execz .LBB118_955
.LBB118_910:
	s_sext_i32_i16 s22, s15
	s_cmp_lt_i32 s22, 5
	s_cbranch_scc1 .LBB118_915
; %bb.911:
	s_cmp_lt_i32 s22, 8
	s_cbranch_scc1 .LBB118_916
; %bb.912:
	s_cmp_lt_i32 s22, 9
	s_cbranch_scc1 .LBB118_917
; %bb.913:
	s_cmp_gt_i32 s22, 9
	s_cbranch_scc0 .LBB118_918
; %bb.914:
	global_load_dwordx2 v[3:4], v[0:1], off
	s_movk_i32 s22, 0x1ff
	s_movk_i32 s23, 0xffe
	v_mov_b32_e32 v5, 0x7c00
	v_mov_b32_e32 v6, 0x7e00
	s_movk_i32 s24, 0x40f
	s_mov_b32 s25, 0x8000
	s_waitcnt vmcnt(0)
	v_and_or_b32 v3, v4, s22, v3
	v_cmp_ne_u32_e32 vcc, 0, v3
	v_lshrrev_b32_e32 v7, 8, v4
	v_bfe_u32 v8, v4, 20, 11
	v_cndmask_b32_e64 v3, 0, 1, vcc
	v_sub_u32_e32 v9, 0x3f1, v8
	v_and_or_b32 v3, v7, s23, v3
	v_add_u32_e32 v8, 0xfffffc10, v8
	v_med3_i32 v7, v9, 0, 13
	v_or_b32_e32 v9, 0x1000, v3
	v_cmp_ne_u32_e32 vcc, 0, v3
	v_lshl_or_b32 v10, v8, 12, v3
	v_cndmask_b32_e32 v3, v5, v6, vcc
	v_lshrrev_b32_e32 v6, v7, v9
	v_lshlrev_b32_e32 v7, v7, v6
	v_cmp_ne_u32_e32 vcc, v7, v9
	v_cndmask_b32_e64 v7, 0, 1, vcc
	v_or_b32_e32 v6, v6, v7
	v_cmp_gt_i32_e32 vcc, 1, v8
	v_cndmask_b32_e32 v6, v10, v6, vcc
	v_and_b32_e32 v7, 7, v6
	v_cmp_lt_i32_e32 vcc, 5, v7
	v_cndmask_b32_e64 v9, 0, 1, vcc
	v_cmp_eq_u32_e32 vcc, 3, v7
	v_cndmask_b32_e64 v7, 0, 1, vcc
	v_lshrrev_b32_e32 v6, 2, v6
	v_or_b32_e32 v7, v7, v9
	v_add_u32_e32 v6, v6, v7
	v_cmp_gt_i32_e32 vcc, 31, v8
	v_cndmask_b32_e32 v5, v5, v6, vcc
	v_cmp_eq_u32_e32 vcc, s24, v8
	v_lshrrev_b32_e32 v4, 16, v4
	v_cndmask_b32_e32 v3, v5, v3, vcc
	v_and_or_b32 v3, v4, s25, v3
	s_mov_b64 s[22:23], 0
	s_branch .LBB118_919
.LBB118_915:
                                        ; implicit-def: $vgpr3
	s_branch .LBB118_936
.LBB118_916:
                                        ; implicit-def: $vgpr3
	s_branch .LBB118_925
.LBB118_917:
	s_mov_b64 s[22:23], -1
                                        ; implicit-def: $vgpr3
	s_branch .LBB118_922
.LBB118_918:
	s_mov_b64 s[22:23], -1
                                        ; implicit-def: $vgpr3
.LBB118_919:
	s_andn2_b64 vcc, exec, s[22:23]
	s_cbranch_vccnz .LBB118_921
; %bb.920:
	global_load_dword v3, v[0:1], off
	s_waitcnt vmcnt(0)
	v_cvt_f16_f32_e32 v3, v3
.LBB118_921:
	s_mov_b64 s[22:23], 0
.LBB118_922:
	s_andn2_b64 vcc, exec, s[22:23]
	s_cbranch_vccnz .LBB118_924
; %bb.923:
	global_load_dword v3, v[0:1], off
.LBB118_924:
	s_cbranch_execnz .LBB118_935
.LBB118_925:
	s_sext_i32_i16 s22, s15
	s_cmp_lt_i32 s22, 6
	s_cbranch_scc1 .LBB118_928
; %bb.926:
	s_cmp_gt_i32 s22, 6
	s_cbranch_scc0 .LBB118_929
; %bb.927:
	global_load_dwordx2 v[3:4], v[0:1], off
	s_movk_i32 s22, 0x1ff
	s_movk_i32 s23, 0xffe
	v_mov_b32_e32 v5, 0x7c00
	v_mov_b32_e32 v6, 0x7e00
	s_movk_i32 s24, 0x40f
	s_mov_b32 s25, 0x8000
	s_waitcnt vmcnt(0)
	v_and_or_b32 v3, v4, s22, v3
	v_cmp_ne_u32_e32 vcc, 0, v3
	v_lshrrev_b32_e32 v7, 8, v4
	v_bfe_u32 v8, v4, 20, 11
	v_cndmask_b32_e64 v3, 0, 1, vcc
	v_sub_u32_e32 v9, 0x3f1, v8
	v_and_or_b32 v3, v7, s23, v3
	v_add_u32_e32 v8, 0xfffffc10, v8
	v_med3_i32 v7, v9, 0, 13
	v_or_b32_e32 v9, 0x1000, v3
	v_cmp_ne_u32_e32 vcc, 0, v3
	v_lshl_or_b32 v10, v8, 12, v3
	v_cndmask_b32_e32 v3, v5, v6, vcc
	v_lshrrev_b32_e32 v6, v7, v9
	v_lshlrev_b32_e32 v7, v7, v6
	v_cmp_ne_u32_e32 vcc, v7, v9
	v_cndmask_b32_e64 v7, 0, 1, vcc
	v_or_b32_e32 v6, v6, v7
	v_cmp_gt_i32_e32 vcc, 1, v8
	v_cndmask_b32_e32 v6, v10, v6, vcc
	v_and_b32_e32 v7, 7, v6
	v_cmp_lt_i32_e32 vcc, 5, v7
	v_cndmask_b32_e64 v9, 0, 1, vcc
	v_cmp_eq_u32_e32 vcc, 3, v7
	v_cndmask_b32_e64 v7, 0, 1, vcc
	v_lshrrev_b32_e32 v6, 2, v6
	v_or_b32_e32 v7, v7, v9
	v_add_u32_e32 v6, v6, v7
	v_cmp_gt_i32_e32 vcc, 31, v8
	v_cndmask_b32_e32 v5, v5, v6, vcc
	v_cmp_eq_u32_e32 vcc, s24, v8
	v_lshrrev_b32_e32 v4, 16, v4
	v_cndmask_b32_e32 v3, v5, v3, vcc
	v_and_or_b32 v3, v4, s25, v3
	s_mov_b64 s[22:23], 0
	s_branch .LBB118_930
.LBB118_928:
	s_mov_b64 s[22:23], -1
                                        ; implicit-def: $vgpr3
	s_branch .LBB118_933
.LBB118_929:
	s_mov_b64 s[22:23], -1
                                        ; implicit-def: $vgpr3
.LBB118_930:
	s_andn2_b64 vcc, exec, s[22:23]
	s_cbranch_vccnz .LBB118_932
; %bb.931:
	global_load_dword v3, v[0:1], off
	s_waitcnt vmcnt(0)
	v_cvt_f16_f32_e32 v3, v3
.LBB118_932:
	s_mov_b64 s[22:23], 0
.LBB118_933:
	s_andn2_b64 vcc, exec, s[22:23]
	s_cbranch_vccnz .LBB118_935
; %bb.934:
	global_load_ushort v3, v[0:1], off
.LBB118_935:
	s_cbranch_execnz .LBB118_954
.LBB118_936:
	s_sext_i32_i16 s22, s15
	s_cmp_lt_i32 s22, 2
	s_cbranch_scc1 .LBB118_940
; %bb.937:
	s_cmp_lt_i32 s22, 3
	s_cbranch_scc1 .LBB118_941
; %bb.938:
	s_cmp_gt_i32 s22, 3
	s_cbranch_scc0 .LBB118_942
; %bb.939:
	global_load_dwordx2 v[3:4], v[0:1], off
	s_mov_b64 s[22:23], 0
	s_waitcnt vmcnt(0)
	v_xor_b32_e32 v6, v3, v4
	v_ffbh_i32_e32 v5, v4
	v_ashrrev_i32_e32 v6, 31, v6
	v_add_u32_e32 v5, -1, v5
	v_add_u32_e32 v6, 32, v6
	v_min_u32_e32 v5, v5, v6
	v_lshlrev_b64 v[3:4], v5, v[3:4]
	v_min_u32_e32 v3, 1, v3
	v_or_b32_e32 v3, v4, v3
	v_cvt_f32_i32_e32 v3, v3
	v_sub_u32_e32 v4, 32, v5
	v_ldexp_f32 v3, v3, v4
	v_cvt_f16_f32_e32 v3, v3
	s_branch .LBB118_943
.LBB118_940:
                                        ; implicit-def: $vgpr3
	s_branch .LBB118_949
.LBB118_941:
	s_mov_b64 s[22:23], -1
                                        ; implicit-def: $vgpr3
	s_branch .LBB118_946
.LBB118_942:
	s_mov_b64 s[22:23], -1
                                        ; implicit-def: $vgpr3
.LBB118_943:
	s_andn2_b64 vcc, exec, s[22:23]
	s_cbranch_vccnz .LBB118_945
; %bb.944:
	global_load_dword v3, v[0:1], off
	s_waitcnt vmcnt(0)
	v_cvt_f32_i32_e32 v3, v3
	v_cvt_f16_f32_e32 v3, v3
.LBB118_945:
	s_mov_b64 s[22:23], 0
.LBB118_946:
	s_andn2_b64 vcc, exec, s[22:23]
	s_cbranch_vccnz .LBB118_948
; %bb.947:
	global_load_ushort v3, v[0:1], off
	s_waitcnt vmcnt(0)
	v_cvt_f16_i16_e32 v3, v3
.LBB118_948:
	s_cbranch_execnz .LBB118_954
.LBB118_949:
	s_sext_i32_i16 s22, s15
	s_cmp_gt_i32 s22, 0
	s_cbranch_scc0 .LBB118_951
; %bb.950:
	global_load_sbyte v3, v[0:1], off
	s_mov_b64 s[22:23], 0
	s_waitcnt vmcnt(0)
	v_cvt_f16_i16_e32 v3, v3
	s_branch .LBB118_952
.LBB118_951:
	s_mov_b64 s[22:23], -1
                                        ; implicit-def: $vgpr3
.LBB118_952:
	s_andn2_b64 vcc, exec, s[22:23]
	s_cbranch_vccnz .LBB118_954
; %bb.953:
	global_load_ubyte v0, v[0:1], off
	s_waitcnt vmcnt(0)
	v_cvt_f16_u16_e32 v3, v0
.LBB118_954:
	s_or_b64 s[0:1], s[0:1], exec
.LBB118_955:
	s_or_b64 exec, exec, s[18:19]
	s_mov_b64 s[26:27], 0
	s_mov_b64 s[24:25], 0
                                        ; implicit-def: $sgpr18_sgpr19
                                        ; implicit-def: $sgpr33
                                        ; implicit-def: $vgpr0_vgpr1
	s_and_saveexec_b64 s[22:23], s[0:1]
	s_cbranch_execz .LBB118_960
; %bb.956:
	s_cmp_lt_i32 s14, 1
	s_mov_b64 s[0:1], 0
	s_cbranch_scc1 .LBB118_963
; %bb.957:
	s_cmp_gt_i32 s14, 1
	s_cbranch_scc0 .LBB118_964
; %bb.958:
	s_cmp_eq_u32 s14, 2
	s_cbranch_scc0 .LBB118_965
; %bb.959:
	s_waitcnt vmcnt(0)
	v_cmp_ge_f16_e64 s[18:19], s2, v3
	s_branch .LBB118_967
.LBB118_960:
	s_or_b64 exec, exec, s[22:23]
	s_and_saveexec_b64 s[0:1], s[16:17]
	s_cbranch_execnz .LBB118_1052
.LBB118_961:
	s_or_b64 exec, exec, s[0:1]
	s_and_saveexec_b64 s[0:1], s[26:27]
	s_xor_b64 s[0:1], exec, s[0:1]
	s_cbranch_execz .LBB118_1053
.LBB118_962:
	v_cndmask_b32_e64 v2, 0, 1, s[18:19]
	global_store_byte v[0:1], v2, off
	s_or_b64 exec, exec, s[0:1]
	s_and_saveexec_b64 s[0:1], s[24:25]
	s_xor_b64 s[0:1], exec, s[0:1]
	s_cbranch_execz .LBB118_1091
	s_branch .LBB118_1054
.LBB118_963:
                                        ; implicit-def: $sgpr18_sgpr19
	s_cbranch_execnz .LBB118_970
	s_branch .LBB118_971
.LBB118_964:
	s_mov_b64 s[26:27], -1
	s_branch .LBB118_966
.LBB118_965:
	s_mov_b64 s[24:25], -1
.LBB118_966:
                                        ; implicit-def: $sgpr18_sgpr19
.LBB118_967:
	s_and_b64 vcc, exec, s[26:27]
	s_cbranch_vccz .LBB118_969
; %bb.968:
	s_waitcnt vmcnt(0)
	v_cmp_lt_f16_e32 vcc, s2, v3
	s_andn2_b64 s[18:19], s[18:19], exec
	s_and_b64 s[26:27], vcc, exec
	s_or_b64 s[18:19], s[18:19], s[26:27]
.LBB118_969:
	s_branch .LBB118_971
.LBB118_970:
	s_cmp_lg_u32 s14, 0
	s_mov_b64 s[0:1], -1
	s_cselect_b64 s[24:25], -1, 0
.LBB118_971:
	s_andn2_b64 vcc, exec, s[24:25]
	s_cbranch_vccnz .LBB118_973
; %bb.972:
	s_waitcnt vmcnt(0)
	v_cmp_gt_f16_e32 vcc, s2, v3
	s_andn2_b64 s[18:19], s[18:19], exec
	s_and_b64 s[24:25], vcc, exec
	s_or_b64 s[18:19], s[18:19], s[24:25]
	s_cbranch_execz .LBB118_974
	s_branch .LBB118_975
.LBB118_973:
	s_andn2_b64 vcc, exec, s[0:1]
	s_cbranch_vccnz .LBB118_975
.LBB118_974:
	s_waitcnt vmcnt(0)
	v_cmp_le_f16_e32 vcc, s2, v3
	s_andn2_b64 s[0:1], s[18:19], exec
	s_and_b64 s[18:19], vcc, exec
	s_or_b64 s[18:19], s[0:1], s[18:19]
.LBB118_975:
	v_mul_lo_u32 v0, v2, s12
	v_mov_b32_e32 v1, s9
	s_and_b32 s33, s3, 0xff
	s_cmp_lt_i32 s33, 11
	v_ashrrev_i32_e32 v2, 31, v0
	v_add_co_u32_e32 v0, vcc, s8, v0
	v_addc_co_u32_e32 v1, vcc, v1, v2, vcc
	s_cbranch_scc1 .LBB118_1049
; %bb.976:
	s_and_b32 s34, 0xffff, s33
	s_mov_b64 s[26:27], -1
	s_cmp_gt_i32 s34, 25
	s_mov_b64 s[0:1], s[16:17]
	s_cbranch_scc0 .LBB118_1009
; %bb.977:
	s_mov_b64 s[24:25], -1
	s_cmp_gt_i32 s34, 28
	s_mov_b64 s[0:1], s[16:17]
	s_cbranch_scc0 .LBB118_993
; %bb.978:
	s_cmp_gt_i32 s34, 43
	s_mov_b64 s[0:1], s[16:17]
	s_cbranch_scc0 .LBB118_989
; %bb.979:
	;; [unrolled: 4-line block ×3, first 2 shown]
	s_cmp_eq_u32 s34, 46
	s_mov_b64 s[0:1], -1
	s_cbranch_scc0 .LBB118_982
; %bb.981:
	v_cndmask_b32_e64 v2, 0, 1.0, s[18:19]
	s_waitcnt vmcnt(0)
	v_bfe_u32 v3, v2, 16, 1
	s_movk_i32 s0, 0x7fff
	v_add3_u32 v2, v2, v3, s0
	v_lshrrev_b32_e32 v2, 16, v2
	global_store_dword v[0:1], v2, off
	s_mov_b64 s[0:1], 0
.LBB118_982:
	s_mov_b64 s[24:25], 0
.LBB118_983:
	s_and_b64 vcc, exec, s[24:25]
	s_cbranch_vccz .LBB118_988
; %bb.984:
	s_cmp_eq_u32 s34, 44
	s_mov_b64 s[0:1], -1
	s_cbranch_scc0 .LBB118_988
; %bb.985:
	s_waitcnt vmcnt(0)
	v_cndmask_b32_e64 v3, 0, 1.0, s[18:19]
	v_lshrrev_b32_e32 v2, 23, v3
	s_movk_i32 s0, 0xff
	v_cmp_ne_u32_e32 vcc, s0, v2
	v_mov_b32_e32 v4, 0xff
	s_and_saveexec_b64 s[24:25], vcc
; %bb.986:
	s_mov_b32 s0, 0x3fffff
	v_and_b32_e32 v4, 0x400000, v3
	v_and_or_b32 v3, v3, s0, v2
	v_cmp_ne_u32_e32 vcc, 0, v4
	v_cmp_ne_u32_e64 s[0:1], 0, v3
	s_and_b64 s[0:1], vcc, s[0:1]
	v_cndmask_b32_e64 v3, 0, 1, s[0:1]
	v_add_u32_e32 v4, v2, v3
; %bb.987:
	s_or_b64 exec, exec, s[24:25]
	s_mov_b64 s[0:1], 0
	global_store_byte v[0:1], v4, off
.LBB118_988:
	s_mov_b64 s[24:25], 0
.LBB118_989:
	s_and_b64 vcc, exec, s[24:25]
	s_cbranch_vccz .LBB118_992
; %bb.990:
	s_cmp_eq_u32 s34, 29
	s_mov_b64 s[0:1], -1
	s_cbranch_scc0 .LBB118_992
; %bb.991:
	s_mov_b32 s0, 0
	v_cndmask_b32_e64 v2, 0, 1, s[18:19]
	s_waitcnt vmcnt(0)
	v_mov_b32_e32 v3, s0
	global_store_dwordx2 v[0:1], v[2:3], off
	s_mov_b64 s[0:1], 0
.LBB118_992:
	s_mov_b64 s[24:25], 0
.LBB118_993:
	s_and_b64 vcc, exec, s[24:25]
	s_cbranch_vccz .LBB118_1008
; %bb.994:
	s_cmp_lt_i32 s34, 27
	s_mov_b64 s[24:25], -1
	s_cbranch_scc1 .LBB118_1000
; %bb.995:
	s_cmp_gt_i32 s34, 27
	v_cndmask_b32_e64 v2, 0, 1, s[18:19]
	s_cbranch_scc0 .LBB118_997
; %bb.996:
	s_mov_b64 s[24:25], 0
	global_store_dword v[0:1], v2, off
.LBB118_997:
	s_andn2_b64 vcc, exec, s[24:25]
	s_cbranch_vccnz .LBB118_999
; %bb.998:
	global_store_short v[0:1], v2, off
.LBB118_999:
	s_mov_b64 s[24:25], 0
.LBB118_1000:
	s_andn2_b64 vcc, exec, s[24:25]
	s_cbranch_vccnz .LBB118_1008
; %bb.1001:
	s_waitcnt vmcnt(0)
	v_cndmask_b32_e64 v3, 0, 1.0, s[18:19]
	s_mov_b32 s24, 0x43800000
	v_cmp_gt_u32_e32 vcc, s24, v3
	v_mov_b32_e32 v4, 0x80
	s_and_saveexec_b64 s[24:25], vcc
	s_cbranch_execz .LBB118_1007
; %bb.1002:
	s_mov_b32 s26, 0x3bffffff
	v_cmp_lt_u32_e32 vcc, s26, v3
	s_mov_b64 s[26:27], 0
                                        ; implicit-def: $vgpr2
	s_and_saveexec_b64 s[28:29], vcc
	s_xor_b64 s[28:29], exec, s[28:29]
	s_cbranch_execz .LBB118_1106
; %bb.1003:
	v_bfe_u32 v2, v3, 20, 1
	s_mov_b32 s30, 0x487ffff
	v_add3_u32 v2, v3, v2, s30
	s_mov_b64 s[26:27], exec
	v_lshrrev_b32_e32 v2, 20, v2
                                        ; implicit-def: $vgpr3
	s_andn2_saveexec_b64 s[28:29], s[28:29]
	s_cbranch_execnz .LBB118_1107
.LBB118_1004:
	s_or_b64 exec, exec, s[28:29]
	v_mov_b32_e32 v4, 0
	s_and_saveexec_b64 s[28:29], s[26:27]
.LBB118_1005:
	v_mov_b32_e32 v4, v2
.LBB118_1006:
	s_or_b64 exec, exec, s[28:29]
.LBB118_1007:
	s_or_b64 exec, exec, s[24:25]
	global_store_byte v[0:1], v4, off
.LBB118_1008:
	s_mov_b64 s[26:27], 0
.LBB118_1009:
	s_mov_b64 s[24:25], 0
	s_and_b64 vcc, exec, s[26:27]
	s_cbranch_vccz .LBB118_1050
; %bb.1010:
	s_cmp_gt_i32 s34, 22
	s_mov_b64 s[26:27], -1
	s_cbranch_scc0 .LBB118_1042
; %bb.1011:
	s_cmp_lt_i32 s34, 24
	s_cbranch_scc1 .LBB118_1031
; %bb.1012:
	s_cmp_gt_i32 s34, 24
	s_cbranch_scc0 .LBB118_1020
; %bb.1013:
	s_waitcnt vmcnt(0)
	v_cndmask_b32_e64 v3, 0, 1.0, s[18:19]
	s_mov_b32 s26, 0x47800000
	v_cmp_gt_u32_e32 vcc, s26, v3
	v_mov_b32_e32 v4, 0x80
	s_and_saveexec_b64 s[26:27], vcc
	s_cbranch_execz .LBB118_1019
; %bb.1014:
	s_mov_b32 s28, 0x37ffffff
	v_cmp_lt_u32_e32 vcc, s28, v3
	s_mov_b64 s[28:29], 0
                                        ; implicit-def: $vgpr2
	s_and_saveexec_b64 s[30:31], vcc
	s_xor_b64 s[30:31], exec, s[30:31]
	s_cbranch_execz .LBB118_1246
; %bb.1015:
	v_bfe_u32 v2, v3, 21, 1
	s_mov_b32 s35, 0x88fffff
	v_add3_u32 v2, v3, v2, s35
	s_mov_b64 s[28:29], exec
	v_lshrrev_b32_e32 v2, 21, v2
                                        ; implicit-def: $vgpr3
	s_andn2_saveexec_b64 s[30:31], s[30:31]
	s_cbranch_execnz .LBB118_1247
.LBB118_1016:
	s_or_b64 exec, exec, s[30:31]
	v_mov_b32_e32 v4, 0
	s_and_saveexec_b64 s[30:31], s[28:29]
.LBB118_1017:
	v_mov_b32_e32 v4, v2
.LBB118_1018:
	s_or_b64 exec, exec, s[30:31]
.LBB118_1019:
	s_or_b64 exec, exec, s[26:27]
	s_mov_b64 s[26:27], 0
	global_store_byte v[0:1], v4, off
.LBB118_1020:
	s_and_b64 vcc, exec, s[26:27]
	s_cbranch_vccz .LBB118_1030
; %bb.1021:
	v_cndmask_b32_e64 v2, 0, 1.0, s[18:19]
	s_mov_b32 s26, 0x43f00000
	v_cmp_gt_u32_e32 vcc, s26, v2
                                        ; implicit-def: $vgpr3
	s_and_saveexec_b64 s[26:27], vcc
	s_xor_b64 s[26:27], exec, s[26:27]
	s_cbranch_execz .LBB118_1027
; %bb.1022:
	s_mov_b32 s28, 0x3c7fffff
	v_cmp_lt_u32_e32 vcc, s28, v2
                                        ; implicit-def: $vgpr3
	s_and_saveexec_b64 s[28:29], vcc
	s_xor_b64 s[28:29], exec, s[28:29]
	s_cbranch_execz .LBB118_1024
; %bb.1023:
	s_waitcnt vmcnt(0)
	v_bfe_u32 v3, v2, 20, 1
	s_mov_b32 s30, 0x407ffff
	v_add3_u32 v2, v2, v3, s30
	v_lshrrev_b32_e32 v3, 20, v2
	v_and_b32_e32 v2, 0xff00000, v2
	s_mov_b32 s30, 0x7f00000
	v_mov_b32_e32 v4, 0x7e
	v_cmp_ne_u32_e32 vcc, s30, v2
	v_cndmask_b32_e32 v3, v4, v3, vcc
                                        ; implicit-def: $vgpr2
.LBB118_1024:
	s_andn2_saveexec_b64 s[28:29], s[28:29]
	s_cbranch_execz .LBB118_1026
; %bb.1025:
	s_waitcnt vmcnt(0)
	v_add_f32_e32 v3, 0x46800000, v2
.LBB118_1026:
	s_or_b64 exec, exec, s[28:29]
                                        ; implicit-def: $vgpr2
.LBB118_1027:
	s_andn2_saveexec_b64 s[26:27], s[26:27]
	s_cbranch_execz .LBB118_1029
; %bb.1028:
	s_mov_b32 s28, 0x7f800000
	s_waitcnt vmcnt(0)
	v_mov_b32_e32 v3, 0x7e
	v_mov_b32_e32 v4, 0x7f
	v_cmp_lt_u32_e32 vcc, s28, v2
	v_cndmask_b32_e32 v3, v3, v4, vcc
.LBB118_1029:
	s_or_b64 exec, exec, s[26:27]
	s_waitcnt vmcnt(0)
	global_store_byte v[0:1], v3, off
.LBB118_1030:
	s_mov_b64 s[26:27], 0
.LBB118_1031:
	s_andn2_b64 vcc, exec, s[26:27]
	s_cbranch_vccnz .LBB118_1041
; %bb.1032:
	v_cndmask_b32_e64 v2, 0, 1.0, s[18:19]
	s_mov_b32 s26, 0x47800000
	v_cmp_gt_u32_e32 vcc, s26, v2
                                        ; implicit-def: $vgpr3
	s_and_saveexec_b64 s[26:27], vcc
	s_xor_b64 s[26:27], exec, s[26:27]
	s_cbranch_execz .LBB118_1038
; %bb.1033:
	s_mov_b32 s28, 0x387fffff
	v_cmp_lt_u32_e32 vcc, s28, v2
                                        ; implicit-def: $vgpr3
	s_and_saveexec_b64 s[28:29], vcc
	s_xor_b64 s[28:29], exec, s[28:29]
	s_cbranch_execz .LBB118_1035
; %bb.1034:
	s_waitcnt vmcnt(0)
	v_bfe_u32 v3, v2, 21, 1
	s_mov_b32 s30, 0x80fffff
	v_add3_u32 v2, v2, v3, s30
	v_lshrrev_b32_e32 v3, 21, v2
                                        ; implicit-def: $vgpr2
.LBB118_1035:
	s_andn2_saveexec_b64 s[28:29], s[28:29]
	s_cbranch_execz .LBB118_1037
; %bb.1036:
	s_waitcnt vmcnt(0)
	v_add_f32_e32 v3, 0x43000000, v2
.LBB118_1037:
	s_or_b64 exec, exec, s[28:29]
                                        ; implicit-def: $vgpr2
.LBB118_1038:
	s_andn2_saveexec_b64 s[26:27], s[26:27]
	s_cbranch_execz .LBB118_1040
; %bb.1039:
	s_mov_b32 s28, 0x7f800000
	s_waitcnt vmcnt(0)
	v_mov_b32_e32 v3, 0x7c
	v_mov_b32_e32 v4, 0x7f
	v_cmp_lt_u32_e32 vcc, s28, v2
	v_cndmask_b32_e32 v3, v3, v4, vcc
.LBB118_1040:
	s_or_b64 exec, exec, s[26:27]
	s_waitcnt vmcnt(0)
	global_store_byte v[0:1], v3, off
.LBB118_1041:
	s_mov_b64 s[26:27], 0
.LBB118_1042:
	s_andn2_b64 vcc, exec, s[26:27]
	s_mov_b64 s[26:27], 0
	s_cbranch_vccnz .LBB118_1051
; %bb.1043:
	s_cmp_gt_i32 s34, 14
	s_mov_b64 s[28:29], -1
	s_cbranch_scc0 .LBB118_1047
; %bb.1044:
	s_cmp_eq_u32 s34, 15
	s_mov_b64 s[0:1], -1
	s_cbranch_scc0 .LBB118_1046
; %bb.1045:
	v_cndmask_b32_e64 v2, 0, 1.0, s[18:19]
	s_waitcnt vmcnt(0)
	v_bfe_u32 v3, v2, 16, 1
	s_movk_i32 s0, 0x7fff
	v_add3_u32 v2, v2, v3, s0
	global_store_short_d16_hi v[0:1], v2, off
	s_mov_b64 s[0:1], 0
.LBB118_1046:
	s_mov_b64 s[28:29], 0
.LBB118_1047:
	s_and_b64 vcc, exec, s[28:29]
	s_cbranch_vccz .LBB118_1051
; %bb.1048:
	s_cmp_lg_u32 s34, 11
	s_cselect_b64 s[28:29], -1, 0
	s_andn2_b64 s[0:1], s[0:1], exec
	s_and_b64 s[28:29], s[28:29], exec
	s_mov_b64 s[26:27], -1
	s_or_b64 s[0:1], s[0:1], s[28:29]
	s_branch .LBB118_1051
.LBB118_1049:
	s_mov_b64 s[26:27], 0
	s_mov_b64 s[24:25], -1
	s_mov_b64 s[0:1], s[16:17]
	s_branch .LBB118_1051
.LBB118_1050:
	s_mov_b64 s[26:27], 0
.LBB118_1051:
	s_andn2_b64 s[16:17], s[16:17], exec
	s_and_b64 s[0:1], s[0:1], exec
	s_and_b64 s[24:25], s[24:25], exec
	;; [unrolled: 1-line block ×3, first 2 shown]
	s_or_b64 s[16:17], s[16:17], s[0:1]
	s_or_b64 exec, exec, s[22:23]
	s_and_saveexec_b64 s[0:1], s[16:17]
	s_cbranch_execz .LBB118_961
.LBB118_1052:
	s_or_b64 s[20:21], s[20:21], exec
	s_andn2_b64 s[26:27], s[26:27], exec
	s_trap 2
	s_or_b64 exec, exec, s[0:1]
	s_and_saveexec_b64 s[0:1], s[26:27]
	s_xor_b64 s[0:1], exec, s[0:1]
	s_cbranch_execnz .LBB118_962
.LBB118_1053:
	s_or_b64 exec, exec, s[0:1]
	s_and_saveexec_b64 s[0:1], s[24:25]
	s_xor_b64 s[0:1], exec, s[0:1]
	s_cbranch_execz .LBB118_1091
.LBB118_1054:
	s_sext_i32_i16 s22, s33
	s_cmp_lt_i32 s22, 5
	s_mov_b64 s[16:17], -1
	s_cbranch_scc1 .LBB118_1075
; %bb.1055:
	s_cmp_lt_i32 s22, 8
	s_cbranch_scc1 .LBB118_1065
; %bb.1056:
	s_cmp_lt_i32 s22, 9
	s_cbranch_scc1 .LBB118_1062
; %bb.1057:
	s_cmp_gt_i32 s22, 9
	s_cbranch_scc0 .LBB118_1059
; %bb.1058:
	v_cndmask_b32_e64 v2, 0, 1, s[18:19]
	s_waitcnt vmcnt(0)
	v_cvt_f64_u32_e32 v[2:3], v2
	v_mov_b32_e32 v4, 0
	v_mov_b32_e32 v5, v4
	s_mov_b64 s[16:17], 0
	global_store_dwordx4 v[0:1], v[2:5], off
.LBB118_1059:
	s_andn2_b64 vcc, exec, s[16:17]
	s_cbranch_vccnz .LBB118_1061
; %bb.1060:
	v_cndmask_b32_e64 v2, 0, 1.0, s[18:19]
	s_waitcnt vmcnt(0)
	v_mov_b32_e32 v3, 0
	global_store_dwordx2 v[0:1], v[2:3], off
.LBB118_1061:
	s_mov_b64 s[16:17], 0
.LBB118_1062:
	s_andn2_b64 vcc, exec, s[16:17]
	s_cbranch_vccnz .LBB118_1064
; %bb.1063:
	v_cndmask_b32_e64 v2, 0, 1.0, s[18:19]
	v_cvt_f16_f32_e32 v2, v2
	global_store_dword v[0:1], v2, off
.LBB118_1064:
	s_mov_b64 s[16:17], 0
.LBB118_1065:
	s_andn2_b64 vcc, exec, s[16:17]
	s_cbranch_vccnz .LBB118_1074
; %bb.1066:
	s_sext_i32_i16 s22, s33
	s_cmp_lt_i32 s22, 6
	s_mov_b64 s[16:17], -1
	s_cbranch_scc1 .LBB118_1072
; %bb.1067:
	s_cmp_gt_i32 s22, 6
	s_cbranch_scc0 .LBB118_1069
; %bb.1068:
	v_cndmask_b32_e64 v2, 0, 1, s[18:19]
	s_waitcnt vmcnt(0)
	v_cvt_f64_u32_e32 v[2:3], v2
	s_mov_b64 s[16:17], 0
	global_store_dwordx2 v[0:1], v[2:3], off
.LBB118_1069:
	s_andn2_b64 vcc, exec, s[16:17]
	s_cbranch_vccnz .LBB118_1071
; %bb.1070:
	v_cndmask_b32_e64 v2, 0, 1.0, s[18:19]
	global_store_dword v[0:1], v2, off
.LBB118_1071:
	s_mov_b64 s[16:17], 0
.LBB118_1072:
	s_andn2_b64 vcc, exec, s[16:17]
	s_cbranch_vccnz .LBB118_1074
; %bb.1073:
	v_cndmask_b32_e64 v2, 0, 1.0, s[18:19]
	v_cvt_f16_f32_e32 v2, v2
	global_store_short v[0:1], v2, off
.LBB118_1074:
	s_mov_b64 s[16:17], 0
.LBB118_1075:
	s_andn2_b64 vcc, exec, s[16:17]
	s_cbranch_vccnz .LBB118_1091
; %bb.1076:
	s_sext_i32_i16 s22, s33
	s_cmp_lt_i32 s22, 2
	s_mov_b64 s[16:17], -1
	s_cbranch_scc1 .LBB118_1086
; %bb.1077:
	s_cmp_lt_i32 s22, 3
	s_cbranch_scc1 .LBB118_1083
; %bb.1078:
	s_cmp_gt_i32 s22, 3
	s_cbranch_scc0 .LBB118_1080
; %bb.1079:
	s_mov_b32 s16, 0
	v_cndmask_b32_e64 v2, 0, 1, s[18:19]
	s_waitcnt vmcnt(0)
	v_mov_b32_e32 v3, s16
	s_mov_b64 s[16:17], 0
	global_store_dwordx2 v[0:1], v[2:3], off
.LBB118_1080:
	s_andn2_b64 vcc, exec, s[16:17]
	s_cbranch_vccnz .LBB118_1082
; %bb.1081:
	v_cndmask_b32_e64 v2, 0, 1, s[18:19]
	global_store_dword v[0:1], v2, off
.LBB118_1082:
	s_mov_b64 s[16:17], 0
.LBB118_1083:
	s_andn2_b64 vcc, exec, s[16:17]
	s_cbranch_vccnz .LBB118_1085
; %bb.1084:
	v_cndmask_b32_e64 v2, 0, 1, s[18:19]
	global_store_short v[0:1], v2, off
.LBB118_1085:
	s_mov_b64 s[16:17], 0
.LBB118_1086:
	s_andn2_b64 vcc, exec, s[16:17]
	s_cbranch_vccnz .LBB118_1091
; %bb.1087:
	s_sext_i32_i16 s22, s33
	s_mov_b64 s[16:17], -1
	s_cmp_gt_i32 s22, 0
	v_cndmask_b32_e64 v2, 0, 1, s[18:19]
	s_cbranch_scc0 .LBB118_1089
; %bb.1088:
	s_mov_b64 s[16:17], 0
	global_store_byte v[0:1], v2, off
.LBB118_1089:
	s_andn2_b64 vcc, exec, s[16:17]
	s_cbranch_vccnz .LBB118_1091
; %bb.1090:
	global_store_byte v[0:1], v2, off
.LBB118_1091:
	s_or_b64 exec, exec, s[0:1]
	s_and_b64 s[16:17], s[20:21], exec
                                        ; implicit-def: $vgpr2
.LBB118_1092:
	s_or_saveexec_b64 s[6:7], s[6:7]
	s_mov_b64 s[0:1], 0
                                        ; implicit-def: $sgpr24_sgpr25
                                        ; implicit-def: $sgpr28
                                        ; implicit-def: $vgpr0_vgpr1
	s_xor_b64 exec, exec, s[6:7]
	s_cbranch_execz .LBB118_1659
; %bb.1093:
	s_waitcnt vmcnt(0)
	v_mul_lo_u32 v3, s13, v2
	v_mov_b32_e32 v1, s11
	s_and_b32 s15, 0xffff, s15
	s_cmp_lt_i32 s15, 11
	v_ashrrev_i32_e32 v4, 31, v3
	v_add_co_u32_e32 v0, vcc, s10, v3
	v_addc_co_u32_e32 v1, vcc, v1, v4, vcc
	s_cbranch_scc1 .LBB118_1100
; %bb.1094:
	s_cmp_gt_i32 s15, 25
	s_cbranch_scc0 .LBB118_1102
; %bb.1095:
	s_cmp_gt_i32 s15, 28
	s_cbranch_scc0 .LBB118_1103
	;; [unrolled: 3-line block ×4, first 2 shown]
; %bb.1098:
	s_cmp_eq_u32 s15, 46
	s_mov_b64 s[18:19], 0
	s_cbranch_scc0 .LBB118_1108
; %bb.1099:
	global_load_dword v4, v[0:1], off
	s_mov_b64 s[20:21], -1
	s_waitcnt vmcnt(0)
	v_lshlrev_b32_e32 v4, 16, v4
	v_cvt_f16_f32_e32 v4, v4
	s_branch .LBB118_1109
.LBB118_1100:
	s_mov_b64 s[20:21], 0
                                        ; implicit-def: $vgpr4
	s_mov_b64 s[18:19], s[16:17]
	s_cbranch_execnz .LBB118_1172
.LBB118_1101:
	s_andn2_b64 vcc, exec, s[20:21]
	s_cbranch_vccz .LBB118_1217
	s_branch .LBB118_1656
.LBB118_1102:
	s_mov_b64 s[20:21], 0
                                        ; implicit-def: $vgpr4
	s_cbranch_execnz .LBB118_1137
	s_branch .LBB118_1168
.LBB118_1103:
	s_mov_b64 s[18:19], -1
	s_mov_b64 s[20:21], 0
                                        ; implicit-def: $vgpr4
	s_branch .LBB118_1118
.LBB118_1104:
	s_mov_b64 s[20:21], 0
                                        ; implicit-def: $vgpr4
	s_cbranch_execnz .LBB118_1114
	s_branch .LBB118_1117
.LBB118_1105:
	s_mov_b64 s[18:19], -1
	s_mov_b64 s[20:21], 0
                                        ; implicit-def: $vgpr4
	s_branch .LBB118_1109
.LBB118_1106:
	s_andn2_saveexec_b64 s[28:29], s[28:29]
	s_cbranch_execz .LBB118_1004
.LBB118_1107:
	v_add_f32_e32 v2, 0x46000000, v3
	v_and_b32_e32 v2, 0xff, v2
	v_cmp_ne_u32_e32 vcc, 0, v2
	s_andn2_b64 s[26:27], s[26:27], exec
	s_and_b64 s[30:31], vcc, exec
	s_or_b64 s[26:27], s[26:27], s[30:31]
	s_or_b64 exec, exec, s[28:29]
	v_mov_b32_e32 v4, 0
	s_and_saveexec_b64 s[28:29], s[26:27]
	s_cbranch_execnz .LBB118_1005
	s_branch .LBB118_1006
.LBB118_1108:
	s_mov_b64 s[0:1], -1
                                        ; implicit-def: $vgpr4
	s_mov_b64 s[20:21], 0
.LBB118_1109:
	s_and_b64 vcc, exec, s[18:19]
	s_cbranch_vccz .LBB118_1112
; %bb.1110:
	s_cmp_eq_u32 s15, 44
	s_cbranch_scc0 .LBB118_1113
; %bb.1111:
	global_load_ubyte v4, v[0:1], off
	s_movk_i32 s18, 0xff
	v_mov_b32_e32 v6, 0x7e00
	s_mov_b64 s[0:1], 0
	s_mov_b64 s[20:21], -1
	s_waitcnt vmcnt(0)
	v_lshlrev_b32_e32 v5, 23, v4
	v_cvt_f16_f32_e32 v5, v5
	v_cmp_ne_u32_e32 vcc, s18, v4
	v_cndmask_b32_e32 v5, v6, v5, vcc
	v_cmp_ne_u32_e32 vcc, 0, v4
	v_cndmask_b32_e32 v4, 0, v5, vcc
.LBB118_1112:
	s_branch .LBB118_1117
.LBB118_1113:
	s_mov_b64 s[0:1], -1
                                        ; implicit-def: $vgpr4
	s_branch .LBB118_1117
.LBB118_1114:
	s_cmp_eq_u32 s15, 29
	s_cbranch_scc0 .LBB118_1116
; %bb.1115:
	global_load_dwordx2 v[4:5], v[0:1], off
	s_mov_b64 s[0:1], 0
	s_mov_b64 s[20:21], -1
	s_mov_b64 s[18:19], 0
	s_waitcnt vmcnt(0)
	v_ffbh_u32_e32 v6, v5
	v_min_u32_e32 v6, 32, v6
	v_lshlrev_b64 v[4:5], v6, v[4:5]
	v_min_u32_e32 v4, 1, v4
	v_or_b32_e32 v4, v5, v4
	v_cvt_f32_u32_e32 v4, v4
	v_sub_u32_e32 v5, 32, v6
	v_ldexp_f32 v4, v4, v5
	v_cvt_f16_f32_e32 v4, v4
	s_branch .LBB118_1118
.LBB118_1116:
	s_mov_b64 s[0:1], -1
                                        ; implicit-def: $vgpr4
.LBB118_1117:
	s_mov_b64 s[18:19], 0
.LBB118_1118:
	s_and_b64 vcc, exec, s[18:19]
	s_cbranch_vccz .LBB118_1136
; %bb.1119:
	s_cmp_lt_i32 s15, 27
	s_cbranch_scc1 .LBB118_1122
; %bb.1120:
	s_cmp_gt_i32 s15, 27
	s_cbranch_scc0 .LBB118_1123
; %bb.1121:
	global_load_dword v4, v[0:1], off
	s_mov_b64 s[18:19], 0
	s_waitcnt vmcnt(0)
	v_cvt_f32_u32_e32 v4, v4
	v_cvt_f16_f32_e32 v4, v4
	s_branch .LBB118_1124
.LBB118_1122:
	s_mov_b64 s[18:19], -1
                                        ; implicit-def: $vgpr4
	s_branch .LBB118_1127
.LBB118_1123:
	s_mov_b64 s[18:19], -1
                                        ; implicit-def: $vgpr4
.LBB118_1124:
	s_andn2_b64 vcc, exec, s[18:19]
	s_cbranch_vccnz .LBB118_1126
; %bb.1125:
	global_load_ushort v4, v[0:1], off
	s_waitcnt vmcnt(0)
	v_cvt_f16_u16_e32 v4, v4
.LBB118_1126:
	s_mov_b64 s[18:19], 0
.LBB118_1127:
	s_andn2_b64 vcc, exec, s[18:19]
	s_cbranch_vccnz .LBB118_1135
; %bb.1128:
	global_load_ubyte v5, v[0:1], off
	s_movk_i32 s18, 0x7f
	s_waitcnt vmcnt(0)
	v_cmp_lt_i16_e32 vcc, s18, v5
	s_mov_b64 s[18:19], 0
	s_and_saveexec_b64 s[20:21], vcc
	s_xor_b64 s[20:21], exec, s[20:21]
	s_cbranch_execz .LBB118_1148
; %bb.1129:
	s_movk_i32 s18, 0x80
	v_cmp_eq_u16_e32 vcc, s18, v5
	s_mov_b64 s[18:19], -1
	s_and_saveexec_b64 s[22:23], vcc
; %bb.1130:
	s_xor_b64 s[18:19], exec, -1
; %bb.1131:
	s_or_b64 exec, exec, s[22:23]
	s_and_b64 s[18:19], s[18:19], exec
	s_or_saveexec_b64 s[20:21], s[20:21]
	v_mov_b32_e32 v4, 0x7e00
	s_xor_b64 exec, exec, s[20:21]
	s_cbranch_execnz .LBB118_1149
.LBB118_1132:
	s_or_b64 exec, exec, s[20:21]
	s_and_saveexec_b64 s[20:21], s[18:19]
	s_cbranch_execz .LBB118_1134
.LBB118_1133:
	v_lshlrev_b32_e32 v4, 24, v5
	v_and_b32_e32 v5, 0xffff, v5
	v_and_b32_e32 v6, 7, v5
	v_ffbh_u32_e32 v8, v6
	v_min_u32_e32 v8, 32, v8
	v_subrev_u32_e32 v9, 28, v8
	v_bfe_u32 v7, v5, 3, 4
	v_lshlrev_b32_e32 v5, v9, v5
	v_sub_u32_e32 v8, 29, v8
	v_and_b32_e32 v5, 7, v5
	v_cmp_eq_u32_e32 vcc, 0, v7
	v_cndmask_b32_e32 v7, v7, v8, vcc
	v_cndmask_b32_e32 v5, v6, v5, vcc
	v_mov_b32_e32 v6, 0x3b800000
	v_lshlrev_b32_e32 v5, 20, v5
	v_and_b32_e32 v4, 0x80000000, v4
	v_lshl_add_u32 v6, v7, 23, v6
	v_or3_b32 v4, v4, v6, v5
	v_cvt_f16_f32_e32 v4, v4
.LBB118_1134:
	s_or_b64 exec, exec, s[20:21]
.LBB118_1135:
	s_mov_b64 s[20:21], -1
.LBB118_1136:
	s_branch .LBB118_1168
.LBB118_1137:
	s_cmp_gt_i32 s15, 22
	s_cbranch_scc0 .LBB118_1147
; %bb.1138:
	s_cmp_lt_i32 s15, 24
	s_cbranch_scc1 .LBB118_1150
; %bb.1139:
	s_cmp_gt_i32 s15, 24
	s_cbranch_scc0 .LBB118_1151
; %bb.1140:
	global_load_ubyte v5, v[0:1], off
	s_movk_i32 s4, 0x7f
	s_waitcnt vmcnt(0)
	v_cmp_lt_i16_e32 vcc, s4, v5
	s_mov_b64 s[4:5], 0
	s_and_saveexec_b64 s[18:19], vcc
	s_xor_b64 s[18:19], exec, s[18:19]
	s_cbranch_execz .LBB118_1162
; %bb.1141:
	s_movk_i32 s4, 0x80
	v_cmp_eq_u16_e32 vcc, s4, v5
	s_mov_b64 s[4:5], -1
	s_and_saveexec_b64 s[20:21], vcc
; %bb.1142:
	s_xor_b64 s[4:5], exec, -1
; %bb.1143:
	s_or_b64 exec, exec, s[20:21]
	s_and_b64 s[4:5], s[4:5], exec
	s_or_saveexec_b64 s[18:19], s[18:19]
	v_mov_b32_e32 v4, 0x7e00
	s_xor_b64 exec, exec, s[18:19]
	s_cbranch_execnz .LBB118_1163
.LBB118_1144:
	s_or_b64 exec, exec, s[18:19]
	s_and_saveexec_b64 s[18:19], s[4:5]
	s_cbranch_execz .LBB118_1146
.LBB118_1145:
	v_lshlrev_b32_e32 v4, 24, v5
	v_and_b32_e32 v5, 0xffff, v5
	v_and_b32_e32 v6, 3, v5
	v_ffbh_u32_e32 v8, v6
	v_min_u32_e32 v8, 32, v8
	v_subrev_u32_e32 v9, 29, v8
	v_bfe_u32 v7, v5, 2, 5
	v_lshlrev_b32_e32 v5, v9, v5
	v_sub_u32_e32 v8, 30, v8
	v_and_b32_e32 v5, 3, v5
	v_cmp_eq_u32_e32 vcc, 0, v7
	v_cndmask_b32_e32 v7, v7, v8, vcc
	v_cndmask_b32_e32 v5, v6, v5, vcc
	v_mov_b32_e32 v6, 0x37800000
	v_lshlrev_b32_e32 v5, 21, v5
	v_and_b32_e32 v4, 0x80000000, v4
	v_lshl_add_u32 v6, v7, 23, v6
	v_or3_b32 v4, v4, v6, v5
	v_cvt_f16_f32_e32 v4, v4
.LBB118_1146:
	s_or_b64 exec, exec, s[18:19]
	s_mov_b64 s[4:5], 0
	s_branch .LBB118_1152
.LBB118_1147:
                                        ; implicit-def: $vgpr4
	s_mov_b64 s[4:5], 0
	s_branch .LBB118_1158
.LBB118_1148:
	s_or_saveexec_b64 s[20:21], s[20:21]
	v_mov_b32_e32 v4, 0x7e00
	s_xor_b64 exec, exec, s[20:21]
	s_cbranch_execz .LBB118_1132
.LBB118_1149:
	v_cmp_ne_u16_e32 vcc, 0, v5
	s_andn2_b64 s[18:19], s[18:19], exec
	s_and_b64 s[22:23], vcc, exec
	s_or_b64 s[18:19], s[18:19], s[22:23]
	v_mov_b32_e32 v4, v5
	s_or_b64 exec, exec, s[20:21]
	s_and_saveexec_b64 s[20:21], s[18:19]
	s_cbranch_execnz .LBB118_1133
	s_branch .LBB118_1134
.LBB118_1150:
	s_mov_b64 s[4:5], -1
                                        ; implicit-def: $vgpr4
	s_branch .LBB118_1155
.LBB118_1151:
	s_mov_b64 s[4:5], -1
                                        ; implicit-def: $vgpr4
.LBB118_1152:
	s_and_b64 vcc, exec, s[4:5]
	s_cbranch_vccz .LBB118_1154
; %bb.1153:
	global_load_ubyte v4, v[0:1], off
	s_mov_b32 s4, 0x7f800000
	s_waitcnt vmcnt(0)
	v_lshlrev_b32_e32 v4, 24, v4
	v_and_b32_e32 v5, 0x7f000000, v4
	v_ffbh_u32_e32 v6, v5
	v_min_u32_e32 v6, 32, v6
	v_sub_u32_e64 v6, v6, 4 clamp
	v_lshlrev_b32_e32 v8, v6, v5
	v_lshlrev_b32_e32 v6, 23, v6
	v_lshrrev_b32_e32 v8, 4, v8
	v_add_u32_e32 v7, 0x1000000, v5
	v_sub_u32_e32 v6, v8, v6
	v_ashrrev_i32_e32 v7, 8, v7
	v_add_u32_e32 v6, 0x3c000000, v6
	v_and_or_b32 v6, v7, s4, v6
	v_cmp_ne_u32_e32 vcc, 0, v5
	v_cndmask_b32_e32 v5, 0, v6, vcc
	s_brev_b32 s4, 1
	v_and_or_b32 v4, v4, s4, v5
	v_cvt_f16_f32_e32 v4, v4
.LBB118_1154:
	s_mov_b64 s[4:5], 0
.LBB118_1155:
	s_andn2_b64 vcc, exec, s[4:5]
	s_cbranch_vccnz .LBB118_1157
; %bb.1156:
	global_load_ubyte v4, v[0:1], off
	s_movk_i32 s4, 0x7f00
	s_brev_b32 s5, 16
	s_waitcnt vmcnt(0)
	v_lshlrev_b16_e32 v5, 8, v4
	v_lshlrev_b32_e32 v4, 25, v4
	v_lshrrev_b32_e32 v6, 4, v4
	v_and_or_b32 v7, v5, s4, 0.5
	v_or_b32_e32 v6, 0x70000000, v6
	v_add_f32_e32 v7, -0.5, v7
	v_mul_f32_e32 v6, 0x7800000, v6
	v_cmp_gt_u32_e32 vcc, s5, v4
	v_bfe_i32 v5, v5, 0, 16
	v_cndmask_b32_e32 v4, v6, v7, vcc
	s_brev_b32 s4, 1
	v_and_or_b32 v4, v5, s4, v4
	v_cvt_f16_f32_e32 v4, v4
.LBB118_1157:
	s_mov_b64 s[20:21], -1
	s_mov_b64 s[4:5], 0
	s_cbranch_execnz .LBB118_1168
.LBB118_1158:
	s_cmp_gt_i32 s15, 14
	s_cbranch_scc0 .LBB118_1161
; %bb.1159:
	s_cmp_eq_u32 s15, 15
	s_cbranch_scc0 .LBB118_1164
; %bb.1160:
	global_load_ushort v4, v[0:1], off
	s_mov_b64 s[0:1], 0
	s_mov_b64 s[20:21], -1
	s_waitcnt vmcnt(0)
	v_lshlrev_b32_e32 v4, 16, v4
	v_cvt_f16_f32_e32 v4, v4
	s_branch .LBB118_1165
.LBB118_1161:
	s_mov_b64 s[18:19], -1
                                        ; implicit-def: $vgpr4
	s_branch .LBB118_1166
.LBB118_1162:
	s_or_saveexec_b64 s[18:19], s[18:19]
	v_mov_b32_e32 v4, 0x7e00
	s_xor_b64 exec, exec, s[18:19]
	s_cbranch_execz .LBB118_1144
.LBB118_1163:
	v_cmp_ne_u16_e32 vcc, 0, v5
	s_andn2_b64 s[4:5], s[4:5], exec
	s_and_b64 s[20:21], vcc, exec
	s_or_b64 s[4:5], s[4:5], s[20:21]
	v_mov_b32_e32 v4, v5
	s_or_b64 exec, exec, s[18:19]
	s_and_saveexec_b64 s[18:19], s[4:5]
	s_cbranch_execnz .LBB118_1145
	s_branch .LBB118_1146
.LBB118_1164:
	s_mov_b64 s[0:1], -1
                                        ; implicit-def: $vgpr4
.LBB118_1165:
	s_mov_b64 s[18:19], 0
.LBB118_1166:
	s_and_b64 vcc, exec, s[18:19]
	s_cbranch_vccz .LBB118_1168
; %bb.1167:
	s_cmp_lg_u32 s15, 11
	s_mov_b64 s[4:5], -1
	s_cselect_b64 s[0:1], -1, 0
.LBB118_1168:
	s_and_b64 vcc, exec, s[0:1]
	s_mov_b64 s[18:19], s[16:17]
	s_cbranch_vccnz .LBB118_1244
; %bb.1169:
	s_andn2_b64 vcc, exec, s[4:5]
	s_cbranch_vccnz .LBB118_1171
.LBB118_1170:
	global_load_ubyte v4, v[0:1], off
	v_mov_b32_e32 v5, 0x3c00
	s_mov_b64 s[20:21], -1
	s_waitcnt vmcnt(0)
	v_cmp_ne_u16_e32 vcc, 0, v4
	v_cndmask_b32_e32 v4, 0, v5, vcc
.LBB118_1171:
	s_branch .LBB118_1101
.LBB118_1172:
	s_cmp_lt_i32 s15, 5
	s_cbranch_scc1 .LBB118_1177
; %bb.1173:
	s_cmp_lt_i32 s15, 8
	s_cbranch_scc1 .LBB118_1178
; %bb.1174:
	;; [unrolled: 3-line block ×3, first 2 shown]
	s_cmp_gt_i32 s15, 9
	s_cbranch_scc0 .LBB118_1180
; %bb.1176:
	global_load_dwordx2 v[4:5], v[0:1], off
	s_movk_i32 s0, 0x1ff
	s_movk_i32 s1, 0xffe
	v_mov_b32_e32 v6, 0x7c00
	v_mov_b32_e32 v7, 0x7e00
	s_movk_i32 s4, 0x40f
	s_mov_b32 s5, 0x8000
	s_waitcnt vmcnt(0)
	v_and_or_b32 v4, v5, s0, v4
	v_cmp_ne_u32_e32 vcc, 0, v4
	v_lshrrev_b32_e32 v8, 8, v5
	v_bfe_u32 v9, v5, 20, 11
	v_cndmask_b32_e64 v4, 0, 1, vcc
	v_sub_u32_e32 v10, 0x3f1, v9
	v_and_or_b32 v4, v8, s1, v4
	v_add_u32_e32 v9, 0xfffffc10, v9
	v_med3_i32 v8, v10, 0, 13
	v_or_b32_e32 v10, 0x1000, v4
	v_cmp_ne_u32_e32 vcc, 0, v4
	v_lshl_or_b32 v11, v9, 12, v4
	v_cndmask_b32_e32 v4, v6, v7, vcc
	v_lshrrev_b32_e32 v7, v8, v10
	v_lshlrev_b32_e32 v8, v8, v7
	v_cmp_ne_u32_e32 vcc, v8, v10
	v_cndmask_b32_e64 v8, 0, 1, vcc
	v_or_b32_e32 v7, v7, v8
	v_cmp_gt_i32_e32 vcc, 1, v9
	v_cndmask_b32_e32 v7, v11, v7, vcc
	v_and_b32_e32 v8, 7, v7
	v_cmp_lt_i32_e32 vcc, 5, v8
	v_cndmask_b32_e64 v10, 0, 1, vcc
	v_cmp_eq_u32_e32 vcc, 3, v8
	v_cndmask_b32_e64 v8, 0, 1, vcc
	v_lshrrev_b32_e32 v7, 2, v7
	v_or_b32_e32 v8, v8, v10
	v_add_u32_e32 v7, v7, v8
	v_cmp_gt_i32_e32 vcc, 31, v9
	v_cndmask_b32_e32 v6, v6, v7, vcc
	v_cmp_eq_u32_e32 vcc, s4, v9
	v_lshrrev_b32_e32 v5, 16, v5
	v_cndmask_b32_e32 v4, v6, v4, vcc
	v_and_or_b32 v4, v5, s5, v4
	s_mov_b64 s[0:1], 0
	s_branch .LBB118_1181
.LBB118_1177:
                                        ; implicit-def: $vgpr4
	s_branch .LBB118_1198
.LBB118_1178:
                                        ; implicit-def: $vgpr4
	s_branch .LBB118_1187
.LBB118_1179:
	s_mov_b64 s[0:1], -1
                                        ; implicit-def: $vgpr4
	s_branch .LBB118_1184
.LBB118_1180:
	s_mov_b64 s[0:1], -1
                                        ; implicit-def: $vgpr4
.LBB118_1181:
	s_andn2_b64 vcc, exec, s[0:1]
	s_cbranch_vccnz .LBB118_1183
; %bb.1182:
	global_load_dword v4, v[0:1], off
	s_waitcnt vmcnt(0)
	v_cvt_f16_f32_e32 v4, v4
.LBB118_1183:
	s_mov_b64 s[0:1], 0
.LBB118_1184:
	s_andn2_b64 vcc, exec, s[0:1]
	s_cbranch_vccnz .LBB118_1186
; %bb.1185:
	global_load_dword v4, v[0:1], off
.LBB118_1186:
	s_cbranch_execnz .LBB118_1197
.LBB118_1187:
	s_cmp_lt_i32 s15, 6
	s_cbranch_scc1 .LBB118_1190
; %bb.1188:
	s_cmp_gt_i32 s15, 6
	s_cbranch_scc0 .LBB118_1191
; %bb.1189:
	global_load_dwordx2 v[4:5], v[0:1], off
	s_movk_i32 s0, 0x1ff
	s_movk_i32 s1, 0xffe
	v_mov_b32_e32 v6, 0x7c00
	v_mov_b32_e32 v7, 0x7e00
	s_movk_i32 s4, 0x40f
	s_mov_b32 s5, 0x8000
	s_waitcnt vmcnt(0)
	v_and_or_b32 v4, v5, s0, v4
	v_cmp_ne_u32_e32 vcc, 0, v4
	v_lshrrev_b32_e32 v8, 8, v5
	v_bfe_u32 v9, v5, 20, 11
	v_cndmask_b32_e64 v4, 0, 1, vcc
	v_sub_u32_e32 v10, 0x3f1, v9
	v_and_or_b32 v4, v8, s1, v4
	v_add_u32_e32 v9, 0xfffffc10, v9
	v_med3_i32 v8, v10, 0, 13
	v_or_b32_e32 v10, 0x1000, v4
	v_cmp_ne_u32_e32 vcc, 0, v4
	v_lshl_or_b32 v11, v9, 12, v4
	v_cndmask_b32_e32 v4, v6, v7, vcc
	v_lshrrev_b32_e32 v7, v8, v10
	v_lshlrev_b32_e32 v8, v8, v7
	v_cmp_ne_u32_e32 vcc, v8, v10
	v_cndmask_b32_e64 v8, 0, 1, vcc
	v_or_b32_e32 v7, v7, v8
	v_cmp_gt_i32_e32 vcc, 1, v9
	v_cndmask_b32_e32 v7, v11, v7, vcc
	v_and_b32_e32 v8, 7, v7
	v_cmp_lt_i32_e32 vcc, 5, v8
	v_cndmask_b32_e64 v10, 0, 1, vcc
	v_cmp_eq_u32_e32 vcc, 3, v8
	v_cndmask_b32_e64 v8, 0, 1, vcc
	v_lshrrev_b32_e32 v7, 2, v7
	v_or_b32_e32 v8, v8, v10
	v_add_u32_e32 v7, v7, v8
	v_cmp_gt_i32_e32 vcc, 31, v9
	v_cndmask_b32_e32 v6, v6, v7, vcc
	v_cmp_eq_u32_e32 vcc, s4, v9
	v_lshrrev_b32_e32 v5, 16, v5
	v_cndmask_b32_e32 v4, v6, v4, vcc
	v_and_or_b32 v4, v5, s5, v4
	s_mov_b64 s[0:1], 0
	s_branch .LBB118_1192
.LBB118_1190:
	s_mov_b64 s[0:1], -1
                                        ; implicit-def: $vgpr4
	s_branch .LBB118_1195
.LBB118_1191:
	s_mov_b64 s[0:1], -1
                                        ; implicit-def: $vgpr4
.LBB118_1192:
	s_andn2_b64 vcc, exec, s[0:1]
	s_cbranch_vccnz .LBB118_1194
; %bb.1193:
	global_load_dword v4, v[0:1], off
	s_waitcnt vmcnt(0)
	v_cvt_f16_f32_e32 v4, v4
.LBB118_1194:
	s_mov_b64 s[0:1], 0
.LBB118_1195:
	s_andn2_b64 vcc, exec, s[0:1]
	s_cbranch_vccnz .LBB118_1197
; %bb.1196:
	global_load_ushort v4, v[0:1], off
.LBB118_1197:
	s_cbranch_execnz .LBB118_1216
.LBB118_1198:
	s_cmp_lt_i32 s15, 2
	s_cbranch_scc1 .LBB118_1202
; %bb.1199:
	s_cmp_lt_i32 s15, 3
	s_cbranch_scc1 .LBB118_1203
; %bb.1200:
	s_cmp_gt_i32 s15, 3
	s_cbranch_scc0 .LBB118_1204
; %bb.1201:
	global_load_dwordx2 v[4:5], v[0:1], off
	s_mov_b64 s[0:1], 0
	s_waitcnt vmcnt(0)
	v_xor_b32_e32 v7, v4, v5
	v_ffbh_i32_e32 v6, v5
	v_ashrrev_i32_e32 v7, 31, v7
	v_add_u32_e32 v6, -1, v6
	v_add_u32_e32 v7, 32, v7
	v_min_u32_e32 v6, v6, v7
	v_lshlrev_b64 v[4:5], v6, v[4:5]
	v_min_u32_e32 v4, 1, v4
	v_or_b32_e32 v4, v5, v4
	v_cvt_f32_i32_e32 v4, v4
	v_sub_u32_e32 v5, 32, v6
	v_ldexp_f32 v4, v4, v5
	v_cvt_f16_f32_e32 v4, v4
	s_branch .LBB118_1205
.LBB118_1202:
                                        ; implicit-def: $vgpr4
	s_branch .LBB118_1211
.LBB118_1203:
	s_mov_b64 s[0:1], -1
                                        ; implicit-def: $vgpr4
	s_branch .LBB118_1208
.LBB118_1204:
	s_mov_b64 s[0:1], -1
                                        ; implicit-def: $vgpr4
.LBB118_1205:
	s_andn2_b64 vcc, exec, s[0:1]
	s_cbranch_vccnz .LBB118_1207
; %bb.1206:
	global_load_dword v4, v[0:1], off
	s_waitcnt vmcnt(0)
	v_cvt_f32_i32_e32 v4, v4
	v_cvt_f16_f32_e32 v4, v4
.LBB118_1207:
	s_mov_b64 s[0:1], 0
.LBB118_1208:
	s_andn2_b64 vcc, exec, s[0:1]
	s_cbranch_vccnz .LBB118_1210
; %bb.1209:
	global_load_ushort v4, v[0:1], off
	s_waitcnt vmcnt(0)
	v_cvt_f16_i16_e32 v4, v4
.LBB118_1210:
	s_cbranch_execnz .LBB118_1216
.LBB118_1211:
	s_cmp_gt_i32 s15, 0
	s_cbranch_scc0 .LBB118_1213
; %bb.1212:
	global_load_sbyte v4, v[0:1], off
	s_mov_b64 s[0:1], 0
	s_waitcnt vmcnt(0)
	v_cvt_f16_i16_e32 v4, v4
	s_branch .LBB118_1214
.LBB118_1213:
	s_mov_b64 s[0:1], -1
                                        ; implicit-def: $vgpr4
.LBB118_1214:
	s_andn2_b64 vcc, exec, s[0:1]
	s_cbranch_vccnz .LBB118_1216
; %bb.1215:
	global_load_ubyte v0, v[0:1], off
	s_waitcnt vmcnt(0)
	v_cvt_f16_u16_e32 v4, v0
.LBB118_1216:
.LBB118_1217:
	s_cmp_lt_i32 s14, 1
	s_mov_b64 s[0:1], 0
	s_cbranch_scc1 .LBB118_1221
; %bb.1218:
	s_cmp_gt_i32 s14, 1
	s_cbranch_scc0 .LBB118_1222
; %bb.1219:
	s_cmp_eq_u32 s14, 2
	s_cbranch_scc0 .LBB118_1223
; %bb.1220:
	s_waitcnt vmcnt(0)
	v_cmp_ge_f16_e64 s[4:5], s2, v4
	s_mov_b64 s[20:21], 0
	s_branch .LBB118_1224
.LBB118_1221:
                                        ; implicit-def: $sgpr4_sgpr5
	s_mov_b64 s[20:21], 0
	s_cbranch_execnz .LBB118_1227
	s_branch .LBB118_1228
.LBB118_1222:
	s_mov_b64 s[20:21], 0
                                        ; implicit-def: $sgpr4_sgpr5
	s_cbranch_execnz .LBB118_1225
	s_branch .LBB118_1226
.LBB118_1223:
	s_mov_b64 s[20:21], -1
                                        ; implicit-def: $sgpr4_sgpr5
.LBB118_1224:
	s_branch .LBB118_1226
.LBB118_1225:
	s_waitcnt vmcnt(0)
	v_cmp_lt_f16_e32 vcc, s2, v4
	s_andn2_b64 s[4:5], s[4:5], exec
	s_and_b64 s[22:23], vcc, exec
	s_or_b64 s[4:5], s[4:5], s[22:23]
.LBB118_1226:
	s_branch .LBB118_1228
.LBB118_1227:
	s_cmp_lg_u32 s14, 0
	s_mov_b64 s[0:1], -1
	s_cselect_b64 s[20:21], -1, 0
.LBB118_1228:
	s_andn2_b64 vcc, exec, s[20:21]
	s_cbranch_vccnz .LBB118_1230
; %bb.1229:
	s_waitcnt vmcnt(0)
	v_cmp_gt_f16_e32 vcc, s2, v4
	s_andn2_b64 s[4:5], s[4:5], exec
	s_and_b64 s[20:21], vcc, exec
	s_or_b64 s[4:5], s[4:5], s[20:21]
	s_cbranch_execz .LBB118_1231
	s_branch .LBB118_1232
.LBB118_1230:
	s_andn2_b64 vcc, exec, s[0:1]
	s_cbranch_vccnz .LBB118_1232
.LBB118_1231:
	s_waitcnt vmcnt(0)
	v_cmp_le_f16_e32 vcc, s2, v4
	s_andn2_b64 s[0:1], s[4:5], exec
	s_and_b64 s[4:5], vcc, exec
	s_or_b64 s[4:5], s[0:1], s[4:5]
.LBB118_1232:
	s_lshl_b32 s13, s13, 7
	v_add_u32_e32 v3, s13, v3
	v_ashrrev_i32_e32 v1, 31, v3
	s_waitcnt vmcnt(0)
	v_mov_b32_e32 v4, s11
	v_add_co_u32_e32 v0, vcc, s10, v3
	s_cmp_lt_i32 s15, 11
	v_addc_co_u32_e32 v1, vcc, v4, v1, vcc
	s_cbranch_scc1 .LBB118_1239
; %bb.1233:
	s_cmp_gt_i32 s15, 25
	s_mov_b64 s[20:21], 0
	s_cbranch_scc0 .LBB118_1241
; %bb.1234:
	s_cmp_gt_i32 s15, 28
	s_cbranch_scc0 .LBB118_1242
; %bb.1235:
	s_cmp_gt_i32 s15, 43
	;; [unrolled: 3-line block ×3, first 2 shown]
	s_cbranch_scc0 .LBB118_1245
; %bb.1237:
	s_cmp_eq_u32 s15, 46
	s_mov_b64 s[24:25], 0
	s_cbranch_scc0 .LBB118_1248
; %bb.1238:
	global_load_dword v4, v[0:1], off
	s_mov_b64 s[0:1], 0
	s_mov_b64 s[22:23], -1
	s_waitcnt vmcnt(0)
	v_lshlrev_b32_e32 v4, 16, v4
	v_cvt_f16_f32_e32 v4, v4
	s_branch .LBB118_1249
.LBB118_1239:
	s_mov_b64 s[22:23], 0
                                        ; implicit-def: $vgpr4
	s_cbranch_execnz .LBB118_1314
.LBB118_1240:
	s_andn2_b64 vcc, exec, s[22:23]
	s_cbranch_vccnz .LBB118_1656
	s_branch .LBB118_1361
.LBB118_1241:
	s_mov_b64 s[22:23], 0
	s_mov_b64 s[0:1], 0
                                        ; implicit-def: $vgpr4
	s_cbranch_execnz .LBB118_1278
	s_branch .LBB118_1310
.LBB118_1242:
	s_mov_b64 s[24:25], -1
	s_mov_b64 s[22:23], 0
	s_mov_b64 s[0:1], 0
                                        ; implicit-def: $vgpr4
	s_branch .LBB118_1259
.LBB118_1243:
	s_mov_b64 s[24:25], -1
	s_mov_b64 s[22:23], 0
	s_mov_b64 s[0:1], 0
                                        ; implicit-def: $vgpr4
	s_branch .LBB118_1254
.LBB118_1244:
	s_or_b64 s[18:19], s[16:17], exec
	s_trap 2
	s_cbranch_execz .LBB118_1170
	s_branch .LBB118_1171
.LBB118_1245:
	s_mov_b64 s[24:25], -1
	s_mov_b64 s[22:23], 0
	s_mov_b64 s[0:1], 0
                                        ; implicit-def: $vgpr4
	s_branch .LBB118_1249
.LBB118_1246:
	s_andn2_saveexec_b64 s[30:31], s[30:31]
	s_cbranch_execz .LBB118_1016
.LBB118_1247:
	v_add_f32_e32 v2, 0x42800000, v3
	v_and_b32_e32 v2, 0xff, v2
	v_cmp_ne_u32_e32 vcc, 0, v2
	s_andn2_b64 s[28:29], s[28:29], exec
	s_and_b64 s[36:37], vcc, exec
	s_or_b64 s[28:29], s[28:29], s[36:37]
	s_or_b64 exec, exec, s[30:31]
	v_mov_b32_e32 v4, 0
	s_and_saveexec_b64 s[30:31], s[28:29]
	s_cbranch_execnz .LBB118_1017
	s_branch .LBB118_1018
.LBB118_1248:
	s_mov_b64 s[0:1], -1
                                        ; implicit-def: $vgpr4
	s_mov_b64 s[22:23], 0
.LBB118_1249:
	s_and_b64 vcc, exec, s[24:25]
	s_cbranch_vccz .LBB118_1253
; %bb.1250:
	s_cmp_eq_u32 s15, 44
	s_cbranch_scc0 .LBB118_1252
; %bb.1251:
	global_load_ubyte v4, v[0:1], off
	s_movk_i32 s22, 0xff
	v_mov_b32_e32 v6, 0x7e00
	s_mov_b64 s[0:1], 0
	s_waitcnt vmcnt(0)
	v_lshlrev_b32_e32 v5, 23, v4
	v_cvt_f16_f32_e32 v5, v5
	v_cmp_ne_u32_e32 vcc, s22, v4
	s_mov_b64 s[22:23], -1
	v_cndmask_b32_e32 v5, v6, v5, vcc
	v_cmp_ne_u32_e32 vcc, 0, v4
	v_cndmask_b32_e32 v4, 0, v5, vcc
	s_branch .LBB118_1253
.LBB118_1252:
	s_mov_b64 s[0:1], -1
                                        ; implicit-def: $vgpr4
.LBB118_1253:
	s_mov_b64 s[24:25], 0
.LBB118_1254:
	s_and_b64 vcc, exec, s[24:25]
	s_cbranch_vccz .LBB118_1258
; %bb.1255:
	s_cmp_eq_u32 s15, 29
	s_cbranch_scc0 .LBB118_1257
; %bb.1256:
	global_load_dwordx2 v[4:5], v[0:1], off
	s_mov_b64 s[0:1], 0
	s_mov_b64 s[22:23], -1
	s_mov_b64 s[24:25], 0
	s_waitcnt vmcnt(0)
	v_ffbh_u32_e32 v6, v5
	v_min_u32_e32 v6, 32, v6
	v_lshlrev_b64 v[4:5], v6, v[4:5]
	v_min_u32_e32 v4, 1, v4
	v_or_b32_e32 v4, v5, v4
	v_cvt_f32_u32_e32 v4, v4
	v_sub_u32_e32 v5, 32, v6
	v_ldexp_f32 v4, v4, v5
	v_cvt_f16_f32_e32 v4, v4
	s_branch .LBB118_1259
.LBB118_1257:
	s_mov_b64 s[0:1], -1
                                        ; implicit-def: $vgpr4
.LBB118_1258:
	s_mov_b64 s[24:25], 0
.LBB118_1259:
	s_and_b64 vcc, exec, s[24:25]
	s_cbranch_vccz .LBB118_1277
; %bb.1260:
	s_cmp_lt_i32 s15, 27
	s_cbranch_scc1 .LBB118_1263
; %bb.1261:
	s_cmp_gt_i32 s15, 27
	s_cbranch_scc0 .LBB118_1264
; %bb.1262:
	global_load_dword v4, v[0:1], off
	s_mov_b64 s[22:23], 0
	s_waitcnt vmcnt(0)
	v_cvt_f32_u32_e32 v4, v4
	v_cvt_f16_f32_e32 v4, v4
	s_branch .LBB118_1265
.LBB118_1263:
	s_mov_b64 s[22:23], -1
                                        ; implicit-def: $vgpr4
	s_branch .LBB118_1268
.LBB118_1264:
	s_mov_b64 s[22:23], -1
                                        ; implicit-def: $vgpr4
.LBB118_1265:
	s_andn2_b64 vcc, exec, s[22:23]
	s_cbranch_vccnz .LBB118_1267
; %bb.1266:
	global_load_ushort v4, v[0:1], off
	s_waitcnt vmcnt(0)
	v_cvt_f16_u16_e32 v4, v4
.LBB118_1267:
	s_mov_b64 s[22:23], 0
.LBB118_1268:
	s_andn2_b64 vcc, exec, s[22:23]
	s_cbranch_vccnz .LBB118_1276
; %bb.1269:
	global_load_ubyte v5, v[0:1], off
	s_movk_i32 s22, 0x7f
	s_waitcnt vmcnt(0)
	v_cmp_lt_i16_e32 vcc, s22, v5
	s_mov_b64 s[22:23], 0
	s_and_saveexec_b64 s[24:25], vcc
	s_xor_b64 s[24:25], exec, s[24:25]
	s_cbranch_execz .LBB118_1289
; %bb.1270:
	s_movk_i32 s22, 0x80
	v_cmp_eq_u16_e32 vcc, s22, v5
	s_mov_b64 s[22:23], -1
	s_and_saveexec_b64 s[26:27], vcc
; %bb.1271:
	s_xor_b64 s[22:23], exec, -1
; %bb.1272:
	s_or_b64 exec, exec, s[26:27]
	s_and_b64 s[22:23], s[22:23], exec
	s_or_saveexec_b64 s[24:25], s[24:25]
	v_mov_b32_e32 v4, 0x7e00
	s_xor_b64 exec, exec, s[24:25]
	s_cbranch_execnz .LBB118_1290
.LBB118_1273:
	s_or_b64 exec, exec, s[24:25]
	s_and_saveexec_b64 s[24:25], s[22:23]
	s_cbranch_execz .LBB118_1275
.LBB118_1274:
	v_lshlrev_b32_e32 v4, 24, v5
	v_and_b32_e32 v5, 0xffff, v5
	v_and_b32_e32 v6, 7, v5
	v_ffbh_u32_e32 v8, v6
	v_min_u32_e32 v8, 32, v8
	v_subrev_u32_e32 v9, 28, v8
	v_bfe_u32 v7, v5, 3, 4
	v_lshlrev_b32_e32 v5, v9, v5
	v_sub_u32_e32 v8, 29, v8
	v_and_b32_e32 v5, 7, v5
	v_cmp_eq_u32_e32 vcc, 0, v7
	v_cndmask_b32_e32 v7, v7, v8, vcc
	v_cndmask_b32_e32 v5, v6, v5, vcc
	v_mov_b32_e32 v6, 0x3b800000
	v_lshlrev_b32_e32 v5, 20, v5
	v_and_b32_e32 v4, 0x80000000, v4
	v_lshl_add_u32 v6, v7, 23, v6
	v_or3_b32 v4, v4, v6, v5
	v_cvt_f16_f32_e32 v4, v4
.LBB118_1275:
	s_or_b64 exec, exec, s[24:25]
.LBB118_1276:
	s_mov_b64 s[22:23], -1
.LBB118_1277:
	s_branch .LBB118_1310
.LBB118_1278:
	s_cmp_gt_i32 s15, 22
	s_cbranch_scc0 .LBB118_1288
; %bb.1279:
	s_cmp_lt_i32 s15, 24
	s_cbranch_scc1 .LBB118_1291
; %bb.1280:
	s_cmp_gt_i32 s15, 24
	s_cbranch_scc0 .LBB118_1292
; %bb.1281:
	global_load_ubyte v5, v[0:1], off
	s_movk_i32 s20, 0x7f
	s_waitcnt vmcnt(0)
	v_cmp_lt_i16_e32 vcc, s20, v5
	s_mov_b64 s[20:21], 0
	s_and_saveexec_b64 s[22:23], vcc
	s_xor_b64 s[22:23], exec, s[22:23]
	s_cbranch_execz .LBB118_1304
; %bb.1282:
	s_movk_i32 s20, 0x80
	v_cmp_eq_u16_e32 vcc, s20, v5
	s_mov_b64 s[20:21], -1
	s_and_saveexec_b64 s[24:25], vcc
; %bb.1283:
	s_xor_b64 s[20:21], exec, -1
; %bb.1284:
	s_or_b64 exec, exec, s[24:25]
	s_and_b64 s[20:21], s[20:21], exec
	s_or_saveexec_b64 s[22:23], s[22:23]
	v_mov_b32_e32 v4, 0x7e00
	s_xor_b64 exec, exec, s[22:23]
	s_cbranch_execnz .LBB118_1305
.LBB118_1285:
	s_or_b64 exec, exec, s[22:23]
	s_and_saveexec_b64 s[22:23], s[20:21]
	s_cbranch_execz .LBB118_1287
.LBB118_1286:
	v_lshlrev_b32_e32 v4, 24, v5
	v_and_b32_e32 v5, 0xffff, v5
	v_and_b32_e32 v6, 3, v5
	v_ffbh_u32_e32 v8, v6
	v_min_u32_e32 v8, 32, v8
	v_subrev_u32_e32 v9, 29, v8
	v_bfe_u32 v7, v5, 2, 5
	v_lshlrev_b32_e32 v5, v9, v5
	v_sub_u32_e32 v8, 30, v8
	v_and_b32_e32 v5, 3, v5
	v_cmp_eq_u32_e32 vcc, 0, v7
	v_cndmask_b32_e32 v7, v7, v8, vcc
	v_cndmask_b32_e32 v5, v6, v5, vcc
	v_mov_b32_e32 v6, 0x37800000
	v_lshlrev_b32_e32 v5, 21, v5
	v_and_b32_e32 v4, 0x80000000, v4
	v_lshl_add_u32 v6, v7, 23, v6
	v_or3_b32 v4, v4, v6, v5
	v_cvt_f16_f32_e32 v4, v4
.LBB118_1287:
	s_or_b64 exec, exec, s[22:23]
	s_mov_b64 s[20:21], 0
	s_branch .LBB118_1293
.LBB118_1288:
	s_mov_b64 s[20:21], -1
                                        ; implicit-def: $vgpr4
	s_branch .LBB118_1299
.LBB118_1289:
	s_or_saveexec_b64 s[24:25], s[24:25]
	v_mov_b32_e32 v4, 0x7e00
	s_xor_b64 exec, exec, s[24:25]
	s_cbranch_execz .LBB118_1273
.LBB118_1290:
	v_cmp_ne_u16_e32 vcc, 0, v5
	s_andn2_b64 s[22:23], s[22:23], exec
	s_and_b64 s[26:27], vcc, exec
	s_or_b64 s[22:23], s[22:23], s[26:27]
	v_mov_b32_e32 v4, v5
	s_or_b64 exec, exec, s[24:25]
	s_and_saveexec_b64 s[24:25], s[22:23]
	s_cbranch_execnz .LBB118_1274
	s_branch .LBB118_1275
.LBB118_1291:
	s_mov_b64 s[20:21], -1
                                        ; implicit-def: $vgpr4
	s_branch .LBB118_1296
.LBB118_1292:
	s_mov_b64 s[20:21], -1
                                        ; implicit-def: $vgpr4
.LBB118_1293:
	s_and_b64 vcc, exec, s[20:21]
	s_cbranch_vccz .LBB118_1295
; %bb.1294:
	global_load_ubyte v4, v[0:1], off
	s_mov_b32 s20, 0x7f800000
	s_waitcnt vmcnt(0)
	v_lshlrev_b32_e32 v4, 24, v4
	v_and_b32_e32 v5, 0x7f000000, v4
	v_ffbh_u32_e32 v6, v5
	v_min_u32_e32 v6, 32, v6
	v_sub_u32_e64 v6, v6, 4 clamp
	v_lshlrev_b32_e32 v8, v6, v5
	v_lshlrev_b32_e32 v6, 23, v6
	v_lshrrev_b32_e32 v8, 4, v8
	v_add_u32_e32 v7, 0x1000000, v5
	v_sub_u32_e32 v6, v8, v6
	v_ashrrev_i32_e32 v7, 8, v7
	v_add_u32_e32 v6, 0x3c000000, v6
	v_and_or_b32 v6, v7, s20, v6
	v_cmp_ne_u32_e32 vcc, 0, v5
	v_cndmask_b32_e32 v5, 0, v6, vcc
	s_brev_b32 s20, 1
	v_and_or_b32 v4, v4, s20, v5
	v_cvt_f16_f32_e32 v4, v4
.LBB118_1295:
	s_mov_b64 s[20:21], 0
.LBB118_1296:
	s_andn2_b64 vcc, exec, s[20:21]
	s_cbranch_vccnz .LBB118_1298
; %bb.1297:
	global_load_ubyte v4, v[0:1], off
	s_movk_i32 s20, 0x7f00
	s_brev_b32 s21, 16
	s_waitcnt vmcnt(0)
	v_lshlrev_b16_e32 v5, 8, v4
	v_lshlrev_b32_e32 v4, 25, v4
	v_lshrrev_b32_e32 v6, 4, v4
	v_and_or_b32 v7, v5, s20, 0.5
	v_or_b32_e32 v6, 0x70000000, v6
	v_add_f32_e32 v7, -0.5, v7
	v_mul_f32_e32 v6, 0x7800000, v6
	v_cmp_gt_u32_e32 vcc, s21, v4
	v_bfe_i32 v5, v5, 0, 16
	v_cndmask_b32_e32 v4, v6, v7, vcc
	s_brev_b32 s20, 1
	v_and_or_b32 v4, v5, s20, v4
	v_cvt_f16_f32_e32 v4, v4
.LBB118_1298:
	s_mov_b64 s[20:21], 0
	s_mov_b64 s[22:23], -1
.LBB118_1299:
	s_andn2_b64 vcc, exec, s[20:21]
	s_mov_b64 s[20:21], 0
	s_cbranch_vccnz .LBB118_1310
; %bb.1300:
	s_cmp_gt_i32 s15, 14
	s_cbranch_scc0 .LBB118_1303
; %bb.1301:
	s_cmp_eq_u32 s15, 15
	s_cbranch_scc0 .LBB118_1306
; %bb.1302:
	global_load_ushort v4, v[0:1], off
	s_mov_b64 s[0:1], 0
	s_mov_b64 s[22:23], -1
	s_waitcnt vmcnt(0)
	v_lshlrev_b32_e32 v4, 16, v4
	v_cvt_f16_f32_e32 v4, v4
	s_branch .LBB118_1307
.LBB118_1303:
	s_mov_b64 s[24:25], -1
                                        ; implicit-def: $vgpr4
	s_branch .LBB118_1308
.LBB118_1304:
	s_or_saveexec_b64 s[22:23], s[22:23]
	v_mov_b32_e32 v4, 0x7e00
	s_xor_b64 exec, exec, s[22:23]
	s_cbranch_execz .LBB118_1285
.LBB118_1305:
	v_cmp_ne_u16_e32 vcc, 0, v5
	s_andn2_b64 s[20:21], s[20:21], exec
	s_and_b64 s[24:25], vcc, exec
	s_or_b64 s[20:21], s[20:21], s[24:25]
	v_mov_b32_e32 v4, v5
	s_or_b64 exec, exec, s[22:23]
	s_and_saveexec_b64 s[22:23], s[20:21]
	s_cbranch_execnz .LBB118_1286
	s_branch .LBB118_1287
.LBB118_1306:
	s_mov_b64 s[0:1], -1
                                        ; implicit-def: $vgpr4
.LBB118_1307:
	s_mov_b64 s[24:25], 0
.LBB118_1308:
	s_and_b64 vcc, exec, s[24:25]
	s_cbranch_vccz .LBB118_1310
; %bb.1309:
	s_cmp_lg_u32 s15, 11
	s_mov_b64 s[20:21], -1
	s_cselect_b64 s[0:1], -1, 0
.LBB118_1310:
	s_and_b64 vcc, exec, s[0:1]
	s_cbranch_vccnz .LBB118_1389
; %bb.1311:
	s_andn2_b64 vcc, exec, s[20:21]
	s_cbranch_vccnz .LBB118_1313
.LBB118_1312:
	global_load_ubyte v4, v[0:1], off
	v_mov_b32_e32 v5, 0x3c00
	s_mov_b64 s[22:23], -1
	s_waitcnt vmcnt(0)
	v_cmp_ne_u16_e32 vcc, 0, v4
	v_cndmask_b32_e32 v4, 0, v5, vcc
.LBB118_1313:
	s_branch .LBB118_1240
.LBB118_1314:
	s_cmp_lt_i32 s15, 5
	s_cbranch_scc1 .LBB118_1319
; %bb.1315:
	s_cmp_lt_i32 s15, 8
	s_cbranch_scc1 .LBB118_1320
; %bb.1316:
	s_cmp_lt_i32 s15, 9
	s_cbranch_scc1 .LBB118_1321
; %bb.1317:
	s_cmp_gt_i32 s15, 9
	s_cbranch_scc0 .LBB118_1322
; %bb.1318:
	global_load_dwordx2 v[4:5], v[0:1], off
	s_movk_i32 s0, 0x1ff
	s_movk_i32 s1, 0xffe
	v_mov_b32_e32 v6, 0x7c00
	v_mov_b32_e32 v7, 0x7e00
	s_movk_i32 s20, 0x40f
	s_mov_b32 s21, 0x8000
	s_waitcnt vmcnt(0)
	v_and_or_b32 v4, v5, s0, v4
	v_cmp_ne_u32_e32 vcc, 0, v4
	v_lshrrev_b32_e32 v8, 8, v5
	v_bfe_u32 v9, v5, 20, 11
	v_cndmask_b32_e64 v4, 0, 1, vcc
	v_sub_u32_e32 v10, 0x3f1, v9
	v_and_or_b32 v4, v8, s1, v4
	v_add_u32_e32 v9, 0xfffffc10, v9
	v_med3_i32 v8, v10, 0, 13
	v_or_b32_e32 v10, 0x1000, v4
	v_cmp_ne_u32_e32 vcc, 0, v4
	v_lshl_or_b32 v11, v9, 12, v4
	v_cndmask_b32_e32 v4, v6, v7, vcc
	v_lshrrev_b32_e32 v7, v8, v10
	v_lshlrev_b32_e32 v8, v8, v7
	v_cmp_ne_u32_e32 vcc, v8, v10
	v_cndmask_b32_e64 v8, 0, 1, vcc
	v_or_b32_e32 v7, v7, v8
	v_cmp_gt_i32_e32 vcc, 1, v9
	v_cndmask_b32_e32 v7, v11, v7, vcc
	v_and_b32_e32 v8, 7, v7
	v_cmp_lt_i32_e32 vcc, 5, v8
	v_cndmask_b32_e64 v10, 0, 1, vcc
	v_cmp_eq_u32_e32 vcc, 3, v8
	v_cndmask_b32_e64 v8, 0, 1, vcc
	v_lshrrev_b32_e32 v7, 2, v7
	v_or_b32_e32 v8, v8, v10
	v_add_u32_e32 v7, v7, v8
	v_cmp_gt_i32_e32 vcc, 31, v9
	v_cndmask_b32_e32 v6, v6, v7, vcc
	v_cmp_eq_u32_e32 vcc, s20, v9
	v_lshrrev_b32_e32 v5, 16, v5
	v_cndmask_b32_e32 v4, v6, v4, vcc
	v_and_or_b32 v4, v5, s21, v4
	s_mov_b64 s[0:1], 0
	s_branch .LBB118_1323
.LBB118_1319:
                                        ; implicit-def: $vgpr4
	s_branch .LBB118_1341
.LBB118_1320:
	s_mov_b64 s[0:1], -1
                                        ; implicit-def: $vgpr4
	s_branch .LBB118_1329
.LBB118_1321:
	s_mov_b64 s[0:1], -1
                                        ; implicit-def: $vgpr4
	s_branch .LBB118_1326
.LBB118_1322:
	s_mov_b64 s[0:1], -1
                                        ; implicit-def: $vgpr4
.LBB118_1323:
	s_andn2_b64 vcc, exec, s[0:1]
	s_cbranch_vccnz .LBB118_1325
; %bb.1324:
	global_load_dword v4, v[0:1], off
	s_waitcnt vmcnt(0)
	v_cvt_f16_f32_e32 v4, v4
.LBB118_1325:
	s_mov_b64 s[0:1], 0
.LBB118_1326:
	s_andn2_b64 vcc, exec, s[0:1]
	s_cbranch_vccnz .LBB118_1328
; %bb.1327:
	global_load_dword v4, v[0:1], off
.LBB118_1328:
	s_mov_b64 s[0:1], 0
.LBB118_1329:
	s_andn2_b64 vcc, exec, s[0:1]
	s_cbranch_vccnz .LBB118_1340
; %bb.1330:
	s_cmp_lt_i32 s15, 6
	s_cbranch_scc1 .LBB118_1333
; %bb.1331:
	s_cmp_gt_i32 s15, 6
	s_cbranch_scc0 .LBB118_1334
; %bb.1332:
	global_load_dwordx2 v[4:5], v[0:1], off
	s_movk_i32 s0, 0x1ff
	s_movk_i32 s1, 0xffe
	v_mov_b32_e32 v6, 0x7c00
	v_mov_b32_e32 v7, 0x7e00
	s_movk_i32 s20, 0x40f
	s_mov_b32 s21, 0x8000
	s_waitcnt vmcnt(0)
	v_and_or_b32 v4, v5, s0, v4
	v_cmp_ne_u32_e32 vcc, 0, v4
	v_lshrrev_b32_e32 v8, 8, v5
	v_bfe_u32 v9, v5, 20, 11
	v_cndmask_b32_e64 v4, 0, 1, vcc
	v_sub_u32_e32 v10, 0x3f1, v9
	v_and_or_b32 v4, v8, s1, v4
	v_add_u32_e32 v9, 0xfffffc10, v9
	v_med3_i32 v8, v10, 0, 13
	v_or_b32_e32 v10, 0x1000, v4
	v_cmp_ne_u32_e32 vcc, 0, v4
	v_lshl_or_b32 v11, v9, 12, v4
	v_cndmask_b32_e32 v4, v6, v7, vcc
	v_lshrrev_b32_e32 v7, v8, v10
	v_lshlrev_b32_e32 v8, v8, v7
	v_cmp_ne_u32_e32 vcc, v8, v10
	v_cndmask_b32_e64 v8, 0, 1, vcc
	v_or_b32_e32 v7, v7, v8
	v_cmp_gt_i32_e32 vcc, 1, v9
	v_cndmask_b32_e32 v7, v11, v7, vcc
	v_and_b32_e32 v8, 7, v7
	v_cmp_lt_i32_e32 vcc, 5, v8
	v_cndmask_b32_e64 v10, 0, 1, vcc
	v_cmp_eq_u32_e32 vcc, 3, v8
	v_cndmask_b32_e64 v8, 0, 1, vcc
	v_lshrrev_b32_e32 v7, 2, v7
	v_or_b32_e32 v8, v8, v10
	v_add_u32_e32 v7, v7, v8
	v_cmp_gt_i32_e32 vcc, 31, v9
	v_cndmask_b32_e32 v6, v6, v7, vcc
	v_cmp_eq_u32_e32 vcc, s20, v9
	v_lshrrev_b32_e32 v5, 16, v5
	v_cndmask_b32_e32 v4, v6, v4, vcc
	v_and_or_b32 v4, v5, s21, v4
	s_mov_b64 s[0:1], 0
	s_branch .LBB118_1335
.LBB118_1333:
	s_mov_b64 s[0:1], -1
                                        ; implicit-def: $vgpr4
	s_branch .LBB118_1338
.LBB118_1334:
	s_mov_b64 s[0:1], -1
                                        ; implicit-def: $vgpr4
.LBB118_1335:
	s_andn2_b64 vcc, exec, s[0:1]
	s_cbranch_vccnz .LBB118_1337
; %bb.1336:
	global_load_dword v4, v[0:1], off
	s_waitcnt vmcnt(0)
	v_cvt_f16_f32_e32 v4, v4
.LBB118_1337:
	s_mov_b64 s[0:1], 0
.LBB118_1338:
	s_andn2_b64 vcc, exec, s[0:1]
	s_cbranch_vccnz .LBB118_1340
; %bb.1339:
	global_load_ushort v4, v[0:1], off
.LBB118_1340:
	s_cbranch_execnz .LBB118_1360
.LBB118_1341:
	s_cmp_lt_i32 s15, 2
	s_cbranch_scc1 .LBB118_1345
; %bb.1342:
	s_cmp_lt_i32 s15, 3
	s_cbranch_scc1 .LBB118_1346
; %bb.1343:
	s_cmp_gt_i32 s15, 3
	s_cbranch_scc0 .LBB118_1347
; %bb.1344:
	global_load_dwordx2 v[4:5], v[0:1], off
	s_mov_b64 s[0:1], 0
	s_waitcnt vmcnt(0)
	v_xor_b32_e32 v7, v4, v5
	v_ffbh_i32_e32 v6, v5
	v_ashrrev_i32_e32 v7, 31, v7
	v_add_u32_e32 v6, -1, v6
	v_add_u32_e32 v7, 32, v7
	v_min_u32_e32 v6, v6, v7
	v_lshlrev_b64 v[4:5], v6, v[4:5]
	v_min_u32_e32 v4, 1, v4
	v_or_b32_e32 v4, v5, v4
	v_cvt_f32_i32_e32 v4, v4
	v_sub_u32_e32 v5, 32, v6
	v_ldexp_f32 v4, v4, v5
	v_cvt_f16_f32_e32 v4, v4
	s_branch .LBB118_1348
.LBB118_1345:
	s_mov_b64 s[0:1], -1
                                        ; implicit-def: $vgpr4
	s_branch .LBB118_1354
.LBB118_1346:
	s_mov_b64 s[0:1], -1
                                        ; implicit-def: $vgpr4
	s_branch .LBB118_1351
.LBB118_1347:
	s_mov_b64 s[0:1], -1
                                        ; implicit-def: $vgpr4
.LBB118_1348:
	s_andn2_b64 vcc, exec, s[0:1]
	s_cbranch_vccnz .LBB118_1350
; %bb.1349:
	global_load_dword v4, v[0:1], off
	s_waitcnt vmcnt(0)
	v_cvt_f32_i32_e32 v4, v4
	v_cvt_f16_f32_e32 v4, v4
.LBB118_1350:
	s_mov_b64 s[0:1], 0
.LBB118_1351:
	s_andn2_b64 vcc, exec, s[0:1]
	s_cbranch_vccnz .LBB118_1353
; %bb.1352:
	global_load_ushort v4, v[0:1], off
	s_waitcnt vmcnt(0)
	v_cvt_f16_i16_e32 v4, v4
.LBB118_1353:
	s_mov_b64 s[0:1], 0
.LBB118_1354:
	s_andn2_b64 vcc, exec, s[0:1]
	s_cbranch_vccnz .LBB118_1360
; %bb.1355:
	s_cmp_gt_i32 s15, 0
	s_cbranch_scc0 .LBB118_1357
; %bb.1356:
	global_load_sbyte v4, v[0:1], off
	s_mov_b64 s[0:1], 0
	s_waitcnt vmcnt(0)
	v_cvt_f16_i16_e32 v4, v4
	s_branch .LBB118_1358
.LBB118_1357:
	s_mov_b64 s[0:1], -1
                                        ; implicit-def: $vgpr4
.LBB118_1358:
	s_andn2_b64 vcc, exec, s[0:1]
	s_cbranch_vccnz .LBB118_1360
; %bb.1359:
	global_load_ubyte v0, v[0:1], off
	s_waitcnt vmcnt(0)
	v_cvt_f16_u16_e32 v4, v0
.LBB118_1360:
.LBB118_1361:
	s_cmp_lt_i32 s14, 1
	s_mov_b64 s[0:1], 0
	s_cbranch_scc1 .LBB118_1365
; %bb.1362:
	s_cmp_gt_i32 s14, 1
	s_cbranch_scc0 .LBB118_1366
; %bb.1363:
	s_cmp_eq_u32 s14, 2
	s_cbranch_scc0 .LBB118_1367
; %bb.1364:
	s_waitcnt vmcnt(0)
	v_cmp_ge_f16_e64 s[20:21], s2, v4
	s_mov_b64 s[22:23], 0
	s_branch .LBB118_1368
.LBB118_1365:
                                        ; implicit-def: $sgpr20_sgpr21
	s_mov_b64 s[22:23], 0
	s_cbranch_execnz .LBB118_1372
	s_branch .LBB118_1373
.LBB118_1366:
	s_mov_b64 s[24:25], -1
	s_mov_b64 s[22:23], 0
                                        ; implicit-def: $sgpr20_sgpr21
	s_branch .LBB118_1369
.LBB118_1367:
	s_mov_b64 s[22:23], -1
                                        ; implicit-def: $sgpr20_sgpr21
.LBB118_1368:
	s_mov_b64 s[24:25], 0
.LBB118_1369:
	s_and_b64 vcc, exec, s[24:25]
	s_cbranch_vccz .LBB118_1371
; %bb.1370:
	s_waitcnt vmcnt(0)
	v_cmp_lt_f16_e32 vcc, s2, v4
	s_andn2_b64 s[20:21], s[20:21], exec
	s_and_b64 s[24:25], vcc, exec
	s_or_b64 s[20:21], s[20:21], s[24:25]
.LBB118_1371:
	s_branch .LBB118_1373
.LBB118_1372:
	s_cmp_lg_u32 s14, 0
	s_mov_b64 s[0:1], -1
	s_cselect_b64 s[22:23], -1, 0
.LBB118_1373:
	s_andn2_b64 vcc, exec, s[22:23]
	s_cbranch_vccnz .LBB118_1375
; %bb.1374:
	s_waitcnt vmcnt(0)
	v_cmp_gt_f16_e32 vcc, s2, v4
	s_andn2_b64 s[20:21], s[20:21], exec
	s_and_b64 s[22:23], vcc, exec
	s_or_b64 s[20:21], s[20:21], s[22:23]
	s_cbranch_execz .LBB118_1376
	s_branch .LBB118_1377
.LBB118_1375:
	s_andn2_b64 vcc, exec, s[0:1]
	s_cbranch_vccnz .LBB118_1377
.LBB118_1376:
	s_waitcnt vmcnt(0)
	v_cmp_le_f16_e32 vcc, s2, v4
	s_andn2_b64 s[0:1], s[20:21], exec
	s_and_b64 s[20:21], vcc, exec
	s_or_b64 s[20:21], s[0:1], s[20:21]
.LBB118_1377:
	v_add_u32_e32 v3, s13, v3
	v_ashrrev_i32_e32 v1, 31, v3
	s_waitcnt vmcnt(0)
	v_mov_b32_e32 v4, s11
	v_add_co_u32_e32 v0, vcc, s10, v3
	s_cmp_lt_i32 s15, 11
	v_addc_co_u32_e32 v1, vcc, v4, v1, vcc
	s_cbranch_scc1 .LBB118_1384
; %bb.1378:
	s_cmp_gt_i32 s15, 25
	s_mov_b64 s[22:23], 0
	s_cbranch_scc0 .LBB118_1386
; %bb.1379:
	s_cmp_gt_i32 s15, 28
	s_cbranch_scc0 .LBB118_1387
; %bb.1380:
	s_cmp_gt_i32 s15, 43
	;; [unrolled: 3-line block ×3, first 2 shown]
	s_cbranch_scc0 .LBB118_1390
; %bb.1382:
	s_cmp_eq_u32 s15, 46
	s_mov_b64 s[26:27], 0
	s_cbranch_scc0 .LBB118_1391
; %bb.1383:
	global_load_dword v4, v[0:1], off
	s_mov_b64 s[0:1], 0
	s_mov_b64 s[24:25], -1
	s_waitcnt vmcnt(0)
	v_lshlrev_b32_e32 v4, 16, v4
	v_cvt_f16_f32_e32 v4, v4
	s_branch .LBB118_1392
.LBB118_1384:
	s_mov_b64 s[24:25], 0
                                        ; implicit-def: $vgpr4
	s_cbranch_execnz .LBB118_1458
.LBB118_1385:
	s_andn2_b64 vcc, exec, s[24:25]
	s_cbranch_vccnz .LBB118_1656
	s_branch .LBB118_1506
.LBB118_1386:
	s_mov_b64 s[26:27], -1
	s_mov_b64 s[24:25], 0
	s_mov_b64 s[0:1], 0
                                        ; implicit-def: $vgpr4
	s_branch .LBB118_1421
.LBB118_1387:
	s_mov_b64 s[26:27], -1
	s_mov_b64 s[24:25], 0
	s_mov_b64 s[0:1], 0
                                        ; implicit-def: $vgpr4
	s_branch .LBB118_1402
.LBB118_1388:
	s_mov_b64 s[26:27], -1
	s_mov_b64 s[24:25], 0
	s_mov_b64 s[0:1], 0
                                        ; implicit-def: $vgpr4
	s_branch .LBB118_1397
.LBB118_1389:
	s_trap 2
	s_or_b64 s[18:19], s[18:19], exec
	s_cbranch_execz .LBB118_1312
	s_branch .LBB118_1313
.LBB118_1390:
	s_mov_b64 s[26:27], -1
	s_mov_b64 s[24:25], 0
	s_mov_b64 s[0:1], 0
                                        ; implicit-def: $vgpr4
	s_branch .LBB118_1392
.LBB118_1391:
	s_mov_b64 s[0:1], -1
                                        ; implicit-def: $vgpr4
	s_mov_b64 s[24:25], 0
.LBB118_1392:
	s_and_b64 vcc, exec, s[26:27]
	s_cbranch_vccz .LBB118_1396
; %bb.1393:
	s_cmp_eq_u32 s15, 44
	s_cbranch_scc0 .LBB118_1395
; %bb.1394:
	global_load_ubyte v4, v[0:1], off
	s_movk_i32 s24, 0xff
	v_mov_b32_e32 v6, 0x7e00
	s_mov_b64 s[0:1], 0
	s_waitcnt vmcnt(0)
	v_lshlrev_b32_e32 v5, 23, v4
	v_cvt_f16_f32_e32 v5, v5
	v_cmp_ne_u32_e32 vcc, s24, v4
	s_mov_b64 s[24:25], -1
	v_cndmask_b32_e32 v5, v6, v5, vcc
	v_cmp_ne_u32_e32 vcc, 0, v4
	v_cndmask_b32_e32 v4, 0, v5, vcc
	s_branch .LBB118_1396
.LBB118_1395:
	s_mov_b64 s[0:1], -1
                                        ; implicit-def: $vgpr4
.LBB118_1396:
	s_mov_b64 s[26:27], 0
.LBB118_1397:
	s_and_b64 vcc, exec, s[26:27]
	s_cbranch_vccz .LBB118_1401
; %bb.1398:
	s_cmp_eq_u32 s15, 29
	s_cbranch_scc0 .LBB118_1400
; %bb.1399:
	global_load_dwordx2 v[4:5], v[0:1], off
	s_mov_b64 s[0:1], 0
	s_mov_b64 s[24:25], -1
	s_mov_b64 s[26:27], 0
	s_waitcnt vmcnt(0)
	v_ffbh_u32_e32 v6, v5
	v_min_u32_e32 v6, 32, v6
	v_lshlrev_b64 v[4:5], v6, v[4:5]
	v_min_u32_e32 v4, 1, v4
	v_or_b32_e32 v4, v5, v4
	v_cvt_f32_u32_e32 v4, v4
	v_sub_u32_e32 v5, 32, v6
	v_ldexp_f32 v4, v4, v5
	v_cvt_f16_f32_e32 v4, v4
	s_branch .LBB118_1402
.LBB118_1400:
	s_mov_b64 s[0:1], -1
                                        ; implicit-def: $vgpr4
.LBB118_1401:
	s_mov_b64 s[26:27], 0
.LBB118_1402:
	s_and_b64 vcc, exec, s[26:27]
	s_cbranch_vccz .LBB118_1420
; %bb.1403:
	s_cmp_lt_i32 s15, 27
	s_cbranch_scc1 .LBB118_1406
; %bb.1404:
	s_cmp_gt_i32 s15, 27
	s_cbranch_scc0 .LBB118_1407
; %bb.1405:
	global_load_dword v4, v[0:1], off
	s_mov_b64 s[24:25], 0
	s_waitcnt vmcnt(0)
	v_cvt_f32_u32_e32 v4, v4
	v_cvt_f16_f32_e32 v4, v4
	s_branch .LBB118_1408
.LBB118_1406:
	s_mov_b64 s[24:25], -1
                                        ; implicit-def: $vgpr4
	s_branch .LBB118_1411
.LBB118_1407:
	s_mov_b64 s[24:25], -1
                                        ; implicit-def: $vgpr4
.LBB118_1408:
	s_andn2_b64 vcc, exec, s[24:25]
	s_cbranch_vccnz .LBB118_1410
; %bb.1409:
	global_load_ushort v4, v[0:1], off
	s_waitcnt vmcnt(0)
	v_cvt_f16_u16_e32 v4, v4
.LBB118_1410:
	s_mov_b64 s[24:25], 0
.LBB118_1411:
	s_andn2_b64 vcc, exec, s[24:25]
	s_cbranch_vccnz .LBB118_1419
; %bb.1412:
	global_load_ubyte v5, v[0:1], off
	s_movk_i32 s24, 0x7f
	s_waitcnt vmcnt(0)
	v_cmp_lt_i16_e32 vcc, s24, v5
	s_mov_b64 s[24:25], 0
	s_and_saveexec_b64 s[26:27], vcc
	s_xor_b64 s[26:27], exec, s[26:27]
	s_cbranch_execz .LBB118_1433
; %bb.1413:
	s_movk_i32 s24, 0x80
	v_cmp_eq_u16_e32 vcc, s24, v5
	s_mov_b64 s[24:25], -1
	s_and_saveexec_b64 s[28:29], vcc
; %bb.1414:
	s_xor_b64 s[24:25], exec, -1
; %bb.1415:
	s_or_b64 exec, exec, s[28:29]
	s_and_b64 s[24:25], s[24:25], exec
	s_or_saveexec_b64 s[26:27], s[26:27]
	v_mov_b32_e32 v4, 0x7e00
	s_xor_b64 exec, exec, s[26:27]
	s_cbranch_execnz .LBB118_1434
.LBB118_1416:
	s_or_b64 exec, exec, s[26:27]
	s_and_saveexec_b64 s[26:27], s[24:25]
	s_cbranch_execz .LBB118_1418
.LBB118_1417:
	v_lshlrev_b32_e32 v4, 24, v5
	v_and_b32_e32 v5, 0xffff, v5
	v_and_b32_e32 v6, 7, v5
	v_ffbh_u32_e32 v8, v6
	v_min_u32_e32 v8, 32, v8
	v_subrev_u32_e32 v9, 28, v8
	v_bfe_u32 v7, v5, 3, 4
	v_lshlrev_b32_e32 v5, v9, v5
	v_sub_u32_e32 v8, 29, v8
	v_and_b32_e32 v5, 7, v5
	v_cmp_eq_u32_e32 vcc, 0, v7
	v_cndmask_b32_e32 v7, v7, v8, vcc
	v_cndmask_b32_e32 v5, v6, v5, vcc
	v_mov_b32_e32 v6, 0x3b800000
	v_lshlrev_b32_e32 v5, 20, v5
	v_and_b32_e32 v4, 0x80000000, v4
	v_lshl_add_u32 v6, v7, 23, v6
	v_or3_b32 v4, v4, v6, v5
	v_cvt_f16_f32_e32 v4, v4
.LBB118_1418:
	s_or_b64 exec, exec, s[26:27]
.LBB118_1419:
	s_mov_b64 s[24:25], -1
.LBB118_1420:
	s_mov_b64 s[26:27], 0
.LBB118_1421:
	s_and_b64 vcc, exec, s[26:27]
	s_cbranch_vccz .LBB118_1454
; %bb.1422:
	s_cmp_gt_i32 s15, 22
	s_cbranch_scc0 .LBB118_1432
; %bb.1423:
	s_cmp_lt_i32 s15, 24
	s_cbranch_scc1 .LBB118_1435
; %bb.1424:
	s_cmp_gt_i32 s15, 24
	s_cbranch_scc0 .LBB118_1436
; %bb.1425:
	global_load_ubyte v5, v[0:1], off
	s_movk_i32 s22, 0x7f
	s_waitcnt vmcnt(0)
	v_cmp_lt_i16_e32 vcc, s22, v5
	s_mov_b64 s[22:23], 0
	s_and_saveexec_b64 s[24:25], vcc
	s_xor_b64 s[24:25], exec, s[24:25]
	s_cbranch_execz .LBB118_1448
; %bb.1426:
	s_movk_i32 s22, 0x80
	v_cmp_eq_u16_e32 vcc, s22, v5
	s_mov_b64 s[22:23], -1
	s_and_saveexec_b64 s[26:27], vcc
; %bb.1427:
	s_xor_b64 s[22:23], exec, -1
; %bb.1428:
	s_or_b64 exec, exec, s[26:27]
	s_and_b64 s[22:23], s[22:23], exec
	s_or_saveexec_b64 s[24:25], s[24:25]
	v_mov_b32_e32 v4, 0x7e00
	s_xor_b64 exec, exec, s[24:25]
	s_cbranch_execnz .LBB118_1449
.LBB118_1429:
	s_or_b64 exec, exec, s[24:25]
	s_and_saveexec_b64 s[24:25], s[22:23]
	s_cbranch_execz .LBB118_1431
.LBB118_1430:
	v_lshlrev_b32_e32 v4, 24, v5
	v_and_b32_e32 v5, 0xffff, v5
	v_and_b32_e32 v6, 3, v5
	v_ffbh_u32_e32 v8, v6
	v_min_u32_e32 v8, 32, v8
	v_subrev_u32_e32 v9, 29, v8
	v_bfe_u32 v7, v5, 2, 5
	v_lshlrev_b32_e32 v5, v9, v5
	v_sub_u32_e32 v8, 30, v8
	v_and_b32_e32 v5, 3, v5
	v_cmp_eq_u32_e32 vcc, 0, v7
	v_cndmask_b32_e32 v7, v7, v8, vcc
	v_cndmask_b32_e32 v5, v6, v5, vcc
	v_mov_b32_e32 v6, 0x37800000
	v_lshlrev_b32_e32 v5, 21, v5
	v_and_b32_e32 v4, 0x80000000, v4
	v_lshl_add_u32 v6, v7, 23, v6
	v_or3_b32 v4, v4, v6, v5
	v_cvt_f16_f32_e32 v4, v4
.LBB118_1431:
	s_or_b64 exec, exec, s[24:25]
	s_mov_b64 s[22:23], 0
	s_branch .LBB118_1437
.LBB118_1432:
	s_mov_b64 s[22:23], -1
                                        ; implicit-def: $vgpr4
	s_branch .LBB118_1443
.LBB118_1433:
	s_or_saveexec_b64 s[26:27], s[26:27]
	v_mov_b32_e32 v4, 0x7e00
	s_xor_b64 exec, exec, s[26:27]
	s_cbranch_execz .LBB118_1416
.LBB118_1434:
	v_cmp_ne_u16_e32 vcc, 0, v5
	s_andn2_b64 s[24:25], s[24:25], exec
	s_and_b64 s[28:29], vcc, exec
	s_or_b64 s[24:25], s[24:25], s[28:29]
	v_mov_b32_e32 v4, v5
	s_or_b64 exec, exec, s[26:27]
	s_and_saveexec_b64 s[26:27], s[24:25]
	s_cbranch_execnz .LBB118_1417
	s_branch .LBB118_1418
.LBB118_1435:
	s_mov_b64 s[22:23], -1
                                        ; implicit-def: $vgpr4
	s_branch .LBB118_1440
.LBB118_1436:
	s_mov_b64 s[22:23], -1
                                        ; implicit-def: $vgpr4
.LBB118_1437:
	s_and_b64 vcc, exec, s[22:23]
	s_cbranch_vccz .LBB118_1439
; %bb.1438:
	global_load_ubyte v4, v[0:1], off
	s_mov_b32 s22, 0x7f800000
	s_waitcnt vmcnt(0)
	v_lshlrev_b32_e32 v4, 24, v4
	v_and_b32_e32 v5, 0x7f000000, v4
	v_ffbh_u32_e32 v6, v5
	v_min_u32_e32 v6, 32, v6
	v_sub_u32_e64 v6, v6, 4 clamp
	v_lshlrev_b32_e32 v8, v6, v5
	v_lshlrev_b32_e32 v6, 23, v6
	v_lshrrev_b32_e32 v8, 4, v8
	v_add_u32_e32 v7, 0x1000000, v5
	v_sub_u32_e32 v6, v8, v6
	v_ashrrev_i32_e32 v7, 8, v7
	v_add_u32_e32 v6, 0x3c000000, v6
	v_and_or_b32 v6, v7, s22, v6
	v_cmp_ne_u32_e32 vcc, 0, v5
	v_cndmask_b32_e32 v5, 0, v6, vcc
	s_brev_b32 s22, 1
	v_and_or_b32 v4, v4, s22, v5
	v_cvt_f16_f32_e32 v4, v4
.LBB118_1439:
	s_mov_b64 s[22:23], 0
.LBB118_1440:
	s_andn2_b64 vcc, exec, s[22:23]
	s_cbranch_vccnz .LBB118_1442
; %bb.1441:
	global_load_ubyte v4, v[0:1], off
	s_movk_i32 s22, 0x7f00
	s_brev_b32 s23, 16
	s_waitcnt vmcnt(0)
	v_lshlrev_b16_e32 v5, 8, v4
	v_lshlrev_b32_e32 v4, 25, v4
	v_lshrrev_b32_e32 v6, 4, v4
	v_and_or_b32 v7, v5, s22, 0.5
	v_or_b32_e32 v6, 0x70000000, v6
	v_add_f32_e32 v7, -0.5, v7
	v_mul_f32_e32 v6, 0x7800000, v6
	v_cmp_gt_u32_e32 vcc, s23, v4
	v_bfe_i32 v5, v5, 0, 16
	v_cndmask_b32_e32 v4, v6, v7, vcc
	s_brev_b32 s22, 1
	v_and_or_b32 v4, v5, s22, v4
	v_cvt_f16_f32_e32 v4, v4
.LBB118_1442:
	s_mov_b64 s[22:23], 0
	s_mov_b64 s[24:25], -1
.LBB118_1443:
	s_andn2_b64 vcc, exec, s[22:23]
	s_mov_b64 s[22:23], 0
	s_cbranch_vccnz .LBB118_1454
; %bb.1444:
	s_cmp_gt_i32 s15, 14
	s_cbranch_scc0 .LBB118_1447
; %bb.1445:
	s_cmp_eq_u32 s15, 15
	s_cbranch_scc0 .LBB118_1450
; %bb.1446:
	global_load_ushort v4, v[0:1], off
	s_mov_b64 s[0:1], 0
	s_mov_b64 s[24:25], -1
	s_waitcnt vmcnt(0)
	v_lshlrev_b32_e32 v4, 16, v4
	v_cvt_f16_f32_e32 v4, v4
	s_branch .LBB118_1451
.LBB118_1447:
	s_mov_b64 s[26:27], -1
                                        ; implicit-def: $vgpr4
	s_branch .LBB118_1452
.LBB118_1448:
	s_or_saveexec_b64 s[24:25], s[24:25]
	v_mov_b32_e32 v4, 0x7e00
	s_xor_b64 exec, exec, s[24:25]
	s_cbranch_execz .LBB118_1429
.LBB118_1449:
	v_cmp_ne_u16_e32 vcc, 0, v5
	s_andn2_b64 s[22:23], s[22:23], exec
	s_and_b64 s[26:27], vcc, exec
	s_or_b64 s[22:23], s[22:23], s[26:27]
	v_mov_b32_e32 v4, v5
	s_or_b64 exec, exec, s[24:25]
	s_and_saveexec_b64 s[24:25], s[22:23]
	s_cbranch_execnz .LBB118_1430
	s_branch .LBB118_1431
.LBB118_1450:
	s_mov_b64 s[0:1], -1
                                        ; implicit-def: $vgpr4
.LBB118_1451:
	s_mov_b64 s[26:27], 0
.LBB118_1452:
	s_and_b64 vcc, exec, s[26:27]
	s_cbranch_vccz .LBB118_1454
; %bb.1453:
	s_cmp_lg_u32 s15, 11
	s_mov_b64 s[22:23], -1
	s_cselect_b64 s[0:1], -1, 0
.LBB118_1454:
	s_and_b64 vcc, exec, s[0:1]
	s_cbranch_vccnz .LBB118_1533
; %bb.1455:
	s_andn2_b64 vcc, exec, s[22:23]
	s_cbranch_vccnz .LBB118_1457
.LBB118_1456:
	global_load_ubyte v4, v[0:1], off
	v_mov_b32_e32 v5, 0x3c00
	s_mov_b64 s[24:25], -1
	s_waitcnt vmcnt(0)
	v_cmp_ne_u16_e32 vcc, 0, v4
	v_cndmask_b32_e32 v4, 0, v5, vcc
.LBB118_1457:
	s_branch .LBB118_1385
.LBB118_1458:
	s_cmp_lt_i32 s15, 5
	s_cbranch_scc1 .LBB118_1463
; %bb.1459:
	s_cmp_lt_i32 s15, 8
	s_cbranch_scc1 .LBB118_1464
; %bb.1460:
	;; [unrolled: 3-line block ×3, first 2 shown]
	s_cmp_gt_i32 s15, 9
	s_cbranch_scc0 .LBB118_1466
; %bb.1462:
	global_load_dwordx2 v[4:5], v[0:1], off
	s_movk_i32 s0, 0x1ff
	s_movk_i32 s1, 0xffe
	v_mov_b32_e32 v6, 0x7c00
	v_mov_b32_e32 v7, 0x7e00
	s_movk_i32 s22, 0x40f
	s_mov_b32 s23, 0x8000
	s_waitcnt vmcnt(0)
	v_and_or_b32 v4, v5, s0, v4
	v_cmp_ne_u32_e32 vcc, 0, v4
	v_lshrrev_b32_e32 v8, 8, v5
	v_bfe_u32 v9, v5, 20, 11
	v_cndmask_b32_e64 v4, 0, 1, vcc
	v_sub_u32_e32 v10, 0x3f1, v9
	v_and_or_b32 v4, v8, s1, v4
	v_add_u32_e32 v9, 0xfffffc10, v9
	v_med3_i32 v8, v10, 0, 13
	v_or_b32_e32 v10, 0x1000, v4
	v_cmp_ne_u32_e32 vcc, 0, v4
	v_lshl_or_b32 v11, v9, 12, v4
	v_cndmask_b32_e32 v4, v6, v7, vcc
	v_lshrrev_b32_e32 v7, v8, v10
	v_lshlrev_b32_e32 v8, v8, v7
	v_cmp_ne_u32_e32 vcc, v8, v10
	v_cndmask_b32_e64 v8, 0, 1, vcc
	v_or_b32_e32 v7, v7, v8
	v_cmp_gt_i32_e32 vcc, 1, v9
	v_cndmask_b32_e32 v7, v11, v7, vcc
	v_and_b32_e32 v8, 7, v7
	v_cmp_lt_i32_e32 vcc, 5, v8
	v_cndmask_b32_e64 v10, 0, 1, vcc
	v_cmp_eq_u32_e32 vcc, 3, v8
	v_cndmask_b32_e64 v8, 0, 1, vcc
	v_lshrrev_b32_e32 v7, 2, v7
	v_or_b32_e32 v8, v8, v10
	v_add_u32_e32 v7, v7, v8
	v_cmp_gt_i32_e32 vcc, 31, v9
	v_cndmask_b32_e32 v6, v6, v7, vcc
	v_cmp_eq_u32_e32 vcc, s22, v9
	v_lshrrev_b32_e32 v5, 16, v5
	v_cndmask_b32_e32 v4, v6, v4, vcc
	v_and_or_b32 v4, v5, s23, v4
	s_mov_b64 s[0:1], 0
	s_branch .LBB118_1467
.LBB118_1463:
	s_mov_b64 s[0:1], -1
                                        ; implicit-def: $vgpr4
	s_branch .LBB118_1485
.LBB118_1464:
	s_mov_b64 s[0:1], -1
                                        ; implicit-def: $vgpr4
	s_branch .LBB118_1473
.LBB118_1465:
	s_mov_b64 s[0:1], -1
                                        ; implicit-def: $vgpr4
	s_branch .LBB118_1470
.LBB118_1466:
	s_mov_b64 s[0:1], -1
                                        ; implicit-def: $vgpr4
.LBB118_1467:
	s_andn2_b64 vcc, exec, s[0:1]
	s_cbranch_vccnz .LBB118_1469
; %bb.1468:
	global_load_dword v4, v[0:1], off
	s_waitcnt vmcnt(0)
	v_cvt_f16_f32_e32 v4, v4
.LBB118_1469:
	s_mov_b64 s[0:1], 0
.LBB118_1470:
	s_andn2_b64 vcc, exec, s[0:1]
	s_cbranch_vccnz .LBB118_1472
; %bb.1471:
	global_load_dword v4, v[0:1], off
.LBB118_1472:
	s_mov_b64 s[0:1], 0
.LBB118_1473:
	s_andn2_b64 vcc, exec, s[0:1]
	s_cbranch_vccnz .LBB118_1484
; %bb.1474:
	s_cmp_lt_i32 s15, 6
	s_cbranch_scc1 .LBB118_1477
; %bb.1475:
	s_cmp_gt_i32 s15, 6
	s_cbranch_scc0 .LBB118_1478
; %bb.1476:
	global_load_dwordx2 v[4:5], v[0:1], off
	s_movk_i32 s0, 0x1ff
	s_movk_i32 s1, 0xffe
	v_mov_b32_e32 v6, 0x7c00
	v_mov_b32_e32 v7, 0x7e00
	s_movk_i32 s22, 0x40f
	s_mov_b32 s23, 0x8000
	s_waitcnt vmcnt(0)
	v_and_or_b32 v4, v5, s0, v4
	v_cmp_ne_u32_e32 vcc, 0, v4
	v_lshrrev_b32_e32 v8, 8, v5
	v_bfe_u32 v9, v5, 20, 11
	v_cndmask_b32_e64 v4, 0, 1, vcc
	v_sub_u32_e32 v10, 0x3f1, v9
	v_and_or_b32 v4, v8, s1, v4
	v_add_u32_e32 v9, 0xfffffc10, v9
	v_med3_i32 v8, v10, 0, 13
	v_or_b32_e32 v10, 0x1000, v4
	v_cmp_ne_u32_e32 vcc, 0, v4
	v_lshl_or_b32 v11, v9, 12, v4
	v_cndmask_b32_e32 v4, v6, v7, vcc
	v_lshrrev_b32_e32 v7, v8, v10
	v_lshlrev_b32_e32 v8, v8, v7
	v_cmp_ne_u32_e32 vcc, v8, v10
	v_cndmask_b32_e64 v8, 0, 1, vcc
	v_or_b32_e32 v7, v7, v8
	v_cmp_gt_i32_e32 vcc, 1, v9
	v_cndmask_b32_e32 v7, v11, v7, vcc
	v_and_b32_e32 v8, 7, v7
	v_cmp_lt_i32_e32 vcc, 5, v8
	v_cndmask_b32_e64 v10, 0, 1, vcc
	v_cmp_eq_u32_e32 vcc, 3, v8
	v_cndmask_b32_e64 v8, 0, 1, vcc
	v_lshrrev_b32_e32 v7, 2, v7
	v_or_b32_e32 v8, v8, v10
	v_add_u32_e32 v7, v7, v8
	v_cmp_gt_i32_e32 vcc, 31, v9
	v_cndmask_b32_e32 v6, v6, v7, vcc
	v_cmp_eq_u32_e32 vcc, s22, v9
	v_lshrrev_b32_e32 v5, 16, v5
	v_cndmask_b32_e32 v4, v6, v4, vcc
	v_and_or_b32 v4, v5, s23, v4
	s_mov_b64 s[0:1], 0
	s_branch .LBB118_1479
.LBB118_1477:
	s_mov_b64 s[0:1], -1
                                        ; implicit-def: $vgpr4
	s_branch .LBB118_1482
.LBB118_1478:
	s_mov_b64 s[0:1], -1
                                        ; implicit-def: $vgpr4
.LBB118_1479:
	s_andn2_b64 vcc, exec, s[0:1]
	s_cbranch_vccnz .LBB118_1481
; %bb.1480:
	global_load_dword v4, v[0:1], off
	s_waitcnt vmcnt(0)
	v_cvt_f16_f32_e32 v4, v4
.LBB118_1481:
	s_mov_b64 s[0:1], 0
.LBB118_1482:
	s_andn2_b64 vcc, exec, s[0:1]
	s_cbranch_vccnz .LBB118_1484
; %bb.1483:
	global_load_ushort v4, v[0:1], off
.LBB118_1484:
	s_mov_b64 s[0:1], 0
.LBB118_1485:
	s_andn2_b64 vcc, exec, s[0:1]
	s_cbranch_vccnz .LBB118_1505
; %bb.1486:
	s_cmp_lt_i32 s15, 2
	s_cbranch_scc1 .LBB118_1490
; %bb.1487:
	s_cmp_lt_i32 s15, 3
	s_cbranch_scc1 .LBB118_1491
; %bb.1488:
	s_cmp_gt_i32 s15, 3
	s_cbranch_scc0 .LBB118_1492
; %bb.1489:
	global_load_dwordx2 v[4:5], v[0:1], off
	s_mov_b64 s[0:1], 0
	s_waitcnt vmcnt(0)
	v_xor_b32_e32 v7, v4, v5
	v_ffbh_i32_e32 v6, v5
	v_ashrrev_i32_e32 v7, 31, v7
	v_add_u32_e32 v6, -1, v6
	v_add_u32_e32 v7, 32, v7
	v_min_u32_e32 v6, v6, v7
	v_lshlrev_b64 v[4:5], v6, v[4:5]
	v_min_u32_e32 v4, 1, v4
	v_or_b32_e32 v4, v5, v4
	v_cvt_f32_i32_e32 v4, v4
	v_sub_u32_e32 v5, 32, v6
	v_ldexp_f32 v4, v4, v5
	v_cvt_f16_f32_e32 v4, v4
	s_branch .LBB118_1493
.LBB118_1490:
	s_mov_b64 s[0:1], -1
                                        ; implicit-def: $vgpr4
	s_branch .LBB118_1499
.LBB118_1491:
	s_mov_b64 s[0:1], -1
                                        ; implicit-def: $vgpr4
	s_branch .LBB118_1496
.LBB118_1492:
	s_mov_b64 s[0:1], -1
                                        ; implicit-def: $vgpr4
.LBB118_1493:
	s_andn2_b64 vcc, exec, s[0:1]
	s_cbranch_vccnz .LBB118_1495
; %bb.1494:
	global_load_dword v4, v[0:1], off
	s_waitcnt vmcnt(0)
	v_cvt_f32_i32_e32 v4, v4
	v_cvt_f16_f32_e32 v4, v4
.LBB118_1495:
	s_mov_b64 s[0:1], 0
.LBB118_1496:
	s_andn2_b64 vcc, exec, s[0:1]
	s_cbranch_vccnz .LBB118_1498
; %bb.1497:
	global_load_ushort v4, v[0:1], off
	s_waitcnt vmcnt(0)
	v_cvt_f16_i16_e32 v4, v4
.LBB118_1498:
	s_mov_b64 s[0:1], 0
.LBB118_1499:
	s_andn2_b64 vcc, exec, s[0:1]
	s_cbranch_vccnz .LBB118_1505
; %bb.1500:
	s_cmp_gt_i32 s15, 0
	s_cbranch_scc0 .LBB118_1502
; %bb.1501:
	global_load_sbyte v4, v[0:1], off
	s_mov_b64 s[0:1], 0
	s_waitcnt vmcnt(0)
	v_cvt_f16_i16_e32 v4, v4
	s_branch .LBB118_1503
.LBB118_1502:
	s_mov_b64 s[0:1], -1
                                        ; implicit-def: $vgpr4
.LBB118_1503:
	s_andn2_b64 vcc, exec, s[0:1]
	s_cbranch_vccnz .LBB118_1505
; %bb.1504:
	global_load_ubyte v0, v[0:1], off
	s_waitcnt vmcnt(0)
	v_cvt_f16_u16_e32 v4, v0
.LBB118_1505:
.LBB118_1506:
	s_cmp_lt_i32 s14, 1
	s_mov_b64 s[0:1], 0
	s_cbranch_scc1 .LBB118_1510
; %bb.1507:
	s_cmp_gt_i32 s14, 1
	s_cbranch_scc0 .LBB118_1513
; %bb.1508:
	s_cmp_eq_u32 s14, 2
	s_cbranch_scc0 .LBB118_1514
; %bb.1509:
	s_waitcnt vmcnt(0)
	v_cmp_ge_f16_e64 s[22:23], s2, v4
	s_mov_b64 s[24:25], 0
	s_branch .LBB118_1515
.LBB118_1510:
                                        ; implicit-def: $sgpr22_sgpr23
	s_mov_b64 s[24:25], 0
	s_cbranch_execnz .LBB118_1519
.LBB118_1511:
	s_andn2_b64 vcc, exec, s[24:25]
	s_cbranch_vccnz .LBB118_1520
.LBB118_1512:
	s_waitcnt vmcnt(0)
	v_cmp_gt_f16_e32 vcc, s2, v4
	s_andn2_b64 s[22:23], s[22:23], exec
	s_and_b64 s[24:25], vcc, exec
	s_or_b64 s[22:23], s[22:23], s[24:25]
	s_cbranch_execz .LBB118_1521
	s_branch .LBB118_1522
.LBB118_1513:
	s_mov_b64 s[26:27], -1
	s_mov_b64 s[24:25], 0
                                        ; implicit-def: $sgpr22_sgpr23
	s_branch .LBB118_1516
.LBB118_1514:
	s_mov_b64 s[24:25], -1
                                        ; implicit-def: $sgpr22_sgpr23
.LBB118_1515:
	s_mov_b64 s[26:27], 0
.LBB118_1516:
	s_and_b64 vcc, exec, s[26:27]
	s_cbranch_vccz .LBB118_1518
; %bb.1517:
	s_waitcnt vmcnt(0)
	v_cmp_lt_f16_e32 vcc, s2, v4
	s_andn2_b64 s[22:23], s[22:23], exec
	s_and_b64 s[26:27], vcc, exec
	s_or_b64 s[22:23], s[22:23], s[26:27]
.LBB118_1518:
	s_branch .LBB118_1511
.LBB118_1519:
	s_cmp_lg_u32 s14, 0
	s_mov_b64 s[0:1], -1
	s_cselect_b64 s[24:25], -1, 0
	s_andn2_b64 vcc, exec, s[24:25]
	s_cbranch_vccz .LBB118_1512
.LBB118_1520:
	s_andn2_b64 vcc, exec, s[0:1]
	s_cbranch_vccnz .LBB118_1522
.LBB118_1521:
	s_waitcnt vmcnt(0)
	v_cmp_le_f16_e32 vcc, s2, v4
	s_andn2_b64 s[0:1], s[22:23], exec
	s_and_b64 s[22:23], vcc, exec
	s_or_b64 s[22:23], s[0:1], s[22:23]
.LBB118_1522:
	v_add_u32_e32 v0, s13, v3
	v_ashrrev_i32_e32 v1, 31, v0
	v_mov_b32_e32 v3, s11
	v_add_co_u32_e32 v0, vcc, s10, v0
	s_cmp_lt_i32 s15, 11
	v_addc_co_u32_e32 v1, vcc, v3, v1, vcc
	s_cbranch_scc1 .LBB118_1529
; %bb.1523:
	s_cmp_gt_i32 s15, 25
	s_mov_b64 s[10:11], 0
	s_cbranch_scc0 .LBB118_1530
; %bb.1524:
	s_cmp_gt_i32 s15, 28
	s_cbranch_scc0 .LBB118_1531
; %bb.1525:
	s_cmp_gt_i32 s15, 43
	;; [unrolled: 3-line block ×3, first 2 shown]
	s_cbranch_scc0 .LBB118_1534
; %bb.1527:
	s_cmp_eq_u32 s15, 46
	s_mov_b64 s[26:27], 0
	s_cbranch_scc0 .LBB118_1535
; %bb.1528:
	global_load_dword v3, v[0:1], off
	s_mov_b64 s[0:1], 0
	s_mov_b64 s[24:25], -1
	s_waitcnt vmcnt(0)
	v_lshlrev_b32_e32 v3, 16, v3
	v_cvt_f16_f32_e32 v3, v3
	s_branch .LBB118_1536
.LBB118_1529:
	s_mov_b64 s[0:1], -1
	s_mov_b64 s[24:25], 0
                                        ; implicit-def: $vgpr3
	s_branch .LBB118_1602
.LBB118_1530:
	s_mov_b64 s[26:27], -1
	s_mov_b64 s[24:25], 0
	s_mov_b64 s[0:1], 0
                                        ; implicit-def: $vgpr3
	s_branch .LBB118_1565
.LBB118_1531:
	s_mov_b64 s[26:27], -1
	s_mov_b64 s[24:25], 0
	s_mov_b64 s[0:1], 0
                                        ; implicit-def: $vgpr3
	s_branch .LBB118_1546
.LBB118_1532:
	s_mov_b64 s[26:27], -1
	s_mov_b64 s[24:25], 0
	s_mov_b64 s[0:1], 0
                                        ; implicit-def: $vgpr3
	s_branch .LBB118_1541
.LBB118_1533:
	s_trap 2
	s_or_b64 s[18:19], s[18:19], exec
	s_cbranch_execz .LBB118_1456
	s_branch .LBB118_1457
.LBB118_1534:
	s_mov_b64 s[26:27], -1
	s_mov_b64 s[24:25], 0
	s_mov_b64 s[0:1], 0
                                        ; implicit-def: $vgpr3
	s_branch .LBB118_1536
.LBB118_1535:
	s_mov_b64 s[0:1], -1
                                        ; implicit-def: $vgpr3
	s_mov_b64 s[24:25], 0
.LBB118_1536:
	s_and_b64 vcc, exec, s[26:27]
	s_cbranch_vccz .LBB118_1540
; %bb.1537:
	s_cmp_eq_u32 s15, 44
	s_cbranch_scc0 .LBB118_1539
; %bb.1538:
	global_load_ubyte v3, v[0:1], off
	s_movk_i32 s13, 0xff
	v_mov_b32_e32 v5, 0x7e00
	s_mov_b64 s[0:1], 0
	s_mov_b64 s[24:25], -1
	s_waitcnt vmcnt(0)
	v_lshlrev_b32_e32 v4, 23, v3
	v_cvt_f16_f32_e32 v4, v4
	v_cmp_ne_u32_e32 vcc, s13, v3
	v_cndmask_b32_e32 v4, v5, v4, vcc
	v_cmp_ne_u32_e32 vcc, 0, v3
	v_cndmask_b32_e32 v3, 0, v4, vcc
	s_branch .LBB118_1540
.LBB118_1539:
	s_mov_b64 s[0:1], -1
                                        ; implicit-def: $vgpr3
.LBB118_1540:
	s_mov_b64 s[26:27], 0
.LBB118_1541:
	s_and_b64 vcc, exec, s[26:27]
	s_cbranch_vccz .LBB118_1545
; %bb.1542:
	s_cmp_eq_u32 s15, 29
	s_cbranch_scc0 .LBB118_1544
; %bb.1543:
	global_load_dwordx2 v[3:4], v[0:1], off
	s_mov_b64 s[0:1], 0
	s_mov_b64 s[24:25], -1
	s_mov_b64 s[26:27], 0
	s_waitcnt vmcnt(0)
	v_ffbh_u32_e32 v5, v4
	v_min_u32_e32 v5, 32, v5
	v_lshlrev_b64 v[3:4], v5, v[3:4]
	v_min_u32_e32 v3, 1, v3
	v_or_b32_e32 v3, v4, v3
	v_cvt_f32_u32_e32 v3, v3
	v_sub_u32_e32 v4, 32, v5
	v_ldexp_f32 v3, v3, v4
	v_cvt_f16_f32_e32 v3, v3
	s_branch .LBB118_1546
.LBB118_1544:
	s_mov_b64 s[0:1], -1
                                        ; implicit-def: $vgpr3
.LBB118_1545:
	s_mov_b64 s[26:27], 0
.LBB118_1546:
	s_and_b64 vcc, exec, s[26:27]
	s_cbranch_vccz .LBB118_1564
; %bb.1547:
	s_cmp_lt_i32 s15, 27
	s_cbranch_scc1 .LBB118_1550
; %bb.1548:
	s_cmp_gt_i32 s15, 27
	s_cbranch_scc0 .LBB118_1551
; %bb.1549:
	global_load_dword v3, v[0:1], off
	s_mov_b64 s[24:25], 0
	s_waitcnt vmcnt(0)
	v_cvt_f32_u32_e32 v3, v3
	v_cvt_f16_f32_e32 v3, v3
	s_branch .LBB118_1552
.LBB118_1550:
	s_mov_b64 s[24:25], -1
                                        ; implicit-def: $vgpr3
	s_branch .LBB118_1555
.LBB118_1551:
	s_mov_b64 s[24:25], -1
                                        ; implicit-def: $vgpr3
.LBB118_1552:
	s_andn2_b64 vcc, exec, s[24:25]
	s_cbranch_vccnz .LBB118_1554
; %bb.1553:
	global_load_ushort v3, v[0:1], off
	s_waitcnt vmcnt(0)
	v_cvt_f16_u16_e32 v3, v3
.LBB118_1554:
	s_mov_b64 s[24:25], 0
.LBB118_1555:
	s_andn2_b64 vcc, exec, s[24:25]
	s_cbranch_vccnz .LBB118_1563
; %bb.1556:
	global_load_ubyte v4, v[0:1], off
	s_movk_i32 s13, 0x7f
	s_mov_b64 s[24:25], 0
	s_waitcnt vmcnt(0)
	v_cmp_lt_i16_e32 vcc, s13, v4
	s_and_saveexec_b64 s[26:27], vcc
	s_xor_b64 s[26:27], exec, s[26:27]
	s_cbranch_execz .LBB118_1577
; %bb.1557:
	s_movk_i32 s13, 0x80
	v_cmp_eq_u16_e32 vcc, s13, v4
	s_mov_b64 s[24:25], -1
	s_and_saveexec_b64 s[28:29], vcc
; %bb.1558:
	s_xor_b64 s[24:25], exec, -1
; %bb.1559:
	s_or_b64 exec, exec, s[28:29]
	s_and_b64 s[24:25], s[24:25], exec
	s_or_saveexec_b64 s[26:27], s[26:27]
	v_mov_b32_e32 v3, 0x7e00
	s_xor_b64 exec, exec, s[26:27]
	s_cbranch_execnz .LBB118_1578
.LBB118_1560:
	s_or_b64 exec, exec, s[26:27]
	s_and_saveexec_b64 s[26:27], s[24:25]
	s_cbranch_execz .LBB118_1562
.LBB118_1561:
	v_lshlrev_b32_e32 v3, 24, v4
	v_and_b32_e32 v4, 0xffff, v4
	v_and_b32_e32 v5, 7, v4
	v_ffbh_u32_e32 v7, v5
	v_min_u32_e32 v7, 32, v7
	v_subrev_u32_e32 v8, 28, v7
	v_bfe_u32 v6, v4, 3, 4
	v_lshlrev_b32_e32 v4, v8, v4
	v_sub_u32_e32 v7, 29, v7
	v_and_b32_e32 v4, 7, v4
	v_cmp_eq_u32_e32 vcc, 0, v6
	v_cndmask_b32_e32 v6, v6, v7, vcc
	v_cndmask_b32_e32 v4, v5, v4, vcc
	v_mov_b32_e32 v5, 0x3b800000
	v_lshlrev_b32_e32 v4, 20, v4
	v_and_b32_e32 v3, 0x80000000, v3
	v_lshl_add_u32 v5, v6, 23, v5
	v_or3_b32 v3, v3, v5, v4
	v_cvt_f16_f32_e32 v3, v3
.LBB118_1562:
	s_or_b64 exec, exec, s[26:27]
.LBB118_1563:
	s_mov_b64 s[24:25], -1
.LBB118_1564:
	s_mov_b64 s[26:27], 0
.LBB118_1565:
	s_and_b64 vcc, exec, s[26:27]
	s_cbranch_vccz .LBB118_1598
; %bb.1566:
	s_cmp_gt_i32 s15, 22
	s_cbranch_scc0 .LBB118_1576
; %bb.1567:
	s_cmp_lt_i32 s15, 24
	s_cbranch_scc1 .LBB118_1579
; %bb.1568:
	s_cmp_gt_i32 s15, 24
	s_cbranch_scc0 .LBB118_1580
; %bb.1569:
	global_load_ubyte v4, v[0:1], off
	s_movk_i32 s10, 0x7f
	s_waitcnt vmcnt(0)
	v_cmp_lt_i16_e32 vcc, s10, v4
	s_mov_b64 s[10:11], 0
	s_and_saveexec_b64 s[24:25], vcc
	s_xor_b64 s[24:25], exec, s[24:25]
	s_cbranch_execz .LBB118_1592
; %bb.1570:
	s_movk_i32 s10, 0x80
	v_cmp_eq_u16_e32 vcc, s10, v4
	s_mov_b64 s[10:11], -1
	s_and_saveexec_b64 s[26:27], vcc
; %bb.1571:
	s_xor_b64 s[10:11], exec, -1
; %bb.1572:
	s_or_b64 exec, exec, s[26:27]
	s_and_b64 s[10:11], s[10:11], exec
	s_or_saveexec_b64 s[24:25], s[24:25]
	v_mov_b32_e32 v3, 0x7e00
	s_xor_b64 exec, exec, s[24:25]
	s_cbranch_execnz .LBB118_1593
.LBB118_1573:
	s_or_b64 exec, exec, s[24:25]
	s_and_saveexec_b64 s[24:25], s[10:11]
	s_cbranch_execz .LBB118_1575
.LBB118_1574:
	v_lshlrev_b32_e32 v3, 24, v4
	v_and_b32_e32 v4, 0xffff, v4
	v_and_b32_e32 v5, 3, v4
	v_ffbh_u32_e32 v7, v5
	v_min_u32_e32 v7, 32, v7
	v_subrev_u32_e32 v8, 29, v7
	v_bfe_u32 v6, v4, 2, 5
	v_lshlrev_b32_e32 v4, v8, v4
	v_sub_u32_e32 v7, 30, v7
	v_and_b32_e32 v4, 3, v4
	v_cmp_eq_u32_e32 vcc, 0, v6
	v_cndmask_b32_e32 v6, v6, v7, vcc
	v_cndmask_b32_e32 v4, v5, v4, vcc
	v_mov_b32_e32 v5, 0x37800000
	v_lshlrev_b32_e32 v4, 21, v4
	v_and_b32_e32 v3, 0x80000000, v3
	v_lshl_add_u32 v5, v6, 23, v5
	v_or3_b32 v3, v3, v5, v4
	v_cvt_f16_f32_e32 v3, v3
.LBB118_1575:
	s_or_b64 exec, exec, s[24:25]
	s_mov_b64 s[10:11], 0
	s_branch .LBB118_1581
.LBB118_1576:
	s_mov_b64 s[10:11], -1
                                        ; implicit-def: $vgpr3
	s_branch .LBB118_1587
.LBB118_1577:
	s_or_saveexec_b64 s[26:27], s[26:27]
	v_mov_b32_e32 v3, 0x7e00
	s_xor_b64 exec, exec, s[26:27]
	s_cbranch_execz .LBB118_1560
.LBB118_1578:
	v_cmp_ne_u16_e32 vcc, 0, v4
	s_andn2_b64 s[24:25], s[24:25], exec
	s_and_b64 s[28:29], vcc, exec
	s_or_b64 s[24:25], s[24:25], s[28:29]
	v_mov_b32_e32 v3, v4
	s_or_b64 exec, exec, s[26:27]
	s_and_saveexec_b64 s[26:27], s[24:25]
	s_cbranch_execnz .LBB118_1561
	s_branch .LBB118_1562
.LBB118_1579:
	s_mov_b64 s[10:11], -1
                                        ; implicit-def: $vgpr3
	s_branch .LBB118_1584
.LBB118_1580:
	s_mov_b64 s[10:11], -1
                                        ; implicit-def: $vgpr3
.LBB118_1581:
	s_and_b64 vcc, exec, s[10:11]
	s_cbranch_vccz .LBB118_1583
; %bb.1582:
	global_load_ubyte v3, v[0:1], off
	s_mov_b32 s10, 0x7f800000
	s_waitcnt vmcnt(0)
	v_lshlrev_b32_e32 v3, 24, v3
	v_and_b32_e32 v4, 0x7f000000, v3
	v_ffbh_u32_e32 v5, v4
	v_min_u32_e32 v5, 32, v5
	v_sub_u32_e64 v5, v5, 4 clamp
	v_lshlrev_b32_e32 v7, v5, v4
	v_lshlrev_b32_e32 v5, 23, v5
	v_lshrrev_b32_e32 v7, 4, v7
	v_add_u32_e32 v6, 0x1000000, v4
	v_sub_u32_e32 v5, v7, v5
	v_ashrrev_i32_e32 v6, 8, v6
	v_add_u32_e32 v5, 0x3c000000, v5
	v_and_or_b32 v5, v6, s10, v5
	v_cmp_ne_u32_e32 vcc, 0, v4
	v_cndmask_b32_e32 v4, 0, v5, vcc
	s_brev_b32 s10, 1
	v_and_or_b32 v3, v3, s10, v4
	v_cvt_f16_f32_e32 v3, v3
.LBB118_1583:
	s_mov_b64 s[10:11], 0
.LBB118_1584:
	s_andn2_b64 vcc, exec, s[10:11]
	s_cbranch_vccnz .LBB118_1586
; %bb.1585:
	global_load_ubyte v3, v[0:1], off
	s_movk_i32 s10, 0x7f00
	s_brev_b32 s11, 16
	s_waitcnt vmcnt(0)
	v_lshlrev_b16_e32 v4, 8, v3
	v_lshlrev_b32_e32 v3, 25, v3
	v_lshrrev_b32_e32 v5, 4, v3
	v_and_or_b32 v6, v4, s10, 0.5
	v_or_b32_e32 v5, 0x70000000, v5
	v_add_f32_e32 v6, -0.5, v6
	v_mul_f32_e32 v5, 0x7800000, v5
	v_cmp_gt_u32_e32 vcc, s11, v3
	v_bfe_i32 v4, v4, 0, 16
	v_cndmask_b32_e32 v3, v5, v6, vcc
	s_brev_b32 s10, 1
	v_and_or_b32 v3, v4, s10, v3
	v_cvt_f16_f32_e32 v3, v3
.LBB118_1586:
	s_mov_b64 s[10:11], 0
	s_mov_b64 s[24:25], -1
.LBB118_1587:
	s_andn2_b64 vcc, exec, s[10:11]
	s_mov_b64 s[10:11], 0
	s_cbranch_vccnz .LBB118_1598
; %bb.1588:
	s_cmp_gt_i32 s15, 14
	s_cbranch_scc0 .LBB118_1591
; %bb.1589:
	s_cmp_eq_u32 s15, 15
	s_cbranch_scc0 .LBB118_1594
; %bb.1590:
	global_load_ushort v3, v[0:1], off
	s_mov_b64 s[0:1], 0
	s_mov_b64 s[24:25], -1
	s_waitcnt vmcnt(0)
	v_lshlrev_b32_e32 v3, 16, v3
	v_cvt_f16_f32_e32 v3, v3
	s_branch .LBB118_1595
.LBB118_1591:
	s_mov_b64 s[26:27], -1
                                        ; implicit-def: $vgpr3
	s_branch .LBB118_1596
.LBB118_1592:
	s_or_saveexec_b64 s[24:25], s[24:25]
	v_mov_b32_e32 v3, 0x7e00
	s_xor_b64 exec, exec, s[24:25]
	s_cbranch_execz .LBB118_1573
.LBB118_1593:
	v_cmp_ne_u16_e32 vcc, 0, v4
	s_andn2_b64 s[10:11], s[10:11], exec
	s_and_b64 s[26:27], vcc, exec
	s_or_b64 s[10:11], s[10:11], s[26:27]
	v_mov_b32_e32 v3, v4
	s_or_b64 exec, exec, s[24:25]
	s_and_saveexec_b64 s[24:25], s[10:11]
	s_cbranch_execnz .LBB118_1574
	s_branch .LBB118_1575
.LBB118_1594:
	s_mov_b64 s[0:1], -1
                                        ; implicit-def: $vgpr3
.LBB118_1595:
	s_mov_b64 s[26:27], 0
.LBB118_1596:
	s_and_b64 vcc, exec, s[26:27]
	s_cbranch_vccz .LBB118_1598
; %bb.1597:
	s_cmp_lg_u32 s15, 11
	s_mov_b64 s[10:11], -1
	s_cselect_b64 s[0:1], -1, 0
.LBB118_1598:
	s_and_b64 vcc, exec, s[0:1]
	s_cbranch_vccnz .LBB118_2150
; %bb.1599:
	s_andn2_b64 vcc, exec, s[10:11]
	s_cbranch_vccnz .LBB118_1601
.LBB118_1600:
	global_load_ubyte v3, v[0:1], off
	s_waitcnt vmcnt(1)
	v_mov_b32_e32 v4, 0x3c00
	s_mov_b64 s[24:25], -1
	s_waitcnt vmcnt(0)
	v_cmp_ne_u16_e32 vcc, 0, v3
	v_cndmask_b32_e32 v3, 0, v4, vcc
.LBB118_1601:
	s_mov_b64 s[0:1], 0
.LBB118_1602:
	s_and_b64 vcc, exec, s[0:1]
	s_cbranch_vccz .LBB118_1651
; %bb.1603:
	s_cmp_lt_i32 s15, 5
	s_cbranch_scc1 .LBB118_1608
; %bb.1604:
	s_cmp_lt_i32 s15, 8
	s_cbranch_scc1 .LBB118_1609
	;; [unrolled: 3-line block ×3, first 2 shown]
; %bb.1606:
	s_cmp_gt_i32 s15, 9
	s_cbranch_scc0 .LBB118_1611
; %bb.1607:
	global_load_dwordx2 v[3:4], v[0:1], off
	s_movk_i32 s0, 0x1ff
	s_movk_i32 s1, 0xffe
	v_mov_b32_e32 v5, 0x7c00
	v_mov_b32_e32 v6, 0x7e00
	s_movk_i32 s10, 0x40f
	s_mov_b32 s11, 0x8000
	s_waitcnt vmcnt(0)
	v_and_or_b32 v3, v4, s0, v3
	v_cmp_ne_u32_e32 vcc, 0, v3
	v_lshrrev_b32_e32 v7, 8, v4
	v_bfe_u32 v8, v4, 20, 11
	v_cndmask_b32_e64 v3, 0, 1, vcc
	v_sub_u32_e32 v9, 0x3f1, v8
	v_and_or_b32 v3, v7, s1, v3
	v_add_u32_e32 v8, 0xfffffc10, v8
	v_med3_i32 v7, v9, 0, 13
	v_or_b32_e32 v9, 0x1000, v3
	v_cmp_ne_u32_e32 vcc, 0, v3
	v_lshl_or_b32 v10, v8, 12, v3
	v_cndmask_b32_e32 v3, v5, v6, vcc
	v_lshrrev_b32_e32 v6, v7, v9
	v_lshlrev_b32_e32 v7, v7, v6
	v_cmp_ne_u32_e32 vcc, v7, v9
	v_cndmask_b32_e64 v7, 0, 1, vcc
	v_or_b32_e32 v6, v6, v7
	v_cmp_gt_i32_e32 vcc, 1, v8
	v_cndmask_b32_e32 v6, v10, v6, vcc
	v_and_b32_e32 v7, 7, v6
	v_cmp_lt_i32_e32 vcc, 5, v7
	v_cndmask_b32_e64 v9, 0, 1, vcc
	v_cmp_eq_u32_e32 vcc, 3, v7
	v_cndmask_b32_e64 v7, 0, 1, vcc
	v_lshrrev_b32_e32 v6, 2, v6
	v_or_b32_e32 v7, v7, v9
	v_add_u32_e32 v6, v6, v7
	v_cmp_gt_i32_e32 vcc, 31, v8
	v_cndmask_b32_e32 v5, v5, v6, vcc
	v_cmp_eq_u32_e32 vcc, s10, v8
	v_lshrrev_b32_e32 v4, 16, v4
	v_cndmask_b32_e32 v3, v5, v3, vcc
	v_and_or_b32 v3, v4, s11, v3
	s_mov_b64 s[0:1], 0
	s_branch .LBB118_1612
.LBB118_1608:
	s_mov_b64 s[0:1], -1
                                        ; implicit-def: $vgpr3
	s_branch .LBB118_1630
.LBB118_1609:
	s_mov_b64 s[0:1], -1
                                        ; implicit-def: $vgpr3
	s_branch .LBB118_1618
.LBB118_1610:
	s_mov_b64 s[0:1], -1
                                        ; implicit-def: $vgpr3
	s_branch .LBB118_1615
.LBB118_1611:
	s_mov_b64 s[0:1], -1
                                        ; implicit-def: $vgpr3
.LBB118_1612:
	s_andn2_b64 vcc, exec, s[0:1]
	s_cbranch_vccnz .LBB118_1614
; %bb.1613:
	global_load_dword v3, v[0:1], off
	s_waitcnt vmcnt(0)
	v_cvt_f16_f32_e32 v3, v3
.LBB118_1614:
	s_mov_b64 s[0:1], 0
.LBB118_1615:
	s_andn2_b64 vcc, exec, s[0:1]
	s_cbranch_vccnz .LBB118_1617
; %bb.1616:
	global_load_dword v3, v[0:1], off
.LBB118_1617:
	s_mov_b64 s[0:1], 0
.LBB118_1618:
	s_andn2_b64 vcc, exec, s[0:1]
	s_cbranch_vccnz .LBB118_1629
; %bb.1619:
	s_cmp_lt_i32 s15, 6
	s_cbranch_scc1 .LBB118_1622
; %bb.1620:
	s_cmp_gt_i32 s15, 6
	s_cbranch_scc0 .LBB118_1623
; %bb.1621:
	global_load_dwordx2 v[3:4], v[0:1], off
	s_movk_i32 s0, 0x1ff
	s_movk_i32 s1, 0xffe
	v_mov_b32_e32 v5, 0x7c00
	v_mov_b32_e32 v6, 0x7e00
	s_movk_i32 s10, 0x40f
	s_mov_b32 s11, 0x8000
	s_waitcnt vmcnt(0)
	v_and_or_b32 v3, v4, s0, v3
	v_cmp_ne_u32_e32 vcc, 0, v3
	v_lshrrev_b32_e32 v7, 8, v4
	v_bfe_u32 v8, v4, 20, 11
	v_cndmask_b32_e64 v3, 0, 1, vcc
	v_sub_u32_e32 v9, 0x3f1, v8
	v_and_or_b32 v3, v7, s1, v3
	v_add_u32_e32 v8, 0xfffffc10, v8
	v_med3_i32 v7, v9, 0, 13
	v_or_b32_e32 v9, 0x1000, v3
	v_cmp_ne_u32_e32 vcc, 0, v3
	v_lshl_or_b32 v10, v8, 12, v3
	v_cndmask_b32_e32 v3, v5, v6, vcc
	v_lshrrev_b32_e32 v6, v7, v9
	v_lshlrev_b32_e32 v7, v7, v6
	v_cmp_ne_u32_e32 vcc, v7, v9
	v_cndmask_b32_e64 v7, 0, 1, vcc
	v_or_b32_e32 v6, v6, v7
	v_cmp_gt_i32_e32 vcc, 1, v8
	v_cndmask_b32_e32 v6, v10, v6, vcc
	v_and_b32_e32 v7, 7, v6
	v_cmp_lt_i32_e32 vcc, 5, v7
	v_cndmask_b32_e64 v9, 0, 1, vcc
	v_cmp_eq_u32_e32 vcc, 3, v7
	v_cndmask_b32_e64 v7, 0, 1, vcc
	v_lshrrev_b32_e32 v6, 2, v6
	v_or_b32_e32 v7, v7, v9
	v_add_u32_e32 v6, v6, v7
	v_cmp_gt_i32_e32 vcc, 31, v8
	v_cndmask_b32_e32 v5, v5, v6, vcc
	v_cmp_eq_u32_e32 vcc, s10, v8
	v_lshrrev_b32_e32 v4, 16, v4
	v_cndmask_b32_e32 v3, v5, v3, vcc
	v_and_or_b32 v3, v4, s11, v3
	s_mov_b64 s[0:1], 0
	s_branch .LBB118_1624
.LBB118_1622:
	s_mov_b64 s[0:1], -1
                                        ; implicit-def: $vgpr3
	s_branch .LBB118_1627
.LBB118_1623:
	s_mov_b64 s[0:1], -1
                                        ; implicit-def: $vgpr3
.LBB118_1624:
	s_andn2_b64 vcc, exec, s[0:1]
	s_cbranch_vccnz .LBB118_1626
; %bb.1625:
	global_load_dword v3, v[0:1], off
	s_waitcnt vmcnt(0)
	v_cvt_f16_f32_e32 v3, v3
.LBB118_1626:
	s_mov_b64 s[0:1], 0
.LBB118_1627:
	s_andn2_b64 vcc, exec, s[0:1]
	s_cbranch_vccnz .LBB118_1629
; %bb.1628:
	global_load_ushort v3, v[0:1], off
.LBB118_1629:
	s_mov_b64 s[0:1], 0
.LBB118_1630:
	s_andn2_b64 vcc, exec, s[0:1]
	s_cbranch_vccnz .LBB118_1650
; %bb.1631:
	s_cmp_lt_i32 s15, 2
	s_cbranch_scc1 .LBB118_1635
; %bb.1632:
	s_cmp_lt_i32 s15, 3
	s_cbranch_scc1 .LBB118_1636
; %bb.1633:
	s_cmp_gt_i32 s15, 3
	s_cbranch_scc0 .LBB118_1637
; %bb.1634:
	global_load_dwordx2 v[3:4], v[0:1], off
	s_mov_b64 s[0:1], 0
	s_waitcnt vmcnt(0)
	v_xor_b32_e32 v6, v3, v4
	v_ffbh_i32_e32 v5, v4
	v_ashrrev_i32_e32 v6, 31, v6
	v_add_u32_e32 v5, -1, v5
	v_add_u32_e32 v6, 32, v6
	v_min_u32_e32 v5, v5, v6
	v_lshlrev_b64 v[3:4], v5, v[3:4]
	v_min_u32_e32 v3, 1, v3
	v_or_b32_e32 v3, v4, v3
	v_cvt_f32_i32_e32 v3, v3
	v_sub_u32_e32 v4, 32, v5
	v_ldexp_f32 v3, v3, v4
	v_cvt_f16_f32_e32 v3, v3
	s_branch .LBB118_1638
.LBB118_1635:
	s_mov_b64 s[0:1], -1
                                        ; implicit-def: $vgpr3
	s_branch .LBB118_1644
.LBB118_1636:
	s_mov_b64 s[0:1], -1
                                        ; implicit-def: $vgpr3
	s_branch .LBB118_1641
.LBB118_1637:
	s_mov_b64 s[0:1], -1
                                        ; implicit-def: $vgpr3
.LBB118_1638:
	s_andn2_b64 vcc, exec, s[0:1]
	s_cbranch_vccnz .LBB118_1640
; %bb.1639:
	global_load_dword v3, v[0:1], off
	s_waitcnt vmcnt(0)
	v_cvt_f32_i32_e32 v3, v3
	v_cvt_f16_f32_e32 v3, v3
.LBB118_1640:
	s_mov_b64 s[0:1], 0
.LBB118_1641:
	s_andn2_b64 vcc, exec, s[0:1]
	s_cbranch_vccnz .LBB118_1643
; %bb.1642:
	global_load_ushort v3, v[0:1], off
	s_waitcnt vmcnt(0)
	v_cvt_f16_i16_e32 v3, v3
.LBB118_1643:
	s_mov_b64 s[0:1], 0
.LBB118_1644:
	s_andn2_b64 vcc, exec, s[0:1]
	s_cbranch_vccnz .LBB118_1650
; %bb.1645:
	s_cmp_gt_i32 s15, 0
	s_cbranch_scc0 .LBB118_1647
; %bb.1646:
	global_load_sbyte v3, v[0:1], off
	s_mov_b64 s[0:1], 0
	s_waitcnt vmcnt(0)
	v_cvt_f16_i16_e32 v3, v3
	s_branch .LBB118_1648
.LBB118_1647:
	s_mov_b64 s[0:1], -1
                                        ; implicit-def: $vgpr3
.LBB118_1648:
	s_andn2_b64 vcc, exec, s[0:1]
	s_cbranch_vccnz .LBB118_1650
; %bb.1649:
	global_load_ubyte v0, v[0:1], off
	s_waitcnt vmcnt(0)
	v_cvt_f16_u16_e32 v3, v0
.LBB118_1650:
	s_mov_b64 s[24:25], -1
.LBB118_1651:
	s_andn2_b64 vcc, exec, s[24:25]
	s_cbranch_vccnz .LBB118_1656
; %bb.1652:
	s_cmp_lt_i32 s14, 1
	s_mov_b64 s[0:1], 0
	s_cbranch_scc1 .LBB118_1702
; %bb.1653:
	s_cmp_gt_i32 s14, 1
	s_cbranch_scc0 .LBB118_1703
; %bb.1654:
	s_cmp_eq_u32 s14, 2
	s_cbranch_scc0 .LBB118_1704
; %bb.1655:
	s_waitcnt vmcnt(0)
	v_cmp_ge_f16_e64 s[24:25], s2, v3
	s_mov_b64 s[10:11], 0
	s_branch .LBB118_1705
.LBB118_1656:
	s_mov_b64 s[0:1], 0
                                        ; implicit-def: $sgpr24_sgpr25
.LBB118_1657:
	s_mov_b64 s[2:3], 0
                                        ; implicit-def: $sgpr28
                                        ; implicit-def: $vgpr0_vgpr1
.LBB118_1658:
	s_and_b64 s[4:5], s[2:3], exec
	s_andn2_b64 s[2:3], s[16:17], exec
	s_and_b64 s[8:9], s[18:19], exec
	s_and_b64 s[0:1], s[0:1], exec
	s_or_b64 s[16:17], s[2:3], s[8:9]
.LBB118_1659:
	s_or_b64 exec, exec, s[6:7]
	s_and_saveexec_b64 s[2:3], s[16:17]
	s_cbranch_execz .LBB118_1662
; %bb.1660:
	; divergent unreachable
	s_or_b64 exec, exec, s[2:3]
	s_and_saveexec_b64 s[2:3], s[4:5]
	s_xor_b64 s[2:3], exec, s[2:3]
	s_cbranch_execnz .LBB118_1663
.LBB118_1661:
	s_or_b64 exec, exec, s[2:3]
	s_and_saveexec_b64 s[2:3], s[0:1]
	s_cbranch_execnz .LBB118_1664
	s_branch .LBB118_1701
.LBB118_1662:
	s_or_b64 exec, exec, s[2:3]
	s_and_saveexec_b64 s[2:3], s[4:5]
	s_xor_b64 s[2:3], exec, s[2:3]
	s_cbranch_execz .LBB118_1661
.LBB118_1663:
	v_cndmask_b32_e64 v2, 0, 1, s[24:25]
	global_store_byte v[0:1], v2, off
	s_or_b64 exec, exec, s[2:3]
	s_and_saveexec_b64 s[2:3], s[0:1]
	s_cbranch_execz .LBB118_1701
.LBB118_1664:
	s_sext_i32_i16 s2, s28
	s_cmp_lt_i32 s2, 5
	s_mov_b64 s[0:1], -1
	s_cbranch_scc1 .LBB118_1685
; %bb.1665:
	s_cmp_lt_i32 s2, 8
	s_cbranch_scc1 .LBB118_1675
; %bb.1666:
	s_cmp_lt_i32 s2, 9
	s_cbranch_scc1 .LBB118_1672
; %bb.1667:
	s_cmp_gt_i32 s2, 9
	s_cbranch_scc0 .LBB118_1669
; %bb.1668:
	v_cndmask_b32_e64 v2, 0, 1, s[24:25]
	s_waitcnt vmcnt(0)
	v_cvt_f64_u32_e32 v[2:3], v2
	v_mov_b32_e32 v4, 0
	v_mov_b32_e32 v5, v4
	s_mov_b64 s[0:1], 0
	global_store_dwordx4 v[0:1], v[2:5], off
.LBB118_1669:
	s_andn2_b64 vcc, exec, s[0:1]
	s_cbranch_vccnz .LBB118_1671
; %bb.1670:
	v_cndmask_b32_e64 v2, 0, 1.0, s[24:25]
	s_waitcnt vmcnt(0)
	v_mov_b32_e32 v3, 0
	global_store_dwordx2 v[0:1], v[2:3], off
.LBB118_1671:
	s_mov_b64 s[0:1], 0
.LBB118_1672:
	s_andn2_b64 vcc, exec, s[0:1]
	s_cbranch_vccnz .LBB118_1674
; %bb.1673:
	v_cndmask_b32_e64 v2, 0, 1.0, s[24:25]
	v_cvt_f16_f32_e32 v2, v2
	global_store_dword v[0:1], v2, off
.LBB118_1674:
	s_mov_b64 s[0:1], 0
.LBB118_1675:
	s_andn2_b64 vcc, exec, s[0:1]
	s_cbranch_vccnz .LBB118_1684
; %bb.1676:
	s_sext_i32_i16 s2, s28
	s_cmp_lt_i32 s2, 6
	s_mov_b64 s[0:1], -1
	s_cbranch_scc1 .LBB118_1682
; %bb.1677:
	s_cmp_gt_i32 s2, 6
	s_cbranch_scc0 .LBB118_1679
; %bb.1678:
	v_cndmask_b32_e64 v2, 0, 1, s[24:25]
	s_waitcnt vmcnt(0)
	v_cvt_f64_u32_e32 v[2:3], v2
	s_mov_b64 s[0:1], 0
	global_store_dwordx2 v[0:1], v[2:3], off
.LBB118_1679:
	s_andn2_b64 vcc, exec, s[0:1]
	s_cbranch_vccnz .LBB118_1681
; %bb.1680:
	v_cndmask_b32_e64 v2, 0, 1.0, s[24:25]
	global_store_dword v[0:1], v2, off
.LBB118_1681:
	s_mov_b64 s[0:1], 0
.LBB118_1682:
	s_andn2_b64 vcc, exec, s[0:1]
	s_cbranch_vccnz .LBB118_1684
; %bb.1683:
	v_cndmask_b32_e64 v2, 0, 1.0, s[24:25]
	v_cvt_f16_f32_e32 v2, v2
	global_store_short v[0:1], v2, off
.LBB118_1684:
	s_mov_b64 s[0:1], 0
.LBB118_1685:
	s_andn2_b64 vcc, exec, s[0:1]
	s_cbranch_vccnz .LBB118_1701
; %bb.1686:
	s_sext_i32_i16 s2, s28
	s_cmp_lt_i32 s2, 2
	s_mov_b64 s[0:1], -1
	s_cbranch_scc1 .LBB118_1696
; %bb.1687:
	s_cmp_lt_i32 s2, 3
	s_cbranch_scc1 .LBB118_1693
; %bb.1688:
	s_cmp_gt_i32 s2, 3
	s_cbranch_scc0 .LBB118_1690
; %bb.1689:
	s_mov_b32 s0, 0
	v_cndmask_b32_e64 v2, 0, 1, s[24:25]
	s_waitcnt vmcnt(0)
	v_mov_b32_e32 v3, s0
	global_store_dwordx2 v[0:1], v[2:3], off
	s_mov_b64 s[0:1], 0
.LBB118_1690:
	s_andn2_b64 vcc, exec, s[0:1]
	s_cbranch_vccnz .LBB118_1692
; %bb.1691:
	v_cndmask_b32_e64 v2, 0, 1, s[24:25]
	global_store_dword v[0:1], v2, off
.LBB118_1692:
	s_mov_b64 s[0:1], 0
.LBB118_1693:
	s_andn2_b64 vcc, exec, s[0:1]
	s_cbranch_vccnz .LBB118_1695
; %bb.1694:
	v_cndmask_b32_e64 v2, 0, 1, s[24:25]
	global_store_short v[0:1], v2, off
.LBB118_1695:
	s_mov_b64 s[0:1], 0
.LBB118_1696:
	s_andn2_b64 vcc, exec, s[0:1]
	s_cbranch_vccnz .LBB118_1701
; %bb.1697:
	s_sext_i32_i16 s2, s28
	s_mov_b64 s[0:1], -1
	s_cmp_gt_i32 s2, 0
	v_cndmask_b32_e64 v2, 0, 1, s[24:25]
	s_cbranch_scc0 .LBB118_1699
; %bb.1698:
	global_store_byte v[0:1], v2, off
	s_mov_b64 s[0:1], 0
.LBB118_1699:
	s_andn2_b64 vcc, exec, s[0:1]
	s_cbranch_vccnz .LBB118_1701
; %bb.1700:
	global_store_byte v[0:1], v2, off
	s_endpgm
.LBB118_1701:
	s_endpgm
.LBB118_1702:
	s_mov_b64 s[26:27], -1
                                        ; implicit-def: $sgpr24_sgpr25
	s_mov_b64 s[10:11], 0
	s_branch .LBB118_1709
.LBB118_1703:
	s_mov_b64 s[26:27], -1
	s_mov_b64 s[10:11], 0
                                        ; implicit-def: $sgpr24_sgpr25
	s_branch .LBB118_1706
.LBB118_1704:
	s_mov_b64 s[10:11], -1
                                        ; implicit-def: $sgpr24_sgpr25
.LBB118_1705:
	s_mov_b64 s[26:27], 0
.LBB118_1706:
	s_and_b64 vcc, exec, s[26:27]
	s_cbranch_vccz .LBB118_1708
; %bb.1707:
	s_waitcnt vmcnt(0)
	v_cmp_lt_f16_e32 vcc, s2, v3
	s_andn2_b64 s[24:25], s[24:25], exec
	s_and_b64 s[26:27], vcc, exec
	s_or_b64 s[24:25], s[24:25], s[26:27]
.LBB118_1708:
	s_mov_b64 s[26:27], 0
.LBB118_1709:
	s_and_b64 vcc, exec, s[26:27]
	s_cbranch_vccz .LBB118_1791
; %bb.1710:
	s_cmp_lg_u32 s14, 0
	s_mov_b64 s[0:1], -1
	s_cselect_b64 s[10:11], -1, 0
	s_andn2_b64 vcc, exec, s[10:11]
	s_cbranch_vccz .LBB118_1792
.LBB118_1711:
	s_andn2_b64 vcc, exec, s[0:1]
	s_cbranch_vccnz .LBB118_1713
.LBB118_1712:
	s_waitcnt vmcnt(0)
	v_cmp_le_f16_e32 vcc, s2, v3
	s_andn2_b64 s[0:1], s[24:25], exec
	s_and_b64 s[10:11], vcc, exec
	s_or_b64 s[24:25], s[0:1], s[10:11]
.LBB118_1713:
	v_mul_lo_u32 v2, s12, v2
	v_mov_b32_e32 v1, s9
	s_and_b32 s28, s3, 0xff
	s_cmp_lt_i32 s28, 11
	s_waitcnt vmcnt(0)
	v_ashrrev_i32_e32 v3, 31, v2
	v_add_co_u32_e32 v0, vcc, s8, v2
	v_addc_co_u32_e32 v1, vcc, v1, v3, vcc
	s_cbranch_scc1 .LBB118_1793
; %bb.1714:
	s_and_b32 s13, 0xffff, s28
	s_mov_b64 s[14:15], -1
	s_mov_b64 s[2:3], 0
	s_cmp_gt_i32 s13, 25
	s_mov_b64 s[10:11], 0
	s_mov_b64 s[0:1], 0
	s_cbranch_scc0 .LBB118_1747
; %bb.1715:
	s_cmp_gt_i32 s13, 28
	s_cbranch_scc0 .LBB118_1730
; %bb.1716:
	s_cmp_gt_i32 s13, 43
	;; [unrolled: 3-line block ×3, first 2 shown]
	s_cbranch_scc0 .LBB118_1720
; %bb.1718:
	s_mov_b64 s[0:1], -1
	s_mov_b64 s[14:15], 0
	s_cmp_eq_u32 s13, 46
	s_cbranch_scc0 .LBB118_1720
; %bb.1719:
	v_cndmask_b32_e64 v3, 0, 1.0, s[4:5]
	v_bfe_u32 v4, v3, 16, 1
	s_movk_i32 s0, 0x7fff
	v_add3_u32 v3, v3, v4, s0
	v_lshrrev_b32_e32 v3, 16, v3
	global_store_dword v[0:1], v3, off
	s_mov_b64 s[0:1], 0
	s_mov_b64 s[10:11], -1
.LBB118_1720:
	s_and_b64 vcc, exec, s[14:15]
	s_cbranch_vccz .LBB118_1725
; %bb.1721:
	s_cmp_eq_u32 s13, 44
	s_mov_b64 s[0:1], -1
	s_cbranch_scc0 .LBB118_1725
; %bb.1722:
	v_cndmask_b32_e64 v4, 0, 1.0, s[4:5]
	v_lshrrev_b32_e32 v3, 23, v4
	s_movk_i32 s0, 0xff
	v_cmp_ne_u32_e32 vcc, s0, v3
	v_mov_b32_e32 v5, 0xff
	s_and_saveexec_b64 s[10:11], vcc
; %bb.1723:
	s_mov_b32 s0, 0x3fffff
	v_and_b32_e32 v5, 0x400000, v4
	v_and_or_b32 v4, v4, s0, v3
	v_cmp_ne_u32_e32 vcc, 0, v5
	v_cmp_ne_u32_e64 s[0:1], 0, v4
	s_and_b64 s[0:1], vcc, s[0:1]
	v_cndmask_b32_e64 v4, 0, 1, s[0:1]
	v_add_u32_e32 v5, v3, v4
; %bb.1724:
	s_or_b64 exec, exec, s[10:11]
	s_mov_b64 s[0:1], 0
	s_mov_b64 s[10:11], -1
	global_store_byte v[0:1], v5, off
.LBB118_1725:
	s_mov_b64 s[14:15], 0
.LBB118_1726:
	s_and_b64 vcc, exec, s[14:15]
	s_cbranch_vccz .LBB118_1729
; %bb.1727:
	s_cmp_eq_u32 s13, 29
	s_mov_b64 s[0:1], -1
	s_cbranch_scc0 .LBB118_1729
; %bb.1728:
	s_mov_b32 s0, 0
	v_cndmask_b32_e64 v3, 0, 1, s[4:5]
	v_mov_b32_e32 v4, s0
	global_store_dwordx2 v[0:1], v[3:4], off
	s_mov_b64 s[0:1], 0
	s_mov_b64 s[10:11], -1
.LBB118_1729:
	s_mov_b64 s[14:15], 0
.LBB118_1730:
	s_and_b64 vcc, exec, s[14:15]
	s_cbranch_vccz .LBB118_1746
; %bb.1731:
	s_cmp_lt_i32 s13, 27
	s_mov_b64 s[10:11], -1
	s_cbranch_scc1 .LBB118_1737
; %bb.1732:
	s_cmp_gt_i32 s13, 27
	s_cbranch_scc0 .LBB118_1734
; %bb.1733:
	v_cndmask_b32_e64 v3, 0, 1, s[4:5]
	s_mov_b64 s[10:11], 0
	global_store_dword v[0:1], v3, off
.LBB118_1734:
	s_andn2_b64 vcc, exec, s[10:11]
	s_cbranch_vccnz .LBB118_1736
; %bb.1735:
	v_cndmask_b32_e64 v3, 0, 1, s[4:5]
	global_store_short v[0:1], v3, off
.LBB118_1736:
	s_mov_b64 s[10:11], 0
.LBB118_1737:
	s_andn2_b64 vcc, exec, s[10:11]
	s_cbranch_vccnz .LBB118_1745
; %bb.1738:
	v_cndmask_b32_e64 v4, 0, 1.0, s[4:5]
	s_mov_b32 s10, 0x43800000
	v_cmp_gt_u32_e32 vcc, s10, v4
	v_mov_b32_e32 v5, 0x80
	s_and_saveexec_b64 s[10:11], vcc
	s_cbranch_execz .LBB118_1744
; %bb.1739:
	s_mov_b32 s14, 0x3bffffff
	v_cmp_lt_u32_e32 vcc, s14, v4
	s_mov_b64 s[14:15], 0
                                        ; implicit-def: $vgpr3
	s_and_saveexec_b64 s[26:27], vcc
	s_xor_b64 s[26:27], exec, s[26:27]
	s_cbranch_execz .LBB118_2151
; %bb.1740:
	v_bfe_u32 v3, v4, 20, 1
	s_mov_b32 s29, 0x487ffff
	v_add3_u32 v3, v4, v3, s29
	s_mov_b64 s[14:15], exec
	v_lshrrev_b32_e32 v3, 20, v3
                                        ; implicit-def: $vgpr4
	s_andn2_saveexec_b64 s[26:27], s[26:27]
	s_cbranch_execnz .LBB118_2152
.LBB118_1741:
	s_or_b64 exec, exec, s[26:27]
	v_mov_b32_e32 v5, 0
	s_and_saveexec_b64 s[26:27], s[14:15]
.LBB118_1742:
	v_mov_b32_e32 v5, v3
.LBB118_1743:
	s_or_b64 exec, exec, s[26:27]
.LBB118_1744:
	s_or_b64 exec, exec, s[10:11]
	global_store_byte v[0:1], v5, off
.LBB118_1745:
	s_mov_b64 s[10:11], -1
.LBB118_1746:
	s_mov_b64 s[14:15], 0
.LBB118_1747:
	s_and_b64 vcc, exec, s[14:15]
	s_cbranch_vccz .LBB118_1787
; %bb.1748:
	s_cmp_gt_i32 s13, 22
	s_mov_b64 s[2:3], -1
	s_cbranch_scc0 .LBB118_1780
; %bb.1749:
	s_cmp_lt_i32 s13, 24
	s_cbranch_scc1 .LBB118_1769
; %bb.1750:
	s_cmp_gt_i32 s13, 24
	s_cbranch_scc0 .LBB118_1758
; %bb.1751:
	v_cndmask_b32_e64 v4, 0, 1.0, s[4:5]
	s_mov_b32 s2, 0x47800000
	v_cmp_gt_u32_e32 vcc, s2, v4
	v_mov_b32_e32 v5, 0x80
	s_and_saveexec_b64 s[2:3], vcc
	s_cbranch_execz .LBB118_1757
; %bb.1752:
	s_mov_b32 s10, 0x37ffffff
	v_cmp_lt_u32_e32 vcc, s10, v4
	s_mov_b64 s[10:11], 0
                                        ; implicit-def: $vgpr3
	s_and_saveexec_b64 s[14:15], vcc
	s_xor_b64 s[14:15], exec, s[14:15]
	s_cbranch_execz .LBB118_2154
; %bb.1753:
	v_bfe_u32 v3, v4, 21, 1
	s_mov_b32 s26, 0x88fffff
	v_add3_u32 v3, v4, v3, s26
	s_mov_b64 s[10:11], exec
	v_lshrrev_b32_e32 v3, 21, v3
                                        ; implicit-def: $vgpr4
	s_andn2_saveexec_b64 s[14:15], s[14:15]
	s_cbranch_execnz .LBB118_2155
.LBB118_1754:
	s_or_b64 exec, exec, s[14:15]
	v_mov_b32_e32 v5, 0
	s_and_saveexec_b64 s[14:15], s[10:11]
.LBB118_1755:
	v_mov_b32_e32 v5, v3
.LBB118_1756:
	s_or_b64 exec, exec, s[14:15]
.LBB118_1757:
	s_or_b64 exec, exec, s[2:3]
	s_mov_b64 s[2:3], 0
	global_store_byte v[0:1], v5, off
.LBB118_1758:
	s_and_b64 vcc, exec, s[2:3]
	s_cbranch_vccz .LBB118_1768
; %bb.1759:
	v_cndmask_b32_e64 v3, 0, 1.0, s[4:5]
	s_mov_b32 s2, 0x43f00000
	v_cmp_gt_u32_e32 vcc, s2, v3
                                        ; implicit-def: $vgpr4
	s_and_saveexec_b64 s[2:3], vcc
	s_xor_b64 s[2:3], exec, s[2:3]
	s_cbranch_execz .LBB118_1765
; %bb.1760:
	s_mov_b32 s10, 0x3c7fffff
	v_cmp_lt_u32_e32 vcc, s10, v3
                                        ; implicit-def: $vgpr4
	s_and_saveexec_b64 s[10:11], vcc
	s_xor_b64 s[10:11], exec, s[10:11]
; %bb.1761:
	v_bfe_u32 v4, v3, 20, 1
	s_mov_b32 s14, 0x407ffff
	v_add3_u32 v3, v3, v4, s14
	v_lshrrev_b32_e32 v4, 20, v3
	v_and_b32_e32 v3, 0xff00000, v3
	s_mov_b32 s14, 0x7f00000
	v_mov_b32_e32 v5, 0x7e
	v_cmp_ne_u32_e32 vcc, s14, v3
	v_cndmask_b32_e32 v4, v5, v4, vcc
                                        ; implicit-def: $vgpr3
; %bb.1762:
	s_andn2_saveexec_b64 s[10:11], s[10:11]
; %bb.1763:
	v_add_f32_e32 v4, 0x46800000, v3
; %bb.1764:
	s_or_b64 exec, exec, s[10:11]
                                        ; implicit-def: $vgpr3
.LBB118_1765:
	s_andn2_saveexec_b64 s[2:3], s[2:3]
; %bb.1766:
	s_mov_b32 s10, 0x7f800000
	v_mov_b32_e32 v4, 0x7e
	v_mov_b32_e32 v5, 0x7f
	v_cmp_lt_u32_e32 vcc, s10, v3
	v_cndmask_b32_e32 v4, v4, v5, vcc
; %bb.1767:
	s_or_b64 exec, exec, s[2:3]
	global_store_byte v[0:1], v4, off
.LBB118_1768:
	s_mov_b64 s[2:3], 0
.LBB118_1769:
	s_andn2_b64 vcc, exec, s[2:3]
	s_cbranch_vccnz .LBB118_1779
; %bb.1770:
	v_cndmask_b32_e64 v3, 0, 1.0, s[4:5]
	s_mov_b32 s2, 0x47800000
	v_cmp_gt_u32_e32 vcc, s2, v3
                                        ; implicit-def: $vgpr4
	s_and_saveexec_b64 s[2:3], vcc
	s_xor_b64 s[2:3], exec, s[2:3]
	s_cbranch_execz .LBB118_1776
; %bb.1771:
	s_mov_b32 s10, 0x387fffff
	v_cmp_lt_u32_e32 vcc, s10, v3
                                        ; implicit-def: $vgpr4
	s_and_saveexec_b64 s[10:11], vcc
	s_xor_b64 s[10:11], exec, s[10:11]
; %bb.1772:
	v_bfe_u32 v4, v3, 21, 1
	s_mov_b32 s14, 0x80fffff
	v_add3_u32 v3, v3, v4, s14
	v_lshrrev_b32_e32 v4, 21, v3
                                        ; implicit-def: $vgpr3
; %bb.1773:
	s_andn2_saveexec_b64 s[10:11], s[10:11]
; %bb.1774:
	v_add_f32_e32 v4, 0x43000000, v3
; %bb.1775:
	s_or_b64 exec, exec, s[10:11]
                                        ; implicit-def: $vgpr3
.LBB118_1776:
	s_andn2_saveexec_b64 s[2:3], s[2:3]
; %bb.1777:
	s_mov_b32 s10, 0x7f800000
	v_mov_b32_e32 v4, 0x7c
	v_mov_b32_e32 v5, 0x7f
	v_cmp_lt_u32_e32 vcc, s10, v3
	v_cndmask_b32_e32 v4, v4, v5, vcc
; %bb.1778:
	s_or_b64 exec, exec, s[2:3]
	global_store_byte v[0:1], v4, off
.LBB118_1779:
	s_mov_b64 s[2:3], 0
	s_mov_b64 s[10:11], -1
.LBB118_1780:
	s_andn2_b64 vcc, exec, s[2:3]
	s_mov_b64 s[2:3], 0
	s_cbranch_vccnz .LBB118_1787
; %bb.1781:
	s_cmp_gt_i32 s13, 14
	s_mov_b64 s[14:15], -1
	s_cbranch_scc0 .LBB118_1785
; %bb.1782:
	s_cmp_eq_u32 s13, 15
	s_mov_b64 s[0:1], -1
	s_cbranch_scc0 .LBB118_1784
; %bb.1783:
	v_cndmask_b32_e64 v3, 0, 1.0, s[4:5]
	v_bfe_u32 v4, v3, 16, 1
	s_movk_i32 s0, 0x7fff
	v_add3_u32 v3, v3, v4, s0
	global_store_short_d16_hi v[0:1], v3, off
	s_mov_b64 s[0:1], 0
	s_mov_b64 s[10:11], -1
.LBB118_1784:
	s_mov_b64 s[14:15], 0
.LBB118_1785:
	s_and_b64 vcc, exec, s[14:15]
	s_cbranch_vccz .LBB118_1787
; %bb.1786:
	s_cmp_lg_u32 s13, 11
	s_mov_b64 s[2:3], -1
	s_cselect_b64 s[0:1], -1, 0
.LBB118_1787:
	s_and_b64 vcc, exec, s[0:1]
	s_cbranch_vccnz .LBB118_2153
; %bb.1788:
	s_andn2_b64 vcc, exec, s[2:3]
	s_cbranch_vccnz .LBB118_1790
.LBB118_1789:
	v_cndmask_b32_e64 v3, 0, 1, s[4:5]
	s_mov_b64 s[10:11], -1
	global_store_byte v[0:1], v3, off
.LBB118_1790:
	s_mov_b64 s[0:1], 0
	s_branch .LBB118_1794
.LBB118_1791:
	s_andn2_b64 vcc, exec, s[10:11]
	s_cbranch_vccnz .LBB118_1711
.LBB118_1792:
	s_waitcnt vmcnt(0)
	v_cmp_gt_f16_e32 vcc, s2, v3
	s_andn2_b64 s[10:11], s[24:25], exec
	s_and_b64 s[14:15], vcc, exec
	s_or_b64 s[24:25], s[10:11], s[14:15]
	s_cbranch_execz .LBB118_1712
	s_branch .LBB118_1713
.LBB118_1793:
	s_mov_b64 s[0:1], -1
	s_mov_b64 s[10:11], 0
.LBB118_1794:
	s_and_b64 vcc, exec, s[0:1]
	s_cbranch_vccz .LBB118_1833
; %bb.1795:
	s_and_b32 s2, 0xffff, s28
	s_cmp_lt_i32 s2, 5
	s_mov_b64 s[0:1], -1
	s_cbranch_scc1 .LBB118_1816
; %bb.1796:
	s_cmp_lt_i32 s2, 8
	s_cbranch_scc1 .LBB118_1806
; %bb.1797:
	s_cmp_lt_i32 s2, 9
	s_cbranch_scc1 .LBB118_1803
; %bb.1798:
	s_cmp_gt_i32 s2, 9
	s_cbranch_scc0 .LBB118_1800
; %bb.1799:
	v_cndmask_b32_e64 v3, 0, 1, s[4:5]
	v_cvt_f64_u32_e32 v[3:4], v3
	v_mov_b32_e32 v5, 0
	v_mov_b32_e32 v6, v5
	s_mov_b64 s[0:1], 0
	global_store_dwordx4 v[0:1], v[3:6], off
.LBB118_1800:
	s_andn2_b64 vcc, exec, s[0:1]
	s_cbranch_vccnz .LBB118_1802
; %bb.1801:
	v_cndmask_b32_e64 v3, 0, 1.0, s[4:5]
	v_mov_b32_e32 v4, 0
	global_store_dwordx2 v[0:1], v[3:4], off
.LBB118_1802:
	s_mov_b64 s[0:1], 0
.LBB118_1803:
	s_andn2_b64 vcc, exec, s[0:1]
	s_cbranch_vccnz .LBB118_1805
; %bb.1804:
	v_cndmask_b32_e64 v3, 0, 1.0, s[4:5]
	v_cvt_f16_f32_e32 v3, v3
	global_store_dword v[0:1], v3, off
.LBB118_1805:
	s_mov_b64 s[0:1], 0
.LBB118_1806:
	s_andn2_b64 vcc, exec, s[0:1]
	s_cbranch_vccnz .LBB118_1815
; %bb.1807:
	s_cmp_lt_i32 s2, 6
	s_mov_b64 s[0:1], -1
	s_cbranch_scc1 .LBB118_1813
; %bb.1808:
	s_cmp_gt_i32 s2, 6
	s_cbranch_scc0 .LBB118_1810
; %bb.1809:
	v_cndmask_b32_e64 v3, 0, 1, s[4:5]
	v_cvt_f64_u32_e32 v[3:4], v3
	s_mov_b64 s[0:1], 0
	global_store_dwordx2 v[0:1], v[3:4], off
.LBB118_1810:
	s_andn2_b64 vcc, exec, s[0:1]
	s_cbranch_vccnz .LBB118_1812
; %bb.1811:
	v_cndmask_b32_e64 v3, 0, 1.0, s[4:5]
	global_store_dword v[0:1], v3, off
.LBB118_1812:
	s_mov_b64 s[0:1], 0
.LBB118_1813:
	s_andn2_b64 vcc, exec, s[0:1]
	s_cbranch_vccnz .LBB118_1815
; %bb.1814:
	v_cndmask_b32_e64 v3, 0, 1.0, s[4:5]
	v_cvt_f16_f32_e32 v3, v3
	global_store_short v[0:1], v3, off
.LBB118_1815:
	s_mov_b64 s[0:1], 0
.LBB118_1816:
	s_andn2_b64 vcc, exec, s[0:1]
	s_cbranch_vccnz .LBB118_1832
; %bb.1817:
	s_cmp_lt_i32 s2, 2
	s_mov_b64 s[0:1], -1
	s_cbranch_scc1 .LBB118_1827
; %bb.1818:
	s_cmp_lt_i32 s2, 3
	s_cbranch_scc1 .LBB118_1824
; %bb.1819:
	s_cmp_gt_i32 s2, 3
	s_cbranch_scc0 .LBB118_1821
; %bb.1820:
	s_mov_b32 s0, 0
	v_cndmask_b32_e64 v3, 0, 1, s[4:5]
	v_mov_b32_e32 v4, s0
	global_store_dwordx2 v[0:1], v[3:4], off
	s_mov_b64 s[0:1], 0
.LBB118_1821:
	s_andn2_b64 vcc, exec, s[0:1]
	s_cbranch_vccnz .LBB118_1823
; %bb.1822:
	v_cndmask_b32_e64 v3, 0, 1, s[4:5]
	global_store_dword v[0:1], v3, off
.LBB118_1823:
	s_mov_b64 s[0:1], 0
.LBB118_1824:
	s_andn2_b64 vcc, exec, s[0:1]
	s_cbranch_vccnz .LBB118_1826
; %bb.1825:
	v_cndmask_b32_e64 v3, 0, 1, s[4:5]
	global_store_short v[0:1], v3, off
.LBB118_1826:
	s_mov_b64 s[0:1], 0
.LBB118_1827:
	s_andn2_b64 vcc, exec, s[0:1]
	s_cbranch_vccnz .LBB118_1832
; %bb.1828:
	s_mov_b64 s[0:1], -1
	s_cmp_gt_i32 s2, 0
	v_cndmask_b32_e64 v3, 0, 1, s[4:5]
	s_cbranch_scc0 .LBB118_1830
; %bb.1829:
	global_store_byte v[0:1], v3, off
	s_mov_b64 s[0:1], 0
.LBB118_1830:
	s_andn2_b64 vcc, exec, s[0:1]
	s_cbranch_vccnz .LBB118_1832
; %bb.1831:
	global_store_byte v[0:1], v3, off
.LBB118_1832:
	s_mov_b64 s[10:11], -1
.LBB118_1833:
	s_andn2_b64 vcc, exec, s[10:11]
	s_cbranch_vccnz .LBB118_2148
; %bb.1834:
	s_lshl_b32 s14, s12, 7
	v_add_u32_e32 v2, s14, v2
	v_ashrrev_i32_e32 v1, 31, v2
	v_mov_b32_e32 v3, s9
	v_add_co_u32_e32 v0, vcc, s8, v2
	s_cmp_lt_i32 s28, 11
	v_addc_co_u32_e32 v1, vcc, v3, v1, vcc
	s_cbranch_scc1 .LBB118_1912
; %bb.1835:
	s_and_b32 s15, 0xffff, s28
	s_mov_b64 s[10:11], -1
	s_mov_b64 s[2:3], 0
	s_cmp_gt_i32 s15, 25
	s_mov_b64 s[4:5], 0
	s_mov_b64 s[0:1], 0
	s_cbranch_scc0 .LBB118_1868
; %bb.1836:
	s_cmp_gt_i32 s15, 28
	s_cbranch_scc0 .LBB118_1851
; %bb.1837:
	s_cmp_gt_i32 s15, 43
	;; [unrolled: 3-line block ×3, first 2 shown]
	s_cbranch_scc0 .LBB118_1841
; %bb.1839:
	s_mov_b64 s[0:1], -1
	s_mov_b64 s[10:11], 0
	s_cmp_eq_u32 s15, 46
	s_cbranch_scc0 .LBB118_1841
; %bb.1840:
	v_cndmask_b32_e64 v3, 0, 1.0, s[20:21]
	v_bfe_u32 v4, v3, 16, 1
	s_movk_i32 s0, 0x7fff
	v_add3_u32 v3, v3, v4, s0
	v_lshrrev_b32_e32 v3, 16, v3
	global_store_dword v[0:1], v3, off
	s_mov_b64 s[0:1], 0
	s_mov_b64 s[4:5], -1
.LBB118_1841:
	s_and_b64 vcc, exec, s[10:11]
	s_cbranch_vccz .LBB118_1846
; %bb.1842:
	s_cmp_eq_u32 s15, 44
	s_mov_b64 s[0:1], -1
	s_cbranch_scc0 .LBB118_1846
; %bb.1843:
	v_cndmask_b32_e64 v4, 0, 1.0, s[20:21]
	v_lshrrev_b32_e32 v3, 23, v4
	s_movk_i32 s0, 0xff
	v_cmp_ne_u32_e32 vcc, s0, v3
	v_mov_b32_e32 v5, 0xff
	s_and_saveexec_b64 s[4:5], vcc
; %bb.1844:
	s_mov_b32 s0, 0x3fffff
	v_and_b32_e32 v5, 0x400000, v4
	v_and_or_b32 v4, v4, s0, v3
	v_cmp_ne_u32_e32 vcc, 0, v5
	v_cmp_ne_u32_e64 s[0:1], 0, v4
	s_and_b64 s[0:1], vcc, s[0:1]
	v_cndmask_b32_e64 v4, 0, 1, s[0:1]
	v_add_u32_e32 v5, v3, v4
; %bb.1845:
	s_or_b64 exec, exec, s[4:5]
	s_mov_b64 s[0:1], 0
	s_mov_b64 s[4:5], -1
	global_store_byte v[0:1], v5, off
.LBB118_1846:
	s_mov_b64 s[10:11], 0
.LBB118_1847:
	s_and_b64 vcc, exec, s[10:11]
	s_cbranch_vccz .LBB118_1850
; %bb.1848:
	s_cmp_eq_u32 s15, 29
	s_mov_b64 s[0:1], -1
	s_cbranch_scc0 .LBB118_1850
; %bb.1849:
	s_mov_b32 s0, 0
	v_cndmask_b32_e64 v3, 0, 1, s[20:21]
	v_mov_b32_e32 v4, s0
	global_store_dwordx2 v[0:1], v[3:4], off
	s_mov_b64 s[0:1], 0
	s_mov_b64 s[4:5], -1
.LBB118_1850:
	s_mov_b64 s[10:11], 0
.LBB118_1851:
	s_and_b64 vcc, exec, s[10:11]
	s_cbranch_vccz .LBB118_1867
; %bb.1852:
	s_cmp_lt_i32 s15, 27
	s_mov_b64 s[4:5], -1
	s_cbranch_scc1 .LBB118_1858
; %bb.1853:
	s_cmp_gt_i32 s15, 27
	s_cbranch_scc0 .LBB118_1855
; %bb.1854:
	v_cndmask_b32_e64 v3, 0, 1, s[20:21]
	s_mov_b64 s[4:5], 0
	global_store_dword v[0:1], v3, off
.LBB118_1855:
	s_andn2_b64 vcc, exec, s[4:5]
	s_cbranch_vccnz .LBB118_1857
; %bb.1856:
	v_cndmask_b32_e64 v3, 0, 1, s[20:21]
	global_store_short v[0:1], v3, off
.LBB118_1857:
	s_mov_b64 s[4:5], 0
.LBB118_1858:
	s_andn2_b64 vcc, exec, s[4:5]
	s_cbranch_vccnz .LBB118_1866
; %bb.1859:
	v_cndmask_b32_e64 v4, 0, 1.0, s[20:21]
	s_mov_b32 s4, 0x43800000
	v_cmp_gt_u32_e32 vcc, s4, v4
	v_mov_b32_e32 v5, 0x80
	s_and_saveexec_b64 s[4:5], vcc
	s_cbranch_execz .LBB118_1865
; %bb.1860:
	s_mov_b32 s10, 0x3bffffff
	v_cmp_lt_u32_e32 vcc, s10, v4
	s_mov_b64 s[10:11], 0
                                        ; implicit-def: $vgpr3
	s_and_saveexec_b64 s[12:13], vcc
	s_xor_b64 s[12:13], exec, s[12:13]
	s_cbranch_execz .LBB118_2156
; %bb.1861:
	v_bfe_u32 v3, v4, 20, 1
	s_mov_b32 s26, 0x487ffff
	v_add3_u32 v3, v4, v3, s26
	s_mov_b64 s[10:11], exec
	v_lshrrev_b32_e32 v3, 20, v3
                                        ; implicit-def: $vgpr4
	s_andn2_saveexec_b64 s[12:13], s[12:13]
	s_cbranch_execnz .LBB118_2157
.LBB118_1862:
	s_or_b64 exec, exec, s[12:13]
	v_mov_b32_e32 v5, 0
	s_and_saveexec_b64 s[12:13], s[10:11]
.LBB118_1863:
	v_mov_b32_e32 v5, v3
.LBB118_1864:
	s_or_b64 exec, exec, s[12:13]
.LBB118_1865:
	s_or_b64 exec, exec, s[4:5]
	global_store_byte v[0:1], v5, off
.LBB118_1866:
	s_mov_b64 s[4:5], -1
.LBB118_1867:
	s_mov_b64 s[10:11], 0
.LBB118_1868:
	s_and_b64 vcc, exec, s[10:11]
	s_cbranch_vccz .LBB118_1908
; %bb.1869:
	s_cmp_gt_i32 s15, 22
	s_mov_b64 s[2:3], -1
	s_cbranch_scc0 .LBB118_1901
; %bb.1870:
	s_cmp_lt_i32 s15, 24
	s_cbranch_scc1 .LBB118_1890
; %bb.1871:
	s_cmp_gt_i32 s15, 24
	s_cbranch_scc0 .LBB118_1879
; %bb.1872:
	v_cndmask_b32_e64 v4, 0, 1.0, s[20:21]
	s_mov_b32 s2, 0x47800000
	v_cmp_gt_u32_e32 vcc, s2, v4
	v_mov_b32_e32 v5, 0x80
	s_and_saveexec_b64 s[2:3], vcc
	s_cbranch_execz .LBB118_1878
; %bb.1873:
	s_mov_b32 s4, 0x37ffffff
	v_cmp_lt_u32_e32 vcc, s4, v4
	s_mov_b64 s[4:5], 0
                                        ; implicit-def: $vgpr3
	s_and_saveexec_b64 s[10:11], vcc
	s_xor_b64 s[10:11], exec, s[10:11]
	s_cbranch_execz .LBB118_2159
; %bb.1874:
	v_bfe_u32 v3, v4, 21, 1
	s_mov_b32 s12, 0x88fffff
	v_add3_u32 v3, v4, v3, s12
	s_mov_b64 s[4:5], exec
	v_lshrrev_b32_e32 v3, 21, v3
                                        ; implicit-def: $vgpr4
	s_andn2_saveexec_b64 s[10:11], s[10:11]
	s_cbranch_execnz .LBB118_2160
.LBB118_1875:
	s_or_b64 exec, exec, s[10:11]
	v_mov_b32_e32 v5, 0
	s_and_saveexec_b64 s[10:11], s[4:5]
.LBB118_1876:
	v_mov_b32_e32 v5, v3
.LBB118_1877:
	s_or_b64 exec, exec, s[10:11]
.LBB118_1878:
	s_or_b64 exec, exec, s[2:3]
	s_mov_b64 s[2:3], 0
	global_store_byte v[0:1], v5, off
.LBB118_1879:
	s_and_b64 vcc, exec, s[2:3]
	s_cbranch_vccz .LBB118_1889
; %bb.1880:
	v_cndmask_b32_e64 v3, 0, 1.0, s[20:21]
	s_mov_b32 s2, 0x43f00000
	v_cmp_gt_u32_e32 vcc, s2, v3
                                        ; implicit-def: $vgpr4
	s_and_saveexec_b64 s[2:3], vcc
	s_xor_b64 s[2:3], exec, s[2:3]
	s_cbranch_execz .LBB118_1886
; %bb.1881:
	s_mov_b32 s4, 0x3c7fffff
	v_cmp_lt_u32_e32 vcc, s4, v3
                                        ; implicit-def: $vgpr4
	s_and_saveexec_b64 s[4:5], vcc
	s_xor_b64 s[4:5], exec, s[4:5]
; %bb.1882:
	v_bfe_u32 v4, v3, 20, 1
	s_mov_b32 s10, 0x407ffff
	v_add3_u32 v3, v3, v4, s10
	v_lshrrev_b32_e32 v4, 20, v3
	v_and_b32_e32 v3, 0xff00000, v3
	s_mov_b32 s10, 0x7f00000
	v_mov_b32_e32 v5, 0x7e
	v_cmp_ne_u32_e32 vcc, s10, v3
	v_cndmask_b32_e32 v4, v5, v4, vcc
                                        ; implicit-def: $vgpr3
; %bb.1883:
	s_andn2_saveexec_b64 s[4:5], s[4:5]
; %bb.1884:
	v_add_f32_e32 v4, 0x46800000, v3
; %bb.1885:
	s_or_b64 exec, exec, s[4:5]
                                        ; implicit-def: $vgpr3
.LBB118_1886:
	s_andn2_saveexec_b64 s[2:3], s[2:3]
; %bb.1887:
	s_mov_b32 s4, 0x7f800000
	v_mov_b32_e32 v4, 0x7e
	v_mov_b32_e32 v5, 0x7f
	v_cmp_lt_u32_e32 vcc, s4, v3
	v_cndmask_b32_e32 v4, v4, v5, vcc
; %bb.1888:
	s_or_b64 exec, exec, s[2:3]
	global_store_byte v[0:1], v4, off
.LBB118_1889:
	s_mov_b64 s[2:3], 0
.LBB118_1890:
	s_andn2_b64 vcc, exec, s[2:3]
	s_cbranch_vccnz .LBB118_1900
; %bb.1891:
	v_cndmask_b32_e64 v3, 0, 1.0, s[20:21]
	s_mov_b32 s2, 0x47800000
	v_cmp_gt_u32_e32 vcc, s2, v3
                                        ; implicit-def: $vgpr4
	s_and_saveexec_b64 s[2:3], vcc
	s_xor_b64 s[2:3], exec, s[2:3]
	s_cbranch_execz .LBB118_1897
; %bb.1892:
	s_mov_b32 s4, 0x387fffff
	v_cmp_lt_u32_e32 vcc, s4, v3
                                        ; implicit-def: $vgpr4
	s_and_saveexec_b64 s[4:5], vcc
	s_xor_b64 s[4:5], exec, s[4:5]
; %bb.1893:
	v_bfe_u32 v4, v3, 21, 1
	s_mov_b32 s10, 0x80fffff
	v_add3_u32 v3, v3, v4, s10
	v_lshrrev_b32_e32 v4, 21, v3
                                        ; implicit-def: $vgpr3
; %bb.1894:
	s_andn2_saveexec_b64 s[4:5], s[4:5]
; %bb.1895:
	v_add_f32_e32 v4, 0x43000000, v3
; %bb.1896:
	s_or_b64 exec, exec, s[4:5]
                                        ; implicit-def: $vgpr3
.LBB118_1897:
	s_andn2_saveexec_b64 s[2:3], s[2:3]
; %bb.1898:
	s_mov_b32 s4, 0x7f800000
	v_mov_b32_e32 v4, 0x7c
	v_mov_b32_e32 v5, 0x7f
	v_cmp_lt_u32_e32 vcc, s4, v3
	v_cndmask_b32_e32 v4, v4, v5, vcc
; %bb.1899:
	s_or_b64 exec, exec, s[2:3]
	global_store_byte v[0:1], v4, off
.LBB118_1900:
	s_mov_b64 s[2:3], 0
	s_mov_b64 s[4:5], -1
.LBB118_1901:
	s_andn2_b64 vcc, exec, s[2:3]
	s_mov_b64 s[2:3], 0
	s_cbranch_vccnz .LBB118_1908
; %bb.1902:
	s_cmp_gt_i32 s15, 14
	s_mov_b64 s[10:11], -1
	s_cbranch_scc0 .LBB118_1906
; %bb.1903:
	s_cmp_eq_u32 s15, 15
	s_mov_b64 s[0:1], -1
	s_cbranch_scc0 .LBB118_1905
; %bb.1904:
	v_cndmask_b32_e64 v3, 0, 1.0, s[20:21]
	v_bfe_u32 v4, v3, 16, 1
	s_movk_i32 s0, 0x7fff
	v_add3_u32 v3, v3, v4, s0
	global_store_short_d16_hi v[0:1], v3, off
	s_mov_b64 s[0:1], 0
	s_mov_b64 s[4:5], -1
.LBB118_1905:
	s_mov_b64 s[10:11], 0
.LBB118_1906:
	s_and_b64 vcc, exec, s[10:11]
	s_cbranch_vccz .LBB118_1908
; %bb.1907:
	s_cmp_lg_u32 s15, 11
	s_mov_b64 s[2:3], -1
	s_cselect_b64 s[0:1], -1, 0
.LBB118_1908:
	s_and_b64 vcc, exec, s[0:1]
	s_cbranch_vccnz .LBB118_2158
; %bb.1909:
	s_andn2_b64 vcc, exec, s[2:3]
	s_cbranch_vccnz .LBB118_1911
.LBB118_1910:
	v_cndmask_b32_e64 v3, 0, 1, s[20:21]
	s_mov_b64 s[4:5], -1
	global_store_byte v[0:1], v3, off
.LBB118_1911:
	s_mov_b64 s[0:1], 0
	s_branch .LBB118_1913
.LBB118_1912:
	s_mov_b64 s[0:1], -1
	s_mov_b64 s[4:5], 0
.LBB118_1913:
	s_and_b64 vcc, exec, s[0:1]
	s_cbranch_vccz .LBB118_1952
; %bb.1914:
	s_and_b32 s2, 0xffff, s28
	s_cmp_lt_i32 s2, 5
	s_mov_b64 s[0:1], -1
	s_cbranch_scc1 .LBB118_1935
; %bb.1915:
	s_cmp_lt_i32 s2, 8
	s_cbranch_scc1 .LBB118_1925
; %bb.1916:
	s_cmp_lt_i32 s2, 9
	s_cbranch_scc1 .LBB118_1922
; %bb.1917:
	s_cmp_gt_i32 s2, 9
	s_cbranch_scc0 .LBB118_1919
; %bb.1918:
	v_cndmask_b32_e64 v3, 0, 1, s[20:21]
	v_cvt_f64_u32_e32 v[3:4], v3
	v_mov_b32_e32 v5, 0
	v_mov_b32_e32 v6, v5
	s_mov_b64 s[0:1], 0
	global_store_dwordx4 v[0:1], v[3:6], off
.LBB118_1919:
	s_andn2_b64 vcc, exec, s[0:1]
	s_cbranch_vccnz .LBB118_1921
; %bb.1920:
	v_cndmask_b32_e64 v3, 0, 1.0, s[20:21]
	v_mov_b32_e32 v4, 0
	global_store_dwordx2 v[0:1], v[3:4], off
.LBB118_1921:
	s_mov_b64 s[0:1], 0
.LBB118_1922:
	s_andn2_b64 vcc, exec, s[0:1]
	s_cbranch_vccnz .LBB118_1924
; %bb.1923:
	v_cndmask_b32_e64 v3, 0, 1.0, s[20:21]
	v_cvt_f16_f32_e32 v3, v3
	global_store_dword v[0:1], v3, off
.LBB118_1924:
	s_mov_b64 s[0:1], 0
.LBB118_1925:
	s_andn2_b64 vcc, exec, s[0:1]
	s_cbranch_vccnz .LBB118_1934
; %bb.1926:
	s_cmp_lt_i32 s2, 6
	s_mov_b64 s[0:1], -1
	s_cbranch_scc1 .LBB118_1932
; %bb.1927:
	s_cmp_gt_i32 s2, 6
	s_cbranch_scc0 .LBB118_1929
; %bb.1928:
	v_cndmask_b32_e64 v3, 0, 1, s[20:21]
	v_cvt_f64_u32_e32 v[3:4], v3
	s_mov_b64 s[0:1], 0
	global_store_dwordx2 v[0:1], v[3:4], off
.LBB118_1929:
	s_andn2_b64 vcc, exec, s[0:1]
	s_cbranch_vccnz .LBB118_1931
; %bb.1930:
	v_cndmask_b32_e64 v3, 0, 1.0, s[20:21]
	global_store_dword v[0:1], v3, off
.LBB118_1931:
	s_mov_b64 s[0:1], 0
.LBB118_1932:
	s_andn2_b64 vcc, exec, s[0:1]
	s_cbranch_vccnz .LBB118_1934
; %bb.1933:
	v_cndmask_b32_e64 v3, 0, 1.0, s[20:21]
	v_cvt_f16_f32_e32 v3, v3
	global_store_short v[0:1], v3, off
.LBB118_1934:
	s_mov_b64 s[0:1], 0
.LBB118_1935:
	s_andn2_b64 vcc, exec, s[0:1]
	s_cbranch_vccnz .LBB118_1951
; %bb.1936:
	s_cmp_lt_i32 s2, 2
	s_mov_b64 s[0:1], -1
	s_cbranch_scc1 .LBB118_1946
; %bb.1937:
	s_cmp_lt_i32 s2, 3
	s_cbranch_scc1 .LBB118_1943
; %bb.1938:
	s_cmp_gt_i32 s2, 3
	s_cbranch_scc0 .LBB118_1940
; %bb.1939:
	s_mov_b32 s0, 0
	v_cndmask_b32_e64 v3, 0, 1, s[20:21]
	v_mov_b32_e32 v4, s0
	global_store_dwordx2 v[0:1], v[3:4], off
	s_mov_b64 s[0:1], 0
.LBB118_1940:
	s_andn2_b64 vcc, exec, s[0:1]
	s_cbranch_vccnz .LBB118_1942
; %bb.1941:
	v_cndmask_b32_e64 v3, 0, 1, s[20:21]
	global_store_dword v[0:1], v3, off
.LBB118_1942:
	s_mov_b64 s[0:1], 0
.LBB118_1943:
	s_andn2_b64 vcc, exec, s[0:1]
	s_cbranch_vccnz .LBB118_1945
; %bb.1944:
	v_cndmask_b32_e64 v3, 0, 1, s[20:21]
	global_store_short v[0:1], v3, off
.LBB118_1945:
	s_mov_b64 s[0:1], 0
.LBB118_1946:
	s_andn2_b64 vcc, exec, s[0:1]
	s_cbranch_vccnz .LBB118_1951
; %bb.1947:
	s_mov_b64 s[0:1], -1
	s_cmp_gt_i32 s2, 0
	v_cndmask_b32_e64 v3, 0, 1, s[20:21]
	s_cbranch_scc0 .LBB118_1949
; %bb.1948:
	global_store_byte v[0:1], v3, off
	s_mov_b64 s[0:1], 0
.LBB118_1949:
	s_andn2_b64 vcc, exec, s[0:1]
	s_cbranch_vccnz .LBB118_1951
; %bb.1950:
	global_store_byte v[0:1], v3, off
.LBB118_1951:
	s_mov_b64 s[4:5], -1
.LBB118_1952:
	s_andn2_b64 vcc, exec, s[4:5]
	s_cbranch_vccnz .LBB118_2148
; %bb.1953:
	v_add_u32_e32 v2, s14, v2
	v_ashrrev_i32_e32 v1, 31, v2
	v_mov_b32_e32 v3, s9
	v_add_co_u32_e32 v0, vcc, s8, v2
	s_cmp_lt_i32 s28, 11
	v_addc_co_u32_e32 v1, vcc, v3, v1, vcc
	s_cbranch_scc1 .LBB118_2031
; %bb.1954:
	s_and_b32 s15, 0xffff, s28
	s_mov_b64 s[10:11], -1
	s_mov_b64 s[2:3], 0
	s_cmp_gt_i32 s15, 25
	s_mov_b64 s[4:5], 0
	s_mov_b64 s[0:1], 0
	s_cbranch_scc0 .LBB118_1987
; %bb.1955:
	s_cmp_gt_i32 s15, 28
	s_cbranch_scc0 .LBB118_1970
; %bb.1956:
	s_cmp_gt_i32 s15, 43
	s_cbranch_scc0 .LBB118_1966
; %bb.1957:
	s_cmp_gt_i32 s15, 45
	s_cbranch_scc0 .LBB118_1960
; %bb.1958:
	s_mov_b64 s[0:1], -1
	s_mov_b64 s[10:11], 0
	s_cmp_eq_u32 s15, 46
	s_cbranch_scc0 .LBB118_1960
; %bb.1959:
	v_cndmask_b32_e64 v3, 0, 1.0, s[22:23]
	v_bfe_u32 v4, v3, 16, 1
	s_movk_i32 s0, 0x7fff
	v_add3_u32 v3, v3, v4, s0
	v_lshrrev_b32_e32 v3, 16, v3
	global_store_dword v[0:1], v3, off
	s_mov_b64 s[0:1], 0
	s_mov_b64 s[4:5], -1
.LBB118_1960:
	s_and_b64 vcc, exec, s[10:11]
	s_cbranch_vccz .LBB118_1965
; %bb.1961:
	s_cmp_eq_u32 s15, 44
	s_mov_b64 s[0:1], -1
	s_cbranch_scc0 .LBB118_1965
; %bb.1962:
	v_cndmask_b32_e64 v4, 0, 1.0, s[22:23]
	v_lshrrev_b32_e32 v3, 23, v4
	s_movk_i32 s0, 0xff
	v_cmp_ne_u32_e32 vcc, s0, v3
	v_mov_b32_e32 v5, 0xff
	s_and_saveexec_b64 s[4:5], vcc
; %bb.1963:
	s_mov_b32 s0, 0x3fffff
	v_and_b32_e32 v5, 0x400000, v4
	v_and_or_b32 v4, v4, s0, v3
	v_cmp_ne_u32_e32 vcc, 0, v5
	v_cmp_ne_u32_e64 s[0:1], 0, v4
	s_and_b64 s[0:1], vcc, s[0:1]
	v_cndmask_b32_e64 v4, 0, 1, s[0:1]
	v_add_u32_e32 v5, v3, v4
; %bb.1964:
	s_or_b64 exec, exec, s[4:5]
	s_mov_b64 s[0:1], 0
	s_mov_b64 s[4:5], -1
	global_store_byte v[0:1], v5, off
.LBB118_1965:
	s_mov_b64 s[10:11], 0
.LBB118_1966:
	s_and_b64 vcc, exec, s[10:11]
	s_cbranch_vccz .LBB118_1969
; %bb.1967:
	s_cmp_eq_u32 s15, 29
	s_mov_b64 s[0:1], -1
	s_cbranch_scc0 .LBB118_1969
; %bb.1968:
	s_mov_b32 s0, 0
	v_cndmask_b32_e64 v3, 0, 1, s[22:23]
	v_mov_b32_e32 v4, s0
	global_store_dwordx2 v[0:1], v[3:4], off
	s_mov_b64 s[0:1], 0
	s_mov_b64 s[4:5], -1
.LBB118_1969:
	s_mov_b64 s[10:11], 0
.LBB118_1970:
	s_and_b64 vcc, exec, s[10:11]
	s_cbranch_vccz .LBB118_1986
; %bb.1971:
	s_cmp_lt_i32 s15, 27
	s_mov_b64 s[4:5], -1
	s_cbranch_scc1 .LBB118_1977
; %bb.1972:
	s_cmp_gt_i32 s15, 27
	s_cbranch_scc0 .LBB118_1974
; %bb.1973:
	v_cndmask_b32_e64 v3, 0, 1, s[22:23]
	s_mov_b64 s[4:5], 0
	global_store_dword v[0:1], v3, off
.LBB118_1974:
	s_andn2_b64 vcc, exec, s[4:5]
	s_cbranch_vccnz .LBB118_1976
; %bb.1975:
	v_cndmask_b32_e64 v3, 0, 1, s[22:23]
	global_store_short v[0:1], v3, off
.LBB118_1976:
	s_mov_b64 s[4:5], 0
.LBB118_1977:
	s_andn2_b64 vcc, exec, s[4:5]
	s_cbranch_vccnz .LBB118_1985
; %bb.1978:
	v_cndmask_b32_e64 v4, 0, 1.0, s[22:23]
	s_mov_b32 s4, 0x43800000
	v_cmp_gt_u32_e32 vcc, s4, v4
	v_mov_b32_e32 v5, 0x80
	s_and_saveexec_b64 s[4:5], vcc
	s_cbranch_execz .LBB118_1984
; %bb.1979:
	s_mov_b32 s10, 0x3bffffff
	v_cmp_lt_u32_e32 vcc, s10, v4
	s_mov_b64 s[10:11], 0
                                        ; implicit-def: $vgpr3
	s_and_saveexec_b64 s[12:13], vcc
	s_xor_b64 s[12:13], exec, s[12:13]
	s_cbranch_execz .LBB118_2161
; %bb.1980:
	v_bfe_u32 v3, v4, 20, 1
	s_mov_b32 s20, 0x487ffff
	v_add3_u32 v3, v4, v3, s20
	s_mov_b64 s[10:11], exec
	v_lshrrev_b32_e32 v3, 20, v3
                                        ; implicit-def: $vgpr4
	s_andn2_saveexec_b64 s[12:13], s[12:13]
	s_cbranch_execnz .LBB118_2162
.LBB118_1981:
	s_or_b64 exec, exec, s[12:13]
	v_mov_b32_e32 v5, 0
	s_and_saveexec_b64 s[12:13], s[10:11]
.LBB118_1982:
	v_mov_b32_e32 v5, v3
.LBB118_1983:
	s_or_b64 exec, exec, s[12:13]
.LBB118_1984:
	s_or_b64 exec, exec, s[4:5]
	global_store_byte v[0:1], v5, off
.LBB118_1985:
	s_mov_b64 s[4:5], -1
.LBB118_1986:
	s_mov_b64 s[10:11], 0
.LBB118_1987:
	s_and_b64 vcc, exec, s[10:11]
	s_cbranch_vccz .LBB118_2027
; %bb.1988:
	s_cmp_gt_i32 s15, 22
	s_mov_b64 s[2:3], -1
	s_cbranch_scc0 .LBB118_2020
; %bb.1989:
	s_cmp_lt_i32 s15, 24
	s_cbranch_scc1 .LBB118_2009
; %bb.1990:
	s_cmp_gt_i32 s15, 24
	s_cbranch_scc0 .LBB118_1998
; %bb.1991:
	v_cndmask_b32_e64 v4, 0, 1.0, s[22:23]
	s_mov_b32 s2, 0x47800000
	v_cmp_gt_u32_e32 vcc, s2, v4
	v_mov_b32_e32 v5, 0x80
	s_and_saveexec_b64 s[2:3], vcc
	s_cbranch_execz .LBB118_1997
; %bb.1992:
	s_mov_b32 s4, 0x37ffffff
	v_cmp_lt_u32_e32 vcc, s4, v4
	s_mov_b64 s[4:5], 0
                                        ; implicit-def: $vgpr3
	s_and_saveexec_b64 s[10:11], vcc
	s_xor_b64 s[10:11], exec, s[10:11]
	s_cbranch_execz .LBB118_2164
; %bb.1993:
	v_bfe_u32 v3, v4, 21, 1
	s_mov_b32 s12, 0x88fffff
	v_add3_u32 v3, v4, v3, s12
	s_mov_b64 s[4:5], exec
	v_lshrrev_b32_e32 v3, 21, v3
                                        ; implicit-def: $vgpr4
	s_andn2_saveexec_b64 s[10:11], s[10:11]
	s_cbranch_execnz .LBB118_2165
.LBB118_1994:
	s_or_b64 exec, exec, s[10:11]
	v_mov_b32_e32 v5, 0
	s_and_saveexec_b64 s[10:11], s[4:5]
.LBB118_1995:
	v_mov_b32_e32 v5, v3
.LBB118_1996:
	s_or_b64 exec, exec, s[10:11]
.LBB118_1997:
	s_or_b64 exec, exec, s[2:3]
	s_mov_b64 s[2:3], 0
	global_store_byte v[0:1], v5, off
.LBB118_1998:
	s_and_b64 vcc, exec, s[2:3]
	s_cbranch_vccz .LBB118_2008
; %bb.1999:
	v_cndmask_b32_e64 v3, 0, 1.0, s[22:23]
	s_mov_b32 s2, 0x43f00000
	v_cmp_gt_u32_e32 vcc, s2, v3
                                        ; implicit-def: $vgpr4
	s_and_saveexec_b64 s[2:3], vcc
	s_xor_b64 s[2:3], exec, s[2:3]
	s_cbranch_execz .LBB118_2005
; %bb.2000:
	s_mov_b32 s4, 0x3c7fffff
	v_cmp_lt_u32_e32 vcc, s4, v3
                                        ; implicit-def: $vgpr4
	s_and_saveexec_b64 s[4:5], vcc
	s_xor_b64 s[4:5], exec, s[4:5]
; %bb.2001:
	v_bfe_u32 v4, v3, 20, 1
	s_mov_b32 s10, 0x407ffff
	v_add3_u32 v3, v3, v4, s10
	v_lshrrev_b32_e32 v4, 20, v3
	v_and_b32_e32 v3, 0xff00000, v3
	s_mov_b32 s10, 0x7f00000
	v_mov_b32_e32 v5, 0x7e
	v_cmp_ne_u32_e32 vcc, s10, v3
	v_cndmask_b32_e32 v4, v5, v4, vcc
                                        ; implicit-def: $vgpr3
; %bb.2002:
	s_andn2_saveexec_b64 s[4:5], s[4:5]
; %bb.2003:
	v_add_f32_e32 v4, 0x46800000, v3
; %bb.2004:
	s_or_b64 exec, exec, s[4:5]
                                        ; implicit-def: $vgpr3
.LBB118_2005:
	s_andn2_saveexec_b64 s[2:3], s[2:3]
; %bb.2006:
	s_mov_b32 s4, 0x7f800000
	v_mov_b32_e32 v4, 0x7e
	v_mov_b32_e32 v5, 0x7f
	v_cmp_lt_u32_e32 vcc, s4, v3
	v_cndmask_b32_e32 v4, v4, v5, vcc
; %bb.2007:
	s_or_b64 exec, exec, s[2:3]
	global_store_byte v[0:1], v4, off
.LBB118_2008:
	s_mov_b64 s[2:3], 0
.LBB118_2009:
	s_andn2_b64 vcc, exec, s[2:3]
	s_cbranch_vccnz .LBB118_2019
; %bb.2010:
	v_cndmask_b32_e64 v3, 0, 1.0, s[22:23]
	s_mov_b32 s2, 0x47800000
	v_cmp_gt_u32_e32 vcc, s2, v3
                                        ; implicit-def: $vgpr4
	s_and_saveexec_b64 s[2:3], vcc
	s_xor_b64 s[2:3], exec, s[2:3]
	s_cbranch_execz .LBB118_2016
; %bb.2011:
	s_mov_b32 s4, 0x387fffff
	v_cmp_lt_u32_e32 vcc, s4, v3
                                        ; implicit-def: $vgpr4
	s_and_saveexec_b64 s[4:5], vcc
	s_xor_b64 s[4:5], exec, s[4:5]
; %bb.2012:
	v_bfe_u32 v4, v3, 21, 1
	s_mov_b32 s10, 0x80fffff
	v_add3_u32 v3, v3, v4, s10
	v_lshrrev_b32_e32 v4, 21, v3
                                        ; implicit-def: $vgpr3
; %bb.2013:
	s_andn2_saveexec_b64 s[4:5], s[4:5]
; %bb.2014:
	v_add_f32_e32 v4, 0x43000000, v3
; %bb.2015:
	s_or_b64 exec, exec, s[4:5]
                                        ; implicit-def: $vgpr3
.LBB118_2016:
	s_andn2_saveexec_b64 s[2:3], s[2:3]
; %bb.2017:
	s_mov_b32 s4, 0x7f800000
	v_mov_b32_e32 v4, 0x7c
	v_mov_b32_e32 v5, 0x7f
	v_cmp_lt_u32_e32 vcc, s4, v3
	v_cndmask_b32_e32 v4, v4, v5, vcc
; %bb.2018:
	s_or_b64 exec, exec, s[2:3]
	global_store_byte v[0:1], v4, off
.LBB118_2019:
	s_mov_b64 s[2:3], 0
	s_mov_b64 s[4:5], -1
.LBB118_2020:
	s_andn2_b64 vcc, exec, s[2:3]
	s_mov_b64 s[2:3], 0
	s_cbranch_vccnz .LBB118_2027
; %bb.2021:
	s_cmp_gt_i32 s15, 14
	s_mov_b64 s[10:11], -1
	s_cbranch_scc0 .LBB118_2025
; %bb.2022:
	s_cmp_eq_u32 s15, 15
	s_mov_b64 s[0:1], -1
	s_cbranch_scc0 .LBB118_2024
; %bb.2023:
	v_cndmask_b32_e64 v3, 0, 1.0, s[22:23]
	v_bfe_u32 v4, v3, 16, 1
	s_movk_i32 s0, 0x7fff
	v_add3_u32 v3, v3, v4, s0
	global_store_short_d16_hi v[0:1], v3, off
	s_mov_b64 s[0:1], 0
	s_mov_b64 s[4:5], -1
.LBB118_2024:
	s_mov_b64 s[10:11], 0
.LBB118_2025:
	s_and_b64 vcc, exec, s[10:11]
	s_cbranch_vccz .LBB118_2027
; %bb.2026:
	s_cmp_lg_u32 s15, 11
	s_mov_b64 s[2:3], -1
	s_cselect_b64 s[0:1], -1, 0
.LBB118_2027:
	s_and_b64 vcc, exec, s[0:1]
	s_cbranch_vccnz .LBB118_2163
; %bb.2028:
	s_andn2_b64 vcc, exec, s[2:3]
	s_cbranch_vccnz .LBB118_2030
.LBB118_2029:
	v_cndmask_b32_e64 v3, 0, 1, s[22:23]
	s_mov_b64 s[4:5], -1
	global_store_byte v[0:1], v3, off
.LBB118_2030:
	s_mov_b64 s[0:1], 0
	s_branch .LBB118_2032
.LBB118_2031:
	s_mov_b64 s[0:1], -1
	s_mov_b64 s[4:5], 0
.LBB118_2032:
	s_and_b64 vcc, exec, s[0:1]
	s_cbranch_vccz .LBB118_2071
; %bb.2033:
	s_and_b32 s2, 0xffff, s28
	s_cmp_lt_i32 s2, 5
	s_mov_b64 s[0:1], -1
	s_cbranch_scc1 .LBB118_2054
; %bb.2034:
	s_cmp_lt_i32 s2, 8
	s_cbranch_scc1 .LBB118_2044
; %bb.2035:
	s_cmp_lt_i32 s2, 9
	s_cbranch_scc1 .LBB118_2041
; %bb.2036:
	s_cmp_gt_i32 s2, 9
	s_cbranch_scc0 .LBB118_2038
; %bb.2037:
	v_cndmask_b32_e64 v3, 0, 1, s[22:23]
	v_cvt_f64_u32_e32 v[3:4], v3
	v_mov_b32_e32 v5, 0
	v_mov_b32_e32 v6, v5
	s_mov_b64 s[0:1], 0
	global_store_dwordx4 v[0:1], v[3:6], off
.LBB118_2038:
	s_andn2_b64 vcc, exec, s[0:1]
	s_cbranch_vccnz .LBB118_2040
; %bb.2039:
	v_cndmask_b32_e64 v3, 0, 1.0, s[22:23]
	v_mov_b32_e32 v4, 0
	global_store_dwordx2 v[0:1], v[3:4], off
.LBB118_2040:
	s_mov_b64 s[0:1], 0
.LBB118_2041:
	s_andn2_b64 vcc, exec, s[0:1]
	s_cbranch_vccnz .LBB118_2043
; %bb.2042:
	v_cndmask_b32_e64 v3, 0, 1.0, s[22:23]
	v_cvt_f16_f32_e32 v3, v3
	global_store_dword v[0:1], v3, off
.LBB118_2043:
	s_mov_b64 s[0:1], 0
.LBB118_2044:
	s_andn2_b64 vcc, exec, s[0:1]
	s_cbranch_vccnz .LBB118_2053
; %bb.2045:
	s_cmp_lt_i32 s2, 6
	s_mov_b64 s[0:1], -1
	s_cbranch_scc1 .LBB118_2051
; %bb.2046:
	s_cmp_gt_i32 s2, 6
	s_cbranch_scc0 .LBB118_2048
; %bb.2047:
	v_cndmask_b32_e64 v3, 0, 1, s[22:23]
	v_cvt_f64_u32_e32 v[3:4], v3
	s_mov_b64 s[0:1], 0
	global_store_dwordx2 v[0:1], v[3:4], off
.LBB118_2048:
	s_andn2_b64 vcc, exec, s[0:1]
	s_cbranch_vccnz .LBB118_2050
; %bb.2049:
	v_cndmask_b32_e64 v3, 0, 1.0, s[22:23]
	global_store_dword v[0:1], v3, off
.LBB118_2050:
	s_mov_b64 s[0:1], 0
.LBB118_2051:
	s_andn2_b64 vcc, exec, s[0:1]
	s_cbranch_vccnz .LBB118_2053
; %bb.2052:
	v_cndmask_b32_e64 v3, 0, 1.0, s[22:23]
	v_cvt_f16_f32_e32 v3, v3
	global_store_short v[0:1], v3, off
.LBB118_2053:
	s_mov_b64 s[0:1], 0
.LBB118_2054:
	s_andn2_b64 vcc, exec, s[0:1]
	s_cbranch_vccnz .LBB118_2070
; %bb.2055:
	s_cmp_lt_i32 s2, 2
	s_mov_b64 s[0:1], -1
	s_cbranch_scc1 .LBB118_2065
; %bb.2056:
	s_cmp_lt_i32 s2, 3
	s_cbranch_scc1 .LBB118_2062
; %bb.2057:
	s_cmp_gt_i32 s2, 3
	s_cbranch_scc0 .LBB118_2059
; %bb.2058:
	s_mov_b32 s0, 0
	v_cndmask_b32_e64 v3, 0, 1, s[22:23]
	v_mov_b32_e32 v4, s0
	global_store_dwordx2 v[0:1], v[3:4], off
	s_mov_b64 s[0:1], 0
.LBB118_2059:
	s_andn2_b64 vcc, exec, s[0:1]
	s_cbranch_vccnz .LBB118_2061
; %bb.2060:
	v_cndmask_b32_e64 v3, 0, 1, s[22:23]
	global_store_dword v[0:1], v3, off
.LBB118_2061:
	s_mov_b64 s[0:1], 0
.LBB118_2062:
	s_andn2_b64 vcc, exec, s[0:1]
	s_cbranch_vccnz .LBB118_2064
; %bb.2063:
	v_cndmask_b32_e64 v3, 0, 1, s[22:23]
	global_store_short v[0:1], v3, off
.LBB118_2064:
	s_mov_b64 s[0:1], 0
.LBB118_2065:
	s_andn2_b64 vcc, exec, s[0:1]
	s_cbranch_vccnz .LBB118_2070
; %bb.2066:
	s_mov_b64 s[0:1], -1
	s_cmp_gt_i32 s2, 0
	v_cndmask_b32_e64 v3, 0, 1, s[22:23]
	s_cbranch_scc0 .LBB118_2068
; %bb.2067:
	global_store_byte v[0:1], v3, off
	s_mov_b64 s[0:1], 0
.LBB118_2068:
	s_andn2_b64 vcc, exec, s[0:1]
	s_cbranch_vccnz .LBB118_2070
; %bb.2069:
	global_store_byte v[0:1], v3, off
.LBB118_2070:
	s_mov_b64 s[4:5], -1
.LBB118_2071:
	s_andn2_b64 vcc, exec, s[4:5]
	s_cbranch_vccnz .LBB118_2148
; %bb.2072:
	v_add_u32_e32 v0, s14, v2
	v_ashrrev_i32_e32 v1, 31, v0
	v_mov_b32_e32 v2, s9
	v_add_co_u32_e32 v0, vcc, s8, v0
	s_cmp_lt_i32 s28, 11
	v_addc_co_u32_e32 v1, vcc, v2, v1, vcc
	s_cbranch_scc1 .LBB118_2149
; %bb.2073:
	s_and_b32 s12, 0xffff, s28
	s_mov_b64 s[4:5], -1
	s_mov_b64 s[2:3], 0
	s_cmp_gt_i32 s12, 25
	s_mov_b64 s[0:1], 0
	s_cbranch_scc0 .LBB118_2106
; %bb.2074:
	s_cmp_gt_i32 s12, 28
	s_cbranch_scc0 .LBB118_2090
; %bb.2075:
	s_cmp_gt_i32 s12, 43
	;; [unrolled: 3-line block ×3, first 2 shown]
	s_cbranch_scc0 .LBB118_2080
; %bb.2077:
	s_cmp_eq_u32 s12, 46
	s_mov_b64 s[0:1], -1
	s_cbranch_scc0 .LBB118_2079
; %bb.2078:
	v_cndmask_b32_e64 v2, 0, 1.0, s[24:25]
	v_bfe_u32 v3, v2, 16, 1
	s_movk_i32 s0, 0x7fff
	v_add3_u32 v2, v2, v3, s0
	v_lshrrev_b32_e32 v2, 16, v2
	global_store_dword v[0:1], v2, off
	s_mov_b64 s[0:1], 0
.LBB118_2079:
	s_mov_b64 s[4:5], 0
.LBB118_2080:
	s_and_b64 vcc, exec, s[4:5]
	s_cbranch_vccz .LBB118_2085
; %bb.2081:
	s_cmp_eq_u32 s12, 44
	s_mov_b64 s[0:1], -1
	s_cbranch_scc0 .LBB118_2085
; %bb.2082:
	v_cndmask_b32_e64 v3, 0, 1.0, s[24:25]
	v_lshrrev_b32_e32 v2, 23, v3
	s_movk_i32 s0, 0xff
	v_cmp_ne_u32_e32 vcc, s0, v2
	v_mov_b32_e32 v4, 0xff
	s_and_saveexec_b64 s[4:5], vcc
; %bb.2083:
	s_mov_b32 s0, 0x3fffff
	v_and_b32_e32 v4, 0x400000, v3
	v_and_or_b32 v3, v3, s0, v2
	v_cmp_ne_u32_e32 vcc, 0, v4
	v_cmp_ne_u32_e64 s[0:1], 0, v3
	s_and_b64 s[0:1], vcc, s[0:1]
	v_cndmask_b32_e64 v3, 0, 1, s[0:1]
	v_add_u32_e32 v4, v2, v3
; %bb.2084:
	s_or_b64 exec, exec, s[4:5]
	s_mov_b64 s[0:1], 0
	global_store_byte v[0:1], v4, off
.LBB118_2085:
	s_mov_b64 s[4:5], 0
.LBB118_2086:
	s_and_b64 vcc, exec, s[4:5]
	s_cbranch_vccz .LBB118_2089
; %bb.2087:
	s_cmp_eq_u32 s12, 29
	s_mov_b64 s[0:1], -1
	s_cbranch_scc0 .LBB118_2089
; %bb.2088:
	s_mov_b32 s0, 0
	v_cndmask_b32_e64 v2, 0, 1, s[24:25]
	v_mov_b32_e32 v3, s0
	global_store_dwordx2 v[0:1], v[2:3], off
	s_mov_b64 s[0:1], 0
.LBB118_2089:
	s_mov_b64 s[4:5], 0
.LBB118_2090:
	s_and_b64 vcc, exec, s[4:5]
	s_cbranch_vccz .LBB118_2105
; %bb.2091:
	s_cmp_lt_i32 s12, 27
	s_mov_b64 s[4:5], -1
	s_cbranch_scc1 .LBB118_2097
; %bb.2092:
	s_cmp_gt_i32 s12, 27
	v_cndmask_b32_e64 v2, 0, 1, s[24:25]
	s_cbranch_scc0 .LBB118_2094
; %bb.2093:
	global_store_dword v[0:1], v2, off
	s_mov_b64 s[4:5], 0
.LBB118_2094:
	s_andn2_b64 vcc, exec, s[4:5]
	s_cbranch_vccnz .LBB118_2096
; %bb.2095:
	global_store_short v[0:1], v2, off
.LBB118_2096:
	s_mov_b64 s[4:5], 0
.LBB118_2097:
	s_andn2_b64 vcc, exec, s[4:5]
	s_cbranch_vccnz .LBB118_2105
; %bb.2098:
	v_cndmask_b32_e64 v3, 0, 1.0, s[24:25]
	s_mov_b32 s4, 0x43800000
	v_cmp_gt_u32_e32 vcc, s4, v3
	v_mov_b32_e32 v4, 0x80
	s_and_saveexec_b64 s[4:5], vcc
	s_cbranch_execz .LBB118_2104
; %bb.2099:
	s_mov_b32 s8, 0x3bffffff
	v_cmp_lt_u32_e32 vcc, s8, v3
	s_mov_b64 s[8:9], 0
                                        ; implicit-def: $vgpr2
	s_and_saveexec_b64 s[10:11], vcc
	s_xor_b64 s[10:11], exec, s[10:11]
	s_cbranch_execz .LBB118_2166
; %bb.2100:
	v_bfe_u32 v2, v3, 20, 1
	s_mov_b32 s13, 0x487ffff
	v_add3_u32 v2, v3, v2, s13
	s_mov_b64 s[8:9], exec
	v_lshrrev_b32_e32 v2, 20, v2
                                        ; implicit-def: $vgpr3
	s_andn2_saveexec_b64 s[10:11], s[10:11]
	s_cbranch_execnz .LBB118_2167
.LBB118_2101:
	s_or_b64 exec, exec, s[10:11]
	v_mov_b32_e32 v4, 0
	s_and_saveexec_b64 s[10:11], s[8:9]
.LBB118_2102:
	v_mov_b32_e32 v4, v2
.LBB118_2103:
	s_or_b64 exec, exec, s[10:11]
.LBB118_2104:
	s_or_b64 exec, exec, s[4:5]
	global_store_byte v[0:1], v4, off
.LBB118_2105:
	s_mov_b64 s[4:5], 0
.LBB118_2106:
	s_and_b64 vcc, exec, s[4:5]
	s_cbranch_vccz .LBB118_2146
; %bb.2107:
	s_cmp_gt_i32 s12, 22
	s_mov_b64 s[2:3], -1
	s_cbranch_scc0 .LBB118_2139
; %bb.2108:
	s_cmp_lt_i32 s12, 24
	s_cbranch_scc1 .LBB118_2128
; %bb.2109:
	s_cmp_gt_i32 s12, 24
	s_cbranch_scc0 .LBB118_2117
; %bb.2110:
	v_cndmask_b32_e64 v3, 0, 1.0, s[24:25]
	s_mov_b32 s2, 0x47800000
	v_cmp_gt_u32_e32 vcc, s2, v3
	v_mov_b32_e32 v4, 0x80
	s_and_saveexec_b64 s[2:3], vcc
	s_cbranch_execz .LBB118_2116
; %bb.2111:
	s_mov_b32 s4, 0x37ffffff
	v_cmp_lt_u32_e32 vcc, s4, v3
	s_mov_b64 s[4:5], 0
                                        ; implicit-def: $vgpr2
	s_and_saveexec_b64 s[8:9], vcc
	s_xor_b64 s[8:9], exec, s[8:9]
	s_cbranch_execz .LBB118_2169
; %bb.2112:
	v_bfe_u32 v2, v3, 21, 1
	s_mov_b32 s10, 0x88fffff
	v_add3_u32 v2, v3, v2, s10
	s_mov_b64 s[4:5], exec
	v_lshrrev_b32_e32 v2, 21, v2
                                        ; implicit-def: $vgpr3
	s_andn2_saveexec_b64 s[8:9], s[8:9]
	s_cbranch_execnz .LBB118_2170
.LBB118_2113:
	s_or_b64 exec, exec, s[8:9]
	v_mov_b32_e32 v4, 0
	s_and_saveexec_b64 s[8:9], s[4:5]
.LBB118_2114:
	v_mov_b32_e32 v4, v2
.LBB118_2115:
	s_or_b64 exec, exec, s[8:9]
.LBB118_2116:
	s_or_b64 exec, exec, s[2:3]
	s_mov_b64 s[2:3], 0
	global_store_byte v[0:1], v4, off
.LBB118_2117:
	s_and_b64 vcc, exec, s[2:3]
	s_cbranch_vccz .LBB118_2127
; %bb.2118:
	v_cndmask_b32_e64 v2, 0, 1.0, s[24:25]
	s_mov_b32 s2, 0x43f00000
	v_cmp_gt_u32_e32 vcc, s2, v2
                                        ; implicit-def: $vgpr3
	s_and_saveexec_b64 s[2:3], vcc
	s_xor_b64 s[2:3], exec, s[2:3]
	s_cbranch_execz .LBB118_2124
; %bb.2119:
	s_mov_b32 s4, 0x3c7fffff
	v_cmp_lt_u32_e32 vcc, s4, v2
                                        ; implicit-def: $vgpr3
	s_and_saveexec_b64 s[4:5], vcc
	s_xor_b64 s[4:5], exec, s[4:5]
; %bb.2120:
	v_bfe_u32 v3, v2, 20, 1
	s_mov_b32 s8, 0x407ffff
	v_add3_u32 v2, v2, v3, s8
	v_lshrrev_b32_e32 v3, 20, v2
	v_and_b32_e32 v2, 0xff00000, v2
	s_mov_b32 s8, 0x7f00000
	v_mov_b32_e32 v4, 0x7e
	v_cmp_ne_u32_e32 vcc, s8, v2
	v_cndmask_b32_e32 v3, v4, v3, vcc
                                        ; implicit-def: $vgpr2
; %bb.2121:
	s_andn2_saveexec_b64 s[4:5], s[4:5]
; %bb.2122:
	v_add_f32_e32 v3, 0x46800000, v2
; %bb.2123:
	s_or_b64 exec, exec, s[4:5]
                                        ; implicit-def: $vgpr2
.LBB118_2124:
	s_andn2_saveexec_b64 s[2:3], s[2:3]
; %bb.2125:
	s_mov_b32 s4, 0x7f800000
	v_mov_b32_e32 v3, 0x7e
	v_mov_b32_e32 v4, 0x7f
	v_cmp_lt_u32_e32 vcc, s4, v2
	v_cndmask_b32_e32 v3, v3, v4, vcc
; %bb.2126:
	s_or_b64 exec, exec, s[2:3]
	global_store_byte v[0:1], v3, off
.LBB118_2127:
	s_mov_b64 s[2:3], 0
.LBB118_2128:
	s_andn2_b64 vcc, exec, s[2:3]
	s_cbranch_vccnz .LBB118_2138
; %bb.2129:
	v_cndmask_b32_e64 v2, 0, 1.0, s[24:25]
	s_mov_b32 s2, 0x47800000
	v_cmp_gt_u32_e32 vcc, s2, v2
                                        ; implicit-def: $vgpr3
	s_and_saveexec_b64 s[2:3], vcc
	s_xor_b64 s[2:3], exec, s[2:3]
	s_cbranch_execz .LBB118_2135
; %bb.2130:
	s_mov_b32 s4, 0x387fffff
	v_cmp_lt_u32_e32 vcc, s4, v2
                                        ; implicit-def: $vgpr3
	s_and_saveexec_b64 s[4:5], vcc
	s_xor_b64 s[4:5], exec, s[4:5]
; %bb.2131:
	v_bfe_u32 v3, v2, 21, 1
	s_mov_b32 s8, 0x80fffff
	v_add3_u32 v2, v2, v3, s8
	v_lshrrev_b32_e32 v3, 21, v2
                                        ; implicit-def: $vgpr2
; %bb.2132:
	s_andn2_saveexec_b64 s[4:5], s[4:5]
; %bb.2133:
	v_add_f32_e32 v3, 0x43000000, v2
; %bb.2134:
	s_or_b64 exec, exec, s[4:5]
                                        ; implicit-def: $vgpr2
.LBB118_2135:
	s_andn2_saveexec_b64 s[2:3], s[2:3]
; %bb.2136:
	s_mov_b32 s4, 0x7f800000
	v_mov_b32_e32 v3, 0x7c
	v_mov_b32_e32 v4, 0x7f
	v_cmp_lt_u32_e32 vcc, s4, v2
	v_cndmask_b32_e32 v3, v3, v4, vcc
; %bb.2137:
	s_or_b64 exec, exec, s[2:3]
	global_store_byte v[0:1], v3, off
.LBB118_2138:
	s_mov_b64 s[2:3], 0
.LBB118_2139:
	s_andn2_b64 vcc, exec, s[2:3]
	s_mov_b64 s[2:3], 0
	s_cbranch_vccnz .LBB118_2146
; %bb.2140:
	s_cmp_gt_i32 s12, 14
	s_mov_b64 s[4:5], -1
	s_cbranch_scc0 .LBB118_2144
; %bb.2141:
	s_cmp_eq_u32 s12, 15
	s_mov_b64 s[0:1], -1
	s_cbranch_scc0 .LBB118_2143
; %bb.2142:
	v_cndmask_b32_e64 v2, 0, 1.0, s[24:25]
	v_bfe_u32 v3, v2, 16, 1
	s_movk_i32 s0, 0x7fff
	v_add3_u32 v2, v2, v3, s0
	global_store_short_d16_hi v[0:1], v2, off
	s_mov_b64 s[0:1], 0
.LBB118_2143:
	s_mov_b64 s[4:5], 0
.LBB118_2144:
	s_and_b64 vcc, exec, s[4:5]
	s_cbranch_vccz .LBB118_2146
; %bb.2145:
	s_cmp_lg_u32 s12, 11
	s_mov_b64 s[2:3], -1
	s_cselect_b64 s[0:1], -1, 0
.LBB118_2146:
	s_and_b64 vcc, exec, s[0:1]
	s_cbranch_vccnz .LBB118_2168
.LBB118_2147:
	s_mov_b64 s[0:1], 0
	s_branch .LBB118_1658
.LBB118_2148:
	s_mov_b64 s[0:1], 0
	s_branch .LBB118_1657
.LBB118_2149:
	s_mov_b64 s[2:3], 0
	s_mov_b64 s[0:1], -1
	s_branch .LBB118_1658
.LBB118_2150:
	s_trap 2
	s_or_b64 s[18:19], s[18:19], exec
	s_cbranch_execz .LBB118_1600
	s_branch .LBB118_1601
.LBB118_2151:
	s_andn2_saveexec_b64 s[26:27], s[26:27]
	s_cbranch_execz .LBB118_1741
.LBB118_2152:
	v_add_f32_e32 v3, 0x46000000, v4
	v_and_b32_e32 v3, 0xff, v3
	v_cmp_ne_u32_e32 vcc, 0, v3
	s_andn2_b64 s[14:15], s[14:15], exec
	s_and_b64 s[30:31], vcc, exec
	s_or_b64 s[14:15], s[14:15], s[30:31]
	s_or_b64 exec, exec, s[26:27]
	v_mov_b32_e32 v5, 0
	s_and_saveexec_b64 s[26:27], s[14:15]
	s_cbranch_execnz .LBB118_1742
	s_branch .LBB118_1743
.LBB118_2153:
	s_trap 2
	s_or_b64 s[18:19], s[18:19], exec
	s_cbranch_execz .LBB118_1789
	s_branch .LBB118_1790
.LBB118_2154:
	s_andn2_saveexec_b64 s[14:15], s[14:15]
	s_cbranch_execz .LBB118_1754
.LBB118_2155:
	v_add_f32_e32 v3, 0x42800000, v4
	v_and_b32_e32 v3, 0xff, v3
	v_cmp_ne_u32_e32 vcc, 0, v3
	s_andn2_b64 s[10:11], s[10:11], exec
	s_and_b64 s[26:27], vcc, exec
	s_or_b64 s[10:11], s[10:11], s[26:27]
	s_or_b64 exec, exec, s[14:15]
	v_mov_b32_e32 v5, 0
	s_and_saveexec_b64 s[14:15], s[10:11]
	s_cbranch_execnz .LBB118_1755
	s_branch .LBB118_1756
.LBB118_2156:
	s_andn2_saveexec_b64 s[12:13], s[12:13]
	s_cbranch_execz .LBB118_1862
.LBB118_2157:
	v_add_f32_e32 v3, 0x46000000, v4
	v_and_b32_e32 v3, 0xff, v3
	v_cmp_ne_u32_e32 vcc, 0, v3
	s_andn2_b64 s[10:11], s[10:11], exec
	s_and_b64 s[26:27], vcc, exec
	s_or_b64 s[10:11], s[10:11], s[26:27]
	s_or_b64 exec, exec, s[12:13]
	v_mov_b32_e32 v5, 0
	s_and_saveexec_b64 s[12:13], s[10:11]
	s_cbranch_execnz .LBB118_1863
	s_branch .LBB118_1864
.LBB118_2158:
	s_trap 2
	s_or_b64 s[18:19], s[18:19], exec
	s_cbranch_execz .LBB118_1910
	s_branch .LBB118_1911
.LBB118_2159:
	s_andn2_saveexec_b64 s[10:11], s[10:11]
	s_cbranch_execz .LBB118_1875
.LBB118_2160:
	v_add_f32_e32 v3, 0x42800000, v4
	v_and_b32_e32 v3, 0xff, v3
	v_cmp_ne_u32_e32 vcc, 0, v3
	s_andn2_b64 s[4:5], s[4:5], exec
	s_and_b64 s[12:13], vcc, exec
	s_or_b64 s[4:5], s[4:5], s[12:13]
	s_or_b64 exec, exec, s[10:11]
	v_mov_b32_e32 v5, 0
	s_and_saveexec_b64 s[10:11], s[4:5]
	s_cbranch_execnz .LBB118_1876
	s_branch .LBB118_1877
.LBB118_2161:
	s_andn2_saveexec_b64 s[12:13], s[12:13]
	s_cbranch_execz .LBB118_1981
.LBB118_2162:
	v_add_f32_e32 v3, 0x46000000, v4
	v_and_b32_e32 v3, 0xff, v3
	v_cmp_ne_u32_e32 vcc, 0, v3
	s_andn2_b64 s[10:11], s[10:11], exec
	s_and_b64 s[20:21], vcc, exec
	s_or_b64 s[10:11], s[10:11], s[20:21]
	s_or_b64 exec, exec, s[12:13]
	v_mov_b32_e32 v5, 0
	s_and_saveexec_b64 s[12:13], s[10:11]
	s_cbranch_execnz .LBB118_1982
	s_branch .LBB118_1983
.LBB118_2163:
	s_trap 2
	s_or_b64 s[18:19], s[18:19], exec
	s_cbranch_execz .LBB118_2029
	s_branch .LBB118_2030
.LBB118_2164:
	s_andn2_saveexec_b64 s[10:11], s[10:11]
	s_cbranch_execz .LBB118_1994
.LBB118_2165:
	v_add_f32_e32 v3, 0x42800000, v4
	v_and_b32_e32 v3, 0xff, v3
	v_cmp_ne_u32_e32 vcc, 0, v3
	s_andn2_b64 s[4:5], s[4:5], exec
	s_and_b64 s[12:13], vcc, exec
	s_or_b64 s[4:5], s[4:5], s[12:13]
	s_or_b64 exec, exec, s[10:11]
	v_mov_b32_e32 v5, 0
	s_and_saveexec_b64 s[10:11], s[4:5]
	s_cbranch_execnz .LBB118_1995
	s_branch .LBB118_1996
.LBB118_2166:
	s_andn2_saveexec_b64 s[10:11], s[10:11]
	s_cbranch_execz .LBB118_2101
.LBB118_2167:
	v_add_f32_e32 v2, 0x46000000, v3
	v_and_b32_e32 v2, 0xff, v2
	v_cmp_ne_u32_e32 vcc, 0, v2
	s_andn2_b64 s[8:9], s[8:9], exec
	s_and_b64 s[14:15], vcc, exec
	s_or_b64 s[8:9], s[8:9], s[14:15]
	s_or_b64 exec, exec, s[10:11]
	v_mov_b32_e32 v4, 0
	s_and_saveexec_b64 s[10:11], s[8:9]
	s_cbranch_execnz .LBB118_2102
	s_branch .LBB118_2103
.LBB118_2168:
	s_mov_b64 s[2:3], 0
	s_or_b64 s[18:19], s[18:19], exec
	s_trap 2
	s_branch .LBB118_2147
.LBB118_2169:
	s_andn2_saveexec_b64 s[8:9], s[8:9]
	s_cbranch_execz .LBB118_2113
.LBB118_2170:
	v_add_f32_e32 v2, 0x42800000, v3
	v_and_b32_e32 v2, 0xff, v2
	v_cmp_ne_u32_e32 vcc, 0, v2
	s_andn2_b64 s[4:5], s[4:5], exec
	s_and_b64 s[10:11], vcc, exec
	s_or_b64 s[4:5], s[4:5], s[10:11]
	s_or_b64 exec, exec, s[8:9]
	v_mov_b32_e32 v4, 0
	s_and_saveexec_b64 s[8:9], s[4:5]
	s_cbranch_execnz .LBB118_2114
	s_branch .LBB118_2115
	.section	.rodata,"a",@progbits
	.p2align	6, 0x0
	.amdhsa_kernel _ZN2at6native32elementwise_kernel_manual_unrollILi128ELi4EZNS0_15gpu_kernel_implIZNS0_21compare_scalar_kernelIN3c104HalfEEEvRNS_18TensorIteratorBaseENS0_12_GLOBAL__N_16OpTypeET_EUlS5_E_EEvS7_RKSA_EUlibE_EEviT1_
		.amdhsa_group_segment_fixed_size 0
		.amdhsa_private_segment_fixed_size 0
		.amdhsa_kernarg_size 48
		.amdhsa_user_sgpr_count 6
		.amdhsa_user_sgpr_private_segment_buffer 1
		.amdhsa_user_sgpr_dispatch_ptr 0
		.amdhsa_user_sgpr_queue_ptr 0
		.amdhsa_user_sgpr_kernarg_segment_ptr 1
		.amdhsa_user_sgpr_dispatch_id 0
		.amdhsa_user_sgpr_flat_scratch_init 0
		.amdhsa_user_sgpr_private_segment_size 0
		.amdhsa_uses_dynamic_stack 0
		.amdhsa_system_sgpr_private_segment_wavefront_offset 0
		.amdhsa_system_sgpr_workgroup_id_x 1
		.amdhsa_system_sgpr_workgroup_id_y 0
		.amdhsa_system_sgpr_workgroup_id_z 0
		.amdhsa_system_sgpr_workgroup_info 0
		.amdhsa_system_vgpr_workitem_id 0
		.amdhsa_next_free_vgpr 12
		.amdhsa_next_free_sgpr 46
		.amdhsa_reserve_vcc 1
		.amdhsa_reserve_flat_scratch 0
		.amdhsa_float_round_mode_32 0
		.amdhsa_float_round_mode_16_64 0
		.amdhsa_float_denorm_mode_32 3
		.amdhsa_float_denorm_mode_16_64 3
		.amdhsa_dx10_clamp 1
		.amdhsa_ieee_mode 1
		.amdhsa_fp16_overflow 0
		.amdhsa_exception_fp_ieee_invalid_op 0
		.amdhsa_exception_fp_denorm_src 0
		.amdhsa_exception_fp_ieee_div_zero 0
		.amdhsa_exception_fp_ieee_overflow 0
		.amdhsa_exception_fp_ieee_underflow 0
		.amdhsa_exception_fp_ieee_inexact 0
		.amdhsa_exception_int_div_zero 0
	.end_amdhsa_kernel
	.section	.text._ZN2at6native32elementwise_kernel_manual_unrollILi128ELi4EZNS0_15gpu_kernel_implIZNS0_21compare_scalar_kernelIN3c104HalfEEEvRNS_18TensorIteratorBaseENS0_12_GLOBAL__N_16OpTypeET_EUlS5_E_EEvS7_RKSA_EUlibE_EEviT1_,"axG",@progbits,_ZN2at6native32elementwise_kernel_manual_unrollILi128ELi4EZNS0_15gpu_kernel_implIZNS0_21compare_scalar_kernelIN3c104HalfEEEvRNS_18TensorIteratorBaseENS0_12_GLOBAL__N_16OpTypeET_EUlS5_E_EEvS7_RKSA_EUlibE_EEviT1_,comdat
.Lfunc_end118:
	.size	_ZN2at6native32elementwise_kernel_manual_unrollILi128ELi4EZNS0_15gpu_kernel_implIZNS0_21compare_scalar_kernelIN3c104HalfEEEvRNS_18TensorIteratorBaseENS0_12_GLOBAL__N_16OpTypeET_EUlS5_E_EEvS7_RKSA_EUlibE_EEviT1_, .Lfunc_end118-_ZN2at6native32elementwise_kernel_manual_unrollILi128ELi4EZNS0_15gpu_kernel_implIZNS0_21compare_scalar_kernelIN3c104HalfEEEvRNS_18TensorIteratorBaseENS0_12_GLOBAL__N_16OpTypeET_EUlS5_E_EEvS7_RKSA_EUlibE_EEviT1_
                                        ; -- End function
	.set _ZN2at6native32elementwise_kernel_manual_unrollILi128ELi4EZNS0_15gpu_kernel_implIZNS0_21compare_scalar_kernelIN3c104HalfEEEvRNS_18TensorIteratorBaseENS0_12_GLOBAL__N_16OpTypeET_EUlS5_E_EEvS7_RKSA_EUlibE_EEviT1_.num_vgpr, 12
	.set _ZN2at6native32elementwise_kernel_manual_unrollILi128ELi4EZNS0_15gpu_kernel_implIZNS0_21compare_scalar_kernelIN3c104HalfEEEvRNS_18TensorIteratorBaseENS0_12_GLOBAL__N_16OpTypeET_EUlS5_E_EEvS7_RKSA_EUlibE_EEviT1_.num_agpr, 0
	.set _ZN2at6native32elementwise_kernel_manual_unrollILi128ELi4EZNS0_15gpu_kernel_implIZNS0_21compare_scalar_kernelIN3c104HalfEEEvRNS_18TensorIteratorBaseENS0_12_GLOBAL__N_16OpTypeET_EUlS5_E_EEvS7_RKSA_EUlibE_EEviT1_.numbered_sgpr, 46
	.set _ZN2at6native32elementwise_kernel_manual_unrollILi128ELi4EZNS0_15gpu_kernel_implIZNS0_21compare_scalar_kernelIN3c104HalfEEEvRNS_18TensorIteratorBaseENS0_12_GLOBAL__N_16OpTypeET_EUlS5_E_EEvS7_RKSA_EUlibE_EEviT1_.num_named_barrier, 0
	.set _ZN2at6native32elementwise_kernel_manual_unrollILi128ELi4EZNS0_15gpu_kernel_implIZNS0_21compare_scalar_kernelIN3c104HalfEEEvRNS_18TensorIteratorBaseENS0_12_GLOBAL__N_16OpTypeET_EUlS5_E_EEvS7_RKSA_EUlibE_EEviT1_.private_seg_size, 0
	.set _ZN2at6native32elementwise_kernel_manual_unrollILi128ELi4EZNS0_15gpu_kernel_implIZNS0_21compare_scalar_kernelIN3c104HalfEEEvRNS_18TensorIteratorBaseENS0_12_GLOBAL__N_16OpTypeET_EUlS5_E_EEvS7_RKSA_EUlibE_EEviT1_.uses_vcc, 1
	.set _ZN2at6native32elementwise_kernel_manual_unrollILi128ELi4EZNS0_15gpu_kernel_implIZNS0_21compare_scalar_kernelIN3c104HalfEEEvRNS_18TensorIteratorBaseENS0_12_GLOBAL__N_16OpTypeET_EUlS5_E_EEvS7_RKSA_EUlibE_EEviT1_.uses_flat_scratch, 0
	.set _ZN2at6native32elementwise_kernel_manual_unrollILi128ELi4EZNS0_15gpu_kernel_implIZNS0_21compare_scalar_kernelIN3c104HalfEEEvRNS_18TensorIteratorBaseENS0_12_GLOBAL__N_16OpTypeET_EUlS5_E_EEvS7_RKSA_EUlibE_EEviT1_.has_dyn_sized_stack, 0
	.set _ZN2at6native32elementwise_kernel_manual_unrollILi128ELi4EZNS0_15gpu_kernel_implIZNS0_21compare_scalar_kernelIN3c104HalfEEEvRNS_18TensorIteratorBaseENS0_12_GLOBAL__N_16OpTypeET_EUlS5_E_EEvS7_RKSA_EUlibE_EEviT1_.has_recursion, 0
	.set _ZN2at6native32elementwise_kernel_manual_unrollILi128ELi4EZNS0_15gpu_kernel_implIZNS0_21compare_scalar_kernelIN3c104HalfEEEvRNS_18TensorIteratorBaseENS0_12_GLOBAL__N_16OpTypeET_EUlS5_E_EEvS7_RKSA_EUlibE_EEviT1_.has_indirect_call, 0
	.section	.AMDGPU.csdata,"",@progbits
; Kernel info:
; codeLenInByte = 36200
; TotalNumSgprs: 50
; NumVgprs: 12
; ScratchSize: 0
; MemoryBound: 0
; FloatMode: 240
; IeeeMode: 1
; LDSByteSize: 0 bytes/workgroup (compile time only)
; SGPRBlocks: 6
; VGPRBlocks: 2
; NumSGPRsForWavesPerEU: 50
; NumVGPRsForWavesPerEU: 12
; Occupancy: 10
; WaveLimiterHint : 0
; COMPUTE_PGM_RSRC2:SCRATCH_EN: 0
; COMPUTE_PGM_RSRC2:USER_SGPR: 6
; COMPUTE_PGM_RSRC2:TRAP_HANDLER: 0
; COMPUTE_PGM_RSRC2:TGID_X_EN: 1
; COMPUTE_PGM_RSRC2:TGID_Y_EN: 0
; COMPUTE_PGM_RSRC2:TGID_Z_EN: 0
; COMPUTE_PGM_RSRC2:TIDIG_COMP_CNT: 0
	.section	.text._ZN2at6native32elementwise_kernel_manual_unrollILi128ELi4EZNS0_15gpu_kernel_implIZNS0_21compare_scalar_kernelIN3c104HalfEEEvRNS_18TensorIteratorBaseENS0_12_GLOBAL__N_16OpTypeET_EUlS5_E_EEvS7_RKSA_EUlibE0_EEviT1_,"axG",@progbits,_ZN2at6native32elementwise_kernel_manual_unrollILi128ELi4EZNS0_15gpu_kernel_implIZNS0_21compare_scalar_kernelIN3c104HalfEEEvRNS_18TensorIteratorBaseENS0_12_GLOBAL__N_16OpTypeET_EUlS5_E_EEvS7_RKSA_EUlibE0_EEviT1_,comdat
	.globl	_ZN2at6native32elementwise_kernel_manual_unrollILi128ELi4EZNS0_15gpu_kernel_implIZNS0_21compare_scalar_kernelIN3c104HalfEEEvRNS_18TensorIteratorBaseENS0_12_GLOBAL__N_16OpTypeET_EUlS5_E_EEvS7_RKSA_EUlibE0_EEviT1_ ; -- Begin function _ZN2at6native32elementwise_kernel_manual_unrollILi128ELi4EZNS0_15gpu_kernel_implIZNS0_21compare_scalar_kernelIN3c104HalfEEEvRNS_18TensorIteratorBaseENS0_12_GLOBAL__N_16OpTypeET_EUlS5_E_EEvS7_RKSA_EUlibE0_EEviT1_
	.p2align	8
	.type	_ZN2at6native32elementwise_kernel_manual_unrollILi128ELi4EZNS0_15gpu_kernel_implIZNS0_21compare_scalar_kernelIN3c104HalfEEEvRNS_18TensorIteratorBaseENS0_12_GLOBAL__N_16OpTypeET_EUlS5_E_EEvS7_RKSA_EUlibE0_EEviT1_,@function
_ZN2at6native32elementwise_kernel_manual_unrollILi128ELi4EZNS0_15gpu_kernel_implIZNS0_21compare_scalar_kernelIN3c104HalfEEEvRNS_18TensorIteratorBaseENS0_12_GLOBAL__N_16OpTypeET_EUlS5_E_EEvS7_RKSA_EUlibE0_EEviT1_: ; @_ZN2at6native32elementwise_kernel_manual_unrollILi128ELi4EZNS0_15gpu_kernel_implIZNS0_21compare_scalar_kernelIN3c104HalfEEEvRNS_18TensorIteratorBaseENS0_12_GLOBAL__N_16OpTypeET_EUlS5_E_EEvS7_RKSA_EUlibE0_EEviT1_
; %bb.0:
	s_load_dword s72, s[4:5], 0x0
	s_load_dword s33, s[4:5], 0x8
	s_add_u32 s34, s4, 8
	s_addc_u32 s35, s5, 0
	v_lshl_or_b32 v8, s6, 9, v0
	v_or_b32_e32 v15, 0x180, v8
	s_waitcnt lgkmcnt(0)
	s_add_i32 s74, s33, -1
	s_cmp_gt_u32 s74, 1
	v_cmp_le_i32_e32 vcc, s72, v15
	s_cselect_b64 s[40:41], -1, 0
	s_mov_b64 s[6:7], 0
	s_mov_b64 s[28:29], 0
	s_and_saveexec_b64 s[0:1], vcc
	s_xor_b64 s[42:43], exec, s[0:1]
	s_cbranch_execz .LBB119_1151
; %bb.1:
	s_load_dwordx4 s[28:31], s[34:35], 0x4
	s_load_dwordx2 s[46:47], s[34:35], 0x14
	s_load_dwordx2 s[44:45], s[34:35], 0x158
	s_load_dword s75, s[34:35], 0x160
	s_cmp_lg_u32 s33, 0
	s_load_dwordx4 s[36:39], s[34:35], 0xc4
	s_load_dwordx4 s[24:27], s[34:35], 0x148
	s_cselect_b64 s[52:53], -1, 0
	s_add_u32 s50, s34, 0xc4
	s_addc_u32 s51, s35, 0
	s_min_u32 s77, s74, 15
	s_cmp_gt_u32 s33, 1
	s_cselect_b64 s[48:49], -1, 0
	s_waitcnt lgkmcnt(0)
	s_bfe_u32 s76, s75, 0x80008
	v_cmp_gt_i32_e32 vcc, s72, v8
	s_mov_b64 s[2:3], -1
	s_mov_b64 s[62:63], 0
	s_mov_b64 s[56:57], 0
	;; [unrolled: 1-line block ×3, first 2 shown]
	s_and_saveexec_b64 s[58:59], vcc
	s_cbranch_execz .LBB119_282
; %bb.2:
	s_andn2_b64 vcc, exec, s[40:41]
	s_cbranch_vccnz .LBB119_7
; %bb.3:
	s_andn2_b64 vcc, exec, s[52:53]
	s_cbranch_vccnz .LBB119_8
; %bb.4:
	s_add_i32 s61, s77, 1
	s_cmp_eq_u32 s74, 2
	s_cbranch_scc1 .LBB119_9
; %bb.5:
	s_and_b32 s60, s61, 28
	v_mov_b32_e32 v2, 0
	s_mov_b32 s64, 0
	s_mov_b64 s[54:55], s[34:35]
	s_mov_b64 s[56:57], s[50:51]
	v_mov_b32_e32 v0, 0
	v_mov_b32_e32 v1, v8
.LBB119_6:                              ; =>This Inner Loop Header: Depth=1
	s_load_dwordx8 s[16:23], s[54:55], 0x4
	s_load_dwordx4 s[0:3], s[54:55], 0x24
	s_load_dwordx8 s[8:15], s[56:57], 0x0
	s_add_u32 s54, s54, 48
	s_addc_u32 s55, s55, 0
	s_waitcnt lgkmcnt(0)
	v_mul_hi_u32 v3, s17, v1
	s_add_i32 s64, s64, 4
	s_add_u32 s56, s56, 32
	s_addc_u32 s57, s57, 0
	v_add_u32_e32 v3, v1, v3
	v_lshrrev_b32_e32 v3, s18, v3
	v_mul_lo_u32 v4, v3, s16
	v_mul_hi_u32 v5, s20, v3
	s_cmp_lg_u32 s60, s64
	v_sub_u32_e32 v1, v1, v4
	v_add_u32_e32 v4, v3, v5
	v_mul_lo_u32 v5, v1, s8
	v_mul_lo_u32 v6, v1, s9
	v_lshrrev_b32_e32 v1, s21, v4
	v_mul_lo_u32 v4, v1, s19
	v_mul_hi_u32 v7, s23, v1
	v_sub_u32_e32 v3, v3, v4
	v_add_u32_e32 v4, v1, v7
	v_lshrrev_b32_e32 v4, s0, v4
	v_mul_hi_u32 v9, s2, v4
	v_mul_lo_u32 v10, v4, s22
	v_mul_lo_u32 v7, v3, s10
	;; [unrolled: 1-line block ×3, first 2 shown]
	v_sub_u32_e32 v10, v1, v10
	v_add_u32_e32 v1, v4, v9
	v_lshrrev_b32_e32 v1, s3, v1
	v_mul_lo_u32 v9, v1, s1
	v_mul_lo_u32 v11, v10, s12
	;; [unrolled: 1-line block ×3, first 2 shown]
	v_add3_u32 v0, v5, v0, v7
	v_sub_u32_e32 v4, v4, v9
	v_mul_lo_u32 v9, v4, s14
	v_mul_lo_u32 v4, v4, s15
	v_add3_u32 v2, v6, v2, v3
	v_add3_u32 v0, v11, v0, v9
	;; [unrolled: 1-line block ×3, first 2 shown]
	s_cbranch_scc1 .LBB119_6
	s_branch .LBB119_10
.LBB119_7:
                                        ; implicit-def: $vgpr0
                                        ; implicit-def: $vgpr2
	s_branch .LBB119_14
.LBB119_8:
	v_mov_b32_e32 v0, 0
	v_mov_b32_e32 v2, 0
	s_branch .LBB119_13
.LBB119_9:
	s_mov_b32 s60, 0
	v_mov_b32_e32 v0, 0
	v_mov_b32_e32 v2, 0
	;; [unrolled: 1-line block ×3, first 2 shown]
.LBB119_10:
	s_and_b32 s8, s61, 3
	s_cmp_eq_u32 s8, 0
	s_cbranch_scc1 .LBB119_13
; %bb.11:
	s_lshl_b32 s0, s60, 3
	s_add_u32 s0, s34, s0
	s_addc_u32 s1, s35, 0
	s_add_u32 s0, s0, 0xc4
	s_addc_u32 s1, s1, 0
	s_mul_i32 s2, s60, 12
	s_add_u32 s2, s34, s2
	s_addc_u32 s3, s35, 0
.LBB119_12:                             ; =>This Inner Loop Header: Depth=1
	s_load_dwordx2 s[10:11], s[2:3], 0x4
	s_load_dword s9, s[2:3], 0xc
	s_load_dwordx2 s[12:13], s[0:1], 0x0
	s_add_u32 s2, s2, 12
	s_addc_u32 s3, s3, 0
	s_waitcnt lgkmcnt(0)
	v_mul_hi_u32 v3, s11, v1
	s_add_u32 s0, s0, 8
	s_addc_u32 s1, s1, 0
	s_add_i32 s8, s8, -1
	v_add_u32_e32 v3, v1, v3
	v_lshrrev_b32_e32 v4, s9, v3
	v_mul_lo_u32 v3, v4, s10
	s_cmp_lg_u32 s8, 0
	v_sub_u32_e32 v3, v1, v3
	v_mad_u64_u32 v[0:1], s[10:11], v3, s12, v[0:1]
	v_mad_u64_u32 v[2:3], s[10:11], v3, s13, v[2:3]
	v_mov_b32_e32 v1, v4
	s_cbranch_scc1 .LBB119_12
.LBB119_13:
	s_cbranch_execnz .LBB119_16
.LBB119_14:
	v_mul_hi_u32 v0, s29, v8
	s_andn2_b64 vcc, exec, s[48:49]
	v_add_u32_e32 v0, v8, v0
	v_lshrrev_b32_e32 v1, s30, v0
	v_mul_lo_u32 v0, v1, s28
	v_sub_u32_e32 v2, v8, v0
	v_mul_lo_u32 v0, v2, s36
	v_mul_lo_u32 v2, v2, s37
	s_cbranch_vccnz .LBB119_16
; %bb.15:
	v_mul_hi_u32 v3, s46, v1
	v_add_u32_e32 v3, v1, v3
	v_lshrrev_b32_e32 v3, s47, v3
	v_mul_lo_u32 v3, v3, s31
	v_sub_u32_e32 v3, v1, v3
	v_mad_u64_u32 v[0:1], s[0:1], v3, s38, v[0:1]
	v_mad_u64_u32 v[2:3], s[0:1], v3, s39, v[2:3]
.LBB119_16:
	v_mov_b32_e32 v3, s27
	s_and_b32 s12, 0xffff, s76
	v_add_co_u32_e32 v1, vcc, s26, v2
	s_cmp_lt_i32 s12, 11
	v_addc_co_u32_e32 v2, vcc, 0, v3, vcc
	s_cbranch_scc1 .LBB119_23
; %bb.17:
	s_cmp_gt_i32 s12, 25
	s_cbranch_scc0 .LBB119_29
; %bb.18:
	s_cmp_gt_i32 s12, 28
	s_cbranch_scc0 .LBB119_31
	;; [unrolled: 3-line block ×4, first 2 shown]
; %bb.21:
	s_cmp_eq_u32 s12, 46
	s_mov_b64 s[8:9], 0
	s_cbranch_scc0 .LBB119_57
; %bb.22:
	global_load_dword v3, v[1:2], off
	s_mov_b64 s[0:1], -1
	s_mov_b64 s[2:3], 0
	s_waitcnt vmcnt(0)
	v_lshlrev_b32_e32 v3, 16, v3
	v_cvt_f16_f32_e32 v3, v3
	s_branch .LBB119_59
.LBB119_23:
	s_mov_b64 s[2:3], 0
                                        ; implicit-def: $vgpr3
	s_mov_b64 s[0:1], 0
	s_cbranch_execnz .LBB119_232
.LBB119_24:
	s_andn2_b64 vcc, exec, s[0:1]
	s_cbranch_vccnz .LBB119_279
.LBB119_25:
	s_cmp_lt_i32 s44, 1
	s_mov_b64 s[0:1], 0
	s_cbranch_scc1 .LBB119_30
; %bb.26:
	s_cmp_gt_i32 s44, 1
	s_cbranch_scc0 .LBB119_32
; %bb.27:
	s_cmp_eq_u32 s44, 2
	s_cbranch_scc0 .LBB119_34
; %bb.28:
	s_waitcnt vmcnt(0)
	v_cmp_ge_f16_e64 s[8:9], s45, v3
	s_mov_b64 s[10:11], 0
	s_branch .LBB119_35
.LBB119_29:
	s_mov_b64 s[2:3], 0
	s_mov_b64 s[0:1], 0
                                        ; implicit-def: $vgpr3
	s_cbranch_execnz .LBB119_197
	s_branch .LBB119_231
.LBB119_30:
                                        ; implicit-def: $sgpr8_sgpr9
	s_mov_b64 s[10:11], 0
	s_cbranch_execnz .LBB119_39
	s_branch .LBB119_40
.LBB119_31:
	s_mov_b64 s[8:9], -1
	s_mov_b64 s[2:3], 0
	s_mov_b64 s[0:1], 0
                                        ; implicit-def: $vgpr3
	s_branch .LBB119_178
.LBB119_32:
	s_mov_b64 s[12:13], -1
	s_mov_b64 s[10:11], 0
                                        ; implicit-def: $sgpr8_sgpr9
	s_branch .LBB119_36
.LBB119_33:
	s_mov_b64 s[8:9], -1
	s_mov_b64 s[2:3], 0
	s_mov_b64 s[0:1], 0
                                        ; implicit-def: $vgpr3
	s_branch .LBB119_173
.LBB119_34:
	s_mov_b64 s[10:11], -1
                                        ; implicit-def: $sgpr8_sgpr9
.LBB119_35:
	s_mov_b64 s[12:13], 0
.LBB119_36:
	s_and_b64 vcc, exec, s[12:13]
	s_cbranch_vccz .LBB119_38
; %bb.37:
	s_waitcnt vmcnt(0)
	v_cmp_lt_f16_e32 vcc, s45, v3
	s_andn2_b64 s[8:9], s[8:9], exec
	s_and_b64 s[12:13], vcc, exec
	s_or_b64 s[8:9], s[8:9], s[12:13]
.LBB119_38:
	s_branch .LBB119_40
.LBB119_39:
	s_cmp_lg_u32 s44, 0
	s_mov_b64 s[0:1], -1
	s_cselect_b64 s[10:11], -1, 0
.LBB119_40:
	s_andn2_b64 vcc, exec, s[10:11]
	s_cbranch_vccnz .LBB119_42
; %bb.41:
	s_waitcnt vmcnt(0)
	v_cmp_gt_f16_e32 vcc, s45, v3
	s_andn2_b64 s[8:9], s[8:9], exec
	s_and_b64 s[10:11], vcc, exec
	s_or_b64 s[8:9], s[8:9], s[10:11]
	s_cbranch_execz .LBB119_43
	s_branch .LBB119_44
.LBB119_42:
	s_andn2_b64 vcc, exec, s[0:1]
	s_cbranch_vccnz .LBB119_44
.LBB119_43:
	s_waitcnt vmcnt(0)
	v_cmp_le_f16_e32 vcc, s45, v3
	s_andn2_b64 s[0:1], s[8:9], exec
	s_and_b64 s[8:9], vcc, exec
	s_or_b64 s[8:9], s[0:1], s[8:9]
.LBB119_44:
	v_mov_b32_e32 v1, s25
	s_and_b32 s16, s75, 0xff
	v_add_co_u32_e32 v0, vcc, s24, v0
	s_cmp_lt_i32 s16, 11
	v_addc_co_u32_e32 v1, vcc, 0, v1, vcc
	s_cbranch_scc1 .LBB119_51
; %bb.45:
	s_and_b32 s17, 0xffff, s16
	s_cmp_gt_i32 s17, 25
	s_cbranch_scc0 .LBB119_53
; %bb.46:
	s_cmp_gt_i32 s17, 28
	s_cbranch_scc0 .LBB119_54
; %bb.47:
	;; [unrolled: 3-line block ×4, first 2 shown]
	s_mov_b64 s[12:13], 0
	s_mov_b64 s[0:1], -1
	s_cmp_eq_u32 s17, 46
	s_mov_b64 s[10:11], 0
	s_cbranch_scc0 .LBB119_63
; %bb.50:
	v_cndmask_b32_e64 v2, 0, 1.0, s[8:9]
	s_waitcnt vmcnt(0)
	v_bfe_u32 v3, v2, 16, 1
	s_movk_i32 s0, 0x7fff
	v_add3_u32 v2, v2, v3, s0
	v_lshrrev_b32_e32 v2, 16, v2
	global_store_dword v[0:1], v2, off
	s_mov_b64 s[10:11], -1
	s_mov_b64 s[0:1], 0
	s_branch .LBB119_63
.LBB119_51:
	s_mov_b64 s[0:1], 0
	s_mov_b64 s[10:11], 0
	s_cbranch_execnz .LBB119_132
.LBB119_52:
	s_andn2_b64 vcc, exec, s[10:11]
	s_cbranch_vccnz .LBB119_280
	s_branch .LBB119_170
.LBB119_53:
	s_mov_b64 s[12:13], -1
	s_mov_b64 s[0:1], 0
	s_mov_b64 s[10:11], 0
	s_branch .LBB119_90
.LBB119_54:
	s_mov_b64 s[12:13], -1
	s_mov_b64 s[0:1], 0
	s_mov_b64 s[10:11], 0
	s_branch .LBB119_73
.LBB119_55:
	s_mov_b64 s[8:9], -1
	s_mov_b64 s[2:3], 0
	s_branch .LBB119_58
.LBB119_56:
	s_mov_b64 s[12:13], -1
	s_mov_b64 s[0:1], 0
	s_mov_b64 s[10:11], 0
	s_branch .LBB119_69
.LBB119_57:
	s_mov_b64 s[2:3], -1
.LBB119_58:
	s_mov_b64 s[0:1], 0
                                        ; implicit-def: $vgpr3
.LBB119_59:
	s_and_b64 vcc, exec, s[8:9]
	s_cbranch_vccz .LBB119_172
; %bb.60:
	s_cmp_eq_u32 s12, 44
	s_cbranch_scc0 .LBB119_171
; %bb.61:
	global_load_ubyte v3, v[1:2], off
	s_movk_i32 s2, 0xff
	v_mov_b32_e32 v5, 0x7e00
	s_mov_b64 s[0:1], -1
	s_waitcnt vmcnt(0)
	v_lshlrev_b32_e32 v4, 23, v3
	v_cvt_f16_f32_e32 v4, v4
	v_cmp_ne_u32_e32 vcc, s2, v3
	s_mov_b64 s[2:3], 0
	v_cndmask_b32_e32 v4, v5, v4, vcc
	v_cmp_ne_u32_e32 vcc, 0, v3
	v_cndmask_b32_e32 v3, 0, v4, vcc
	s_branch .LBB119_172
.LBB119_62:
	s_mov_b64 s[12:13], -1
	s_mov_b64 s[0:1], 0
	s_mov_b64 s[10:11], 0
.LBB119_63:
	s_and_b64 vcc, exec, s[12:13]
	s_cbranch_vccz .LBB119_68
; %bb.64:
	s_cmp_eq_u32 s17, 44
	s_mov_b64 s[0:1], -1
	s_cbranch_scc0 .LBB119_68
; %bb.65:
	s_waitcnt vmcnt(0)
	v_cndmask_b32_e64 v3, 0, 1.0, s[8:9]
	v_lshrrev_b32_e32 v2, 23, v3
	s_movk_i32 s0, 0xff
	v_cmp_ne_u32_e32 vcc, s0, v2
	v_mov_b32_e32 v4, 0xff
	s_and_saveexec_b64 s[10:11], vcc
; %bb.66:
	s_mov_b32 s0, 0x3fffff
	v_and_b32_e32 v4, 0x400000, v3
	v_and_or_b32 v3, v3, s0, v2
	v_cmp_ne_u32_e32 vcc, 0, v4
	v_cmp_ne_u32_e64 s[0:1], 0, v3
	s_and_b64 s[0:1], vcc, s[0:1]
	v_cndmask_b32_e64 v3, 0, 1, s[0:1]
	v_add_u32_e32 v4, v2, v3
; %bb.67:
	s_or_b64 exec, exec, s[10:11]
	s_mov_b64 s[10:11], -1
	s_mov_b64 s[0:1], 0
	global_store_byte v[0:1], v4, off
.LBB119_68:
	s_mov_b64 s[12:13], 0
.LBB119_69:
	s_and_b64 vcc, exec, s[12:13]
	s_cbranch_vccz .LBB119_72
; %bb.70:
	s_cmp_eq_u32 s17, 29
	s_mov_b64 s[0:1], -1
	s_cbranch_scc0 .LBB119_72
; %bb.71:
	s_mov_b32 s0, 0
	v_cndmask_b32_e64 v2, 0, 1, s[8:9]
	s_waitcnt vmcnt(0)
	v_mov_b32_e32 v3, s0
	global_store_dwordx2 v[0:1], v[2:3], off
	s_mov_b64 s[10:11], -1
	s_mov_b64 s[0:1], 0
.LBB119_72:
	s_mov_b64 s[12:13], 0
.LBB119_73:
	s_and_b64 vcc, exec, s[12:13]
	s_cbranch_vccz .LBB119_89
; %bb.74:
	s_cmp_lt_i32 s17, 27
	s_mov_b64 s[10:11], -1
	s_cbranch_scc1 .LBB119_80
; %bb.75:
	s_cmp_gt_i32 s17, 27
	s_cbranch_scc0 .LBB119_77
; %bb.76:
	v_cndmask_b32_e64 v2, 0, 1, s[8:9]
	s_mov_b64 s[10:11], 0
	global_store_dword v[0:1], v2, off
.LBB119_77:
	s_andn2_b64 vcc, exec, s[10:11]
	s_cbranch_vccnz .LBB119_79
; %bb.78:
	v_cndmask_b32_e64 v2, 0, 1, s[8:9]
	global_store_short v[0:1], v2, off
.LBB119_79:
	s_mov_b64 s[10:11], 0
.LBB119_80:
	s_andn2_b64 vcc, exec, s[10:11]
	s_cbranch_vccnz .LBB119_88
; %bb.81:
	s_waitcnt vmcnt(0)
	v_cndmask_b32_e64 v3, 0, 1.0, s[8:9]
	s_mov_b32 s10, 0x43800000
	v_cmp_gt_u32_e32 vcc, s10, v3
	v_mov_b32_e32 v4, 0x80
	s_and_saveexec_b64 s[10:11], vcc
	s_cbranch_execz .LBB119_87
; %bb.82:
	s_mov_b32 s12, 0x3bffffff
	v_cmp_lt_u32_e32 vcc, s12, v3
	s_mov_b64 s[12:13], 0
                                        ; implicit-def: $vgpr2
	s_and_saveexec_b64 s[14:15], vcc
	s_xor_b64 s[14:15], exec, s[14:15]
	s_cbranch_execz .LBB119_339
; %bb.83:
	v_bfe_u32 v2, v3, 20, 1
	s_mov_b32 s18, 0x487ffff
	v_add3_u32 v2, v3, v2, s18
	s_mov_b64 s[12:13], exec
	v_lshrrev_b32_e32 v2, 20, v2
                                        ; implicit-def: $vgpr3
	s_andn2_saveexec_b64 s[14:15], s[14:15]
	s_cbranch_execnz .LBB119_340
.LBB119_84:
	s_or_b64 exec, exec, s[14:15]
	v_mov_b32_e32 v4, 0
	s_and_saveexec_b64 s[14:15], s[12:13]
.LBB119_85:
	v_mov_b32_e32 v4, v2
.LBB119_86:
	s_or_b64 exec, exec, s[14:15]
.LBB119_87:
	s_or_b64 exec, exec, s[10:11]
	global_store_byte v[0:1], v4, off
.LBB119_88:
	s_mov_b64 s[10:11], -1
.LBB119_89:
	s_mov_b64 s[12:13], 0
.LBB119_90:
	s_and_b64 vcc, exec, s[12:13]
	s_cbranch_vccz .LBB119_131
; %bb.91:
	s_cmp_gt_i32 s17, 22
	s_mov_b64 s[12:13], -1
	s_cbranch_scc0 .LBB119_123
; %bb.92:
	s_cmp_lt_i32 s17, 24
	s_mov_b64 s[10:11], -1
	s_cbranch_scc1 .LBB119_112
; %bb.93:
	s_cmp_gt_i32 s17, 24
	s_cbranch_scc0 .LBB119_101
; %bb.94:
	s_waitcnt vmcnt(0)
	v_cndmask_b32_e64 v3, 0, 1.0, s[8:9]
	s_mov_b32 s10, 0x47800000
	v_cmp_gt_u32_e32 vcc, s10, v3
	v_mov_b32_e32 v4, 0x80
	s_and_saveexec_b64 s[10:11], vcc
	s_cbranch_execz .LBB119_100
; %bb.95:
	s_mov_b32 s12, 0x37ffffff
	v_cmp_lt_u32_e32 vcc, s12, v3
	s_mov_b64 s[12:13], 0
                                        ; implicit-def: $vgpr2
	s_and_saveexec_b64 s[14:15], vcc
	s_xor_b64 s[14:15], exec, s[14:15]
	s_cbranch_execz .LBB119_343
; %bb.96:
	v_bfe_u32 v2, v3, 21, 1
	s_mov_b32 s18, 0x88fffff
	v_add3_u32 v2, v3, v2, s18
	s_mov_b64 s[12:13], exec
	v_lshrrev_b32_e32 v2, 21, v2
                                        ; implicit-def: $vgpr3
	s_andn2_saveexec_b64 s[14:15], s[14:15]
	s_cbranch_execnz .LBB119_344
.LBB119_97:
	s_or_b64 exec, exec, s[14:15]
	v_mov_b32_e32 v4, 0
	s_and_saveexec_b64 s[14:15], s[12:13]
.LBB119_98:
	v_mov_b32_e32 v4, v2
.LBB119_99:
	s_or_b64 exec, exec, s[14:15]
.LBB119_100:
	s_or_b64 exec, exec, s[10:11]
	s_mov_b64 s[10:11], 0
	global_store_byte v[0:1], v4, off
.LBB119_101:
	s_and_b64 vcc, exec, s[10:11]
	s_cbranch_vccz .LBB119_111
; %bb.102:
	v_cndmask_b32_e64 v2, 0, 1.0, s[8:9]
	s_mov_b32 s10, 0x43f00000
	v_cmp_gt_u32_e32 vcc, s10, v2
                                        ; implicit-def: $vgpr3
	s_and_saveexec_b64 s[10:11], vcc
	s_xor_b64 s[10:11], exec, s[10:11]
	s_cbranch_execz .LBB119_108
; %bb.103:
	s_mov_b32 s12, 0x3c7fffff
	v_cmp_lt_u32_e32 vcc, s12, v2
                                        ; implicit-def: $vgpr3
	s_and_saveexec_b64 s[12:13], vcc
	s_xor_b64 s[12:13], exec, s[12:13]
	s_cbranch_execz .LBB119_105
; %bb.104:
	s_waitcnt vmcnt(0)
	v_bfe_u32 v3, v2, 20, 1
	s_mov_b32 s14, 0x407ffff
	v_add3_u32 v2, v2, v3, s14
	v_lshrrev_b32_e32 v3, 20, v2
	v_and_b32_e32 v2, 0xff00000, v2
	s_mov_b32 s14, 0x7f00000
	v_mov_b32_e32 v4, 0x7e
	v_cmp_ne_u32_e32 vcc, s14, v2
	v_cndmask_b32_e32 v3, v4, v3, vcc
                                        ; implicit-def: $vgpr2
.LBB119_105:
	s_andn2_saveexec_b64 s[12:13], s[12:13]
	s_cbranch_execz .LBB119_107
; %bb.106:
	s_waitcnt vmcnt(0)
	v_add_f32_e32 v3, 0x46800000, v2
.LBB119_107:
	s_or_b64 exec, exec, s[12:13]
                                        ; implicit-def: $vgpr2
.LBB119_108:
	s_andn2_saveexec_b64 s[10:11], s[10:11]
	s_cbranch_execz .LBB119_110
; %bb.109:
	s_mov_b32 s12, 0x7f800000
	s_waitcnt vmcnt(0)
	v_mov_b32_e32 v3, 0x7e
	v_mov_b32_e32 v4, 0x7f
	v_cmp_lt_u32_e32 vcc, s12, v2
	v_cndmask_b32_e32 v3, v3, v4, vcc
.LBB119_110:
	s_or_b64 exec, exec, s[10:11]
	s_waitcnt vmcnt(0)
	global_store_byte v[0:1], v3, off
.LBB119_111:
	s_mov_b64 s[10:11], 0
.LBB119_112:
	s_andn2_b64 vcc, exec, s[10:11]
	s_cbranch_vccnz .LBB119_122
; %bb.113:
	v_cndmask_b32_e64 v2, 0, 1.0, s[8:9]
	s_mov_b32 s10, 0x47800000
	v_cmp_gt_u32_e32 vcc, s10, v2
                                        ; implicit-def: $vgpr3
	s_and_saveexec_b64 s[10:11], vcc
	s_xor_b64 s[10:11], exec, s[10:11]
	s_cbranch_execz .LBB119_119
; %bb.114:
	s_mov_b32 s12, 0x387fffff
	v_cmp_lt_u32_e32 vcc, s12, v2
                                        ; implicit-def: $vgpr3
	s_and_saveexec_b64 s[12:13], vcc
	s_xor_b64 s[12:13], exec, s[12:13]
	s_cbranch_execz .LBB119_116
; %bb.115:
	s_waitcnt vmcnt(0)
	v_bfe_u32 v3, v2, 21, 1
	s_mov_b32 s14, 0x80fffff
	v_add3_u32 v2, v2, v3, s14
	v_lshrrev_b32_e32 v3, 21, v2
                                        ; implicit-def: $vgpr2
.LBB119_116:
	s_andn2_saveexec_b64 s[12:13], s[12:13]
	s_cbranch_execz .LBB119_118
; %bb.117:
	s_waitcnt vmcnt(0)
	v_add_f32_e32 v3, 0x43000000, v2
.LBB119_118:
	s_or_b64 exec, exec, s[12:13]
                                        ; implicit-def: $vgpr2
.LBB119_119:
	s_andn2_saveexec_b64 s[10:11], s[10:11]
	s_cbranch_execz .LBB119_121
; %bb.120:
	s_mov_b32 s12, 0x7f800000
	s_waitcnt vmcnt(0)
	v_mov_b32_e32 v3, 0x7c
	v_mov_b32_e32 v4, 0x7f
	v_cmp_lt_u32_e32 vcc, s12, v2
	v_cndmask_b32_e32 v3, v3, v4, vcc
.LBB119_121:
	s_or_b64 exec, exec, s[10:11]
	s_waitcnt vmcnt(0)
	global_store_byte v[0:1], v3, off
.LBB119_122:
	s_mov_b64 s[12:13], 0
	s_mov_b64 s[10:11], -1
.LBB119_123:
	s_andn2_b64 vcc, exec, s[12:13]
	s_cbranch_vccnz .LBB119_131
; %bb.124:
	s_cmp_gt_i32 s17, 14
	s_mov_b64 s[12:13], -1
	s_cbranch_scc0 .LBB119_128
; %bb.125:
	s_cmp_eq_u32 s17, 15
	s_mov_b64 s[0:1], -1
	s_cbranch_scc0 .LBB119_127
; %bb.126:
	v_cndmask_b32_e64 v2, 0, 1.0, s[8:9]
	s_waitcnt vmcnt(0)
	v_bfe_u32 v3, v2, 16, 1
	s_movk_i32 s0, 0x7fff
	v_add3_u32 v2, v2, v3, s0
	global_store_short_d16_hi v[0:1], v2, off
	s_mov_b64 s[10:11], -1
	s_mov_b64 s[0:1], 0
.LBB119_127:
	s_mov_b64 s[12:13], 0
.LBB119_128:
	s_and_b64 vcc, exec, s[12:13]
	s_cbranch_vccz .LBB119_131
; %bb.129:
	s_cmp_eq_u32 s17, 11
	s_mov_b64 s[0:1], -1
	s_cbranch_scc0 .LBB119_131
; %bb.130:
	v_cndmask_b32_e64 v2, 0, 1, s[8:9]
	s_mov_b64 s[10:11], -1
	s_mov_b64 s[0:1], 0
	global_store_byte v[0:1], v2, off
.LBB119_131:
	s_branch .LBB119_52
.LBB119_132:
	s_and_b32 s12, 0xffff, s16
	s_cmp_lt_i32 s12, 5
	s_mov_b64 s[10:11], -1
	s_cbranch_scc1 .LBB119_153
; %bb.133:
	s_cmp_lt_i32 s12, 8
	s_cbranch_scc1 .LBB119_143
; %bb.134:
	s_cmp_lt_i32 s12, 9
	s_cbranch_scc1 .LBB119_140
; %bb.135:
	s_cmp_gt_i32 s12, 9
	s_cbranch_scc0 .LBB119_137
; %bb.136:
	v_cndmask_b32_e64 v2, 0, 1, s[8:9]
	s_waitcnt vmcnt(0)
	v_cvt_f64_u32_e32 v[2:3], v2
	v_mov_b32_e32 v4, 0
	v_mov_b32_e32 v5, v4
	s_mov_b64 s[10:11], 0
	global_store_dwordx4 v[0:1], v[2:5], off
.LBB119_137:
	s_andn2_b64 vcc, exec, s[10:11]
	s_cbranch_vccnz .LBB119_139
; %bb.138:
	v_cndmask_b32_e64 v2, 0, 1.0, s[8:9]
	s_waitcnt vmcnt(0)
	v_mov_b32_e32 v3, 0
	global_store_dwordx2 v[0:1], v[2:3], off
.LBB119_139:
	s_mov_b64 s[10:11], 0
.LBB119_140:
	s_andn2_b64 vcc, exec, s[10:11]
	s_cbranch_vccnz .LBB119_142
; %bb.141:
	v_cndmask_b32_e64 v2, 0, 1.0, s[8:9]
	v_cvt_f16_f32_e32 v2, v2
	global_store_dword v[0:1], v2, off
.LBB119_142:
	s_mov_b64 s[10:11], 0
.LBB119_143:
	s_andn2_b64 vcc, exec, s[10:11]
	s_cbranch_vccnz .LBB119_152
; %bb.144:
	s_cmp_lt_i32 s12, 6
	s_mov_b64 s[10:11], -1
	s_cbranch_scc1 .LBB119_150
; %bb.145:
	s_cmp_gt_i32 s12, 6
	s_cbranch_scc0 .LBB119_147
; %bb.146:
	v_cndmask_b32_e64 v2, 0, 1, s[8:9]
	s_waitcnt vmcnt(0)
	v_cvt_f64_u32_e32 v[2:3], v2
	s_mov_b64 s[10:11], 0
	global_store_dwordx2 v[0:1], v[2:3], off
.LBB119_147:
	s_andn2_b64 vcc, exec, s[10:11]
	s_cbranch_vccnz .LBB119_149
; %bb.148:
	v_cndmask_b32_e64 v2, 0, 1.0, s[8:9]
	global_store_dword v[0:1], v2, off
.LBB119_149:
	s_mov_b64 s[10:11], 0
.LBB119_150:
	s_andn2_b64 vcc, exec, s[10:11]
	s_cbranch_vccnz .LBB119_152
; %bb.151:
	v_cndmask_b32_e64 v2, 0, 1.0, s[8:9]
	v_cvt_f16_f32_e32 v2, v2
	global_store_short v[0:1], v2, off
.LBB119_152:
	s_mov_b64 s[10:11], 0
.LBB119_153:
	s_andn2_b64 vcc, exec, s[10:11]
	s_cbranch_vccnz .LBB119_169
; %bb.154:
	s_cmp_lt_i32 s12, 2
	s_mov_b64 s[10:11], -1
	s_cbranch_scc1 .LBB119_164
; %bb.155:
	s_cmp_lt_i32 s12, 3
	s_cbranch_scc1 .LBB119_161
; %bb.156:
	s_cmp_gt_i32 s12, 3
	s_cbranch_scc0 .LBB119_158
; %bb.157:
	s_mov_b32 s10, 0
	v_cndmask_b32_e64 v2, 0, 1, s[8:9]
	s_waitcnt vmcnt(0)
	v_mov_b32_e32 v3, s10
	global_store_dwordx2 v[0:1], v[2:3], off
	s_mov_b64 s[10:11], 0
.LBB119_158:
	s_andn2_b64 vcc, exec, s[10:11]
	s_cbranch_vccnz .LBB119_160
; %bb.159:
	v_cndmask_b32_e64 v2, 0, 1, s[8:9]
	global_store_dword v[0:1], v2, off
.LBB119_160:
	s_mov_b64 s[10:11], 0
.LBB119_161:
	s_andn2_b64 vcc, exec, s[10:11]
	s_cbranch_vccnz .LBB119_163
; %bb.162:
	v_cndmask_b32_e64 v2, 0, 1, s[8:9]
	global_store_short v[0:1], v2, off
.LBB119_163:
	s_mov_b64 s[10:11], 0
.LBB119_164:
	s_andn2_b64 vcc, exec, s[10:11]
	s_cbranch_vccnz .LBB119_169
; %bb.165:
	s_cmp_gt_i32 s12, 0
	s_mov_b64 s[10:11], -1
	s_cbranch_scc0 .LBB119_167
; %bb.166:
	v_cndmask_b32_e64 v2, 0, 1, s[8:9]
	global_store_byte v[0:1], v2, off
	s_mov_b64 s[10:11], 0
.LBB119_167:
	s_andn2_b64 vcc, exec, s[10:11]
	s_cbranch_vccnz .LBB119_169
; %bb.168:
	v_cndmask_b32_e64 v2, 0, 1, s[8:9]
	global_store_byte v[0:1], v2, off
.LBB119_169:
.LBB119_170:
	v_add_u32_e32 v8, 0x80, v8
	s_mov_b64 s[8:9], -1
	s_branch .LBB119_281
.LBB119_171:
	s_mov_b64 s[2:3], -1
                                        ; implicit-def: $vgpr3
.LBB119_172:
	s_mov_b64 s[8:9], 0
.LBB119_173:
	s_and_b64 vcc, exec, s[8:9]
	s_cbranch_vccz .LBB119_177
; %bb.174:
	s_cmp_eq_u32 s12, 29
	s_cbranch_scc0 .LBB119_176
; %bb.175:
	global_load_dwordx2 v[3:4], v[1:2], off
	s_mov_b64 s[0:1], -1
	s_mov_b64 s[2:3], 0
	s_mov_b64 s[8:9], 0
	s_waitcnt vmcnt(0)
	v_ffbh_u32_e32 v5, v4
	v_min_u32_e32 v5, 32, v5
	v_lshlrev_b64 v[3:4], v5, v[3:4]
	v_min_u32_e32 v3, 1, v3
	v_or_b32_e32 v3, v4, v3
	v_cvt_f32_u32_e32 v3, v3
	v_sub_u32_e32 v4, 32, v5
	v_ldexp_f32 v3, v3, v4
	v_cvt_f16_f32_e32 v3, v3
	s_branch .LBB119_178
.LBB119_176:
	s_mov_b64 s[2:3], -1
                                        ; implicit-def: $vgpr3
.LBB119_177:
	s_mov_b64 s[8:9], 0
.LBB119_178:
	s_and_b64 vcc, exec, s[8:9]
	s_cbranch_vccz .LBB119_196
; %bb.179:
	s_cmp_lt_i32 s12, 27
	s_cbranch_scc1 .LBB119_182
; %bb.180:
	s_cmp_gt_i32 s12, 27
	s_cbranch_scc0 .LBB119_183
; %bb.181:
	global_load_dword v3, v[1:2], off
	s_mov_b64 s[0:1], 0
	s_waitcnt vmcnt(0)
	v_cvt_f32_u32_e32 v3, v3
	v_cvt_f16_f32_e32 v3, v3
	s_branch .LBB119_184
.LBB119_182:
	s_mov_b64 s[0:1], -1
                                        ; implicit-def: $vgpr3
	s_branch .LBB119_187
.LBB119_183:
	s_mov_b64 s[0:1], -1
                                        ; implicit-def: $vgpr3
.LBB119_184:
	s_andn2_b64 vcc, exec, s[0:1]
	s_cbranch_vccnz .LBB119_186
; %bb.185:
	global_load_ushort v3, v[1:2], off
	s_waitcnt vmcnt(0)
	v_cvt_f16_u16_e32 v3, v3
.LBB119_186:
	s_mov_b64 s[0:1], 0
.LBB119_187:
	s_andn2_b64 vcc, exec, s[0:1]
	s_cbranch_vccnz .LBB119_195
; %bb.188:
	global_load_ubyte v4, v[1:2], off
	s_movk_i32 s0, 0x7f
	s_waitcnt vmcnt(0)
	v_cmp_lt_i16_e32 vcc, s0, v4
	s_mov_b64 s[0:1], 0
	s_and_saveexec_b64 s[8:9], vcc
	s_xor_b64 s[8:9], exec, s[8:9]
	s_cbranch_execz .LBB119_208
; %bb.189:
	s_movk_i32 s0, 0x80
	v_cmp_eq_u16_e32 vcc, s0, v4
	s_mov_b64 s[0:1], -1
	s_and_saveexec_b64 s[10:11], vcc
; %bb.190:
	s_xor_b64 s[0:1], exec, -1
; %bb.191:
	s_or_b64 exec, exec, s[10:11]
	s_and_b64 s[0:1], s[0:1], exec
	s_or_saveexec_b64 s[8:9], s[8:9]
	v_mov_b32_e32 v3, 0x7e00
	s_xor_b64 exec, exec, s[8:9]
	s_cbranch_execnz .LBB119_209
.LBB119_192:
	s_or_b64 exec, exec, s[8:9]
	s_and_saveexec_b64 s[8:9], s[0:1]
	s_cbranch_execz .LBB119_194
.LBB119_193:
	v_lshlrev_b32_e32 v3, 24, v4
	v_and_b32_e32 v4, 0xffff, v4
	v_and_b32_e32 v5, 7, v4
	v_ffbh_u32_e32 v7, v5
	v_min_u32_e32 v7, 32, v7
	v_subrev_u32_e32 v9, 28, v7
	v_bfe_u32 v6, v4, 3, 4
	v_lshlrev_b32_e32 v4, v9, v4
	v_sub_u32_e32 v7, 29, v7
	v_and_b32_e32 v4, 7, v4
	v_cmp_eq_u32_e32 vcc, 0, v6
	v_cndmask_b32_e32 v6, v6, v7, vcc
	v_cndmask_b32_e32 v4, v5, v4, vcc
	v_mov_b32_e32 v5, 0x3b800000
	v_lshlrev_b32_e32 v4, 20, v4
	v_and_b32_e32 v3, 0x80000000, v3
	v_lshl_add_u32 v5, v6, 23, v5
	v_or3_b32 v3, v3, v5, v4
	v_cvt_f16_f32_e32 v3, v3
.LBB119_194:
	s_or_b64 exec, exec, s[8:9]
.LBB119_195:
	s_mov_b64 s[0:1], -1
.LBB119_196:
	s_branch .LBB119_231
.LBB119_197:
	s_cmp_gt_i32 s12, 22
	s_cbranch_scc0 .LBB119_207
; %bb.198:
	s_cmp_lt_i32 s12, 24
	s_cbranch_scc1 .LBB119_210
; %bb.199:
	s_cmp_gt_i32 s12, 24
	s_cbranch_scc0 .LBB119_211
; %bb.200:
	global_load_ubyte v4, v[1:2], off
	s_movk_i32 s0, 0x7f
	s_waitcnt vmcnt(0)
	v_cmp_lt_i16_e32 vcc, s0, v4
	s_mov_b64 s[0:1], 0
	s_and_saveexec_b64 s[8:9], vcc
	s_xor_b64 s[8:9], exec, s[8:9]
	s_cbranch_execz .LBB119_223
; %bb.201:
	s_movk_i32 s0, 0x80
	v_cmp_eq_u16_e32 vcc, s0, v4
	s_mov_b64 s[0:1], -1
	s_and_saveexec_b64 s[10:11], vcc
; %bb.202:
	s_xor_b64 s[0:1], exec, -1
; %bb.203:
	s_or_b64 exec, exec, s[10:11]
	s_and_b64 s[0:1], s[0:1], exec
	s_or_saveexec_b64 s[8:9], s[8:9]
	v_mov_b32_e32 v3, 0x7e00
	s_xor_b64 exec, exec, s[8:9]
	s_cbranch_execnz .LBB119_224
.LBB119_204:
	s_or_b64 exec, exec, s[8:9]
	s_and_saveexec_b64 s[8:9], s[0:1]
	s_cbranch_execz .LBB119_206
.LBB119_205:
	v_lshlrev_b32_e32 v3, 24, v4
	v_and_b32_e32 v4, 0xffff, v4
	v_and_b32_e32 v5, 3, v4
	v_ffbh_u32_e32 v7, v5
	v_min_u32_e32 v7, 32, v7
	v_subrev_u32_e32 v9, 29, v7
	v_bfe_u32 v6, v4, 2, 5
	v_lshlrev_b32_e32 v4, v9, v4
	v_sub_u32_e32 v7, 30, v7
	v_and_b32_e32 v4, 3, v4
	v_cmp_eq_u32_e32 vcc, 0, v6
	v_cndmask_b32_e32 v6, v6, v7, vcc
	v_cndmask_b32_e32 v4, v5, v4, vcc
	v_mov_b32_e32 v5, 0x37800000
	v_lshlrev_b32_e32 v4, 21, v4
	v_and_b32_e32 v3, 0x80000000, v3
	v_lshl_add_u32 v5, v6, 23, v5
	v_or3_b32 v3, v3, v5, v4
	v_cvt_f16_f32_e32 v3, v3
.LBB119_206:
	s_or_b64 exec, exec, s[8:9]
	s_mov_b64 s[0:1], 0
	s_branch .LBB119_212
.LBB119_207:
	s_mov_b64 s[8:9], -1
                                        ; implicit-def: $vgpr3
	s_branch .LBB119_218
.LBB119_208:
	s_or_saveexec_b64 s[8:9], s[8:9]
	v_mov_b32_e32 v3, 0x7e00
	s_xor_b64 exec, exec, s[8:9]
	s_cbranch_execz .LBB119_192
.LBB119_209:
	v_cmp_ne_u16_e32 vcc, 0, v4
	s_andn2_b64 s[0:1], s[0:1], exec
	s_and_b64 s[10:11], vcc, exec
	s_or_b64 s[0:1], s[0:1], s[10:11]
	v_mov_b32_e32 v3, v4
	s_or_b64 exec, exec, s[8:9]
	s_and_saveexec_b64 s[8:9], s[0:1]
	s_cbranch_execnz .LBB119_193
	s_branch .LBB119_194
.LBB119_210:
	s_mov_b64 s[0:1], -1
                                        ; implicit-def: $vgpr3
	s_branch .LBB119_215
.LBB119_211:
	s_mov_b64 s[0:1], -1
                                        ; implicit-def: $vgpr3
.LBB119_212:
	s_and_b64 vcc, exec, s[0:1]
	s_cbranch_vccz .LBB119_214
; %bb.213:
	global_load_ubyte v3, v[1:2], off
	s_mov_b32 s0, 0x7f800000
	s_waitcnt vmcnt(0)
	v_lshlrev_b32_e32 v3, 24, v3
	v_and_b32_e32 v4, 0x7f000000, v3
	v_ffbh_u32_e32 v5, v4
	v_min_u32_e32 v5, 32, v5
	v_sub_u32_e64 v5, v5, 4 clamp
	v_lshlrev_b32_e32 v7, v5, v4
	v_lshlrev_b32_e32 v5, 23, v5
	v_lshrrev_b32_e32 v7, 4, v7
	v_add_u32_e32 v6, 0x1000000, v4
	v_sub_u32_e32 v5, v7, v5
	v_ashrrev_i32_e32 v6, 8, v6
	v_add_u32_e32 v5, 0x3c000000, v5
	v_and_or_b32 v5, v6, s0, v5
	v_cmp_ne_u32_e32 vcc, 0, v4
	v_cndmask_b32_e32 v4, 0, v5, vcc
	s_brev_b32 s0, 1
	v_and_or_b32 v3, v3, s0, v4
	v_cvt_f16_f32_e32 v3, v3
.LBB119_214:
	s_mov_b64 s[0:1], 0
.LBB119_215:
	s_andn2_b64 vcc, exec, s[0:1]
	s_cbranch_vccnz .LBB119_217
; %bb.216:
	global_load_ubyte v3, v[1:2], off
	s_movk_i32 s0, 0x7f00
	s_brev_b32 s1, 16
	s_waitcnt vmcnt(0)
	v_lshlrev_b16_e32 v4, 8, v3
	v_lshlrev_b32_e32 v3, 25, v3
	v_lshrrev_b32_e32 v5, 4, v3
	v_and_or_b32 v6, v4, s0, 0.5
	v_or_b32_e32 v5, 0x70000000, v5
	v_add_f32_e32 v6, -0.5, v6
	v_mul_f32_e32 v5, 0x7800000, v5
	v_cmp_gt_u32_e32 vcc, s1, v3
	v_bfe_i32 v4, v4, 0, 16
	v_cndmask_b32_e32 v3, v5, v6, vcc
	s_brev_b32 s0, 1
	v_and_or_b32 v3, v4, s0, v3
	v_cvt_f16_f32_e32 v3, v3
.LBB119_217:
	s_mov_b64 s[8:9], 0
	s_mov_b64 s[0:1], -1
.LBB119_218:
	s_andn2_b64 vcc, exec, s[8:9]
	s_cbranch_vccnz .LBB119_231
; %bb.219:
	s_cmp_gt_i32 s12, 14
	s_cbranch_scc0 .LBB119_222
; %bb.220:
	s_cmp_eq_u32 s12, 15
	s_cbranch_scc0 .LBB119_225
; %bb.221:
	global_load_ushort v3, v[1:2], off
	s_mov_b64 s[0:1], -1
	s_mov_b64 s[2:3], 0
	s_waitcnt vmcnt(0)
	v_lshlrev_b32_e32 v3, 16, v3
	v_cvt_f16_f32_e32 v3, v3
	s_branch .LBB119_226
.LBB119_222:
	s_mov_b64 s[8:9], -1
                                        ; implicit-def: $vgpr3
	s_branch .LBB119_227
.LBB119_223:
	s_or_saveexec_b64 s[8:9], s[8:9]
	v_mov_b32_e32 v3, 0x7e00
	s_xor_b64 exec, exec, s[8:9]
	s_cbranch_execz .LBB119_204
.LBB119_224:
	v_cmp_ne_u16_e32 vcc, 0, v4
	s_andn2_b64 s[0:1], s[0:1], exec
	s_and_b64 s[10:11], vcc, exec
	s_or_b64 s[0:1], s[0:1], s[10:11]
	v_mov_b32_e32 v3, v4
	s_or_b64 exec, exec, s[8:9]
	s_and_saveexec_b64 s[8:9], s[0:1]
	s_cbranch_execnz .LBB119_205
	s_branch .LBB119_206
.LBB119_225:
	s_mov_b64 s[2:3], -1
                                        ; implicit-def: $vgpr3
.LBB119_226:
	s_mov_b64 s[8:9], 0
.LBB119_227:
	s_and_b64 vcc, exec, s[8:9]
	s_cbranch_vccz .LBB119_231
; %bb.228:
	s_cmp_eq_u32 s12, 11
	s_cbranch_scc0 .LBB119_230
; %bb.229:
	global_load_ubyte v3, v[1:2], off
	v_mov_b32_e32 v4, 0x3c00
	s_mov_b64 s[0:1], -1
	s_mov_b64 s[2:3], 0
	s_waitcnt vmcnt(0)
	v_cmp_ne_u16_e32 vcc, 0, v3
	v_cndmask_b32_e32 v3, 0, v4, vcc
	s_branch .LBB119_231
.LBB119_230:
	s_mov_b64 s[2:3], -1
                                        ; implicit-def: $vgpr3
.LBB119_231:
	s_branch .LBB119_24
.LBB119_232:
	s_cmp_lt_i32 s12, 5
	s_cbranch_scc1 .LBB119_237
; %bb.233:
	s_cmp_lt_i32 s12, 8
	s_cbranch_scc1 .LBB119_238
; %bb.234:
	;; [unrolled: 3-line block ×3, first 2 shown]
	s_cmp_gt_i32 s12, 9
	s_cbranch_scc0 .LBB119_240
; %bb.236:
	global_load_dwordx2 v[3:4], v[1:2], off
	s_movk_i32 s0, 0x1ff
	s_movk_i32 s1, 0xffe
	v_mov_b32_e32 v5, 0x7c00
	v_mov_b32_e32 v6, 0x7e00
	s_movk_i32 s8, 0x40f
	s_mov_b32 s9, 0x8000
	s_waitcnt vmcnt(0)
	v_and_or_b32 v3, v4, s0, v3
	v_cmp_ne_u32_e32 vcc, 0, v3
	v_lshrrev_b32_e32 v7, 8, v4
	v_bfe_u32 v9, v4, 20, 11
	v_cndmask_b32_e64 v3, 0, 1, vcc
	v_sub_u32_e32 v10, 0x3f1, v9
	v_and_or_b32 v3, v7, s1, v3
	v_add_u32_e32 v9, 0xfffffc10, v9
	v_med3_i32 v7, v10, 0, 13
	v_or_b32_e32 v10, 0x1000, v3
	v_cmp_ne_u32_e32 vcc, 0, v3
	v_lshl_or_b32 v11, v9, 12, v3
	v_cndmask_b32_e32 v3, v5, v6, vcc
	v_lshrrev_b32_e32 v6, v7, v10
	v_lshlrev_b32_e32 v7, v7, v6
	v_cmp_ne_u32_e32 vcc, v7, v10
	v_cndmask_b32_e64 v7, 0, 1, vcc
	v_or_b32_e32 v6, v6, v7
	v_cmp_gt_i32_e32 vcc, 1, v9
	v_cndmask_b32_e32 v6, v11, v6, vcc
	v_and_b32_e32 v7, 7, v6
	v_cmp_lt_i32_e32 vcc, 5, v7
	v_cndmask_b32_e64 v10, 0, 1, vcc
	v_cmp_eq_u32_e32 vcc, 3, v7
	v_cndmask_b32_e64 v7, 0, 1, vcc
	v_lshrrev_b32_e32 v6, 2, v6
	v_or_b32_e32 v7, v7, v10
	v_add_u32_e32 v6, v6, v7
	v_cmp_gt_i32_e32 vcc, 31, v9
	v_cndmask_b32_e32 v5, v5, v6, vcc
	v_cmp_eq_u32_e32 vcc, s8, v9
	v_lshrrev_b32_e32 v4, 16, v4
	v_cndmask_b32_e32 v3, v5, v3, vcc
	v_and_or_b32 v3, v4, s9, v3
	s_mov_b64 s[0:1], 0
	s_branch .LBB119_241
.LBB119_237:
                                        ; implicit-def: $vgpr3
	s_branch .LBB119_259
.LBB119_238:
	s_mov_b64 s[0:1], -1
                                        ; implicit-def: $vgpr3
	s_branch .LBB119_247
.LBB119_239:
	s_mov_b64 s[0:1], -1
                                        ; implicit-def: $vgpr3
	s_branch .LBB119_244
.LBB119_240:
	s_mov_b64 s[0:1], -1
                                        ; implicit-def: $vgpr3
.LBB119_241:
	s_andn2_b64 vcc, exec, s[0:1]
	s_cbranch_vccnz .LBB119_243
; %bb.242:
	global_load_dword v3, v[1:2], off
	s_waitcnt vmcnt(0)
	v_cvt_f16_f32_e32 v3, v3
.LBB119_243:
	s_mov_b64 s[0:1], 0
.LBB119_244:
	s_andn2_b64 vcc, exec, s[0:1]
	s_cbranch_vccnz .LBB119_246
; %bb.245:
	global_load_dword v3, v[1:2], off
.LBB119_246:
	s_mov_b64 s[0:1], 0
.LBB119_247:
	s_andn2_b64 vcc, exec, s[0:1]
	s_cbranch_vccnz .LBB119_258
; %bb.248:
	s_cmp_lt_i32 s12, 6
	s_cbranch_scc1 .LBB119_251
; %bb.249:
	s_cmp_gt_i32 s12, 6
	s_cbranch_scc0 .LBB119_252
; %bb.250:
	global_load_dwordx2 v[3:4], v[1:2], off
	s_movk_i32 s0, 0x1ff
	s_movk_i32 s1, 0xffe
	v_mov_b32_e32 v5, 0x7c00
	v_mov_b32_e32 v6, 0x7e00
	s_movk_i32 s8, 0x40f
	s_mov_b32 s9, 0x8000
	s_waitcnt vmcnt(0)
	v_and_or_b32 v3, v4, s0, v3
	v_cmp_ne_u32_e32 vcc, 0, v3
	v_lshrrev_b32_e32 v7, 8, v4
	v_bfe_u32 v9, v4, 20, 11
	v_cndmask_b32_e64 v3, 0, 1, vcc
	v_sub_u32_e32 v10, 0x3f1, v9
	v_and_or_b32 v3, v7, s1, v3
	v_add_u32_e32 v9, 0xfffffc10, v9
	v_med3_i32 v7, v10, 0, 13
	v_or_b32_e32 v10, 0x1000, v3
	v_cmp_ne_u32_e32 vcc, 0, v3
	v_lshl_or_b32 v11, v9, 12, v3
	v_cndmask_b32_e32 v3, v5, v6, vcc
	v_lshrrev_b32_e32 v6, v7, v10
	v_lshlrev_b32_e32 v7, v7, v6
	v_cmp_ne_u32_e32 vcc, v7, v10
	v_cndmask_b32_e64 v7, 0, 1, vcc
	v_or_b32_e32 v6, v6, v7
	v_cmp_gt_i32_e32 vcc, 1, v9
	v_cndmask_b32_e32 v6, v11, v6, vcc
	v_and_b32_e32 v7, 7, v6
	v_cmp_lt_i32_e32 vcc, 5, v7
	v_cndmask_b32_e64 v10, 0, 1, vcc
	v_cmp_eq_u32_e32 vcc, 3, v7
	v_cndmask_b32_e64 v7, 0, 1, vcc
	v_lshrrev_b32_e32 v6, 2, v6
	v_or_b32_e32 v7, v7, v10
	v_add_u32_e32 v6, v6, v7
	v_cmp_gt_i32_e32 vcc, 31, v9
	v_cndmask_b32_e32 v5, v5, v6, vcc
	v_cmp_eq_u32_e32 vcc, s8, v9
	v_lshrrev_b32_e32 v4, 16, v4
	v_cndmask_b32_e32 v3, v5, v3, vcc
	v_and_or_b32 v3, v4, s9, v3
	s_mov_b64 s[0:1], 0
	s_branch .LBB119_253
.LBB119_251:
	s_mov_b64 s[0:1], -1
                                        ; implicit-def: $vgpr3
	s_branch .LBB119_256
.LBB119_252:
	s_mov_b64 s[0:1], -1
                                        ; implicit-def: $vgpr3
.LBB119_253:
	s_andn2_b64 vcc, exec, s[0:1]
	s_cbranch_vccnz .LBB119_255
; %bb.254:
	global_load_dword v3, v[1:2], off
	s_waitcnt vmcnt(0)
	v_cvt_f16_f32_e32 v3, v3
.LBB119_255:
	s_mov_b64 s[0:1], 0
.LBB119_256:
	s_andn2_b64 vcc, exec, s[0:1]
	s_cbranch_vccnz .LBB119_258
; %bb.257:
	global_load_ushort v3, v[1:2], off
.LBB119_258:
	s_cbranch_execnz .LBB119_278
.LBB119_259:
	s_cmp_lt_i32 s12, 2
	s_cbranch_scc1 .LBB119_263
; %bb.260:
	s_cmp_lt_i32 s12, 3
	s_cbranch_scc1 .LBB119_264
; %bb.261:
	s_cmp_gt_i32 s12, 3
	s_cbranch_scc0 .LBB119_265
; %bb.262:
	global_load_dwordx2 v[3:4], v[1:2], off
	s_mov_b64 s[0:1], 0
	s_waitcnt vmcnt(0)
	v_xor_b32_e32 v6, v3, v4
	v_ffbh_i32_e32 v5, v4
	v_ashrrev_i32_e32 v6, 31, v6
	v_add_u32_e32 v5, -1, v5
	v_add_u32_e32 v6, 32, v6
	v_min_u32_e32 v5, v5, v6
	v_lshlrev_b64 v[3:4], v5, v[3:4]
	v_min_u32_e32 v3, 1, v3
	v_or_b32_e32 v3, v4, v3
	v_cvt_f32_i32_e32 v3, v3
	v_sub_u32_e32 v4, 32, v5
	v_ldexp_f32 v3, v3, v4
	v_cvt_f16_f32_e32 v3, v3
	s_branch .LBB119_266
.LBB119_263:
	s_mov_b64 s[0:1], -1
                                        ; implicit-def: $vgpr3
	s_branch .LBB119_272
.LBB119_264:
	s_mov_b64 s[0:1], -1
                                        ; implicit-def: $vgpr3
	s_branch .LBB119_269
.LBB119_265:
	s_mov_b64 s[0:1], -1
                                        ; implicit-def: $vgpr3
.LBB119_266:
	s_andn2_b64 vcc, exec, s[0:1]
	s_cbranch_vccnz .LBB119_268
; %bb.267:
	global_load_dword v3, v[1:2], off
	s_waitcnt vmcnt(0)
	v_cvt_f32_i32_e32 v3, v3
	v_cvt_f16_f32_e32 v3, v3
.LBB119_268:
	s_mov_b64 s[0:1], 0
.LBB119_269:
	s_andn2_b64 vcc, exec, s[0:1]
	s_cbranch_vccnz .LBB119_271
; %bb.270:
	global_load_ushort v3, v[1:2], off
	s_waitcnt vmcnt(0)
	v_cvt_f16_i16_e32 v3, v3
.LBB119_271:
	s_mov_b64 s[0:1], 0
.LBB119_272:
	s_andn2_b64 vcc, exec, s[0:1]
	s_cbranch_vccnz .LBB119_278
; %bb.273:
	s_cmp_gt_i32 s12, 0
	s_cbranch_scc0 .LBB119_275
; %bb.274:
	global_load_sbyte v3, v[1:2], off
	s_mov_b64 s[0:1], 0
	s_waitcnt vmcnt(0)
	v_cvt_f16_i16_e32 v3, v3
	s_branch .LBB119_276
.LBB119_275:
	s_mov_b64 s[0:1], -1
                                        ; implicit-def: $vgpr3
.LBB119_276:
	s_andn2_b64 vcc, exec, s[0:1]
	s_cbranch_vccnz .LBB119_278
; %bb.277:
	global_load_ubyte v1, v[1:2], off
	s_waitcnt vmcnt(0)
	v_cvt_f16_u16_e32 v3, v1
.LBB119_278:
	s_branch .LBB119_25
.LBB119_279:
	s_mov_b64 s[0:1], 0
.LBB119_280:
	s_mov_b64 s[8:9], 0
                                        ; implicit-def: $vgpr8
.LBB119_281:
	s_and_b64 s[54:55], s[0:1], exec
	s_and_b64 s[56:57], s[2:3], exec
	s_orn2_b64 s[2:3], s[8:9], exec
.LBB119_282:
	s_or_b64 exec, exec, s[58:59]
	s_mov_b64 s[10:11], 0
	s_mov_b64 s[0:1], 0
                                        ; implicit-def: $vgpr1_vgpr2
                                        ; implicit-def: $vgpr0
                                        ; implicit-def: $vgpr3
	s_and_saveexec_b64 s[58:59], s[2:3]
	s_cbranch_execz .LBB119_289
; %bb.283:
	v_cmp_gt_i32_e32 vcc, s72, v8
	s_mov_b64 s[0:1], -1
	s_mov_b64 s[60:61], s[56:57]
	s_mov_b64 s[62:63], s[54:55]
	s_and_saveexec_b64 s[64:65], vcc
	s_cbranch_execz .LBB119_574
; %bb.284:
	s_andn2_b64 vcc, exec, s[40:41]
	s_cbranch_vccnz .LBB119_292
; %bb.285:
	s_andn2_b64 vcc, exec, s[52:53]
	s_cbranch_vccnz .LBB119_293
; %bb.286:
	s_add_i32 s67, s77, 1
	s_cmp_eq_u32 s74, 2
	s_cbranch_scc1 .LBB119_294
; %bb.287:
	s_and_b32 s66, s67, 28
	v_mov_b32_e32 v2, 0
	s_mov_b32 s68, 0
	s_mov_b64 s[60:61], s[34:35]
	s_mov_b64 s[62:63], s[50:51]
	v_mov_b32_e32 v0, 0
	v_mov_b32_e32 v1, v8
.LBB119_288:                            ; =>This Inner Loop Header: Depth=1
	s_load_dwordx8 s[16:23], s[60:61], 0x4
	s_load_dwordx4 s[0:3], s[60:61], 0x24
	s_load_dwordx8 s[8:15], s[62:63], 0x0
	s_add_u32 s60, s60, 48
	s_addc_u32 s61, s61, 0
	s_waitcnt vmcnt(0) lgkmcnt(0)
	v_mul_hi_u32 v3, s17, v1
	s_add_i32 s68, s68, 4
	s_add_u32 s62, s62, 32
	s_addc_u32 s63, s63, 0
	v_add_u32_e32 v3, v1, v3
	v_lshrrev_b32_e32 v3, s18, v3
	v_mul_lo_u32 v4, v3, s16
	v_mul_hi_u32 v5, s20, v3
	s_cmp_eq_u32 s66, s68
	v_sub_u32_e32 v1, v1, v4
	v_add_u32_e32 v4, v3, v5
	v_mul_lo_u32 v5, v1, s8
	v_mul_lo_u32 v6, v1, s9
	v_lshrrev_b32_e32 v1, s21, v4
	v_mul_lo_u32 v4, v1, s19
	v_mul_hi_u32 v7, s23, v1
	v_sub_u32_e32 v3, v3, v4
	v_add_u32_e32 v4, v1, v7
	v_lshrrev_b32_e32 v4, s0, v4
	v_mul_hi_u32 v9, s2, v4
	v_mul_lo_u32 v10, v4, s22
	v_mul_lo_u32 v7, v3, s10
	;; [unrolled: 1-line block ×3, first 2 shown]
	v_sub_u32_e32 v10, v1, v10
	v_add_u32_e32 v1, v4, v9
	v_lshrrev_b32_e32 v1, s3, v1
	v_mul_lo_u32 v9, v1, s1
	v_mul_lo_u32 v11, v10, s12
	;; [unrolled: 1-line block ×3, first 2 shown]
	v_add3_u32 v0, v5, v0, v7
	v_sub_u32_e32 v4, v4, v9
	v_mul_lo_u32 v9, v4, s14
	v_mul_lo_u32 v4, v4, s15
	v_add3_u32 v2, v6, v2, v3
	v_add3_u32 v0, v11, v0, v9
	;; [unrolled: 1-line block ×3, first 2 shown]
	s_cbranch_scc0 .LBB119_288
	s_branch .LBB119_295
.LBB119_289:
	s_or_b64 exec, exec, s[58:59]
	s_mov_b64 s[2:3], 0
	s_and_saveexec_b64 s[8:9], s[56:57]
	s_cbranch_execnz .LBB119_967
.LBB119_290:
	s_or_b64 exec, exec, s[8:9]
	s_and_saveexec_b64 s[8:9], s[62:63]
	s_xor_b64 s[8:9], exec, s[8:9]
	s_cbranch_execz .LBB119_968
.LBB119_291:
	global_load_ubyte v3, v[1:2], off
	v_mov_b32_e32 v4, 0x3c00
	s_or_b64 s[0:1], s[0:1], exec
	s_waitcnt vmcnt(0)
	v_cmp_ne_u16_e32 vcc, 0, v3
	v_cndmask_b32_e32 v3, 0, v4, vcc
	s_or_b64 exec, exec, s[8:9]
	s_and_saveexec_b64 s[8:9], s[10:11]
	s_cbranch_execz .LBB119_1014
	s_branch .LBB119_969
.LBB119_292:
                                        ; implicit-def: $vgpr0
                                        ; implicit-def: $vgpr2
	s_andn2_b64 vcc, exec, s[0:1]
	s_cbranch_vccz .LBB119_299
	s_branch .LBB119_301
.LBB119_293:
	v_mov_b32_e32 v0, 0
	v_mov_b32_e32 v2, 0
	s_branch .LBB119_298
.LBB119_294:
	s_mov_b32 s66, 0
	v_mov_b32_e32 v0, 0
	v_mov_b32_e32 v2, 0
	v_mov_b32_e32 v1, v8
.LBB119_295:
	s_and_b32 s8, s67, 3
	s_cmp_eq_u32 s8, 0
	s_cbranch_scc1 .LBB119_298
; %bb.296:
	s_lshl_b32 s0, s66, 3
	s_add_u32 s0, s34, s0
	s_addc_u32 s1, s35, 0
	s_add_u32 s0, s0, 0xc4
	s_addc_u32 s1, s1, 0
	s_mul_i32 s2, s66, 12
	s_add_u32 s2, s34, s2
	s_addc_u32 s3, s35, 0
.LBB119_297:                            ; =>This Inner Loop Header: Depth=1
	s_load_dwordx2 s[10:11], s[2:3], 0x4
	s_load_dword s9, s[2:3], 0xc
	s_load_dwordx2 s[12:13], s[0:1], 0x0
	s_add_u32 s2, s2, 12
	s_addc_u32 s3, s3, 0
	s_waitcnt vmcnt(0) lgkmcnt(0)
	v_mul_hi_u32 v3, s11, v1
	s_add_u32 s0, s0, 8
	s_addc_u32 s1, s1, 0
	s_add_i32 s8, s8, -1
	v_add_u32_e32 v3, v1, v3
	v_lshrrev_b32_e32 v4, s9, v3
	v_mul_lo_u32 v3, v4, s10
	s_cmp_lg_u32 s8, 0
	v_sub_u32_e32 v3, v1, v3
	v_mad_u64_u32 v[0:1], s[10:11], v3, s12, v[0:1]
	v_mad_u64_u32 v[2:3], s[10:11], v3, s13, v[2:3]
	v_mov_b32_e32 v1, v4
	s_cbranch_scc1 .LBB119_297
.LBB119_298:
	s_cbranch_execnz .LBB119_301
.LBB119_299:
	v_mul_hi_u32 v0, s29, v8
	s_andn2_b64 vcc, exec, s[48:49]
	v_add_u32_e32 v0, v8, v0
	v_lshrrev_b32_e32 v1, s30, v0
	v_mul_lo_u32 v0, v1, s28
	v_sub_u32_e32 v2, v8, v0
	v_mul_lo_u32 v0, v2, s36
	v_mul_lo_u32 v2, v2, s37
	s_cbranch_vccnz .LBB119_301
; %bb.300:
	s_waitcnt vmcnt(0)
	v_mul_hi_u32 v3, s46, v1
	v_add_u32_e32 v3, v1, v3
	v_lshrrev_b32_e32 v3, s47, v3
	v_mul_lo_u32 v3, v3, s31
	v_sub_u32_e32 v3, v1, v3
	v_mad_u64_u32 v[0:1], s[0:1], v3, s38, v[0:1]
	v_mad_u64_u32 v[2:3], s[0:1], v3, s39, v[2:3]
.LBB119_301:
	s_waitcnt vmcnt(0)
	v_mov_b32_e32 v3, s27
	s_and_b32 s12, 0xffff, s76
	v_add_co_u32_e32 v1, vcc, s26, v2
	s_cmp_lt_i32 s12, 11
	v_addc_co_u32_e32 v2, vcc, 0, v3, vcc
	s_cbranch_scc1 .LBB119_308
; %bb.302:
	s_cmp_gt_i32 s12, 25
	s_cbranch_scc0 .LBB119_314
; %bb.303:
	s_cmp_gt_i32 s12, 28
	s_cbranch_scc0 .LBB119_318
	;; [unrolled: 3-line block ×4, first 2 shown]
; %bb.306:
	s_cmp_eq_u32 s12, 46
	s_mov_b64 s[8:9], 0
	s_cbranch_scc0 .LBB119_345
; %bb.307:
	global_load_dword v3, v[1:2], off
	s_mov_b64 s[0:1], -1
	s_mov_b64 s[2:3], 0
	s_waitcnt vmcnt(0)
	v_lshlrev_b32_e32 v3, 16, v3
	v_cvt_f16_f32_e32 v3, v3
	s_branch .LBB119_346
.LBB119_308:
	s_mov_b64 s[0:1], 0
                                        ; implicit-def: $vgpr3
	s_mov_b64 s[2:3], s[56:57]
	s_cbranch_execnz .LBB119_523
.LBB119_309:
	s_andn2_b64 vcc, exec, s[0:1]
	s_cbranch_vccnz .LBB119_571
.LBB119_310:
	s_cmp_lt_i32 s44, 1
	s_mov_b64 s[0:1], 0
	s_cbranch_scc1 .LBB119_315
; %bb.311:
	s_cmp_gt_i32 s44, 1
	s_cbranch_scc0 .LBB119_319
; %bb.312:
	s_cmp_eq_u32 s44, 2
	s_cbranch_scc0 .LBB119_321
; %bb.313:
	s_waitcnt vmcnt(0)
	v_cmp_ge_f16_e64 s[8:9], s45, v3
	s_mov_b64 s[10:11], 0
	s_branch .LBB119_322
.LBB119_314:
	s_mov_b64 s[8:9], -1
	s_mov_b64 s[0:1], 0
	s_mov_b64 s[2:3], s[56:57]
                                        ; implicit-def: $vgpr3
	s_branch .LBB119_487
.LBB119_315:
                                        ; implicit-def: $sgpr8_sgpr9
	s_mov_b64 s[10:11], 0
	s_cbranch_execnz .LBB119_326
.LBB119_316:
	s_andn2_b64 vcc, exec, s[10:11]
	s_cbranch_vccnz .LBB119_327
.LBB119_317:
	s_waitcnt vmcnt(0)
	v_cmp_gt_f16_e32 vcc, s45, v3
	s_andn2_b64 s[8:9], s[8:9], exec
	s_and_b64 s[10:11], vcc, exec
	s_or_b64 s[8:9], s[8:9], s[10:11]
	s_cbranch_execz .LBB119_328
	s_branch .LBB119_329
.LBB119_318:
	s_mov_b64 s[8:9], -1
	s_mov_b64 s[0:1], 0
	s_mov_b64 s[2:3], s[56:57]
                                        ; implicit-def: $vgpr3
	s_branch .LBB119_468
.LBB119_319:
	s_mov_b64 s[12:13], -1
	s_mov_b64 s[10:11], 0
                                        ; implicit-def: $sgpr8_sgpr9
	s_branch .LBB119_323
.LBB119_320:
	s_mov_b64 s[8:9], -1
	s_mov_b64 s[0:1], 0
	s_mov_b64 s[2:3], s[56:57]
                                        ; implicit-def: $vgpr3
	s_branch .LBB119_463
.LBB119_321:
	s_mov_b64 s[10:11], -1
                                        ; implicit-def: $sgpr8_sgpr9
.LBB119_322:
	s_mov_b64 s[12:13], 0
.LBB119_323:
	s_and_b64 vcc, exec, s[12:13]
	s_cbranch_vccz .LBB119_325
; %bb.324:
	s_waitcnt vmcnt(0)
	v_cmp_lt_f16_e32 vcc, s45, v3
	s_andn2_b64 s[8:9], s[8:9], exec
	s_and_b64 s[12:13], vcc, exec
	s_or_b64 s[8:9], s[8:9], s[12:13]
.LBB119_325:
	s_branch .LBB119_316
.LBB119_326:
	s_cmp_lg_u32 s44, 0
	s_mov_b64 s[0:1], -1
	s_cselect_b64 s[10:11], -1, 0
	s_andn2_b64 vcc, exec, s[10:11]
	s_cbranch_vccz .LBB119_317
.LBB119_327:
	s_andn2_b64 vcc, exec, s[0:1]
	s_cbranch_vccnz .LBB119_329
.LBB119_328:
	s_waitcnt vmcnt(0)
	v_cmp_le_f16_e32 vcc, s45, v3
	s_andn2_b64 s[0:1], s[8:9], exec
	s_and_b64 s[8:9], vcc, exec
	s_or_b64 s[8:9], s[0:1], s[8:9]
.LBB119_329:
	v_mov_b32_e32 v1, s25
	s_and_b32 s16, s75, 0xff
	v_add_co_u32_e32 v0, vcc, s24, v0
	s_cmp_lt_i32 s16, 11
	v_addc_co_u32_e32 v1, vcc, 0, v1, vcc
	s_cbranch_scc1 .LBB119_336
; %bb.330:
	s_and_b32 s17, 0xffff, s16
	s_cmp_gt_i32 s17, 25
	s_cbranch_scc0 .LBB119_337
; %bb.331:
	s_cmp_gt_i32 s17, 28
	s_cbranch_scc0 .LBB119_338
; %bb.332:
	;; [unrolled: 3-line block ×4, first 2 shown]
	s_mov_b64 s[12:13], 0
	s_mov_b64 s[0:1], -1
	s_cmp_eq_u32 s17, 46
	s_mov_b64 s[10:11], 0
	s_cbranch_scc0 .LBB119_350
; %bb.335:
	v_cndmask_b32_e64 v2, 0, 1.0, s[8:9]
	s_waitcnt vmcnt(0)
	v_bfe_u32 v3, v2, 16, 1
	s_movk_i32 s0, 0x7fff
	v_add3_u32 v2, v2, v3, s0
	v_lshrrev_b32_e32 v2, 16, v2
	global_store_dword v[0:1], v2, off
	s_mov_b64 s[10:11], -1
	s_mov_b64 s[0:1], 0
	s_branch .LBB119_350
.LBB119_336:
	s_mov_b64 s[12:13], -1
	s_mov_b64 s[10:11], 0
	s_mov_b64 s[0:1], s[54:55]
	s_branch .LBB119_419
.LBB119_337:
	s_mov_b64 s[12:13], -1
	s_mov_b64 s[10:11], 0
	s_mov_b64 s[0:1], s[54:55]
	s_branch .LBB119_377
.LBB119_338:
	s_mov_b64 s[12:13], -1
	s_mov_b64 s[10:11], 0
	s_mov_b64 s[0:1], s[54:55]
	s_branch .LBB119_360
.LBB119_339:
	s_andn2_saveexec_b64 s[14:15], s[14:15]
	s_cbranch_execz .LBB119_84
.LBB119_340:
	v_add_f32_e32 v2, 0x46000000, v3
	v_and_b32_e32 v2, 0xff, v2
	v_cmp_ne_u32_e32 vcc, 0, v2
	s_andn2_b64 s[12:13], s[12:13], exec
	s_and_b64 s[18:19], vcc, exec
	s_or_b64 s[12:13], s[12:13], s[18:19]
	s_or_b64 exec, exec, s[14:15]
	v_mov_b32_e32 v4, 0
	s_and_saveexec_b64 s[14:15], s[12:13]
	s_cbranch_execnz .LBB119_85
	s_branch .LBB119_86
.LBB119_341:
	s_mov_b64 s[8:9], -1
	s_mov_b64 s[0:1], 0
	s_mov_b64 s[2:3], s[56:57]
                                        ; implicit-def: $vgpr3
	s_branch .LBB119_346
.LBB119_342:
	s_mov_b64 s[12:13], -1
	s_mov_b64 s[10:11], 0
	s_mov_b64 s[0:1], s[54:55]
	s_branch .LBB119_356
.LBB119_343:
	s_andn2_saveexec_b64 s[14:15], s[14:15]
	s_cbranch_execz .LBB119_97
.LBB119_344:
	v_add_f32_e32 v2, 0x42800000, v3
	v_and_b32_e32 v2, 0xff, v2
	v_cmp_ne_u32_e32 vcc, 0, v2
	s_andn2_b64 s[12:13], s[12:13], exec
	s_and_b64 s[18:19], vcc, exec
	s_or_b64 s[12:13], s[12:13], s[18:19]
	s_or_b64 exec, exec, s[14:15]
	v_mov_b32_e32 v4, 0
	s_and_saveexec_b64 s[14:15], s[12:13]
	s_cbranch_execnz .LBB119_98
	s_branch .LBB119_99
.LBB119_345:
	s_mov_b64 s[2:3], -1
                                        ; implicit-def: $vgpr3
	s_mov_b64 s[0:1], 0
.LBB119_346:
	s_and_b64 vcc, exec, s[8:9]
	s_cbranch_vccz .LBB119_462
; %bb.347:
	s_cmp_eq_u32 s12, 44
	s_cbranch_scc0 .LBB119_461
; %bb.348:
	global_load_ubyte v3, v[1:2], off
	s_movk_i32 s2, 0xff
	v_mov_b32_e32 v5, 0x7e00
	s_mov_b64 s[0:1], -1
	s_waitcnt vmcnt(0)
	v_lshlrev_b32_e32 v4, 23, v3
	v_cvt_f16_f32_e32 v4, v4
	v_cmp_ne_u32_e32 vcc, s2, v3
	s_mov_b64 s[2:3], 0
	v_cndmask_b32_e32 v4, v5, v4, vcc
	v_cmp_ne_u32_e32 vcc, 0, v3
	v_cndmask_b32_e32 v3, 0, v4, vcc
	s_branch .LBB119_462
.LBB119_349:
	s_mov_b64 s[12:13], -1
	s_mov_b64 s[10:11], 0
	s_mov_b64 s[0:1], s[54:55]
.LBB119_350:
	s_and_b64 vcc, exec, s[12:13]
	s_cbranch_vccz .LBB119_355
; %bb.351:
	s_cmp_eq_u32 s17, 44
	s_mov_b64 s[0:1], -1
	s_cbranch_scc0 .LBB119_355
; %bb.352:
	s_waitcnt vmcnt(0)
	v_cndmask_b32_e64 v3, 0, 1.0, s[8:9]
	v_lshrrev_b32_e32 v2, 23, v3
	s_movk_i32 s0, 0xff
	v_cmp_ne_u32_e32 vcc, s0, v2
	v_mov_b32_e32 v4, 0xff
	s_and_saveexec_b64 s[10:11], vcc
; %bb.353:
	s_mov_b32 s0, 0x3fffff
	v_and_b32_e32 v4, 0x400000, v3
	v_and_or_b32 v3, v3, s0, v2
	v_cmp_ne_u32_e32 vcc, 0, v4
	v_cmp_ne_u32_e64 s[0:1], 0, v3
	s_and_b64 s[0:1], vcc, s[0:1]
	v_cndmask_b32_e64 v3, 0, 1, s[0:1]
	v_add_u32_e32 v4, v2, v3
; %bb.354:
	s_or_b64 exec, exec, s[10:11]
	s_mov_b64 s[10:11], -1
	s_mov_b64 s[0:1], 0
	global_store_byte v[0:1], v4, off
.LBB119_355:
	s_mov_b64 s[12:13], 0
.LBB119_356:
	s_and_b64 vcc, exec, s[12:13]
	s_cbranch_vccz .LBB119_359
; %bb.357:
	s_cmp_eq_u32 s17, 29
	s_mov_b64 s[0:1], -1
	s_cbranch_scc0 .LBB119_359
; %bb.358:
	s_mov_b32 s0, 0
	v_cndmask_b32_e64 v2, 0, 1, s[8:9]
	s_waitcnt vmcnt(0)
	v_mov_b32_e32 v3, s0
	global_store_dwordx2 v[0:1], v[2:3], off
	s_mov_b64 s[10:11], -1
	s_mov_b64 s[0:1], 0
.LBB119_359:
	s_mov_b64 s[12:13], 0
.LBB119_360:
	s_and_b64 vcc, exec, s[12:13]
	s_cbranch_vccz .LBB119_376
; %bb.361:
	s_cmp_lt_i32 s17, 27
	s_mov_b64 s[10:11], -1
	s_cbranch_scc1 .LBB119_367
; %bb.362:
	s_cmp_gt_i32 s17, 27
	s_cbranch_scc0 .LBB119_364
; %bb.363:
	v_cndmask_b32_e64 v2, 0, 1, s[8:9]
	s_mov_b64 s[10:11], 0
	global_store_dword v[0:1], v2, off
.LBB119_364:
	s_andn2_b64 vcc, exec, s[10:11]
	s_cbranch_vccnz .LBB119_366
; %bb.365:
	v_cndmask_b32_e64 v2, 0, 1, s[8:9]
	global_store_short v[0:1], v2, off
.LBB119_366:
	s_mov_b64 s[10:11], 0
.LBB119_367:
	s_andn2_b64 vcc, exec, s[10:11]
	s_cbranch_vccnz .LBB119_375
; %bb.368:
	s_waitcnt vmcnt(0)
	v_cndmask_b32_e64 v3, 0, 1.0, s[8:9]
	s_mov_b32 s10, 0x43800000
	v_cmp_gt_u32_e32 vcc, s10, v3
	v_mov_b32_e32 v4, 0x80
	s_and_saveexec_b64 s[10:11], vcc
	s_cbranch_execz .LBB119_374
; %bb.369:
	s_mov_b32 s12, 0x3bffffff
	v_cmp_lt_u32_e32 vcc, s12, v3
	s_mov_b64 s[12:13], 0
                                        ; implicit-def: $vgpr2
	s_and_saveexec_b64 s[14:15], vcc
	s_xor_b64 s[14:15], exec, s[14:15]
	s_cbranch_execz .LBB119_602
; %bb.370:
	v_bfe_u32 v2, v3, 20, 1
	s_mov_b32 s18, 0x487ffff
	v_add3_u32 v2, v3, v2, s18
	s_mov_b64 s[12:13], exec
	v_lshrrev_b32_e32 v2, 20, v2
                                        ; implicit-def: $vgpr3
	s_andn2_saveexec_b64 s[14:15], s[14:15]
	s_cbranch_execnz .LBB119_603
.LBB119_371:
	s_or_b64 exec, exec, s[14:15]
	v_mov_b32_e32 v4, 0
	s_and_saveexec_b64 s[14:15], s[12:13]
.LBB119_372:
	v_mov_b32_e32 v4, v2
.LBB119_373:
	s_or_b64 exec, exec, s[14:15]
.LBB119_374:
	s_or_b64 exec, exec, s[10:11]
	global_store_byte v[0:1], v4, off
.LBB119_375:
	s_mov_b64 s[10:11], -1
.LBB119_376:
	s_mov_b64 s[12:13], 0
.LBB119_377:
	s_and_b64 vcc, exec, s[12:13]
	s_cbranch_vccz .LBB119_418
; %bb.378:
	s_cmp_gt_i32 s17, 22
	s_mov_b64 s[12:13], -1
	s_cbranch_scc0 .LBB119_410
; %bb.379:
	s_cmp_lt_i32 s17, 24
	s_mov_b64 s[10:11], -1
	s_cbranch_scc1 .LBB119_399
; %bb.380:
	s_cmp_gt_i32 s17, 24
	s_cbranch_scc0 .LBB119_388
; %bb.381:
	s_waitcnt vmcnt(0)
	v_cndmask_b32_e64 v3, 0, 1.0, s[8:9]
	s_mov_b32 s10, 0x47800000
	v_cmp_gt_u32_e32 vcc, s10, v3
	v_mov_b32_e32 v4, 0x80
	s_and_saveexec_b64 s[10:11], vcc
	s_cbranch_execz .LBB119_387
; %bb.382:
	s_mov_b32 s12, 0x37ffffff
	v_cmp_lt_u32_e32 vcc, s12, v3
	s_mov_b64 s[12:13], 0
                                        ; implicit-def: $vgpr2
	s_and_saveexec_b64 s[14:15], vcc
	s_xor_b64 s[14:15], exec, s[14:15]
	s_cbranch_execz .LBB119_605
; %bb.383:
	v_bfe_u32 v2, v3, 21, 1
	s_mov_b32 s18, 0x88fffff
	v_add3_u32 v2, v3, v2, s18
	s_mov_b64 s[12:13], exec
	v_lshrrev_b32_e32 v2, 21, v2
                                        ; implicit-def: $vgpr3
	s_andn2_saveexec_b64 s[14:15], s[14:15]
	s_cbranch_execnz .LBB119_606
.LBB119_384:
	s_or_b64 exec, exec, s[14:15]
	v_mov_b32_e32 v4, 0
	s_and_saveexec_b64 s[14:15], s[12:13]
.LBB119_385:
	v_mov_b32_e32 v4, v2
.LBB119_386:
	s_or_b64 exec, exec, s[14:15]
.LBB119_387:
	s_or_b64 exec, exec, s[10:11]
	s_mov_b64 s[10:11], 0
	global_store_byte v[0:1], v4, off
.LBB119_388:
	s_and_b64 vcc, exec, s[10:11]
	s_cbranch_vccz .LBB119_398
; %bb.389:
	v_cndmask_b32_e64 v2, 0, 1.0, s[8:9]
	s_mov_b32 s10, 0x43f00000
	v_cmp_gt_u32_e32 vcc, s10, v2
                                        ; implicit-def: $vgpr3
	s_and_saveexec_b64 s[10:11], vcc
	s_xor_b64 s[10:11], exec, s[10:11]
	s_cbranch_execz .LBB119_395
; %bb.390:
	s_mov_b32 s12, 0x3c7fffff
	v_cmp_lt_u32_e32 vcc, s12, v2
                                        ; implicit-def: $vgpr3
	s_and_saveexec_b64 s[12:13], vcc
	s_xor_b64 s[12:13], exec, s[12:13]
	s_cbranch_execz .LBB119_392
; %bb.391:
	s_waitcnt vmcnt(0)
	v_bfe_u32 v3, v2, 20, 1
	s_mov_b32 s14, 0x407ffff
	v_add3_u32 v2, v2, v3, s14
	v_lshrrev_b32_e32 v3, 20, v2
	v_and_b32_e32 v2, 0xff00000, v2
	s_mov_b32 s14, 0x7f00000
	v_mov_b32_e32 v4, 0x7e
	v_cmp_ne_u32_e32 vcc, s14, v2
	v_cndmask_b32_e32 v3, v4, v3, vcc
                                        ; implicit-def: $vgpr2
.LBB119_392:
	s_andn2_saveexec_b64 s[12:13], s[12:13]
	s_cbranch_execz .LBB119_394
; %bb.393:
	s_waitcnt vmcnt(0)
	v_add_f32_e32 v3, 0x46800000, v2
.LBB119_394:
	s_or_b64 exec, exec, s[12:13]
                                        ; implicit-def: $vgpr2
.LBB119_395:
	s_andn2_saveexec_b64 s[10:11], s[10:11]
	s_cbranch_execz .LBB119_397
; %bb.396:
	s_mov_b32 s12, 0x7f800000
	s_waitcnt vmcnt(0)
	v_mov_b32_e32 v3, 0x7e
	v_mov_b32_e32 v4, 0x7f
	v_cmp_lt_u32_e32 vcc, s12, v2
	v_cndmask_b32_e32 v3, v3, v4, vcc
.LBB119_397:
	s_or_b64 exec, exec, s[10:11]
	s_waitcnt vmcnt(0)
	global_store_byte v[0:1], v3, off
.LBB119_398:
	s_mov_b64 s[10:11], 0
.LBB119_399:
	s_andn2_b64 vcc, exec, s[10:11]
	s_cbranch_vccnz .LBB119_409
; %bb.400:
	v_cndmask_b32_e64 v2, 0, 1.0, s[8:9]
	s_mov_b32 s10, 0x47800000
	v_cmp_gt_u32_e32 vcc, s10, v2
                                        ; implicit-def: $vgpr3
	s_and_saveexec_b64 s[10:11], vcc
	s_xor_b64 s[10:11], exec, s[10:11]
	s_cbranch_execz .LBB119_406
; %bb.401:
	s_mov_b32 s12, 0x387fffff
	v_cmp_lt_u32_e32 vcc, s12, v2
                                        ; implicit-def: $vgpr3
	s_and_saveexec_b64 s[12:13], vcc
	s_xor_b64 s[12:13], exec, s[12:13]
	s_cbranch_execz .LBB119_403
; %bb.402:
	s_waitcnt vmcnt(0)
	v_bfe_u32 v3, v2, 21, 1
	s_mov_b32 s14, 0x80fffff
	v_add3_u32 v2, v2, v3, s14
	v_lshrrev_b32_e32 v3, 21, v2
                                        ; implicit-def: $vgpr2
.LBB119_403:
	s_andn2_saveexec_b64 s[12:13], s[12:13]
	s_cbranch_execz .LBB119_405
; %bb.404:
	s_waitcnt vmcnt(0)
	v_add_f32_e32 v3, 0x43000000, v2
.LBB119_405:
	s_or_b64 exec, exec, s[12:13]
                                        ; implicit-def: $vgpr2
.LBB119_406:
	s_andn2_saveexec_b64 s[10:11], s[10:11]
	s_cbranch_execz .LBB119_408
; %bb.407:
	s_mov_b32 s12, 0x7f800000
	s_waitcnt vmcnt(0)
	v_mov_b32_e32 v3, 0x7c
	v_mov_b32_e32 v4, 0x7f
	v_cmp_lt_u32_e32 vcc, s12, v2
	v_cndmask_b32_e32 v3, v3, v4, vcc
.LBB119_408:
	s_or_b64 exec, exec, s[10:11]
	s_waitcnt vmcnt(0)
	global_store_byte v[0:1], v3, off
.LBB119_409:
	s_mov_b64 s[12:13], 0
	s_mov_b64 s[10:11], -1
.LBB119_410:
	s_andn2_b64 vcc, exec, s[12:13]
	s_cbranch_vccnz .LBB119_418
; %bb.411:
	s_cmp_gt_i32 s17, 14
	s_mov_b64 s[12:13], -1
	s_cbranch_scc0 .LBB119_415
; %bb.412:
	s_cmp_eq_u32 s17, 15
	s_mov_b64 s[0:1], -1
	s_cbranch_scc0 .LBB119_414
; %bb.413:
	v_cndmask_b32_e64 v2, 0, 1.0, s[8:9]
	s_waitcnt vmcnt(0)
	v_bfe_u32 v3, v2, 16, 1
	s_movk_i32 s0, 0x7fff
	v_add3_u32 v2, v2, v3, s0
	global_store_short_d16_hi v[0:1], v2, off
	s_mov_b64 s[10:11], -1
	s_mov_b64 s[0:1], 0
.LBB119_414:
	s_mov_b64 s[12:13], 0
.LBB119_415:
	s_and_b64 vcc, exec, s[12:13]
	s_cbranch_vccz .LBB119_418
; %bb.416:
	s_cmp_eq_u32 s17, 11
	s_mov_b64 s[0:1], -1
	s_cbranch_scc0 .LBB119_418
; %bb.417:
	v_cndmask_b32_e64 v2, 0, 1, s[8:9]
	s_mov_b64 s[10:11], -1
	s_mov_b64 s[0:1], 0
	global_store_byte v[0:1], v2, off
.LBB119_418:
	s_mov_b64 s[12:13], 0
.LBB119_419:
	s_and_b64 vcc, exec, s[12:13]
	s_cbranch_vccz .LBB119_458
; %bb.420:
	s_and_b32 s12, 0xffff, s16
	s_cmp_lt_i32 s12, 5
	s_mov_b64 s[10:11], -1
	s_cbranch_scc1 .LBB119_441
; %bb.421:
	s_cmp_lt_i32 s12, 8
	s_cbranch_scc1 .LBB119_431
; %bb.422:
	s_cmp_lt_i32 s12, 9
	s_cbranch_scc1 .LBB119_428
; %bb.423:
	s_cmp_gt_i32 s12, 9
	s_cbranch_scc0 .LBB119_425
; %bb.424:
	v_cndmask_b32_e64 v2, 0, 1, s[8:9]
	s_waitcnt vmcnt(0)
	v_cvt_f64_u32_e32 v[2:3], v2
	v_mov_b32_e32 v4, 0
	v_mov_b32_e32 v5, v4
	s_mov_b64 s[10:11], 0
	global_store_dwordx4 v[0:1], v[2:5], off
.LBB119_425:
	s_andn2_b64 vcc, exec, s[10:11]
	s_cbranch_vccnz .LBB119_427
; %bb.426:
	v_cndmask_b32_e64 v2, 0, 1.0, s[8:9]
	s_waitcnt vmcnt(0)
	v_mov_b32_e32 v3, 0
	global_store_dwordx2 v[0:1], v[2:3], off
.LBB119_427:
	s_mov_b64 s[10:11], 0
.LBB119_428:
	s_andn2_b64 vcc, exec, s[10:11]
	s_cbranch_vccnz .LBB119_430
; %bb.429:
	v_cndmask_b32_e64 v2, 0, 1.0, s[8:9]
	v_cvt_f16_f32_e32 v2, v2
	global_store_dword v[0:1], v2, off
.LBB119_430:
	s_mov_b64 s[10:11], 0
.LBB119_431:
	s_andn2_b64 vcc, exec, s[10:11]
	s_cbranch_vccnz .LBB119_440
; %bb.432:
	s_cmp_lt_i32 s12, 6
	s_mov_b64 s[10:11], -1
	s_cbranch_scc1 .LBB119_438
; %bb.433:
	s_cmp_gt_i32 s12, 6
	s_cbranch_scc0 .LBB119_435
; %bb.434:
	v_cndmask_b32_e64 v2, 0, 1, s[8:9]
	s_waitcnt vmcnt(0)
	v_cvt_f64_u32_e32 v[2:3], v2
	s_mov_b64 s[10:11], 0
	global_store_dwordx2 v[0:1], v[2:3], off
.LBB119_435:
	s_andn2_b64 vcc, exec, s[10:11]
	s_cbranch_vccnz .LBB119_437
; %bb.436:
	v_cndmask_b32_e64 v2, 0, 1.0, s[8:9]
	global_store_dword v[0:1], v2, off
.LBB119_437:
	s_mov_b64 s[10:11], 0
.LBB119_438:
	s_andn2_b64 vcc, exec, s[10:11]
	s_cbranch_vccnz .LBB119_440
; %bb.439:
	v_cndmask_b32_e64 v2, 0, 1.0, s[8:9]
	v_cvt_f16_f32_e32 v2, v2
	global_store_short v[0:1], v2, off
.LBB119_440:
	s_mov_b64 s[10:11], 0
.LBB119_441:
	s_andn2_b64 vcc, exec, s[10:11]
	s_cbranch_vccnz .LBB119_457
; %bb.442:
	s_cmp_lt_i32 s12, 2
	s_mov_b64 s[10:11], -1
	s_cbranch_scc1 .LBB119_452
; %bb.443:
	s_cmp_lt_i32 s12, 3
	s_cbranch_scc1 .LBB119_449
; %bb.444:
	s_cmp_gt_i32 s12, 3
	s_cbranch_scc0 .LBB119_446
; %bb.445:
	s_mov_b32 s10, 0
	v_cndmask_b32_e64 v2, 0, 1, s[8:9]
	s_waitcnt vmcnt(0)
	v_mov_b32_e32 v3, s10
	s_mov_b64 s[10:11], 0
	global_store_dwordx2 v[0:1], v[2:3], off
.LBB119_446:
	s_andn2_b64 vcc, exec, s[10:11]
	s_cbranch_vccnz .LBB119_448
; %bb.447:
	v_cndmask_b32_e64 v2, 0, 1, s[8:9]
	global_store_dword v[0:1], v2, off
.LBB119_448:
	s_mov_b64 s[10:11], 0
.LBB119_449:
	s_andn2_b64 vcc, exec, s[10:11]
	s_cbranch_vccnz .LBB119_451
; %bb.450:
	v_cndmask_b32_e64 v2, 0, 1, s[8:9]
	global_store_short v[0:1], v2, off
.LBB119_451:
	s_mov_b64 s[10:11], 0
.LBB119_452:
	s_andn2_b64 vcc, exec, s[10:11]
	s_cbranch_vccnz .LBB119_457
; %bb.453:
	s_mov_b64 s[10:11], -1
	s_cmp_gt_i32 s12, 0
	v_cndmask_b32_e64 v2, 0, 1, s[8:9]
	s_cbranch_scc0 .LBB119_455
; %bb.454:
	s_mov_b64 s[10:11], 0
	global_store_byte v[0:1], v2, off
.LBB119_455:
	s_andn2_b64 vcc, exec, s[10:11]
	s_cbranch_vccnz .LBB119_457
; %bb.456:
	global_store_byte v[0:1], v2, off
.LBB119_457:
	s_mov_b64 s[10:11], -1
.LBB119_458:
	s_andn2_b64 vcc, exec, s[10:11]
	s_cbranch_vccnz .LBB119_460
; %bb.459:
	v_add_u32_e32 v8, 0x80, v8
	s_mov_b64 s[8:9], -1
	s_branch .LBB119_573
.LBB119_460:
	s_mov_b64 s[8:9], 0
	s_branch .LBB119_572
.LBB119_461:
	s_mov_b64 s[2:3], -1
                                        ; implicit-def: $vgpr3
.LBB119_462:
	s_mov_b64 s[8:9], 0
.LBB119_463:
	s_and_b64 vcc, exec, s[8:9]
	s_cbranch_vccz .LBB119_467
; %bb.464:
	s_cmp_eq_u32 s12, 29
	s_cbranch_scc0 .LBB119_466
; %bb.465:
	global_load_dwordx2 v[3:4], v[1:2], off
	s_mov_b64 s[0:1], -1
	s_mov_b64 s[2:3], 0
	s_mov_b64 s[8:9], 0
	s_waitcnt vmcnt(0)
	v_ffbh_u32_e32 v5, v4
	v_min_u32_e32 v5, 32, v5
	v_lshlrev_b64 v[3:4], v5, v[3:4]
	v_min_u32_e32 v3, 1, v3
	v_or_b32_e32 v3, v4, v3
	v_cvt_f32_u32_e32 v3, v3
	v_sub_u32_e32 v4, 32, v5
	v_ldexp_f32 v3, v3, v4
	v_cvt_f16_f32_e32 v3, v3
	s_branch .LBB119_468
.LBB119_466:
	s_mov_b64 s[2:3], -1
                                        ; implicit-def: $vgpr3
.LBB119_467:
	s_mov_b64 s[8:9], 0
.LBB119_468:
	s_and_b64 vcc, exec, s[8:9]
	s_cbranch_vccz .LBB119_486
; %bb.469:
	s_cmp_lt_i32 s12, 27
	s_cbranch_scc1 .LBB119_472
; %bb.470:
	s_cmp_gt_i32 s12, 27
	s_cbranch_scc0 .LBB119_473
; %bb.471:
	global_load_dword v3, v[1:2], off
	s_mov_b64 s[0:1], 0
	s_waitcnt vmcnt(0)
	v_cvt_f32_u32_e32 v3, v3
	v_cvt_f16_f32_e32 v3, v3
	s_branch .LBB119_474
.LBB119_472:
	s_mov_b64 s[0:1], -1
                                        ; implicit-def: $vgpr3
	s_branch .LBB119_477
.LBB119_473:
	s_mov_b64 s[0:1], -1
                                        ; implicit-def: $vgpr3
.LBB119_474:
	s_andn2_b64 vcc, exec, s[0:1]
	s_cbranch_vccnz .LBB119_476
; %bb.475:
	global_load_ushort v3, v[1:2], off
	s_waitcnt vmcnt(0)
	v_cvt_f16_u16_e32 v3, v3
.LBB119_476:
	s_mov_b64 s[0:1], 0
.LBB119_477:
	s_andn2_b64 vcc, exec, s[0:1]
	s_cbranch_vccnz .LBB119_485
; %bb.478:
	global_load_ubyte v4, v[1:2], off
	s_movk_i32 s0, 0x7f
	s_waitcnt vmcnt(0)
	v_cmp_lt_i16_e32 vcc, s0, v4
	s_mov_b64 s[0:1], 0
	s_and_saveexec_b64 s[8:9], vcc
	s_xor_b64 s[8:9], exec, s[8:9]
	s_cbranch_execz .LBB119_499
; %bb.479:
	s_movk_i32 s0, 0x80
	v_cmp_eq_u16_e32 vcc, s0, v4
	s_mov_b64 s[0:1], -1
	s_and_saveexec_b64 s[10:11], vcc
; %bb.480:
	s_xor_b64 s[0:1], exec, -1
; %bb.481:
	s_or_b64 exec, exec, s[10:11]
	s_and_b64 s[0:1], s[0:1], exec
	s_or_saveexec_b64 s[8:9], s[8:9]
	v_mov_b32_e32 v3, 0x7e00
	s_xor_b64 exec, exec, s[8:9]
	s_cbranch_execnz .LBB119_500
.LBB119_482:
	s_or_b64 exec, exec, s[8:9]
	s_and_saveexec_b64 s[8:9], s[0:1]
	s_cbranch_execz .LBB119_484
.LBB119_483:
	v_lshlrev_b32_e32 v3, 24, v4
	v_and_b32_e32 v4, 0xffff, v4
	v_and_b32_e32 v5, 7, v4
	v_ffbh_u32_e32 v7, v5
	v_min_u32_e32 v7, 32, v7
	v_subrev_u32_e32 v9, 28, v7
	v_bfe_u32 v6, v4, 3, 4
	v_lshlrev_b32_e32 v4, v9, v4
	v_sub_u32_e32 v7, 29, v7
	v_and_b32_e32 v4, 7, v4
	v_cmp_eq_u32_e32 vcc, 0, v6
	v_cndmask_b32_e32 v6, v6, v7, vcc
	v_cndmask_b32_e32 v4, v5, v4, vcc
	v_mov_b32_e32 v5, 0x3b800000
	v_lshlrev_b32_e32 v4, 20, v4
	v_and_b32_e32 v3, 0x80000000, v3
	v_lshl_add_u32 v5, v6, 23, v5
	v_or3_b32 v3, v3, v5, v4
	v_cvt_f16_f32_e32 v3, v3
.LBB119_484:
	s_or_b64 exec, exec, s[8:9]
.LBB119_485:
	s_mov_b64 s[0:1], -1
.LBB119_486:
	s_mov_b64 s[8:9], 0
.LBB119_487:
	s_and_b64 vcc, exec, s[8:9]
	s_cbranch_vccz .LBB119_522
; %bb.488:
	s_cmp_gt_i32 s12, 22
	s_cbranch_scc0 .LBB119_498
; %bb.489:
	s_cmp_lt_i32 s12, 24
	s_cbranch_scc1 .LBB119_501
; %bb.490:
	s_cmp_gt_i32 s12, 24
	s_cbranch_scc0 .LBB119_502
; %bb.491:
	global_load_ubyte v4, v[1:2], off
	s_movk_i32 s0, 0x7f
	s_waitcnt vmcnt(0)
	v_cmp_lt_i16_e32 vcc, s0, v4
	s_mov_b64 s[0:1], 0
	s_and_saveexec_b64 s[8:9], vcc
	s_xor_b64 s[8:9], exec, s[8:9]
	s_cbranch_execz .LBB119_514
; %bb.492:
	s_movk_i32 s0, 0x80
	v_cmp_eq_u16_e32 vcc, s0, v4
	s_mov_b64 s[0:1], -1
	s_and_saveexec_b64 s[10:11], vcc
; %bb.493:
	s_xor_b64 s[0:1], exec, -1
; %bb.494:
	s_or_b64 exec, exec, s[10:11]
	s_and_b64 s[0:1], s[0:1], exec
	s_or_saveexec_b64 s[8:9], s[8:9]
	v_mov_b32_e32 v3, 0x7e00
	s_xor_b64 exec, exec, s[8:9]
	s_cbranch_execnz .LBB119_515
.LBB119_495:
	s_or_b64 exec, exec, s[8:9]
	s_and_saveexec_b64 s[8:9], s[0:1]
	s_cbranch_execz .LBB119_497
.LBB119_496:
	v_lshlrev_b32_e32 v3, 24, v4
	v_and_b32_e32 v4, 0xffff, v4
	v_and_b32_e32 v5, 3, v4
	v_ffbh_u32_e32 v7, v5
	v_min_u32_e32 v7, 32, v7
	v_subrev_u32_e32 v9, 29, v7
	v_bfe_u32 v6, v4, 2, 5
	v_lshlrev_b32_e32 v4, v9, v4
	v_sub_u32_e32 v7, 30, v7
	v_and_b32_e32 v4, 3, v4
	v_cmp_eq_u32_e32 vcc, 0, v6
	v_cndmask_b32_e32 v6, v6, v7, vcc
	v_cndmask_b32_e32 v4, v5, v4, vcc
	v_mov_b32_e32 v5, 0x37800000
	v_lshlrev_b32_e32 v4, 21, v4
	v_and_b32_e32 v3, 0x80000000, v3
	v_lshl_add_u32 v5, v6, 23, v5
	v_or3_b32 v3, v3, v5, v4
	v_cvt_f16_f32_e32 v3, v3
.LBB119_497:
	s_or_b64 exec, exec, s[8:9]
	s_mov_b64 s[0:1], 0
	s_branch .LBB119_503
.LBB119_498:
	s_mov_b64 s[8:9], -1
                                        ; implicit-def: $vgpr3
	s_branch .LBB119_509
.LBB119_499:
	s_or_saveexec_b64 s[8:9], s[8:9]
	v_mov_b32_e32 v3, 0x7e00
	s_xor_b64 exec, exec, s[8:9]
	s_cbranch_execz .LBB119_482
.LBB119_500:
	v_cmp_ne_u16_e32 vcc, 0, v4
	s_andn2_b64 s[0:1], s[0:1], exec
	s_and_b64 s[10:11], vcc, exec
	s_or_b64 s[0:1], s[0:1], s[10:11]
	v_mov_b32_e32 v3, v4
	s_or_b64 exec, exec, s[8:9]
	s_and_saveexec_b64 s[8:9], s[0:1]
	s_cbranch_execnz .LBB119_483
	s_branch .LBB119_484
.LBB119_501:
	s_mov_b64 s[0:1], -1
                                        ; implicit-def: $vgpr3
	s_branch .LBB119_506
.LBB119_502:
	s_mov_b64 s[0:1], -1
                                        ; implicit-def: $vgpr3
.LBB119_503:
	s_and_b64 vcc, exec, s[0:1]
	s_cbranch_vccz .LBB119_505
; %bb.504:
	global_load_ubyte v3, v[1:2], off
	s_mov_b32 s0, 0x7f800000
	s_waitcnt vmcnt(0)
	v_lshlrev_b32_e32 v3, 24, v3
	v_and_b32_e32 v4, 0x7f000000, v3
	v_ffbh_u32_e32 v5, v4
	v_min_u32_e32 v5, 32, v5
	v_sub_u32_e64 v5, v5, 4 clamp
	v_lshlrev_b32_e32 v7, v5, v4
	v_lshlrev_b32_e32 v5, 23, v5
	v_lshrrev_b32_e32 v7, 4, v7
	v_add_u32_e32 v6, 0x1000000, v4
	v_sub_u32_e32 v5, v7, v5
	v_ashrrev_i32_e32 v6, 8, v6
	v_add_u32_e32 v5, 0x3c000000, v5
	v_and_or_b32 v5, v6, s0, v5
	v_cmp_ne_u32_e32 vcc, 0, v4
	v_cndmask_b32_e32 v4, 0, v5, vcc
	s_brev_b32 s0, 1
	v_and_or_b32 v3, v3, s0, v4
	v_cvt_f16_f32_e32 v3, v3
.LBB119_505:
	s_mov_b64 s[0:1], 0
.LBB119_506:
	s_andn2_b64 vcc, exec, s[0:1]
	s_cbranch_vccnz .LBB119_508
; %bb.507:
	global_load_ubyte v3, v[1:2], off
	s_movk_i32 s0, 0x7f00
	s_brev_b32 s1, 16
	s_waitcnt vmcnt(0)
	v_lshlrev_b16_e32 v4, 8, v3
	v_lshlrev_b32_e32 v3, 25, v3
	v_lshrrev_b32_e32 v5, 4, v3
	v_and_or_b32 v6, v4, s0, 0.5
	v_or_b32_e32 v5, 0x70000000, v5
	v_add_f32_e32 v6, -0.5, v6
	v_mul_f32_e32 v5, 0x7800000, v5
	v_cmp_gt_u32_e32 vcc, s1, v3
	v_bfe_i32 v4, v4, 0, 16
	v_cndmask_b32_e32 v3, v5, v6, vcc
	s_brev_b32 s0, 1
	v_and_or_b32 v3, v4, s0, v3
	v_cvt_f16_f32_e32 v3, v3
.LBB119_508:
	s_mov_b64 s[8:9], 0
	s_mov_b64 s[0:1], -1
.LBB119_509:
	s_andn2_b64 vcc, exec, s[8:9]
	s_cbranch_vccnz .LBB119_522
; %bb.510:
	s_cmp_gt_i32 s12, 14
	s_cbranch_scc0 .LBB119_513
; %bb.511:
	s_cmp_eq_u32 s12, 15
	s_cbranch_scc0 .LBB119_516
; %bb.512:
	global_load_ushort v3, v[1:2], off
	s_mov_b64 s[0:1], -1
	s_mov_b64 s[2:3], 0
	s_waitcnt vmcnt(0)
	v_lshlrev_b32_e32 v3, 16, v3
	v_cvt_f16_f32_e32 v3, v3
	s_branch .LBB119_517
.LBB119_513:
	s_mov_b64 s[8:9], -1
                                        ; implicit-def: $vgpr3
	s_branch .LBB119_518
.LBB119_514:
	s_or_saveexec_b64 s[8:9], s[8:9]
	v_mov_b32_e32 v3, 0x7e00
	s_xor_b64 exec, exec, s[8:9]
	s_cbranch_execz .LBB119_495
.LBB119_515:
	v_cmp_ne_u16_e32 vcc, 0, v4
	s_andn2_b64 s[0:1], s[0:1], exec
	s_and_b64 s[10:11], vcc, exec
	s_or_b64 s[0:1], s[0:1], s[10:11]
	v_mov_b32_e32 v3, v4
	s_or_b64 exec, exec, s[8:9]
	s_and_saveexec_b64 s[8:9], s[0:1]
	s_cbranch_execnz .LBB119_496
	s_branch .LBB119_497
.LBB119_516:
	s_mov_b64 s[2:3], -1
                                        ; implicit-def: $vgpr3
.LBB119_517:
	s_mov_b64 s[8:9], 0
.LBB119_518:
	s_and_b64 vcc, exec, s[8:9]
	s_cbranch_vccz .LBB119_522
; %bb.519:
	s_cmp_eq_u32 s12, 11
	s_cbranch_scc0 .LBB119_521
; %bb.520:
	global_load_ubyte v3, v[1:2], off
	v_mov_b32_e32 v4, 0x3c00
	s_mov_b64 s[0:1], -1
	s_mov_b64 s[2:3], 0
	s_waitcnt vmcnt(0)
	v_cmp_ne_u16_e32 vcc, 0, v3
	v_cndmask_b32_e32 v3, 0, v4, vcc
	s_branch .LBB119_522
.LBB119_521:
	s_mov_b64 s[2:3], -1
                                        ; implicit-def: $vgpr3
.LBB119_522:
	s_branch .LBB119_309
.LBB119_523:
	s_cmp_lt_i32 s12, 5
	s_cbranch_scc1 .LBB119_528
; %bb.524:
	s_cmp_lt_i32 s12, 8
	s_cbranch_scc1 .LBB119_529
; %bb.525:
	s_cmp_lt_i32 s12, 9
	s_cbranch_scc1 .LBB119_530
; %bb.526:
	s_cmp_gt_i32 s12, 9
	s_cbranch_scc0 .LBB119_531
; %bb.527:
	global_load_dwordx2 v[3:4], v[1:2], off
	s_movk_i32 s0, 0x1ff
	s_movk_i32 s1, 0xffe
	v_mov_b32_e32 v5, 0x7c00
	v_mov_b32_e32 v6, 0x7e00
	s_movk_i32 s8, 0x40f
	s_mov_b32 s9, 0x8000
	s_waitcnt vmcnt(0)
	v_and_or_b32 v3, v4, s0, v3
	v_cmp_ne_u32_e32 vcc, 0, v3
	v_lshrrev_b32_e32 v7, 8, v4
	v_bfe_u32 v9, v4, 20, 11
	v_cndmask_b32_e64 v3, 0, 1, vcc
	v_sub_u32_e32 v10, 0x3f1, v9
	v_and_or_b32 v3, v7, s1, v3
	v_add_u32_e32 v9, 0xfffffc10, v9
	v_med3_i32 v7, v10, 0, 13
	v_or_b32_e32 v10, 0x1000, v3
	v_cmp_ne_u32_e32 vcc, 0, v3
	v_lshl_or_b32 v11, v9, 12, v3
	v_cndmask_b32_e32 v3, v5, v6, vcc
	v_lshrrev_b32_e32 v6, v7, v10
	v_lshlrev_b32_e32 v7, v7, v6
	v_cmp_ne_u32_e32 vcc, v7, v10
	v_cndmask_b32_e64 v7, 0, 1, vcc
	v_or_b32_e32 v6, v6, v7
	v_cmp_gt_i32_e32 vcc, 1, v9
	v_cndmask_b32_e32 v6, v11, v6, vcc
	v_and_b32_e32 v7, 7, v6
	v_cmp_lt_i32_e32 vcc, 5, v7
	v_cndmask_b32_e64 v10, 0, 1, vcc
	v_cmp_eq_u32_e32 vcc, 3, v7
	v_cndmask_b32_e64 v7, 0, 1, vcc
	v_lshrrev_b32_e32 v6, 2, v6
	v_or_b32_e32 v7, v7, v10
	v_add_u32_e32 v6, v6, v7
	v_cmp_gt_i32_e32 vcc, 31, v9
	v_cndmask_b32_e32 v5, v5, v6, vcc
	v_cmp_eq_u32_e32 vcc, s8, v9
	v_lshrrev_b32_e32 v4, 16, v4
	v_cndmask_b32_e32 v3, v5, v3, vcc
	v_and_or_b32 v3, v4, s9, v3
	s_mov_b64 s[0:1], 0
	s_branch .LBB119_532
.LBB119_528:
	s_mov_b64 s[0:1], -1
                                        ; implicit-def: $vgpr3
	s_branch .LBB119_550
.LBB119_529:
	s_mov_b64 s[0:1], -1
                                        ; implicit-def: $vgpr3
	s_branch .LBB119_538
.LBB119_530:
	s_mov_b64 s[0:1], -1
                                        ; implicit-def: $vgpr3
	s_branch .LBB119_535
.LBB119_531:
	s_mov_b64 s[0:1], -1
                                        ; implicit-def: $vgpr3
.LBB119_532:
	s_andn2_b64 vcc, exec, s[0:1]
	s_cbranch_vccnz .LBB119_534
; %bb.533:
	global_load_dword v3, v[1:2], off
	s_waitcnt vmcnt(0)
	v_cvt_f16_f32_e32 v3, v3
.LBB119_534:
	s_mov_b64 s[0:1], 0
.LBB119_535:
	s_andn2_b64 vcc, exec, s[0:1]
	s_cbranch_vccnz .LBB119_537
; %bb.536:
	global_load_dword v3, v[1:2], off
.LBB119_537:
	s_mov_b64 s[0:1], 0
.LBB119_538:
	s_andn2_b64 vcc, exec, s[0:1]
	s_cbranch_vccnz .LBB119_549
; %bb.539:
	s_cmp_lt_i32 s12, 6
	s_cbranch_scc1 .LBB119_542
; %bb.540:
	s_cmp_gt_i32 s12, 6
	s_cbranch_scc0 .LBB119_543
; %bb.541:
	global_load_dwordx2 v[3:4], v[1:2], off
	s_movk_i32 s0, 0x1ff
	s_movk_i32 s1, 0xffe
	v_mov_b32_e32 v5, 0x7c00
	v_mov_b32_e32 v6, 0x7e00
	s_movk_i32 s8, 0x40f
	s_mov_b32 s9, 0x8000
	s_waitcnt vmcnt(0)
	v_and_or_b32 v3, v4, s0, v3
	v_cmp_ne_u32_e32 vcc, 0, v3
	v_lshrrev_b32_e32 v7, 8, v4
	v_bfe_u32 v9, v4, 20, 11
	v_cndmask_b32_e64 v3, 0, 1, vcc
	v_sub_u32_e32 v10, 0x3f1, v9
	v_and_or_b32 v3, v7, s1, v3
	v_add_u32_e32 v9, 0xfffffc10, v9
	v_med3_i32 v7, v10, 0, 13
	v_or_b32_e32 v10, 0x1000, v3
	v_cmp_ne_u32_e32 vcc, 0, v3
	v_lshl_or_b32 v11, v9, 12, v3
	v_cndmask_b32_e32 v3, v5, v6, vcc
	v_lshrrev_b32_e32 v6, v7, v10
	v_lshlrev_b32_e32 v7, v7, v6
	v_cmp_ne_u32_e32 vcc, v7, v10
	v_cndmask_b32_e64 v7, 0, 1, vcc
	v_or_b32_e32 v6, v6, v7
	v_cmp_gt_i32_e32 vcc, 1, v9
	v_cndmask_b32_e32 v6, v11, v6, vcc
	v_and_b32_e32 v7, 7, v6
	v_cmp_lt_i32_e32 vcc, 5, v7
	v_cndmask_b32_e64 v10, 0, 1, vcc
	v_cmp_eq_u32_e32 vcc, 3, v7
	v_cndmask_b32_e64 v7, 0, 1, vcc
	v_lshrrev_b32_e32 v6, 2, v6
	v_or_b32_e32 v7, v7, v10
	v_add_u32_e32 v6, v6, v7
	v_cmp_gt_i32_e32 vcc, 31, v9
	v_cndmask_b32_e32 v5, v5, v6, vcc
	v_cmp_eq_u32_e32 vcc, s8, v9
	v_lshrrev_b32_e32 v4, 16, v4
	v_cndmask_b32_e32 v3, v5, v3, vcc
	v_and_or_b32 v3, v4, s9, v3
	s_mov_b64 s[0:1], 0
	s_branch .LBB119_544
.LBB119_542:
	s_mov_b64 s[0:1], -1
                                        ; implicit-def: $vgpr3
	s_branch .LBB119_547
.LBB119_543:
	s_mov_b64 s[0:1], -1
                                        ; implicit-def: $vgpr3
.LBB119_544:
	s_andn2_b64 vcc, exec, s[0:1]
	s_cbranch_vccnz .LBB119_546
; %bb.545:
	global_load_dword v3, v[1:2], off
	s_waitcnt vmcnt(0)
	v_cvt_f16_f32_e32 v3, v3
.LBB119_546:
	s_mov_b64 s[0:1], 0
.LBB119_547:
	s_andn2_b64 vcc, exec, s[0:1]
	s_cbranch_vccnz .LBB119_549
; %bb.548:
	global_load_ushort v3, v[1:2], off
.LBB119_549:
	s_mov_b64 s[0:1], 0
.LBB119_550:
	s_andn2_b64 vcc, exec, s[0:1]
	s_cbranch_vccnz .LBB119_570
; %bb.551:
	s_cmp_lt_i32 s12, 2
	s_cbranch_scc1 .LBB119_555
; %bb.552:
	s_cmp_lt_i32 s12, 3
	s_cbranch_scc1 .LBB119_556
; %bb.553:
	s_cmp_gt_i32 s12, 3
	s_cbranch_scc0 .LBB119_557
; %bb.554:
	global_load_dwordx2 v[3:4], v[1:2], off
	s_mov_b64 s[0:1], 0
	s_waitcnt vmcnt(0)
	v_xor_b32_e32 v6, v3, v4
	v_ffbh_i32_e32 v5, v4
	v_ashrrev_i32_e32 v6, 31, v6
	v_add_u32_e32 v5, -1, v5
	v_add_u32_e32 v6, 32, v6
	v_min_u32_e32 v5, v5, v6
	v_lshlrev_b64 v[3:4], v5, v[3:4]
	v_min_u32_e32 v3, 1, v3
	v_or_b32_e32 v3, v4, v3
	v_cvt_f32_i32_e32 v3, v3
	v_sub_u32_e32 v4, 32, v5
	v_ldexp_f32 v3, v3, v4
	v_cvt_f16_f32_e32 v3, v3
	s_branch .LBB119_558
.LBB119_555:
	s_mov_b64 s[0:1], -1
                                        ; implicit-def: $vgpr3
	s_branch .LBB119_564
.LBB119_556:
	s_mov_b64 s[0:1], -1
                                        ; implicit-def: $vgpr3
	s_branch .LBB119_561
.LBB119_557:
	s_mov_b64 s[0:1], -1
                                        ; implicit-def: $vgpr3
.LBB119_558:
	s_andn2_b64 vcc, exec, s[0:1]
	s_cbranch_vccnz .LBB119_560
; %bb.559:
	global_load_dword v3, v[1:2], off
	s_waitcnt vmcnt(0)
	v_cvt_f32_i32_e32 v3, v3
	v_cvt_f16_f32_e32 v3, v3
.LBB119_560:
	s_mov_b64 s[0:1], 0
.LBB119_561:
	s_andn2_b64 vcc, exec, s[0:1]
	s_cbranch_vccnz .LBB119_563
; %bb.562:
	global_load_ushort v3, v[1:2], off
	s_waitcnt vmcnt(0)
	v_cvt_f16_i16_e32 v3, v3
.LBB119_563:
	s_mov_b64 s[0:1], 0
.LBB119_564:
	s_andn2_b64 vcc, exec, s[0:1]
	s_cbranch_vccnz .LBB119_570
; %bb.565:
	s_cmp_gt_i32 s12, 0
	s_cbranch_scc0 .LBB119_567
; %bb.566:
	global_load_sbyte v3, v[1:2], off
	s_mov_b64 s[0:1], 0
	s_waitcnt vmcnt(0)
	v_cvt_f16_i16_e32 v3, v3
	s_branch .LBB119_568
.LBB119_567:
	s_mov_b64 s[0:1], -1
                                        ; implicit-def: $vgpr3
.LBB119_568:
	s_andn2_b64 vcc, exec, s[0:1]
	s_cbranch_vccnz .LBB119_570
; %bb.569:
	global_load_ubyte v1, v[1:2], off
	s_waitcnt vmcnt(0)
	v_cvt_f16_u16_e32 v3, v1
.LBB119_570:
	s_branch .LBB119_310
.LBB119_571:
	s_mov_b64 s[8:9], 0
	s_mov_b64 s[0:1], s[54:55]
.LBB119_572:
                                        ; implicit-def: $vgpr8
.LBB119_573:
	s_andn2_b64 s[10:11], s[54:55], exec
	s_and_b64 s[0:1], s[0:1], exec
	s_or_b64 s[62:63], s[10:11], s[0:1]
	s_andn2_b64 s[0:1], s[56:57], exec
	s_and_b64 s[2:3], s[2:3], exec
	s_or_b64 s[60:61], s[0:1], s[2:3]
	s_orn2_b64 s[0:1], s[8:9], exec
.LBB119_574:
	s_or_b64 exec, exec, s[64:65]
	s_mov_b64 s[2:3], 0
	s_mov_b64 s[8:9], 0
	s_mov_b64 s[10:11], 0
                                        ; implicit-def: $vgpr1_vgpr2
                                        ; implicit-def: $vgpr0
                                        ; implicit-def: $vgpr3
	s_and_saveexec_b64 s[64:65], s[0:1]
	s_cbranch_execz .LBB119_966
; %bb.575:
	v_cmp_gt_i32_e32 vcc, s72, v8
	s_mov_b64 s[2:3], -1
	s_mov_b64 s[68:69], s[60:61]
	s_mov_b64 s[70:71], s[62:63]
	s_and_saveexec_b64 s[66:67], vcc
	s_cbranch_execz .LBB119_866
; %bb.576:
	s_andn2_b64 vcc, exec, s[40:41]
	s_cbranch_vccnz .LBB119_581
; %bb.577:
	s_andn2_b64 vcc, exec, s[52:53]
	s_cbranch_vccnz .LBB119_582
; %bb.578:
	s_add_i32 s78, s77, 1
	s_cmp_eq_u32 s74, 2
	s_cbranch_scc1 .LBB119_583
; %bb.579:
	s_and_b32 s73, s78, 28
	v_mov_b32_e32 v2, 0
	s_mov_b32 s79, 0
	s_mov_b64 s[68:69], s[34:35]
	s_mov_b64 s[70:71], s[50:51]
	v_mov_b32_e32 v0, 0
	v_mov_b32_e32 v1, v8
.LBB119_580:                            ; =>This Inner Loop Header: Depth=1
	s_load_dwordx8 s[16:23], s[68:69], 0x4
	s_load_dwordx4 s[0:3], s[68:69], 0x24
	s_load_dwordx8 s[8:15], s[70:71], 0x0
	s_add_u32 s68, s68, 48
	s_addc_u32 s69, s69, 0
	s_waitcnt vmcnt(0) lgkmcnt(0)
	v_mul_hi_u32 v3, s17, v1
	s_add_i32 s79, s79, 4
	s_add_u32 s70, s70, 32
	s_addc_u32 s71, s71, 0
	v_add_u32_e32 v3, v1, v3
	v_lshrrev_b32_e32 v3, s18, v3
	v_mul_lo_u32 v4, v3, s16
	v_mul_hi_u32 v5, s20, v3
	s_cmp_eq_u32 s73, s79
	v_sub_u32_e32 v1, v1, v4
	v_add_u32_e32 v4, v3, v5
	v_mul_lo_u32 v5, v1, s8
	v_mul_lo_u32 v6, v1, s9
	v_lshrrev_b32_e32 v1, s21, v4
	v_mul_lo_u32 v4, v1, s19
	v_mul_hi_u32 v7, s23, v1
	v_sub_u32_e32 v3, v3, v4
	v_add_u32_e32 v4, v1, v7
	v_lshrrev_b32_e32 v4, s0, v4
	v_mul_hi_u32 v9, s2, v4
	v_mul_lo_u32 v10, v4, s22
	v_mul_lo_u32 v7, v3, s10
	;; [unrolled: 1-line block ×3, first 2 shown]
	v_sub_u32_e32 v10, v1, v10
	v_add_u32_e32 v1, v4, v9
	v_lshrrev_b32_e32 v1, s3, v1
	v_mul_lo_u32 v9, v1, s1
	v_mul_lo_u32 v11, v10, s12
	;; [unrolled: 1-line block ×3, first 2 shown]
	v_add3_u32 v0, v5, v0, v7
	v_sub_u32_e32 v4, v4, v9
	v_mul_lo_u32 v9, v4, s14
	v_mul_lo_u32 v4, v4, s15
	v_add3_u32 v2, v6, v2, v3
	v_add3_u32 v0, v11, v0, v9
	;; [unrolled: 1-line block ×3, first 2 shown]
	s_cbranch_scc0 .LBB119_580
	s_branch .LBB119_584
.LBB119_581:
	s_mov_b64 s[0:1], -1
                                        ; implicit-def: $vgpr0
                                        ; implicit-def: $vgpr2
	s_branch .LBB119_588
.LBB119_582:
	v_mov_b32_e32 v0, 0
	v_mov_b32_e32 v2, 0
	s_branch .LBB119_587
.LBB119_583:
	s_mov_b32 s73, 0
	v_mov_b32_e32 v0, 0
	v_mov_b32_e32 v2, 0
	;; [unrolled: 1-line block ×3, first 2 shown]
.LBB119_584:
	s_and_b32 s8, s78, 3
	s_cmp_eq_u32 s8, 0
	s_cbranch_scc1 .LBB119_587
; %bb.585:
	s_lshl_b32 s0, s73, 3
	s_add_u32 s0, s34, s0
	s_addc_u32 s1, s35, 0
	s_add_u32 s0, s0, 0xc4
	s_addc_u32 s1, s1, 0
	s_mul_i32 s2, s73, 12
	s_add_u32 s2, s34, s2
	s_addc_u32 s3, s35, 0
.LBB119_586:                            ; =>This Inner Loop Header: Depth=1
	s_load_dwordx2 s[10:11], s[2:3], 0x4
	s_load_dword s9, s[2:3], 0xc
	s_load_dwordx2 s[12:13], s[0:1], 0x0
	s_add_u32 s2, s2, 12
	s_addc_u32 s3, s3, 0
	s_waitcnt vmcnt(0) lgkmcnt(0)
	v_mul_hi_u32 v3, s11, v1
	s_add_u32 s0, s0, 8
	s_addc_u32 s1, s1, 0
	s_add_i32 s8, s8, -1
	v_add_u32_e32 v3, v1, v3
	v_lshrrev_b32_e32 v4, s9, v3
	v_mul_lo_u32 v3, v4, s10
	s_cmp_lg_u32 s8, 0
	v_sub_u32_e32 v3, v1, v3
	v_mad_u64_u32 v[0:1], s[10:11], v3, s12, v[0:1]
	v_mad_u64_u32 v[2:3], s[10:11], v3, s13, v[2:3]
	v_mov_b32_e32 v1, v4
	s_cbranch_scc1 .LBB119_586
.LBB119_587:
	s_mov_b64 s[0:1], 0
.LBB119_588:
	s_andn2_b64 vcc, exec, s[0:1]
	s_cbranch_vccnz .LBB119_591
; %bb.589:
	v_mul_hi_u32 v0, s29, v8
	s_andn2_b64 vcc, exec, s[48:49]
	v_add_u32_e32 v0, v8, v0
	v_lshrrev_b32_e32 v1, s30, v0
	v_mul_lo_u32 v0, v1, s28
	v_sub_u32_e32 v2, v8, v0
	v_mul_lo_u32 v0, v2, s36
	v_mul_lo_u32 v2, v2, s37
	s_cbranch_vccnz .LBB119_591
; %bb.590:
	s_waitcnt vmcnt(0)
	v_mul_hi_u32 v3, s46, v1
	v_add_u32_e32 v3, v1, v3
	v_lshrrev_b32_e32 v3, s47, v3
	v_mul_lo_u32 v3, v3, s31
	v_sub_u32_e32 v3, v1, v3
	v_mad_u64_u32 v[0:1], s[0:1], v3, s38, v[0:1]
	v_mad_u64_u32 v[2:3], s[0:1], v3, s39, v[2:3]
.LBB119_591:
	s_waitcnt vmcnt(0)
	v_mov_b32_e32 v3, s27
	s_and_b32 s12, 0xffff, s76
	v_add_co_u32_e32 v1, vcc, s26, v2
	s_cmp_lt_i32 s12, 11
	v_addc_co_u32_e32 v2, vcc, 0, v3, vcc
	s_cbranch_scc1 .LBB119_598
; %bb.592:
	s_cmp_gt_i32 s12, 25
	s_cbranch_scc0 .LBB119_599
; %bb.593:
	s_cmp_gt_i32 s12, 28
	s_cbranch_scc0 .LBB119_600
	;; [unrolled: 3-line block ×4, first 2 shown]
; %bb.596:
	s_cmp_eq_u32 s12, 46
	s_mov_b64 s[8:9], 0
	s_cbranch_scc0 .LBB119_607
; %bb.597:
	global_load_dword v3, v[1:2], off
	s_mov_b64 s[0:1], -1
	s_mov_b64 s[2:3], 0
	s_waitcnt vmcnt(0)
	v_lshlrev_b32_e32 v3, 16, v3
	v_cvt_f16_f32_e32 v3, v3
	s_branch .LBB119_608
.LBB119_598:
	s_mov_b64 s[8:9], -1
	s_mov_b64 s[0:1], 0
                                        ; implicit-def: $vgpr3
	s_mov_b64 s[2:3], s[60:61]
	s_branch .LBB119_673
.LBB119_599:
	s_mov_b64 s[8:9], -1
	s_mov_b64 s[0:1], 0
	s_mov_b64 s[2:3], s[60:61]
                                        ; implicit-def: $vgpr3
	s_branch .LBB119_637
.LBB119_600:
	s_mov_b64 s[8:9], -1
	s_mov_b64 s[0:1], 0
	s_mov_b64 s[2:3], s[60:61]
                                        ; implicit-def: $vgpr3
	s_branch .LBB119_618
.LBB119_601:
	s_mov_b64 s[8:9], -1
	s_mov_b64 s[0:1], 0
	s_mov_b64 s[2:3], s[60:61]
                                        ; implicit-def: $vgpr3
	s_branch .LBB119_613
.LBB119_602:
	s_andn2_saveexec_b64 s[14:15], s[14:15]
	s_cbranch_execz .LBB119_371
.LBB119_603:
	v_add_f32_e32 v2, 0x46000000, v3
	v_and_b32_e32 v2, 0xff, v2
	v_cmp_ne_u32_e32 vcc, 0, v2
	s_andn2_b64 s[12:13], s[12:13], exec
	s_and_b64 s[18:19], vcc, exec
	s_or_b64 s[12:13], s[12:13], s[18:19]
	s_or_b64 exec, exec, s[14:15]
	v_mov_b32_e32 v4, 0
	s_and_saveexec_b64 s[14:15], s[12:13]
	s_cbranch_execnz .LBB119_372
	s_branch .LBB119_373
.LBB119_604:
	s_mov_b64 s[8:9], -1
	s_mov_b64 s[0:1], 0
	s_mov_b64 s[2:3], s[60:61]
                                        ; implicit-def: $vgpr3
	s_branch .LBB119_608
.LBB119_605:
	s_andn2_saveexec_b64 s[14:15], s[14:15]
	s_cbranch_execz .LBB119_384
.LBB119_606:
	v_add_f32_e32 v2, 0x42800000, v3
	v_and_b32_e32 v2, 0xff, v2
	v_cmp_ne_u32_e32 vcc, 0, v2
	s_andn2_b64 s[12:13], s[12:13], exec
	s_and_b64 s[18:19], vcc, exec
	s_or_b64 s[12:13], s[12:13], s[18:19]
	s_or_b64 exec, exec, s[14:15]
	v_mov_b32_e32 v4, 0
	s_and_saveexec_b64 s[14:15], s[12:13]
	s_cbranch_execnz .LBB119_385
	s_branch .LBB119_386
.LBB119_607:
	s_mov_b64 s[2:3], -1
                                        ; implicit-def: $vgpr3
	s_mov_b64 s[0:1], 0
.LBB119_608:
	s_and_b64 vcc, exec, s[8:9]
	s_cbranch_vccz .LBB119_612
; %bb.609:
	s_cmp_eq_u32 s12, 44
	s_cbranch_scc0 .LBB119_611
; %bb.610:
	global_load_ubyte v3, v[1:2], off
	s_movk_i32 s2, 0xff
	v_mov_b32_e32 v5, 0x7e00
	s_mov_b64 s[0:1], -1
	s_waitcnt vmcnt(0)
	v_lshlrev_b32_e32 v4, 23, v3
	v_cvt_f16_f32_e32 v4, v4
	v_cmp_ne_u32_e32 vcc, s2, v3
	s_mov_b64 s[2:3], 0
	v_cndmask_b32_e32 v4, v5, v4, vcc
	v_cmp_ne_u32_e32 vcc, 0, v3
	v_cndmask_b32_e32 v3, 0, v4, vcc
	s_branch .LBB119_612
.LBB119_611:
	s_mov_b64 s[2:3], -1
                                        ; implicit-def: $vgpr3
.LBB119_612:
	s_mov_b64 s[8:9], 0
.LBB119_613:
	s_and_b64 vcc, exec, s[8:9]
	s_cbranch_vccz .LBB119_617
; %bb.614:
	s_cmp_eq_u32 s12, 29
	s_cbranch_scc0 .LBB119_616
; %bb.615:
	global_load_dwordx2 v[3:4], v[1:2], off
	s_mov_b64 s[0:1], -1
	s_mov_b64 s[2:3], 0
	s_mov_b64 s[8:9], 0
	s_waitcnt vmcnt(0)
	v_ffbh_u32_e32 v5, v4
	v_min_u32_e32 v5, 32, v5
	v_lshlrev_b64 v[3:4], v5, v[3:4]
	v_min_u32_e32 v3, 1, v3
	v_or_b32_e32 v3, v4, v3
	v_cvt_f32_u32_e32 v3, v3
	v_sub_u32_e32 v4, 32, v5
	v_ldexp_f32 v3, v3, v4
	v_cvt_f16_f32_e32 v3, v3
	s_branch .LBB119_618
.LBB119_616:
	s_mov_b64 s[2:3], -1
                                        ; implicit-def: $vgpr3
.LBB119_617:
	s_mov_b64 s[8:9], 0
.LBB119_618:
	s_and_b64 vcc, exec, s[8:9]
	s_cbranch_vccz .LBB119_636
; %bb.619:
	s_cmp_lt_i32 s12, 27
	s_cbranch_scc1 .LBB119_622
; %bb.620:
	s_cmp_gt_i32 s12, 27
	s_cbranch_scc0 .LBB119_623
; %bb.621:
	global_load_dword v3, v[1:2], off
	s_mov_b64 s[0:1], 0
	s_waitcnt vmcnt(0)
	v_cvt_f32_u32_e32 v3, v3
	v_cvt_f16_f32_e32 v3, v3
	s_branch .LBB119_624
.LBB119_622:
	s_mov_b64 s[0:1], -1
                                        ; implicit-def: $vgpr3
	s_branch .LBB119_627
.LBB119_623:
	s_mov_b64 s[0:1], -1
                                        ; implicit-def: $vgpr3
.LBB119_624:
	s_andn2_b64 vcc, exec, s[0:1]
	s_cbranch_vccnz .LBB119_626
; %bb.625:
	global_load_ushort v3, v[1:2], off
	s_waitcnt vmcnt(0)
	v_cvt_f16_u16_e32 v3, v3
.LBB119_626:
	s_mov_b64 s[0:1], 0
.LBB119_627:
	s_andn2_b64 vcc, exec, s[0:1]
	s_cbranch_vccnz .LBB119_635
; %bb.628:
	global_load_ubyte v4, v[1:2], off
	s_movk_i32 s0, 0x7f
	s_waitcnt vmcnt(0)
	v_cmp_lt_i16_e32 vcc, s0, v4
	s_mov_b64 s[0:1], 0
	s_and_saveexec_b64 s[8:9], vcc
	s_xor_b64 s[8:9], exec, s[8:9]
	s_cbranch_execz .LBB119_649
; %bb.629:
	s_movk_i32 s0, 0x80
	v_cmp_eq_u16_e32 vcc, s0, v4
	s_mov_b64 s[0:1], -1
	s_and_saveexec_b64 s[10:11], vcc
; %bb.630:
	s_xor_b64 s[0:1], exec, -1
; %bb.631:
	s_or_b64 exec, exec, s[10:11]
	s_and_b64 s[0:1], s[0:1], exec
	s_or_saveexec_b64 s[8:9], s[8:9]
	v_mov_b32_e32 v3, 0x7e00
	s_xor_b64 exec, exec, s[8:9]
	s_cbranch_execnz .LBB119_650
.LBB119_632:
	s_or_b64 exec, exec, s[8:9]
	s_and_saveexec_b64 s[8:9], s[0:1]
	s_cbranch_execz .LBB119_634
.LBB119_633:
	v_lshlrev_b32_e32 v3, 24, v4
	v_and_b32_e32 v4, 0xffff, v4
	v_and_b32_e32 v5, 7, v4
	v_ffbh_u32_e32 v7, v5
	v_min_u32_e32 v7, 32, v7
	v_subrev_u32_e32 v9, 28, v7
	v_bfe_u32 v6, v4, 3, 4
	v_lshlrev_b32_e32 v4, v9, v4
	v_sub_u32_e32 v7, 29, v7
	v_and_b32_e32 v4, 7, v4
	v_cmp_eq_u32_e32 vcc, 0, v6
	v_cndmask_b32_e32 v6, v6, v7, vcc
	v_cndmask_b32_e32 v4, v5, v4, vcc
	v_mov_b32_e32 v5, 0x3b800000
	v_lshlrev_b32_e32 v4, 20, v4
	v_and_b32_e32 v3, 0x80000000, v3
	v_lshl_add_u32 v5, v6, 23, v5
	v_or3_b32 v3, v3, v5, v4
	v_cvt_f16_f32_e32 v3, v3
.LBB119_634:
	s_or_b64 exec, exec, s[8:9]
.LBB119_635:
	s_mov_b64 s[0:1], -1
.LBB119_636:
	s_mov_b64 s[8:9], 0
.LBB119_637:
	s_and_b64 vcc, exec, s[8:9]
	s_cbranch_vccz .LBB119_672
; %bb.638:
	s_cmp_gt_i32 s12, 22
	s_cbranch_scc0 .LBB119_648
; %bb.639:
	s_cmp_lt_i32 s12, 24
	s_cbranch_scc1 .LBB119_651
; %bb.640:
	s_cmp_gt_i32 s12, 24
	s_cbranch_scc0 .LBB119_652
; %bb.641:
	global_load_ubyte v4, v[1:2], off
	s_movk_i32 s0, 0x7f
	s_waitcnt vmcnt(0)
	v_cmp_lt_i16_e32 vcc, s0, v4
	s_mov_b64 s[0:1], 0
	s_and_saveexec_b64 s[8:9], vcc
	s_xor_b64 s[8:9], exec, s[8:9]
	s_cbranch_execz .LBB119_664
; %bb.642:
	s_movk_i32 s0, 0x80
	v_cmp_eq_u16_e32 vcc, s0, v4
	s_mov_b64 s[0:1], -1
	s_and_saveexec_b64 s[10:11], vcc
; %bb.643:
	s_xor_b64 s[0:1], exec, -1
; %bb.644:
	s_or_b64 exec, exec, s[10:11]
	s_and_b64 s[0:1], s[0:1], exec
	s_or_saveexec_b64 s[8:9], s[8:9]
	v_mov_b32_e32 v3, 0x7e00
	s_xor_b64 exec, exec, s[8:9]
	s_cbranch_execnz .LBB119_665
.LBB119_645:
	s_or_b64 exec, exec, s[8:9]
	s_and_saveexec_b64 s[8:9], s[0:1]
	s_cbranch_execz .LBB119_647
.LBB119_646:
	v_lshlrev_b32_e32 v3, 24, v4
	v_and_b32_e32 v4, 0xffff, v4
	v_and_b32_e32 v5, 3, v4
	v_ffbh_u32_e32 v7, v5
	v_min_u32_e32 v7, 32, v7
	v_subrev_u32_e32 v9, 29, v7
	v_bfe_u32 v6, v4, 2, 5
	v_lshlrev_b32_e32 v4, v9, v4
	v_sub_u32_e32 v7, 30, v7
	v_and_b32_e32 v4, 3, v4
	v_cmp_eq_u32_e32 vcc, 0, v6
	v_cndmask_b32_e32 v6, v6, v7, vcc
	v_cndmask_b32_e32 v4, v5, v4, vcc
	v_mov_b32_e32 v5, 0x37800000
	v_lshlrev_b32_e32 v4, 21, v4
	v_and_b32_e32 v3, 0x80000000, v3
	v_lshl_add_u32 v5, v6, 23, v5
	v_or3_b32 v3, v3, v5, v4
	v_cvt_f16_f32_e32 v3, v3
.LBB119_647:
	s_or_b64 exec, exec, s[8:9]
	s_mov_b64 s[0:1], 0
	s_branch .LBB119_653
.LBB119_648:
	s_mov_b64 s[8:9], -1
                                        ; implicit-def: $vgpr3
	s_branch .LBB119_659
.LBB119_649:
	s_or_saveexec_b64 s[8:9], s[8:9]
	v_mov_b32_e32 v3, 0x7e00
	s_xor_b64 exec, exec, s[8:9]
	s_cbranch_execz .LBB119_632
.LBB119_650:
	v_cmp_ne_u16_e32 vcc, 0, v4
	s_andn2_b64 s[0:1], s[0:1], exec
	s_and_b64 s[10:11], vcc, exec
	s_or_b64 s[0:1], s[0:1], s[10:11]
	v_mov_b32_e32 v3, v4
	s_or_b64 exec, exec, s[8:9]
	s_and_saveexec_b64 s[8:9], s[0:1]
	s_cbranch_execnz .LBB119_633
	s_branch .LBB119_634
.LBB119_651:
	s_mov_b64 s[0:1], -1
                                        ; implicit-def: $vgpr3
	s_branch .LBB119_656
.LBB119_652:
	s_mov_b64 s[0:1], -1
                                        ; implicit-def: $vgpr3
.LBB119_653:
	s_and_b64 vcc, exec, s[0:1]
	s_cbranch_vccz .LBB119_655
; %bb.654:
	global_load_ubyte v3, v[1:2], off
	s_mov_b32 s0, 0x7f800000
	s_waitcnt vmcnt(0)
	v_lshlrev_b32_e32 v3, 24, v3
	v_and_b32_e32 v4, 0x7f000000, v3
	v_ffbh_u32_e32 v5, v4
	v_min_u32_e32 v5, 32, v5
	v_sub_u32_e64 v5, v5, 4 clamp
	v_lshlrev_b32_e32 v7, v5, v4
	v_lshlrev_b32_e32 v5, 23, v5
	v_lshrrev_b32_e32 v7, 4, v7
	v_add_u32_e32 v6, 0x1000000, v4
	v_sub_u32_e32 v5, v7, v5
	v_ashrrev_i32_e32 v6, 8, v6
	v_add_u32_e32 v5, 0x3c000000, v5
	v_and_or_b32 v5, v6, s0, v5
	v_cmp_ne_u32_e32 vcc, 0, v4
	v_cndmask_b32_e32 v4, 0, v5, vcc
	s_brev_b32 s0, 1
	v_and_or_b32 v3, v3, s0, v4
	v_cvt_f16_f32_e32 v3, v3
.LBB119_655:
	s_mov_b64 s[0:1], 0
.LBB119_656:
	s_andn2_b64 vcc, exec, s[0:1]
	s_cbranch_vccnz .LBB119_658
; %bb.657:
	global_load_ubyte v3, v[1:2], off
	s_movk_i32 s0, 0x7f00
	s_brev_b32 s1, 16
	s_waitcnt vmcnt(0)
	v_lshlrev_b16_e32 v4, 8, v3
	v_lshlrev_b32_e32 v3, 25, v3
	v_lshrrev_b32_e32 v5, 4, v3
	v_and_or_b32 v6, v4, s0, 0.5
	v_or_b32_e32 v5, 0x70000000, v5
	v_add_f32_e32 v6, -0.5, v6
	v_mul_f32_e32 v5, 0x7800000, v5
	v_cmp_gt_u32_e32 vcc, s1, v3
	v_bfe_i32 v4, v4, 0, 16
	v_cndmask_b32_e32 v3, v5, v6, vcc
	s_brev_b32 s0, 1
	v_and_or_b32 v3, v4, s0, v3
	v_cvt_f16_f32_e32 v3, v3
.LBB119_658:
	s_mov_b64 s[8:9], 0
	s_mov_b64 s[0:1], -1
.LBB119_659:
	s_andn2_b64 vcc, exec, s[8:9]
	s_cbranch_vccnz .LBB119_672
; %bb.660:
	s_cmp_gt_i32 s12, 14
	s_cbranch_scc0 .LBB119_663
; %bb.661:
	s_cmp_eq_u32 s12, 15
	s_cbranch_scc0 .LBB119_666
; %bb.662:
	global_load_ushort v3, v[1:2], off
	s_mov_b64 s[0:1], -1
	s_mov_b64 s[2:3], 0
	s_waitcnt vmcnt(0)
	v_lshlrev_b32_e32 v3, 16, v3
	v_cvt_f16_f32_e32 v3, v3
	s_branch .LBB119_667
.LBB119_663:
	s_mov_b64 s[8:9], -1
                                        ; implicit-def: $vgpr3
	s_branch .LBB119_668
.LBB119_664:
	s_or_saveexec_b64 s[8:9], s[8:9]
	v_mov_b32_e32 v3, 0x7e00
	s_xor_b64 exec, exec, s[8:9]
	s_cbranch_execz .LBB119_645
.LBB119_665:
	v_cmp_ne_u16_e32 vcc, 0, v4
	s_andn2_b64 s[0:1], s[0:1], exec
	s_and_b64 s[10:11], vcc, exec
	s_or_b64 s[0:1], s[0:1], s[10:11]
	v_mov_b32_e32 v3, v4
	s_or_b64 exec, exec, s[8:9]
	s_and_saveexec_b64 s[8:9], s[0:1]
	s_cbranch_execnz .LBB119_646
	s_branch .LBB119_647
.LBB119_666:
	s_mov_b64 s[2:3], -1
                                        ; implicit-def: $vgpr3
.LBB119_667:
	s_mov_b64 s[8:9], 0
.LBB119_668:
	s_and_b64 vcc, exec, s[8:9]
	s_cbranch_vccz .LBB119_672
; %bb.669:
	s_cmp_eq_u32 s12, 11
	s_cbranch_scc0 .LBB119_671
; %bb.670:
	global_load_ubyte v3, v[1:2], off
	v_mov_b32_e32 v4, 0x3c00
	s_mov_b64 s[0:1], -1
	s_mov_b64 s[2:3], 0
	s_waitcnt vmcnt(0)
	v_cmp_ne_u16_e32 vcc, 0, v3
	v_cndmask_b32_e32 v3, 0, v4, vcc
	s_branch .LBB119_672
.LBB119_671:
	s_mov_b64 s[2:3], -1
                                        ; implicit-def: $vgpr3
.LBB119_672:
	s_mov_b64 s[8:9], 0
.LBB119_673:
	s_and_b64 vcc, exec, s[8:9]
	s_cbranch_vccz .LBB119_722
; %bb.674:
	s_cmp_lt_i32 s12, 5
	s_cbranch_scc1 .LBB119_679
; %bb.675:
	s_cmp_lt_i32 s12, 8
	s_cbranch_scc1 .LBB119_680
	;; [unrolled: 3-line block ×3, first 2 shown]
; %bb.677:
	s_cmp_gt_i32 s12, 9
	s_cbranch_scc0 .LBB119_682
; %bb.678:
	global_load_dwordx2 v[3:4], v[1:2], off
	s_movk_i32 s0, 0x1ff
	s_movk_i32 s1, 0xffe
	v_mov_b32_e32 v5, 0x7c00
	v_mov_b32_e32 v6, 0x7e00
	s_movk_i32 s8, 0x40f
	s_mov_b32 s9, 0x8000
	s_waitcnt vmcnt(0)
	v_and_or_b32 v3, v4, s0, v3
	v_cmp_ne_u32_e32 vcc, 0, v3
	v_lshrrev_b32_e32 v7, 8, v4
	v_bfe_u32 v9, v4, 20, 11
	v_cndmask_b32_e64 v3, 0, 1, vcc
	v_sub_u32_e32 v10, 0x3f1, v9
	v_and_or_b32 v3, v7, s1, v3
	v_add_u32_e32 v9, 0xfffffc10, v9
	v_med3_i32 v7, v10, 0, 13
	v_or_b32_e32 v10, 0x1000, v3
	v_cmp_ne_u32_e32 vcc, 0, v3
	v_lshl_or_b32 v11, v9, 12, v3
	v_cndmask_b32_e32 v3, v5, v6, vcc
	v_lshrrev_b32_e32 v6, v7, v10
	v_lshlrev_b32_e32 v7, v7, v6
	v_cmp_ne_u32_e32 vcc, v7, v10
	v_cndmask_b32_e64 v7, 0, 1, vcc
	v_or_b32_e32 v6, v6, v7
	v_cmp_gt_i32_e32 vcc, 1, v9
	v_cndmask_b32_e32 v6, v11, v6, vcc
	v_and_b32_e32 v7, 7, v6
	v_cmp_lt_i32_e32 vcc, 5, v7
	v_cndmask_b32_e64 v10, 0, 1, vcc
	v_cmp_eq_u32_e32 vcc, 3, v7
	v_cndmask_b32_e64 v7, 0, 1, vcc
	v_lshrrev_b32_e32 v6, 2, v6
	v_or_b32_e32 v7, v7, v10
	v_add_u32_e32 v6, v6, v7
	v_cmp_gt_i32_e32 vcc, 31, v9
	v_cndmask_b32_e32 v5, v5, v6, vcc
	v_cmp_eq_u32_e32 vcc, s8, v9
	v_lshrrev_b32_e32 v4, 16, v4
	v_cndmask_b32_e32 v3, v5, v3, vcc
	v_and_or_b32 v3, v4, s9, v3
	s_mov_b64 s[0:1], 0
	s_branch .LBB119_683
.LBB119_679:
	s_mov_b64 s[0:1], -1
                                        ; implicit-def: $vgpr3
	s_branch .LBB119_701
.LBB119_680:
	s_mov_b64 s[0:1], -1
                                        ; implicit-def: $vgpr3
	s_branch .LBB119_689
.LBB119_681:
	s_mov_b64 s[0:1], -1
                                        ; implicit-def: $vgpr3
	s_branch .LBB119_686
.LBB119_682:
	s_mov_b64 s[0:1], -1
                                        ; implicit-def: $vgpr3
.LBB119_683:
	s_andn2_b64 vcc, exec, s[0:1]
	s_cbranch_vccnz .LBB119_685
; %bb.684:
	global_load_dword v3, v[1:2], off
	s_waitcnt vmcnt(0)
	v_cvt_f16_f32_e32 v3, v3
.LBB119_685:
	s_mov_b64 s[0:1], 0
.LBB119_686:
	s_andn2_b64 vcc, exec, s[0:1]
	s_cbranch_vccnz .LBB119_688
; %bb.687:
	global_load_dword v3, v[1:2], off
.LBB119_688:
	s_mov_b64 s[0:1], 0
.LBB119_689:
	s_andn2_b64 vcc, exec, s[0:1]
	s_cbranch_vccnz .LBB119_700
; %bb.690:
	s_cmp_lt_i32 s12, 6
	s_cbranch_scc1 .LBB119_693
; %bb.691:
	s_cmp_gt_i32 s12, 6
	s_cbranch_scc0 .LBB119_694
; %bb.692:
	global_load_dwordx2 v[3:4], v[1:2], off
	s_movk_i32 s0, 0x1ff
	s_movk_i32 s1, 0xffe
	v_mov_b32_e32 v5, 0x7c00
	v_mov_b32_e32 v6, 0x7e00
	s_movk_i32 s8, 0x40f
	s_mov_b32 s9, 0x8000
	s_waitcnt vmcnt(0)
	v_and_or_b32 v3, v4, s0, v3
	v_cmp_ne_u32_e32 vcc, 0, v3
	v_lshrrev_b32_e32 v7, 8, v4
	v_bfe_u32 v9, v4, 20, 11
	v_cndmask_b32_e64 v3, 0, 1, vcc
	v_sub_u32_e32 v10, 0x3f1, v9
	v_and_or_b32 v3, v7, s1, v3
	v_add_u32_e32 v9, 0xfffffc10, v9
	v_med3_i32 v7, v10, 0, 13
	v_or_b32_e32 v10, 0x1000, v3
	v_cmp_ne_u32_e32 vcc, 0, v3
	v_lshl_or_b32 v11, v9, 12, v3
	v_cndmask_b32_e32 v3, v5, v6, vcc
	v_lshrrev_b32_e32 v6, v7, v10
	v_lshlrev_b32_e32 v7, v7, v6
	v_cmp_ne_u32_e32 vcc, v7, v10
	v_cndmask_b32_e64 v7, 0, 1, vcc
	v_or_b32_e32 v6, v6, v7
	v_cmp_gt_i32_e32 vcc, 1, v9
	v_cndmask_b32_e32 v6, v11, v6, vcc
	v_and_b32_e32 v7, 7, v6
	v_cmp_lt_i32_e32 vcc, 5, v7
	v_cndmask_b32_e64 v10, 0, 1, vcc
	v_cmp_eq_u32_e32 vcc, 3, v7
	v_cndmask_b32_e64 v7, 0, 1, vcc
	v_lshrrev_b32_e32 v6, 2, v6
	v_or_b32_e32 v7, v7, v10
	v_add_u32_e32 v6, v6, v7
	v_cmp_gt_i32_e32 vcc, 31, v9
	v_cndmask_b32_e32 v5, v5, v6, vcc
	v_cmp_eq_u32_e32 vcc, s8, v9
	v_lshrrev_b32_e32 v4, 16, v4
	v_cndmask_b32_e32 v3, v5, v3, vcc
	v_and_or_b32 v3, v4, s9, v3
	s_mov_b64 s[0:1], 0
	s_branch .LBB119_695
.LBB119_693:
	s_mov_b64 s[0:1], -1
                                        ; implicit-def: $vgpr3
	s_branch .LBB119_698
.LBB119_694:
	s_mov_b64 s[0:1], -1
                                        ; implicit-def: $vgpr3
.LBB119_695:
	s_andn2_b64 vcc, exec, s[0:1]
	s_cbranch_vccnz .LBB119_697
; %bb.696:
	global_load_dword v3, v[1:2], off
	s_waitcnt vmcnt(0)
	v_cvt_f16_f32_e32 v3, v3
.LBB119_697:
	s_mov_b64 s[0:1], 0
.LBB119_698:
	s_andn2_b64 vcc, exec, s[0:1]
	s_cbranch_vccnz .LBB119_700
; %bb.699:
	global_load_ushort v3, v[1:2], off
.LBB119_700:
	s_mov_b64 s[0:1], 0
.LBB119_701:
	s_andn2_b64 vcc, exec, s[0:1]
	s_cbranch_vccnz .LBB119_721
; %bb.702:
	s_cmp_lt_i32 s12, 2
	s_cbranch_scc1 .LBB119_706
; %bb.703:
	s_cmp_lt_i32 s12, 3
	s_cbranch_scc1 .LBB119_707
; %bb.704:
	s_cmp_gt_i32 s12, 3
	s_cbranch_scc0 .LBB119_708
; %bb.705:
	global_load_dwordx2 v[3:4], v[1:2], off
	s_mov_b64 s[0:1], 0
	s_waitcnt vmcnt(0)
	v_xor_b32_e32 v6, v3, v4
	v_ffbh_i32_e32 v5, v4
	v_ashrrev_i32_e32 v6, 31, v6
	v_add_u32_e32 v5, -1, v5
	v_add_u32_e32 v6, 32, v6
	v_min_u32_e32 v5, v5, v6
	v_lshlrev_b64 v[3:4], v5, v[3:4]
	v_min_u32_e32 v3, 1, v3
	v_or_b32_e32 v3, v4, v3
	v_cvt_f32_i32_e32 v3, v3
	v_sub_u32_e32 v4, 32, v5
	v_ldexp_f32 v3, v3, v4
	v_cvt_f16_f32_e32 v3, v3
	s_branch .LBB119_709
.LBB119_706:
	s_mov_b64 s[0:1], -1
                                        ; implicit-def: $vgpr3
	s_branch .LBB119_715
.LBB119_707:
	s_mov_b64 s[0:1], -1
                                        ; implicit-def: $vgpr3
	s_branch .LBB119_712
.LBB119_708:
	s_mov_b64 s[0:1], -1
                                        ; implicit-def: $vgpr3
.LBB119_709:
	s_andn2_b64 vcc, exec, s[0:1]
	s_cbranch_vccnz .LBB119_711
; %bb.710:
	global_load_dword v3, v[1:2], off
	s_waitcnt vmcnt(0)
	v_cvt_f32_i32_e32 v3, v3
	v_cvt_f16_f32_e32 v3, v3
.LBB119_711:
	s_mov_b64 s[0:1], 0
.LBB119_712:
	s_andn2_b64 vcc, exec, s[0:1]
	s_cbranch_vccnz .LBB119_714
; %bb.713:
	global_load_ushort v3, v[1:2], off
	s_waitcnt vmcnt(0)
	v_cvt_f16_i16_e32 v3, v3
.LBB119_714:
	s_mov_b64 s[0:1], 0
.LBB119_715:
	s_andn2_b64 vcc, exec, s[0:1]
	s_cbranch_vccnz .LBB119_721
; %bb.716:
	s_cmp_gt_i32 s12, 0
	s_cbranch_scc0 .LBB119_718
; %bb.717:
	global_load_sbyte v3, v[1:2], off
	s_mov_b64 s[0:1], 0
	s_waitcnt vmcnt(0)
	v_cvt_f16_i16_e32 v3, v3
	s_branch .LBB119_719
.LBB119_718:
	s_mov_b64 s[0:1], -1
                                        ; implicit-def: $vgpr3
.LBB119_719:
	s_andn2_b64 vcc, exec, s[0:1]
	s_cbranch_vccnz .LBB119_721
; %bb.720:
	global_load_ubyte v1, v[1:2], off
	s_waitcnt vmcnt(0)
	v_cvt_f16_u16_e32 v3, v1
.LBB119_721:
	s_mov_b64 s[0:1], -1
.LBB119_722:
	s_andn2_b64 vcc, exec, s[0:1]
	s_cbranch_vccnz .LBB119_727
; %bb.723:
	s_cmp_lt_i32 s44, 1
	s_mov_b64 s[0:1], 0
	s_cbranch_scc1 .LBB119_728
; %bb.724:
	s_cmp_gt_i32 s44, 1
	s_cbranch_scc0 .LBB119_729
; %bb.725:
	s_cmp_eq_u32 s44, 2
	s_cbranch_scc0 .LBB119_730
; %bb.726:
	s_waitcnt vmcnt(0)
	v_cmp_ge_f16_e64 s[8:9], s45, v3
	s_mov_b64 s[10:11], 0
	s_branch .LBB119_731
.LBB119_727:
	s_mov_b64 s[8:9], 0
	s_mov_b64 s[0:1], s[62:63]
	s_branch .LBB119_864
.LBB119_728:
	s_mov_b64 s[12:13], -1
                                        ; implicit-def: $sgpr8_sgpr9
	s_mov_b64 s[10:11], 0
	s_branch .LBB119_735
.LBB119_729:
	s_mov_b64 s[12:13], -1
	s_mov_b64 s[10:11], 0
                                        ; implicit-def: $sgpr8_sgpr9
	s_branch .LBB119_732
.LBB119_730:
	s_mov_b64 s[10:11], -1
                                        ; implicit-def: $sgpr8_sgpr9
.LBB119_731:
	s_mov_b64 s[12:13], 0
.LBB119_732:
	s_and_b64 vcc, exec, s[12:13]
	s_cbranch_vccz .LBB119_734
; %bb.733:
	s_waitcnt vmcnt(0)
	v_cmp_lt_f16_e32 vcc, s45, v3
	s_andn2_b64 s[8:9], s[8:9], exec
	s_and_b64 s[12:13], vcc, exec
	s_or_b64 s[8:9], s[8:9], s[12:13]
.LBB119_734:
	s_mov_b64 s[12:13], 0
.LBB119_735:
	s_and_b64 vcc, exec, s[12:13]
	s_cbranch_vccz .LBB119_746
; %bb.736:
	s_cmp_lg_u32 s44, 0
	s_mov_b64 s[0:1], -1
	s_cselect_b64 s[10:11], -1, 0
	s_andn2_b64 vcc, exec, s[10:11]
	s_cbranch_vccz .LBB119_747
.LBB119_737:
	s_andn2_b64 vcc, exec, s[0:1]
	s_cbranch_vccnz .LBB119_739
.LBB119_738:
	s_waitcnt vmcnt(0)
	v_cmp_le_f16_e32 vcc, s45, v3
	s_andn2_b64 s[0:1], s[8:9], exec
	s_and_b64 s[8:9], vcc, exec
	s_or_b64 s[8:9], s[0:1], s[8:9]
.LBB119_739:
	v_mov_b32_e32 v1, s25
	s_and_b32 s16, s75, 0xff
	v_add_co_u32_e32 v0, vcc, s24, v0
	s_cmp_lt_i32 s16, 11
	v_addc_co_u32_e32 v1, vcc, 0, v1, vcc
	s_cbranch_scc1 .LBB119_748
; %bb.740:
	s_and_b32 s17, 0xffff, s16
	s_cmp_gt_i32 s17, 25
	s_cbranch_scc0 .LBB119_749
; %bb.741:
	s_cmp_gt_i32 s17, 28
	s_cbranch_scc0 .LBB119_750
; %bb.742:
	;; [unrolled: 3-line block ×4, first 2 shown]
	s_mov_b64 s[12:13], 0
	s_mov_b64 s[0:1], -1
	s_cmp_eq_u32 s17, 46
	s_mov_b64 s[10:11], 0
	s_cbranch_scc0 .LBB119_753
; %bb.745:
	v_cndmask_b32_e64 v2, 0, 1.0, s[8:9]
	s_waitcnt vmcnt(0)
	v_bfe_u32 v3, v2, 16, 1
	s_movk_i32 s0, 0x7fff
	v_add3_u32 v2, v2, v3, s0
	v_lshrrev_b32_e32 v2, 16, v2
	global_store_dword v[0:1], v2, off
	s_mov_b64 s[10:11], -1
	s_mov_b64 s[0:1], 0
	s_branch .LBB119_753
.LBB119_746:
	s_andn2_b64 vcc, exec, s[10:11]
	s_cbranch_vccnz .LBB119_737
.LBB119_747:
	s_waitcnt vmcnt(0)
	v_cmp_gt_f16_e32 vcc, s45, v3
	s_andn2_b64 s[8:9], s[8:9], exec
	s_and_b64 s[10:11], vcc, exec
	s_or_b64 s[8:9], s[8:9], s[10:11]
	s_cbranch_execz .LBB119_738
	s_branch .LBB119_739
.LBB119_748:
	s_mov_b64 s[12:13], -1
	s_mov_b64 s[10:11], 0
	s_mov_b64 s[0:1], s[62:63]
	s_branch .LBB119_822
.LBB119_749:
	s_mov_b64 s[12:13], -1
	s_mov_b64 s[10:11], 0
	s_mov_b64 s[0:1], s[62:63]
	s_branch .LBB119_780
.LBB119_750:
	s_mov_b64 s[12:13], -1
	s_mov_b64 s[10:11], 0
	s_mov_b64 s[0:1], s[62:63]
	s_branch .LBB119_763
.LBB119_751:
	s_mov_b64 s[12:13], -1
	s_mov_b64 s[10:11], 0
	s_mov_b64 s[0:1], s[62:63]
	s_branch .LBB119_759
.LBB119_752:
	s_mov_b64 s[12:13], -1
	s_mov_b64 s[10:11], 0
	s_mov_b64 s[0:1], s[62:63]
.LBB119_753:
	s_and_b64 vcc, exec, s[12:13]
	s_cbranch_vccz .LBB119_758
; %bb.754:
	s_cmp_eq_u32 s17, 44
	s_mov_b64 s[0:1], -1
	s_cbranch_scc0 .LBB119_758
; %bb.755:
	s_waitcnt vmcnt(0)
	v_cndmask_b32_e64 v3, 0, 1.0, s[8:9]
	v_lshrrev_b32_e32 v2, 23, v3
	s_movk_i32 s0, 0xff
	v_cmp_ne_u32_e32 vcc, s0, v2
	v_mov_b32_e32 v4, 0xff
	s_and_saveexec_b64 s[10:11], vcc
; %bb.756:
	s_mov_b32 s0, 0x3fffff
	v_and_b32_e32 v4, 0x400000, v3
	v_and_or_b32 v3, v3, s0, v2
	v_cmp_ne_u32_e32 vcc, 0, v4
	v_cmp_ne_u32_e64 s[0:1], 0, v3
	s_and_b64 s[0:1], vcc, s[0:1]
	v_cndmask_b32_e64 v3, 0, 1, s[0:1]
	v_add_u32_e32 v4, v2, v3
; %bb.757:
	s_or_b64 exec, exec, s[10:11]
	s_mov_b64 s[10:11], -1
	s_mov_b64 s[0:1], 0
	global_store_byte v[0:1], v4, off
.LBB119_758:
	s_mov_b64 s[12:13], 0
.LBB119_759:
	s_and_b64 vcc, exec, s[12:13]
	s_cbranch_vccz .LBB119_762
; %bb.760:
	s_cmp_eq_u32 s17, 29
	s_mov_b64 s[0:1], -1
	s_cbranch_scc0 .LBB119_762
; %bb.761:
	s_mov_b32 s0, 0
	v_cndmask_b32_e64 v2, 0, 1, s[8:9]
	s_waitcnt vmcnt(0)
	v_mov_b32_e32 v3, s0
	global_store_dwordx2 v[0:1], v[2:3], off
	s_mov_b64 s[10:11], -1
	s_mov_b64 s[0:1], 0
.LBB119_762:
	s_mov_b64 s[12:13], 0
.LBB119_763:
	s_and_b64 vcc, exec, s[12:13]
	s_cbranch_vccz .LBB119_779
; %bb.764:
	s_cmp_lt_i32 s17, 27
	s_mov_b64 s[10:11], -1
	s_cbranch_scc1 .LBB119_770
; %bb.765:
	s_cmp_gt_i32 s17, 27
	s_cbranch_scc0 .LBB119_767
; %bb.766:
	v_cndmask_b32_e64 v2, 0, 1, s[8:9]
	s_mov_b64 s[10:11], 0
	global_store_dword v[0:1], v2, off
.LBB119_767:
	s_andn2_b64 vcc, exec, s[10:11]
	s_cbranch_vccnz .LBB119_769
; %bb.768:
	v_cndmask_b32_e64 v2, 0, 1, s[8:9]
	global_store_short v[0:1], v2, off
.LBB119_769:
	s_mov_b64 s[10:11], 0
.LBB119_770:
	s_andn2_b64 vcc, exec, s[10:11]
	s_cbranch_vccnz .LBB119_778
; %bb.771:
	s_waitcnt vmcnt(0)
	v_cndmask_b32_e64 v3, 0, 1.0, s[8:9]
	s_mov_b32 s10, 0x43800000
	v_cmp_gt_u32_e32 vcc, s10, v3
	v_mov_b32_e32 v4, 0x80
	s_and_saveexec_b64 s[10:11], vcc
	s_cbranch_execz .LBB119_777
; %bb.772:
	s_mov_b32 s12, 0x3bffffff
	v_cmp_lt_u32_e32 vcc, s12, v3
	s_mov_b64 s[12:13], 0
                                        ; implicit-def: $vgpr2
	s_and_saveexec_b64 s[14:15], vcc
	s_xor_b64 s[14:15], exec, s[14:15]
	s_cbranch_execz .LBB119_894
; %bb.773:
	v_bfe_u32 v2, v3, 20, 1
	s_mov_b32 s18, 0x487ffff
	v_add3_u32 v2, v3, v2, s18
	s_mov_b64 s[12:13], exec
	v_lshrrev_b32_e32 v2, 20, v2
                                        ; implicit-def: $vgpr3
	s_andn2_saveexec_b64 s[14:15], s[14:15]
	s_cbranch_execnz .LBB119_895
.LBB119_774:
	s_or_b64 exec, exec, s[14:15]
	v_mov_b32_e32 v4, 0
	s_and_saveexec_b64 s[14:15], s[12:13]
.LBB119_775:
	v_mov_b32_e32 v4, v2
.LBB119_776:
	s_or_b64 exec, exec, s[14:15]
.LBB119_777:
	s_or_b64 exec, exec, s[10:11]
	global_store_byte v[0:1], v4, off
.LBB119_778:
	s_mov_b64 s[10:11], -1
.LBB119_779:
	s_mov_b64 s[12:13], 0
.LBB119_780:
	s_and_b64 vcc, exec, s[12:13]
	s_cbranch_vccz .LBB119_821
; %bb.781:
	s_cmp_gt_i32 s17, 22
	s_mov_b64 s[12:13], -1
	s_cbranch_scc0 .LBB119_813
; %bb.782:
	s_cmp_lt_i32 s17, 24
	s_mov_b64 s[10:11], -1
	s_cbranch_scc1 .LBB119_802
; %bb.783:
	s_cmp_gt_i32 s17, 24
	s_cbranch_scc0 .LBB119_791
; %bb.784:
	s_waitcnt vmcnt(0)
	v_cndmask_b32_e64 v3, 0, 1.0, s[8:9]
	s_mov_b32 s10, 0x47800000
	v_cmp_gt_u32_e32 vcc, s10, v3
	v_mov_b32_e32 v4, 0x80
	s_and_saveexec_b64 s[10:11], vcc
	s_cbranch_execz .LBB119_790
; %bb.785:
	s_mov_b32 s12, 0x37ffffff
	v_cmp_lt_u32_e32 vcc, s12, v3
	s_mov_b64 s[12:13], 0
                                        ; implicit-def: $vgpr2
	s_and_saveexec_b64 s[14:15], vcc
	s_xor_b64 s[14:15], exec, s[14:15]
	s_cbranch_execz .LBB119_897
; %bb.786:
	v_bfe_u32 v2, v3, 21, 1
	s_mov_b32 s18, 0x88fffff
	v_add3_u32 v2, v3, v2, s18
	s_mov_b64 s[12:13], exec
	v_lshrrev_b32_e32 v2, 21, v2
                                        ; implicit-def: $vgpr3
	s_andn2_saveexec_b64 s[14:15], s[14:15]
	s_cbranch_execnz .LBB119_898
.LBB119_787:
	s_or_b64 exec, exec, s[14:15]
	v_mov_b32_e32 v4, 0
	s_and_saveexec_b64 s[14:15], s[12:13]
.LBB119_788:
	v_mov_b32_e32 v4, v2
.LBB119_789:
	s_or_b64 exec, exec, s[14:15]
.LBB119_790:
	s_or_b64 exec, exec, s[10:11]
	s_mov_b64 s[10:11], 0
	global_store_byte v[0:1], v4, off
.LBB119_791:
	s_and_b64 vcc, exec, s[10:11]
	s_cbranch_vccz .LBB119_801
; %bb.792:
	v_cndmask_b32_e64 v2, 0, 1.0, s[8:9]
	s_mov_b32 s10, 0x43f00000
	v_cmp_gt_u32_e32 vcc, s10, v2
                                        ; implicit-def: $vgpr3
	s_and_saveexec_b64 s[10:11], vcc
	s_xor_b64 s[10:11], exec, s[10:11]
	s_cbranch_execz .LBB119_798
; %bb.793:
	s_mov_b32 s12, 0x3c7fffff
	v_cmp_lt_u32_e32 vcc, s12, v2
                                        ; implicit-def: $vgpr3
	s_and_saveexec_b64 s[12:13], vcc
	s_xor_b64 s[12:13], exec, s[12:13]
	s_cbranch_execz .LBB119_795
; %bb.794:
	s_waitcnt vmcnt(0)
	v_bfe_u32 v3, v2, 20, 1
	s_mov_b32 s14, 0x407ffff
	v_add3_u32 v2, v2, v3, s14
	v_lshrrev_b32_e32 v3, 20, v2
	v_and_b32_e32 v2, 0xff00000, v2
	s_mov_b32 s14, 0x7f00000
	v_mov_b32_e32 v4, 0x7e
	v_cmp_ne_u32_e32 vcc, s14, v2
	v_cndmask_b32_e32 v3, v4, v3, vcc
                                        ; implicit-def: $vgpr2
.LBB119_795:
	s_andn2_saveexec_b64 s[12:13], s[12:13]
	s_cbranch_execz .LBB119_797
; %bb.796:
	s_waitcnt vmcnt(0)
	v_add_f32_e32 v3, 0x46800000, v2
.LBB119_797:
	s_or_b64 exec, exec, s[12:13]
                                        ; implicit-def: $vgpr2
.LBB119_798:
	s_andn2_saveexec_b64 s[10:11], s[10:11]
	s_cbranch_execz .LBB119_800
; %bb.799:
	s_mov_b32 s12, 0x7f800000
	s_waitcnt vmcnt(0)
	v_mov_b32_e32 v3, 0x7e
	v_mov_b32_e32 v4, 0x7f
	v_cmp_lt_u32_e32 vcc, s12, v2
	v_cndmask_b32_e32 v3, v3, v4, vcc
.LBB119_800:
	s_or_b64 exec, exec, s[10:11]
	s_waitcnt vmcnt(0)
	global_store_byte v[0:1], v3, off
.LBB119_801:
	s_mov_b64 s[10:11], 0
.LBB119_802:
	s_andn2_b64 vcc, exec, s[10:11]
	s_cbranch_vccnz .LBB119_812
; %bb.803:
	v_cndmask_b32_e64 v2, 0, 1.0, s[8:9]
	s_mov_b32 s10, 0x47800000
	v_cmp_gt_u32_e32 vcc, s10, v2
                                        ; implicit-def: $vgpr3
	s_and_saveexec_b64 s[10:11], vcc
	s_xor_b64 s[10:11], exec, s[10:11]
	s_cbranch_execz .LBB119_809
; %bb.804:
	s_mov_b32 s12, 0x387fffff
	v_cmp_lt_u32_e32 vcc, s12, v2
                                        ; implicit-def: $vgpr3
	s_and_saveexec_b64 s[12:13], vcc
	s_xor_b64 s[12:13], exec, s[12:13]
	s_cbranch_execz .LBB119_806
; %bb.805:
	s_waitcnt vmcnt(0)
	v_bfe_u32 v3, v2, 21, 1
	s_mov_b32 s14, 0x80fffff
	v_add3_u32 v2, v2, v3, s14
	v_lshrrev_b32_e32 v3, 21, v2
                                        ; implicit-def: $vgpr2
.LBB119_806:
	s_andn2_saveexec_b64 s[12:13], s[12:13]
	s_cbranch_execz .LBB119_808
; %bb.807:
	s_waitcnt vmcnt(0)
	v_add_f32_e32 v3, 0x43000000, v2
.LBB119_808:
	s_or_b64 exec, exec, s[12:13]
                                        ; implicit-def: $vgpr2
.LBB119_809:
	s_andn2_saveexec_b64 s[10:11], s[10:11]
	s_cbranch_execz .LBB119_811
; %bb.810:
	s_mov_b32 s12, 0x7f800000
	s_waitcnt vmcnt(0)
	v_mov_b32_e32 v3, 0x7c
	v_mov_b32_e32 v4, 0x7f
	v_cmp_lt_u32_e32 vcc, s12, v2
	v_cndmask_b32_e32 v3, v3, v4, vcc
.LBB119_811:
	s_or_b64 exec, exec, s[10:11]
	s_waitcnt vmcnt(0)
	global_store_byte v[0:1], v3, off
.LBB119_812:
	s_mov_b64 s[12:13], 0
	s_mov_b64 s[10:11], -1
.LBB119_813:
	s_andn2_b64 vcc, exec, s[12:13]
	s_cbranch_vccnz .LBB119_821
; %bb.814:
	s_cmp_gt_i32 s17, 14
	s_mov_b64 s[12:13], -1
	s_cbranch_scc0 .LBB119_818
; %bb.815:
	s_cmp_eq_u32 s17, 15
	s_mov_b64 s[0:1], -1
	s_cbranch_scc0 .LBB119_817
; %bb.816:
	v_cndmask_b32_e64 v2, 0, 1.0, s[8:9]
	s_waitcnt vmcnt(0)
	v_bfe_u32 v3, v2, 16, 1
	s_movk_i32 s0, 0x7fff
	v_add3_u32 v2, v2, v3, s0
	global_store_short_d16_hi v[0:1], v2, off
	s_mov_b64 s[10:11], -1
	s_mov_b64 s[0:1], 0
.LBB119_817:
	s_mov_b64 s[12:13], 0
.LBB119_818:
	s_and_b64 vcc, exec, s[12:13]
	s_cbranch_vccz .LBB119_821
; %bb.819:
	s_cmp_eq_u32 s17, 11
	s_mov_b64 s[0:1], -1
	s_cbranch_scc0 .LBB119_821
; %bb.820:
	v_cndmask_b32_e64 v2, 0, 1, s[8:9]
	s_mov_b64 s[10:11], -1
	s_mov_b64 s[0:1], 0
	global_store_byte v[0:1], v2, off
.LBB119_821:
	s_mov_b64 s[12:13], 0
.LBB119_822:
	s_and_b64 vcc, exec, s[12:13]
	s_cbranch_vccz .LBB119_861
; %bb.823:
	s_and_b32 s12, 0xffff, s16
	s_cmp_lt_i32 s12, 5
	s_mov_b64 s[10:11], -1
	s_cbranch_scc1 .LBB119_844
; %bb.824:
	s_cmp_lt_i32 s12, 8
	s_cbranch_scc1 .LBB119_834
; %bb.825:
	s_cmp_lt_i32 s12, 9
	s_cbranch_scc1 .LBB119_831
; %bb.826:
	s_cmp_gt_i32 s12, 9
	s_cbranch_scc0 .LBB119_828
; %bb.827:
	v_cndmask_b32_e64 v2, 0, 1, s[8:9]
	s_waitcnt vmcnt(0)
	v_cvt_f64_u32_e32 v[2:3], v2
	v_mov_b32_e32 v4, 0
	v_mov_b32_e32 v5, v4
	s_mov_b64 s[10:11], 0
	global_store_dwordx4 v[0:1], v[2:5], off
.LBB119_828:
	s_andn2_b64 vcc, exec, s[10:11]
	s_cbranch_vccnz .LBB119_830
; %bb.829:
	v_cndmask_b32_e64 v2, 0, 1.0, s[8:9]
	s_waitcnt vmcnt(0)
	v_mov_b32_e32 v3, 0
	global_store_dwordx2 v[0:1], v[2:3], off
.LBB119_830:
	s_mov_b64 s[10:11], 0
.LBB119_831:
	s_andn2_b64 vcc, exec, s[10:11]
	s_cbranch_vccnz .LBB119_833
; %bb.832:
	v_cndmask_b32_e64 v2, 0, 1.0, s[8:9]
	v_cvt_f16_f32_e32 v2, v2
	global_store_dword v[0:1], v2, off
.LBB119_833:
	s_mov_b64 s[10:11], 0
.LBB119_834:
	s_andn2_b64 vcc, exec, s[10:11]
	s_cbranch_vccnz .LBB119_843
; %bb.835:
	s_cmp_lt_i32 s12, 6
	s_mov_b64 s[10:11], -1
	s_cbranch_scc1 .LBB119_841
; %bb.836:
	s_cmp_gt_i32 s12, 6
	s_cbranch_scc0 .LBB119_838
; %bb.837:
	v_cndmask_b32_e64 v2, 0, 1, s[8:9]
	s_waitcnt vmcnt(0)
	v_cvt_f64_u32_e32 v[2:3], v2
	s_mov_b64 s[10:11], 0
	global_store_dwordx2 v[0:1], v[2:3], off
.LBB119_838:
	s_andn2_b64 vcc, exec, s[10:11]
	s_cbranch_vccnz .LBB119_840
; %bb.839:
	v_cndmask_b32_e64 v2, 0, 1.0, s[8:9]
	global_store_dword v[0:1], v2, off
.LBB119_840:
	s_mov_b64 s[10:11], 0
.LBB119_841:
	s_andn2_b64 vcc, exec, s[10:11]
	s_cbranch_vccnz .LBB119_843
; %bb.842:
	v_cndmask_b32_e64 v2, 0, 1.0, s[8:9]
	v_cvt_f16_f32_e32 v2, v2
	global_store_short v[0:1], v2, off
.LBB119_843:
	s_mov_b64 s[10:11], 0
.LBB119_844:
	s_andn2_b64 vcc, exec, s[10:11]
	s_cbranch_vccnz .LBB119_860
; %bb.845:
	s_cmp_lt_i32 s12, 2
	s_mov_b64 s[10:11], -1
	s_cbranch_scc1 .LBB119_855
; %bb.846:
	s_cmp_lt_i32 s12, 3
	s_cbranch_scc1 .LBB119_852
; %bb.847:
	s_cmp_gt_i32 s12, 3
	s_cbranch_scc0 .LBB119_849
; %bb.848:
	s_mov_b32 s10, 0
	v_cndmask_b32_e64 v2, 0, 1, s[8:9]
	s_waitcnt vmcnt(0)
	v_mov_b32_e32 v3, s10
	s_mov_b64 s[10:11], 0
	global_store_dwordx2 v[0:1], v[2:3], off
.LBB119_849:
	s_andn2_b64 vcc, exec, s[10:11]
	s_cbranch_vccnz .LBB119_851
; %bb.850:
	v_cndmask_b32_e64 v2, 0, 1, s[8:9]
	global_store_dword v[0:1], v2, off
.LBB119_851:
	s_mov_b64 s[10:11], 0
.LBB119_852:
	s_andn2_b64 vcc, exec, s[10:11]
	s_cbranch_vccnz .LBB119_854
; %bb.853:
	v_cndmask_b32_e64 v2, 0, 1, s[8:9]
	global_store_short v[0:1], v2, off
.LBB119_854:
	s_mov_b64 s[10:11], 0
.LBB119_855:
	s_andn2_b64 vcc, exec, s[10:11]
	s_cbranch_vccnz .LBB119_860
; %bb.856:
	s_mov_b64 s[10:11], -1
	s_cmp_gt_i32 s12, 0
	v_cndmask_b32_e64 v2, 0, 1, s[8:9]
	s_cbranch_scc0 .LBB119_858
; %bb.857:
	s_mov_b64 s[10:11], 0
	global_store_byte v[0:1], v2, off
.LBB119_858:
	s_andn2_b64 vcc, exec, s[10:11]
	s_cbranch_vccnz .LBB119_860
; %bb.859:
	global_store_byte v[0:1], v2, off
.LBB119_860:
	s_mov_b64 s[10:11], -1
.LBB119_861:
	s_andn2_b64 vcc, exec, s[10:11]
	s_cbranch_vccnz .LBB119_863
; %bb.862:
	v_add_u32_e32 v8, 0x80, v8
	s_mov_b64 s[8:9], -1
	s_branch .LBB119_865
.LBB119_863:
	s_mov_b64 s[8:9], 0
.LBB119_864:
                                        ; implicit-def: $vgpr8
.LBB119_865:
	s_andn2_b64 s[10:11], s[62:63], exec
	s_and_b64 s[0:1], s[0:1], exec
	s_or_b64 s[70:71], s[10:11], s[0:1]
	s_andn2_b64 s[0:1], s[60:61], exec
	s_and_b64 s[2:3], s[2:3], exec
	s_or_b64 s[68:69], s[0:1], s[2:3]
	s_orn2_b64 s[2:3], s[8:9], exec
.LBB119_866:
	s_or_b64 exec, exec, s[66:67]
	s_mov_b64 s[0:1], 0
	s_mov_b64 s[8:9], 0
	s_mov_b64 s[10:11], 0
                                        ; implicit-def: $vgpr1_vgpr2
                                        ; implicit-def: $vgpr0
                                        ; implicit-def: $vgpr3
	s_and_saveexec_b64 s[66:67], s[2:3]
	s_cbranch_execz .LBB119_965
; %bb.867:
	v_cmp_gt_i32_e32 vcc, s72, v8
	s_mov_b64 s[2:3], 0
	s_mov_b64 s[12:13], s[68:69]
                                        ; implicit-def: $vgpr1_vgpr2
                                        ; implicit-def: $vgpr0
                                        ; implicit-def: $vgpr3
	s_and_saveexec_b64 s[72:73], vcc
	s_cbranch_execz .LBB119_964
; %bb.868:
	s_andn2_b64 vcc, exec, s[40:41]
	s_cbranch_vccnz .LBB119_873
; %bb.869:
	s_andn2_b64 vcc, exec, s[52:53]
	s_cbranch_vccnz .LBB119_874
; %bb.870:
	s_add_i32 s78, s77, 1
	s_cmp_eq_u32 s74, 2
	s_cbranch_scc1 .LBB119_875
; %bb.871:
	s_and_b32 s77, s78, 28
	v_mov_b32_e32 v2, 0
	s_mov_b32 s79, 0
	s_mov_b64 s[52:53], s[34:35]
	v_mov_b32_e32 v0, 0
	v_mov_b32_e32 v1, v8
.LBB119_872:                            ; =>This Inner Loop Header: Depth=1
	s_load_dwordx8 s[16:23], s[52:53], 0x4
	s_load_dwordx4 s[0:3], s[52:53], 0x24
	s_load_dwordx8 s[8:15], s[50:51], 0x0
	s_add_u32 s52, s52, 48
	s_addc_u32 s53, s53, 0
	s_waitcnt vmcnt(0) lgkmcnt(0)
	v_mul_hi_u32 v3, s17, v1
	s_add_i32 s79, s79, 4
	s_add_u32 s50, s50, 32
	s_addc_u32 s51, s51, 0
	v_add_u32_e32 v3, v1, v3
	v_lshrrev_b32_e32 v3, s18, v3
	v_mul_lo_u32 v4, v3, s16
	v_mul_hi_u32 v5, s20, v3
	s_cmp_eq_u32 s77, s79
	v_sub_u32_e32 v1, v1, v4
	v_add_u32_e32 v4, v3, v5
	v_mul_lo_u32 v5, v1, s8
	v_mul_lo_u32 v6, v1, s9
	v_lshrrev_b32_e32 v1, s21, v4
	v_mul_lo_u32 v4, v1, s19
	v_mul_hi_u32 v7, s23, v1
	v_sub_u32_e32 v3, v3, v4
	v_add_u32_e32 v4, v1, v7
	v_lshrrev_b32_e32 v4, s0, v4
	v_mul_hi_u32 v9, s2, v4
	v_mul_lo_u32 v10, v4, s22
	v_mul_lo_u32 v7, v3, s10
	;; [unrolled: 1-line block ×3, first 2 shown]
	v_sub_u32_e32 v10, v1, v10
	v_add_u32_e32 v1, v4, v9
	v_lshrrev_b32_e32 v1, s3, v1
	v_mul_lo_u32 v9, v1, s1
	v_mul_lo_u32 v11, v10, s12
	;; [unrolled: 1-line block ×3, first 2 shown]
	v_add3_u32 v0, v5, v0, v7
	v_sub_u32_e32 v4, v4, v9
	v_mul_lo_u32 v9, v4, s14
	v_mul_lo_u32 v4, v4, s15
	v_add3_u32 v2, v6, v2, v3
	v_add3_u32 v0, v11, v0, v9
	;; [unrolled: 1-line block ×3, first 2 shown]
	s_cbranch_scc0 .LBB119_872
	s_branch .LBB119_876
.LBB119_873:
	s_mov_b64 s[0:1], -1
                                        ; implicit-def: $vgpr0
                                        ; implicit-def: $vgpr2
	s_branch .LBB119_880
.LBB119_874:
	v_mov_b32_e32 v0, 0
	v_mov_b32_e32 v2, 0
	s_branch .LBB119_879
.LBB119_875:
	s_mov_b32 s77, 0
	v_mov_b32_e32 v0, 0
	v_mov_b32_e32 v2, 0
	;; [unrolled: 1-line block ×3, first 2 shown]
.LBB119_876:
	s_and_b32 s8, s78, 3
	s_cmp_eq_u32 s8, 0
	s_cbranch_scc1 .LBB119_879
; %bb.877:
	s_lshl_b32 s0, s77, 3
	s_add_u32 s0, s34, s0
	s_addc_u32 s1, s35, 0
	s_add_u32 s0, s0, 0xc4
	s_addc_u32 s1, s1, 0
	s_mul_i32 s2, s77, 12
	s_add_u32 s2, s34, s2
	s_addc_u32 s3, s35, 0
.LBB119_878:                            ; =>This Inner Loop Header: Depth=1
	s_load_dwordx2 s[10:11], s[2:3], 0x4
	s_load_dword s9, s[2:3], 0xc
	s_load_dwordx2 s[12:13], s[0:1], 0x0
	s_add_u32 s2, s2, 12
	s_addc_u32 s3, s3, 0
	s_waitcnt vmcnt(0) lgkmcnt(0)
	v_mul_hi_u32 v3, s11, v1
	s_add_u32 s0, s0, 8
	s_addc_u32 s1, s1, 0
	s_add_i32 s8, s8, -1
	v_add_u32_e32 v3, v1, v3
	v_lshrrev_b32_e32 v4, s9, v3
	v_mul_lo_u32 v3, v4, s10
	s_cmp_lg_u32 s8, 0
	v_sub_u32_e32 v3, v1, v3
	v_mad_u64_u32 v[0:1], s[10:11], v3, s12, v[0:1]
	v_mad_u64_u32 v[2:3], s[10:11], v3, s13, v[2:3]
	v_mov_b32_e32 v1, v4
	s_cbranch_scc1 .LBB119_878
.LBB119_879:
	s_mov_b64 s[0:1], 0
.LBB119_880:
	s_andn2_b64 vcc, exec, s[0:1]
	s_cbranch_vccnz .LBB119_883
; %bb.881:
	v_mul_hi_u32 v0, s29, v8
	s_andn2_b64 vcc, exec, s[48:49]
	v_add_u32_e32 v0, v8, v0
	v_lshrrev_b32_e32 v1, s30, v0
	v_mul_lo_u32 v0, v1, s28
	v_sub_u32_e32 v2, v8, v0
	v_mul_lo_u32 v0, v2, s36
	v_mul_lo_u32 v2, v2, s37
	s_cbranch_vccnz .LBB119_883
; %bb.882:
	s_waitcnt vmcnt(0)
	v_mul_hi_u32 v3, s46, v1
	v_add_u32_e32 v3, v1, v3
	v_lshrrev_b32_e32 v3, s47, v3
	v_mul_lo_u32 v3, v3, s31
	v_sub_u32_e32 v3, v1, v3
	v_mad_u64_u32 v[0:1], s[0:1], v3, s38, v[0:1]
	v_mad_u64_u32 v[2:3], s[0:1], v3, s39, v[2:3]
.LBB119_883:
	s_waitcnt vmcnt(0)
	v_mov_b32_e32 v3, s27
	s_and_b32 s14, 0xffff, s76
	v_add_co_u32_e32 v1, vcc, s26, v2
	s_cmp_lt_i32 s14, 11
	v_addc_co_u32_e32 v2, vcc, 0, v3, vcc
	s_cbranch_scc1 .LBB119_890
; %bb.884:
	s_cmp_gt_i32 s14, 25
	s_mov_b64 s[2:3], 0
	s_cbranch_scc0 .LBB119_891
; %bb.885:
	s_cmp_gt_i32 s14, 28
	s_cbranch_scc0 .LBB119_892
; %bb.886:
	s_cmp_gt_i32 s14, 43
	;; [unrolled: 3-line block ×3, first 2 shown]
	s_cbranch_scc0 .LBB119_896
; %bb.888:
	s_cmp_eq_u32 s14, 46
	s_mov_b64 s[10:11], 0
	s_cbranch_scc0 .LBB119_899
; %bb.889:
	global_load_dword v3, v[1:2], off
	s_mov_b64 s[0:1], 0
	s_mov_b64 s[8:9], -1
	s_waitcnt vmcnt(0)
	v_lshlrev_b32_e32 v3, 16, v3
	v_cvt_f16_f32_e32 v3, v3
	s_branch .LBB119_900
.LBB119_890:
	s_mov_b64 s[12:13], -1
	s_mov_b64 s[8:9], 0
	s_mov_b64 s[2:3], 0
	;; [unrolled: 1-line block ×3, first 2 shown]
                                        ; implicit-def: $vgpr3
	s_branch .LBB119_963
.LBB119_891:
	s_mov_b64 s[10:11], -1
	s_mov_b64 s[8:9], 0
	s_mov_b64 s[0:1], s[68:69]
                                        ; implicit-def: $vgpr3
	s_branch .LBB119_929
.LBB119_892:
	s_mov_b64 s[10:11], -1
	s_mov_b64 s[8:9], 0
	s_mov_b64 s[0:1], s[68:69]
                                        ; implicit-def: $vgpr3
	s_branch .LBB119_910
.LBB119_893:
	s_mov_b64 s[10:11], -1
	s_mov_b64 s[8:9], 0
	s_mov_b64 s[0:1], s[68:69]
                                        ; implicit-def: $vgpr3
	s_branch .LBB119_905
.LBB119_894:
	s_andn2_saveexec_b64 s[14:15], s[14:15]
	s_cbranch_execz .LBB119_774
.LBB119_895:
	v_add_f32_e32 v2, 0x46000000, v3
	v_and_b32_e32 v2, 0xff, v2
	v_cmp_ne_u32_e32 vcc, 0, v2
	s_andn2_b64 s[12:13], s[12:13], exec
	s_and_b64 s[18:19], vcc, exec
	s_or_b64 s[12:13], s[12:13], s[18:19]
	s_or_b64 exec, exec, s[14:15]
	v_mov_b32_e32 v4, 0
	s_and_saveexec_b64 s[14:15], s[12:13]
	s_cbranch_execnz .LBB119_775
	s_branch .LBB119_776
.LBB119_896:
	s_mov_b64 s[10:11], -1
	s_mov_b64 s[8:9], 0
	s_mov_b64 s[0:1], s[68:69]
                                        ; implicit-def: $vgpr3
	s_branch .LBB119_900
.LBB119_897:
	s_andn2_saveexec_b64 s[14:15], s[14:15]
	s_cbranch_execz .LBB119_787
.LBB119_898:
	v_add_f32_e32 v2, 0x42800000, v3
	v_and_b32_e32 v2, 0xff, v2
	v_cmp_ne_u32_e32 vcc, 0, v2
	s_andn2_b64 s[12:13], s[12:13], exec
	s_and_b64 s[18:19], vcc, exec
	s_or_b64 s[12:13], s[12:13], s[18:19]
	s_or_b64 exec, exec, s[14:15]
	v_mov_b32_e32 v4, 0
	s_and_saveexec_b64 s[14:15], s[12:13]
	s_cbranch_execnz .LBB119_788
	s_branch .LBB119_789
.LBB119_899:
	s_mov_b64 s[0:1], -1
                                        ; implicit-def: $vgpr3
	s_mov_b64 s[8:9], 0
.LBB119_900:
	s_and_b64 vcc, exec, s[10:11]
	s_cbranch_vccz .LBB119_904
; %bb.901:
	s_cmp_eq_u32 s14, 44
	s_cbranch_scc0 .LBB119_903
; %bb.902:
	global_load_ubyte v3, v[1:2], off
	s_movk_i32 s8, 0xff
	v_mov_b32_e32 v5, 0x7e00
	s_mov_b64 s[0:1], 0
	s_waitcnt vmcnt(0)
	v_lshlrev_b32_e32 v4, 23, v3
	v_cvt_f16_f32_e32 v4, v4
	v_cmp_ne_u32_e32 vcc, s8, v3
	s_mov_b64 s[8:9], -1
	v_cndmask_b32_e32 v4, v5, v4, vcc
	v_cmp_ne_u32_e32 vcc, 0, v3
	v_cndmask_b32_e32 v3, 0, v4, vcc
	s_branch .LBB119_904
.LBB119_903:
	s_mov_b64 s[0:1], -1
                                        ; implicit-def: $vgpr3
.LBB119_904:
	s_mov_b64 s[10:11], 0
.LBB119_905:
	s_and_b64 vcc, exec, s[10:11]
	s_cbranch_vccz .LBB119_909
; %bb.906:
	s_cmp_eq_u32 s14, 29
	s_cbranch_scc0 .LBB119_908
; %bb.907:
	global_load_dwordx2 v[3:4], v[1:2], off
	s_mov_b64 s[0:1], 0
	s_mov_b64 s[8:9], -1
	s_mov_b64 s[10:11], 0
	s_waitcnt vmcnt(0)
	v_ffbh_u32_e32 v5, v4
	v_min_u32_e32 v5, 32, v5
	v_lshlrev_b64 v[3:4], v5, v[3:4]
	v_min_u32_e32 v3, 1, v3
	v_or_b32_e32 v3, v4, v3
	v_cvt_f32_u32_e32 v3, v3
	v_sub_u32_e32 v4, 32, v5
	v_ldexp_f32 v3, v3, v4
	v_cvt_f16_f32_e32 v3, v3
	s_branch .LBB119_910
.LBB119_908:
	s_mov_b64 s[0:1], -1
                                        ; implicit-def: $vgpr3
.LBB119_909:
	s_mov_b64 s[10:11], 0
.LBB119_910:
	s_and_b64 vcc, exec, s[10:11]
	s_cbranch_vccz .LBB119_928
; %bb.911:
	s_cmp_lt_i32 s14, 27
	s_cbranch_scc1 .LBB119_914
; %bb.912:
	s_cmp_gt_i32 s14, 27
	s_cbranch_scc0 .LBB119_915
; %bb.913:
	global_load_dword v3, v[1:2], off
	s_mov_b64 s[8:9], 0
	s_waitcnt vmcnt(0)
	v_cvt_f32_u32_e32 v3, v3
	v_cvt_f16_f32_e32 v3, v3
	s_branch .LBB119_916
.LBB119_914:
	s_mov_b64 s[8:9], -1
                                        ; implicit-def: $vgpr3
	s_branch .LBB119_919
.LBB119_915:
	s_mov_b64 s[8:9], -1
                                        ; implicit-def: $vgpr3
.LBB119_916:
	s_andn2_b64 vcc, exec, s[8:9]
	s_cbranch_vccnz .LBB119_918
; %bb.917:
	global_load_ushort v3, v[1:2], off
	s_waitcnt vmcnt(0)
	v_cvt_f16_u16_e32 v3, v3
.LBB119_918:
	s_mov_b64 s[8:9], 0
.LBB119_919:
	s_andn2_b64 vcc, exec, s[8:9]
	s_cbranch_vccnz .LBB119_927
; %bb.920:
	global_load_ubyte v4, v[1:2], off
	s_movk_i32 s8, 0x7f
	s_waitcnt vmcnt(0)
	v_cmp_lt_i16_e32 vcc, s8, v4
	s_mov_b64 s[8:9], 0
	s_and_saveexec_b64 s[10:11], vcc
	s_xor_b64 s[10:11], exec, s[10:11]
	s_cbranch_execz .LBB119_941
; %bb.921:
	s_movk_i32 s8, 0x80
	v_cmp_eq_u16_e32 vcc, s8, v4
	s_mov_b64 s[8:9], -1
	s_and_saveexec_b64 s[12:13], vcc
; %bb.922:
	s_xor_b64 s[8:9], exec, -1
; %bb.923:
	s_or_b64 exec, exec, s[12:13]
	s_and_b64 s[8:9], s[8:9], exec
	s_or_saveexec_b64 s[10:11], s[10:11]
	v_mov_b32_e32 v3, 0x7e00
	s_xor_b64 exec, exec, s[10:11]
	s_cbranch_execnz .LBB119_942
.LBB119_924:
	s_or_b64 exec, exec, s[10:11]
	s_and_saveexec_b64 s[10:11], s[8:9]
	s_cbranch_execz .LBB119_926
.LBB119_925:
	v_lshlrev_b32_e32 v3, 24, v4
	v_and_b32_e32 v4, 0xffff, v4
	v_and_b32_e32 v5, 7, v4
	v_ffbh_u32_e32 v7, v5
	v_min_u32_e32 v7, 32, v7
	v_subrev_u32_e32 v8, 28, v7
	v_bfe_u32 v6, v4, 3, 4
	v_lshlrev_b32_e32 v4, v8, v4
	v_sub_u32_e32 v7, 29, v7
	v_and_b32_e32 v4, 7, v4
	v_cmp_eq_u32_e32 vcc, 0, v6
	v_cndmask_b32_e32 v6, v6, v7, vcc
	v_cndmask_b32_e32 v4, v5, v4, vcc
	v_mov_b32_e32 v5, 0x3b800000
	v_lshlrev_b32_e32 v4, 20, v4
	v_and_b32_e32 v3, 0x80000000, v3
	v_lshl_add_u32 v5, v6, 23, v5
	v_or3_b32 v3, v3, v5, v4
	v_cvt_f16_f32_e32 v3, v3
.LBB119_926:
	s_or_b64 exec, exec, s[10:11]
.LBB119_927:
	s_mov_b64 s[8:9], -1
.LBB119_928:
	s_mov_b64 s[10:11], 0
.LBB119_929:
	s_and_b64 vcc, exec, s[10:11]
	s_cbranch_vccz .LBB119_962
; %bb.930:
	s_cmp_gt_i32 s14, 22
	s_cbranch_scc0 .LBB119_940
; %bb.931:
	s_cmp_lt_i32 s14, 24
	s_cbranch_scc1 .LBB119_943
; %bb.932:
	s_cmp_gt_i32 s14, 24
	s_cbranch_scc0 .LBB119_944
; %bb.933:
	global_load_ubyte v4, v[1:2], off
	s_movk_i32 s2, 0x7f
	s_waitcnt vmcnt(0)
	v_cmp_lt_i16_e32 vcc, s2, v4
	s_mov_b64 s[2:3], 0
	s_and_saveexec_b64 s[8:9], vcc
	s_xor_b64 s[8:9], exec, s[8:9]
	s_cbranch_execz .LBB119_956
; %bb.934:
	s_movk_i32 s2, 0x80
	v_cmp_eq_u16_e32 vcc, s2, v4
	s_mov_b64 s[2:3], -1
	s_and_saveexec_b64 s[10:11], vcc
; %bb.935:
	s_xor_b64 s[2:3], exec, -1
; %bb.936:
	s_or_b64 exec, exec, s[10:11]
	s_and_b64 s[2:3], s[2:3], exec
	s_or_saveexec_b64 s[8:9], s[8:9]
	v_mov_b32_e32 v3, 0x7e00
	s_xor_b64 exec, exec, s[8:9]
	s_cbranch_execnz .LBB119_957
.LBB119_937:
	s_or_b64 exec, exec, s[8:9]
	s_and_saveexec_b64 s[8:9], s[2:3]
	s_cbranch_execz .LBB119_939
.LBB119_938:
	v_lshlrev_b32_e32 v3, 24, v4
	v_and_b32_e32 v4, 0xffff, v4
	v_and_b32_e32 v5, 3, v4
	v_ffbh_u32_e32 v7, v5
	v_min_u32_e32 v7, 32, v7
	v_subrev_u32_e32 v8, 29, v7
	v_bfe_u32 v6, v4, 2, 5
	v_lshlrev_b32_e32 v4, v8, v4
	v_sub_u32_e32 v7, 30, v7
	v_and_b32_e32 v4, 3, v4
	v_cmp_eq_u32_e32 vcc, 0, v6
	v_cndmask_b32_e32 v6, v6, v7, vcc
	v_cndmask_b32_e32 v4, v5, v4, vcc
	v_mov_b32_e32 v5, 0x37800000
	v_lshlrev_b32_e32 v4, 21, v4
	v_and_b32_e32 v3, 0x80000000, v3
	v_lshl_add_u32 v5, v6, 23, v5
	v_or3_b32 v3, v3, v5, v4
	v_cvt_f16_f32_e32 v3, v3
.LBB119_939:
	s_or_b64 exec, exec, s[8:9]
	s_mov_b64 s[2:3], 0
	s_branch .LBB119_945
.LBB119_940:
	s_mov_b64 s[2:3], -1
                                        ; implicit-def: $vgpr3
	s_branch .LBB119_951
.LBB119_941:
	s_or_saveexec_b64 s[10:11], s[10:11]
	v_mov_b32_e32 v3, 0x7e00
	s_xor_b64 exec, exec, s[10:11]
	s_cbranch_execz .LBB119_924
.LBB119_942:
	v_cmp_ne_u16_e32 vcc, 0, v4
	s_andn2_b64 s[8:9], s[8:9], exec
	s_and_b64 s[12:13], vcc, exec
	s_or_b64 s[8:9], s[8:9], s[12:13]
	v_mov_b32_e32 v3, v4
	s_or_b64 exec, exec, s[10:11]
	s_and_saveexec_b64 s[10:11], s[8:9]
	s_cbranch_execnz .LBB119_925
	s_branch .LBB119_926
.LBB119_943:
	s_mov_b64 s[2:3], -1
                                        ; implicit-def: $vgpr3
	s_branch .LBB119_948
.LBB119_944:
	s_mov_b64 s[2:3], -1
                                        ; implicit-def: $vgpr3
.LBB119_945:
	s_and_b64 vcc, exec, s[2:3]
	s_cbranch_vccz .LBB119_947
; %bb.946:
	global_load_ubyte v3, v[1:2], off
	s_mov_b32 s2, 0x7f800000
	s_waitcnt vmcnt(0)
	v_lshlrev_b32_e32 v3, 24, v3
	v_and_b32_e32 v4, 0x7f000000, v3
	v_ffbh_u32_e32 v5, v4
	v_min_u32_e32 v5, 32, v5
	v_sub_u32_e64 v5, v5, 4 clamp
	v_lshlrev_b32_e32 v7, v5, v4
	v_lshlrev_b32_e32 v5, 23, v5
	v_lshrrev_b32_e32 v7, 4, v7
	v_add_u32_e32 v6, 0x1000000, v4
	v_sub_u32_e32 v5, v7, v5
	v_ashrrev_i32_e32 v6, 8, v6
	v_add_u32_e32 v5, 0x3c000000, v5
	v_and_or_b32 v5, v6, s2, v5
	v_cmp_ne_u32_e32 vcc, 0, v4
	v_cndmask_b32_e32 v4, 0, v5, vcc
	s_brev_b32 s2, 1
	v_and_or_b32 v3, v3, s2, v4
	v_cvt_f16_f32_e32 v3, v3
.LBB119_947:
	s_mov_b64 s[2:3], 0
.LBB119_948:
	s_andn2_b64 vcc, exec, s[2:3]
	s_cbranch_vccnz .LBB119_950
; %bb.949:
	global_load_ubyte v3, v[1:2], off
	s_movk_i32 s2, 0x7f00
	s_brev_b32 s3, 16
	s_waitcnt vmcnt(0)
	v_lshlrev_b16_e32 v4, 8, v3
	v_lshlrev_b32_e32 v3, 25, v3
	v_lshrrev_b32_e32 v5, 4, v3
	v_and_or_b32 v6, v4, s2, 0.5
	v_or_b32_e32 v5, 0x70000000, v5
	v_add_f32_e32 v6, -0.5, v6
	v_mul_f32_e32 v5, 0x7800000, v5
	v_cmp_gt_u32_e32 vcc, s3, v3
	v_bfe_i32 v4, v4, 0, 16
	v_cndmask_b32_e32 v3, v5, v6, vcc
	s_brev_b32 s2, 1
	v_and_or_b32 v3, v4, s2, v3
	v_cvt_f16_f32_e32 v3, v3
.LBB119_950:
	s_mov_b64 s[2:3], 0
	s_mov_b64 s[8:9], -1
.LBB119_951:
	s_andn2_b64 vcc, exec, s[2:3]
	s_mov_b64 s[2:3], 0
	s_cbranch_vccnz .LBB119_962
; %bb.952:
	s_cmp_gt_i32 s14, 14
	s_cbranch_scc0 .LBB119_955
; %bb.953:
	s_cmp_eq_u32 s14, 15
	s_cbranch_scc0 .LBB119_958
; %bb.954:
	global_load_ushort v3, v[1:2], off
	s_mov_b64 s[0:1], 0
	s_mov_b64 s[8:9], -1
	s_waitcnt vmcnt(0)
	v_lshlrev_b32_e32 v3, 16, v3
	v_cvt_f16_f32_e32 v3, v3
	s_branch .LBB119_959
.LBB119_955:
	s_mov_b64 s[10:11], -1
                                        ; implicit-def: $vgpr3
	s_branch .LBB119_960
.LBB119_956:
	s_or_saveexec_b64 s[8:9], s[8:9]
	v_mov_b32_e32 v3, 0x7e00
	s_xor_b64 exec, exec, s[8:9]
	s_cbranch_execz .LBB119_937
.LBB119_957:
	v_cmp_ne_u16_e32 vcc, 0, v4
	s_andn2_b64 s[2:3], s[2:3], exec
	s_and_b64 s[10:11], vcc, exec
	s_or_b64 s[2:3], s[2:3], s[10:11]
	v_mov_b32_e32 v3, v4
	s_or_b64 exec, exec, s[8:9]
	s_and_saveexec_b64 s[8:9], s[2:3]
	s_cbranch_execnz .LBB119_938
	s_branch .LBB119_939
.LBB119_958:
	s_mov_b64 s[0:1], -1
                                        ; implicit-def: $vgpr3
.LBB119_959:
	s_mov_b64 s[10:11], 0
.LBB119_960:
	s_and_b64 vcc, exec, s[10:11]
	s_cbranch_vccz .LBB119_962
; %bb.961:
	s_cmp_lg_u32 s14, 11
	s_cselect_b64 s[10:11], -1, 0
	s_andn2_b64 s[0:1], s[0:1], exec
	s_and_b64 s[10:11], s[10:11], exec
	s_mov_b64 s[2:3], -1
	s_or_b64 s[0:1], s[0:1], s[10:11]
.LBB119_962:
	s_mov_b64 s[12:13], 0
.LBB119_963:
	s_and_b64 s[10:11], s[8:9], exec
	s_and_b64 s[8:9], s[12:13], exec
	s_andn2_b64 s[12:13], s[68:69], exec
	s_and_b64 s[0:1], s[0:1], exec
	s_and_b64 s[2:3], s[2:3], exec
	s_or_b64 s[12:13], s[12:13], s[0:1]
.LBB119_964:
	s_or_b64 exec, exec, s[72:73]
	s_and_b64 s[0:1], s[2:3], exec
	s_andn2_b64 s[2:3], s[68:69], exec
	s_and_b64 s[12:13], s[12:13], exec
	s_and_b64 s[10:11], s[10:11], exec
	;; [unrolled: 1-line block ×3, first 2 shown]
	s_or_b64 s[68:69], s[2:3], s[12:13]
.LBB119_965:
	s_or_b64 exec, exec, s[66:67]
	s_andn2_b64 s[2:3], s[62:63], exec
	s_and_b64 s[12:13], s[70:71], exec
	s_or_b64 s[62:63], s[2:3], s[12:13]
	s_and_b64 s[2:3], s[0:1], exec
	s_andn2_b64 s[0:1], s[60:61], exec
	s_and_b64 s[12:13], s[68:69], exec
	s_and_b64 s[10:11], s[10:11], exec
	;; [unrolled: 1-line block ×3, first 2 shown]
	s_or_b64 s[60:61], s[0:1], s[12:13]
.LBB119_966:
	s_or_b64 exec, exec, s[64:65]
	s_andn2_b64 s[0:1], s[54:55], exec
	s_and_b64 s[12:13], s[62:63], exec
	s_or_b64 s[54:55], s[0:1], s[12:13]
	s_and_b64 s[0:1], s[10:11], exec
	s_and_b64 s[10:11], s[8:9], exec
	;; [unrolled: 1-line block ×3, first 2 shown]
	s_andn2_b64 s[2:3], s[56:57], exec
	s_and_b64 s[8:9], s[60:61], exec
	s_or_b64 s[56:57], s[2:3], s[8:9]
	s_or_b64 exec, exec, s[58:59]
	s_mov_b64 s[2:3], 0
	s_and_saveexec_b64 s[8:9], s[56:57]
	s_cbranch_execz .LBB119_290
.LBB119_967:
	s_mov_b64 s[2:3], exec
	s_andn2_b64 s[62:63], s[62:63], exec
	s_trap 2
	s_or_b64 exec, exec, s[8:9]
	s_and_saveexec_b64 s[8:9], s[62:63]
	s_xor_b64 s[8:9], exec, s[8:9]
	s_cbranch_execnz .LBB119_291
.LBB119_968:
	s_or_b64 exec, exec, s[8:9]
	s_and_saveexec_b64 s[8:9], s[10:11]
	s_cbranch_execz .LBB119_1014
.LBB119_969:
	s_sext_i32_i16 s10, s76
	s_cmp_lt_i32 s10, 5
	s_cbranch_scc1 .LBB119_974
; %bb.970:
	s_cmp_lt_i32 s10, 8
	s_cbranch_scc1 .LBB119_975
; %bb.971:
	s_cmp_lt_i32 s10, 9
	s_cbranch_scc1 .LBB119_976
; %bb.972:
	s_cmp_gt_i32 s10, 9
	s_cbranch_scc0 .LBB119_977
; %bb.973:
	global_load_dwordx2 v[3:4], v[1:2], off
	s_movk_i32 s10, 0x1ff
	s_movk_i32 s11, 0xffe
	v_mov_b32_e32 v5, 0x7c00
	v_mov_b32_e32 v6, 0x7e00
	s_movk_i32 s12, 0x40f
	s_mov_b32 s13, 0x8000
	s_waitcnt vmcnt(0)
	v_and_or_b32 v3, v4, s10, v3
	v_cmp_ne_u32_e32 vcc, 0, v3
	v_lshrrev_b32_e32 v7, 8, v4
	v_bfe_u32 v8, v4, 20, 11
	v_cndmask_b32_e64 v3, 0, 1, vcc
	v_sub_u32_e32 v9, 0x3f1, v8
	v_and_or_b32 v3, v7, s11, v3
	v_add_u32_e32 v8, 0xfffffc10, v8
	v_med3_i32 v7, v9, 0, 13
	v_or_b32_e32 v9, 0x1000, v3
	v_cmp_ne_u32_e32 vcc, 0, v3
	v_lshl_or_b32 v10, v8, 12, v3
	v_cndmask_b32_e32 v3, v5, v6, vcc
	v_lshrrev_b32_e32 v6, v7, v9
	v_lshlrev_b32_e32 v7, v7, v6
	v_cmp_ne_u32_e32 vcc, v7, v9
	v_cndmask_b32_e64 v7, 0, 1, vcc
	v_or_b32_e32 v6, v6, v7
	v_cmp_gt_i32_e32 vcc, 1, v8
	v_cndmask_b32_e32 v6, v10, v6, vcc
	v_and_b32_e32 v7, 7, v6
	v_cmp_lt_i32_e32 vcc, 5, v7
	v_cndmask_b32_e64 v9, 0, 1, vcc
	v_cmp_eq_u32_e32 vcc, 3, v7
	v_cndmask_b32_e64 v7, 0, 1, vcc
	v_lshrrev_b32_e32 v6, 2, v6
	v_or_b32_e32 v7, v7, v9
	v_add_u32_e32 v6, v6, v7
	v_cmp_gt_i32_e32 vcc, 31, v8
	v_cndmask_b32_e32 v5, v5, v6, vcc
	v_cmp_eq_u32_e32 vcc, s12, v8
	v_lshrrev_b32_e32 v4, 16, v4
	v_cndmask_b32_e32 v3, v5, v3, vcc
	v_and_or_b32 v3, v4, s13, v3
	s_mov_b64 s[10:11], 0
	s_branch .LBB119_978
.LBB119_974:
                                        ; implicit-def: $vgpr3
	s_branch .LBB119_995
.LBB119_975:
                                        ; implicit-def: $vgpr3
	s_branch .LBB119_984
.LBB119_976:
	s_mov_b64 s[10:11], -1
                                        ; implicit-def: $vgpr3
	s_branch .LBB119_981
.LBB119_977:
	s_mov_b64 s[10:11], -1
                                        ; implicit-def: $vgpr3
.LBB119_978:
	s_andn2_b64 vcc, exec, s[10:11]
	s_cbranch_vccnz .LBB119_980
; %bb.979:
	global_load_dword v3, v[1:2], off
	s_waitcnt vmcnt(0)
	v_cvt_f16_f32_e32 v3, v3
.LBB119_980:
	s_mov_b64 s[10:11], 0
.LBB119_981:
	s_andn2_b64 vcc, exec, s[10:11]
	s_cbranch_vccnz .LBB119_983
; %bb.982:
	global_load_dword v3, v[1:2], off
.LBB119_983:
	s_cbranch_execnz .LBB119_994
.LBB119_984:
	s_sext_i32_i16 s10, s76
	s_cmp_lt_i32 s10, 6
	s_cbranch_scc1 .LBB119_987
; %bb.985:
	s_cmp_gt_i32 s10, 6
	s_cbranch_scc0 .LBB119_988
; %bb.986:
	global_load_dwordx2 v[3:4], v[1:2], off
	s_movk_i32 s10, 0x1ff
	s_movk_i32 s11, 0xffe
	v_mov_b32_e32 v5, 0x7c00
	v_mov_b32_e32 v6, 0x7e00
	s_movk_i32 s12, 0x40f
	s_mov_b32 s13, 0x8000
	s_waitcnt vmcnt(0)
	v_and_or_b32 v3, v4, s10, v3
	v_cmp_ne_u32_e32 vcc, 0, v3
	v_lshrrev_b32_e32 v7, 8, v4
	v_bfe_u32 v8, v4, 20, 11
	v_cndmask_b32_e64 v3, 0, 1, vcc
	v_sub_u32_e32 v9, 0x3f1, v8
	v_and_or_b32 v3, v7, s11, v3
	v_add_u32_e32 v8, 0xfffffc10, v8
	v_med3_i32 v7, v9, 0, 13
	v_or_b32_e32 v9, 0x1000, v3
	v_cmp_ne_u32_e32 vcc, 0, v3
	v_lshl_or_b32 v10, v8, 12, v3
	v_cndmask_b32_e32 v3, v5, v6, vcc
	v_lshrrev_b32_e32 v6, v7, v9
	v_lshlrev_b32_e32 v7, v7, v6
	v_cmp_ne_u32_e32 vcc, v7, v9
	v_cndmask_b32_e64 v7, 0, 1, vcc
	v_or_b32_e32 v6, v6, v7
	v_cmp_gt_i32_e32 vcc, 1, v8
	v_cndmask_b32_e32 v6, v10, v6, vcc
	v_and_b32_e32 v7, 7, v6
	v_cmp_lt_i32_e32 vcc, 5, v7
	v_cndmask_b32_e64 v9, 0, 1, vcc
	v_cmp_eq_u32_e32 vcc, 3, v7
	v_cndmask_b32_e64 v7, 0, 1, vcc
	v_lshrrev_b32_e32 v6, 2, v6
	v_or_b32_e32 v7, v7, v9
	v_add_u32_e32 v6, v6, v7
	v_cmp_gt_i32_e32 vcc, 31, v8
	v_cndmask_b32_e32 v5, v5, v6, vcc
	v_cmp_eq_u32_e32 vcc, s12, v8
	v_lshrrev_b32_e32 v4, 16, v4
	v_cndmask_b32_e32 v3, v5, v3, vcc
	v_and_or_b32 v3, v4, s13, v3
	s_mov_b64 s[10:11], 0
	s_branch .LBB119_989
.LBB119_987:
	s_mov_b64 s[10:11], -1
                                        ; implicit-def: $vgpr3
	s_branch .LBB119_992
.LBB119_988:
	s_mov_b64 s[10:11], -1
                                        ; implicit-def: $vgpr3
.LBB119_989:
	s_andn2_b64 vcc, exec, s[10:11]
	s_cbranch_vccnz .LBB119_991
; %bb.990:
	global_load_dword v3, v[1:2], off
	s_waitcnt vmcnt(0)
	v_cvt_f16_f32_e32 v3, v3
.LBB119_991:
	s_mov_b64 s[10:11], 0
.LBB119_992:
	s_andn2_b64 vcc, exec, s[10:11]
	s_cbranch_vccnz .LBB119_994
; %bb.993:
	global_load_ushort v3, v[1:2], off
.LBB119_994:
	s_cbranch_execnz .LBB119_1013
.LBB119_995:
	s_sext_i32_i16 s10, s76
	s_cmp_lt_i32 s10, 2
	s_cbranch_scc1 .LBB119_999
; %bb.996:
	s_cmp_lt_i32 s10, 3
	s_cbranch_scc1 .LBB119_1000
; %bb.997:
	s_cmp_gt_i32 s10, 3
	s_cbranch_scc0 .LBB119_1001
; %bb.998:
	global_load_dwordx2 v[3:4], v[1:2], off
	s_mov_b64 s[10:11], 0
	s_waitcnt vmcnt(0)
	v_xor_b32_e32 v6, v3, v4
	v_ffbh_i32_e32 v5, v4
	v_ashrrev_i32_e32 v6, 31, v6
	v_add_u32_e32 v5, -1, v5
	v_add_u32_e32 v6, 32, v6
	v_min_u32_e32 v5, v5, v6
	v_lshlrev_b64 v[3:4], v5, v[3:4]
	v_min_u32_e32 v3, 1, v3
	v_or_b32_e32 v3, v4, v3
	v_cvt_f32_i32_e32 v3, v3
	v_sub_u32_e32 v4, 32, v5
	v_ldexp_f32 v3, v3, v4
	v_cvt_f16_f32_e32 v3, v3
	s_branch .LBB119_1002
.LBB119_999:
                                        ; implicit-def: $vgpr3
	s_branch .LBB119_1008
.LBB119_1000:
	s_mov_b64 s[10:11], -1
                                        ; implicit-def: $vgpr3
	s_branch .LBB119_1005
.LBB119_1001:
	s_mov_b64 s[10:11], -1
                                        ; implicit-def: $vgpr3
.LBB119_1002:
	s_andn2_b64 vcc, exec, s[10:11]
	s_cbranch_vccnz .LBB119_1004
; %bb.1003:
	global_load_dword v3, v[1:2], off
	s_waitcnt vmcnt(0)
	v_cvt_f32_i32_e32 v3, v3
	v_cvt_f16_f32_e32 v3, v3
.LBB119_1004:
	s_mov_b64 s[10:11], 0
.LBB119_1005:
	s_andn2_b64 vcc, exec, s[10:11]
	s_cbranch_vccnz .LBB119_1007
; %bb.1006:
	global_load_ushort v3, v[1:2], off
	s_waitcnt vmcnt(0)
	v_cvt_f16_i16_e32 v3, v3
.LBB119_1007:
	s_cbranch_execnz .LBB119_1013
.LBB119_1008:
	s_sext_i32_i16 s10, s76
	s_cmp_gt_i32 s10, 0
	s_cbranch_scc0 .LBB119_1010
; %bb.1009:
	global_load_sbyte v3, v[1:2], off
	s_mov_b64 s[10:11], 0
	s_waitcnt vmcnt(0)
	v_cvt_f16_i16_e32 v3, v3
	s_branch .LBB119_1011
.LBB119_1010:
	s_mov_b64 s[10:11], -1
                                        ; implicit-def: $vgpr3
.LBB119_1011:
	s_andn2_b64 vcc, exec, s[10:11]
	s_cbranch_vccnz .LBB119_1013
; %bb.1012:
	global_load_ubyte v1, v[1:2], off
	s_waitcnt vmcnt(0)
	v_cvt_f16_u16_e32 v3, v1
.LBB119_1013:
	s_or_b64 s[0:1], s[0:1], exec
.LBB119_1014:
	s_or_b64 exec, exec, s[8:9]
	s_mov_b64 s[14:15], 0
	s_mov_b64 s[12:13], 0
                                        ; implicit-def: $sgpr8_sgpr9
                                        ; implicit-def: $sgpr20
                                        ; implicit-def: $vgpr1_vgpr2
	s_and_saveexec_b64 s[10:11], s[0:1]
	s_cbranch_execz .LBB119_1019
; %bb.1015:
	s_cmp_lt_i32 s44, 1
	s_mov_b64 s[0:1], 0
	s_cbranch_scc1 .LBB119_1022
; %bb.1016:
	s_cmp_gt_i32 s44, 1
	s_cbranch_scc0 .LBB119_1023
; %bb.1017:
	s_cmp_eq_u32 s44, 2
	s_cbranch_scc0 .LBB119_1024
; %bb.1018:
	s_waitcnt vmcnt(0)
	v_cmp_ge_f16_e64 s[8:9], s45, v3
	s_branch .LBB119_1026
.LBB119_1019:
	s_or_b64 exec, exec, s[10:11]
	s_and_saveexec_b64 s[0:1], s[54:55]
	s_cbranch_execnz .LBB119_1111
.LBB119_1020:
	s_or_b64 exec, exec, s[0:1]
	s_and_saveexec_b64 s[0:1], s[14:15]
	s_xor_b64 s[0:1], exec, s[0:1]
	s_cbranch_execz .LBB119_1112
.LBB119_1021:
	v_cndmask_b32_e64 v0, 0, 1, s[8:9]
	global_store_byte v[1:2], v0, off
	s_or_b64 exec, exec, s[0:1]
	s_and_saveexec_b64 s[0:1], s[12:13]
	s_xor_b64 s[0:1], exec, s[0:1]
	s_cbranch_execz .LBB119_1150
	s_branch .LBB119_1113
.LBB119_1022:
                                        ; implicit-def: $sgpr8_sgpr9
	s_cbranch_execnz .LBB119_1029
	s_branch .LBB119_1030
.LBB119_1023:
	s_mov_b64 s[14:15], -1
	s_branch .LBB119_1025
.LBB119_1024:
	s_mov_b64 s[12:13], -1
.LBB119_1025:
                                        ; implicit-def: $sgpr8_sgpr9
.LBB119_1026:
	s_and_b64 vcc, exec, s[14:15]
	s_cbranch_vccz .LBB119_1028
; %bb.1027:
	s_waitcnt vmcnt(0)
	v_cmp_lt_f16_e32 vcc, s45, v3
	s_andn2_b64 s[8:9], s[8:9], exec
	s_and_b64 s[14:15], vcc, exec
	s_or_b64 s[8:9], s[8:9], s[14:15]
.LBB119_1028:
	s_branch .LBB119_1030
.LBB119_1029:
	s_cmp_lg_u32 s44, 0
	s_mov_b64 s[0:1], -1
	s_cselect_b64 s[12:13], -1, 0
.LBB119_1030:
	s_andn2_b64 vcc, exec, s[12:13]
	s_cbranch_vccnz .LBB119_1032
; %bb.1031:
	s_waitcnt vmcnt(0)
	v_cmp_gt_f16_e32 vcc, s45, v3
	s_andn2_b64 s[8:9], s[8:9], exec
	s_and_b64 s[12:13], vcc, exec
	s_or_b64 s[8:9], s[8:9], s[12:13]
	s_cbranch_execz .LBB119_1033
	s_branch .LBB119_1034
.LBB119_1032:
	s_andn2_b64 vcc, exec, s[0:1]
	s_cbranch_vccnz .LBB119_1034
.LBB119_1033:
	s_waitcnt vmcnt(0)
	v_cmp_le_f16_e32 vcc, s45, v3
	s_andn2_b64 s[0:1], s[8:9], exec
	s_and_b64 s[8:9], vcc, exec
	s_or_b64 s[8:9], s[0:1], s[8:9]
.LBB119_1034:
	v_mov_b32_e32 v2, s25
	s_and_b32 s20, s75, 0xff
	v_add_co_u32_e32 v1, vcc, s24, v0
	s_cmp_lt_i32 s20, 11
	v_addc_co_u32_e32 v2, vcc, 0, v2, vcc
	s_cbranch_scc1 .LBB119_1108
; %bb.1035:
	s_and_b32 s21, 0xffff, s20
	s_mov_b64 s[14:15], -1
	s_cmp_gt_i32 s21, 25
	s_mov_b64 s[0:1], s[54:55]
	s_cbranch_scc0 .LBB119_1068
; %bb.1036:
	s_mov_b64 s[12:13], -1
	s_cmp_gt_i32 s21, 28
	s_mov_b64 s[0:1], s[54:55]
	s_cbranch_scc0 .LBB119_1052
; %bb.1037:
	s_cmp_gt_i32 s21, 43
	s_mov_b64 s[0:1], s[54:55]
	s_cbranch_scc0 .LBB119_1048
; %bb.1038:
	;; [unrolled: 4-line block ×3, first 2 shown]
	s_cmp_eq_u32 s21, 46
	s_mov_b64 s[0:1], -1
	s_cbranch_scc0 .LBB119_1041
; %bb.1040:
	v_cndmask_b32_e64 v0, 0, 1.0, s[8:9]
	s_waitcnt vmcnt(0)
	v_bfe_u32 v3, v0, 16, 1
	s_movk_i32 s0, 0x7fff
	v_add3_u32 v0, v0, v3, s0
	v_lshrrev_b32_e32 v0, 16, v0
	global_store_dword v[1:2], v0, off
	s_mov_b64 s[0:1], 0
.LBB119_1041:
	s_mov_b64 s[12:13], 0
.LBB119_1042:
	s_and_b64 vcc, exec, s[12:13]
	s_cbranch_vccz .LBB119_1047
; %bb.1043:
	s_cmp_eq_u32 s21, 44
	s_mov_b64 s[0:1], -1
	s_cbranch_scc0 .LBB119_1047
; %bb.1044:
	s_waitcnt vmcnt(0)
	v_cndmask_b32_e64 v3, 0, 1.0, s[8:9]
	v_lshrrev_b32_e32 v0, 23, v3
	s_movk_i32 s0, 0xff
	v_cmp_ne_u32_e32 vcc, s0, v0
	v_mov_b32_e32 v4, 0xff
	s_and_saveexec_b64 s[12:13], vcc
; %bb.1045:
	s_mov_b32 s0, 0x3fffff
	v_and_b32_e32 v4, 0x400000, v3
	v_and_or_b32 v3, v3, s0, v0
	v_cmp_ne_u32_e32 vcc, 0, v4
	v_cmp_ne_u32_e64 s[0:1], 0, v3
	s_and_b64 s[0:1], vcc, s[0:1]
	v_cndmask_b32_e64 v3, 0, 1, s[0:1]
	v_add_u32_e32 v4, v0, v3
; %bb.1046:
	s_or_b64 exec, exec, s[12:13]
	s_mov_b64 s[0:1], 0
	global_store_byte v[1:2], v4, off
.LBB119_1047:
	s_mov_b64 s[12:13], 0
.LBB119_1048:
	s_and_b64 vcc, exec, s[12:13]
	s_cbranch_vccz .LBB119_1051
; %bb.1049:
	s_cmp_eq_u32 s21, 29
	s_mov_b64 s[0:1], -1
	s_cbranch_scc0 .LBB119_1051
; %bb.1050:
	s_mov_b32 s0, 0
	s_waitcnt vmcnt(0)
	v_cndmask_b32_e64 v3, 0, 1, s[8:9]
	v_mov_b32_e32 v4, s0
	global_store_dwordx2 v[1:2], v[3:4], off
	s_mov_b64 s[0:1], 0
.LBB119_1051:
	s_mov_b64 s[12:13], 0
.LBB119_1052:
	s_and_b64 vcc, exec, s[12:13]
	s_cbranch_vccz .LBB119_1067
; %bb.1053:
	s_cmp_lt_i32 s21, 27
	s_mov_b64 s[12:13], -1
	s_cbranch_scc1 .LBB119_1059
; %bb.1054:
	s_cmp_gt_i32 s21, 27
	s_cbranch_scc0 .LBB119_1056
; %bb.1055:
	v_cndmask_b32_e64 v0, 0, 1, s[8:9]
	s_mov_b64 s[12:13], 0
	global_store_dword v[1:2], v0, off
.LBB119_1056:
	s_andn2_b64 vcc, exec, s[12:13]
	s_cbranch_vccnz .LBB119_1058
; %bb.1057:
	v_cndmask_b32_e64 v0, 0, 1, s[8:9]
	global_store_short v[1:2], v0, off
.LBB119_1058:
	s_mov_b64 s[12:13], 0
.LBB119_1059:
	s_andn2_b64 vcc, exec, s[12:13]
	s_cbranch_vccnz .LBB119_1067
; %bb.1060:
	s_waitcnt vmcnt(0)
	v_cndmask_b32_e64 v3, 0, 1.0, s[8:9]
	s_mov_b32 s12, 0x43800000
	v_cmp_gt_u32_e32 vcc, s12, v3
	v_mov_b32_e32 v4, 0x80
	s_and_saveexec_b64 s[12:13], vcc
	s_cbranch_execz .LBB119_1066
; %bb.1061:
	s_mov_b32 s14, 0x3bffffff
	v_cmp_lt_u32_e32 vcc, s14, v3
	s_mov_b64 s[14:15], 0
                                        ; implicit-def: $vgpr0
	s_and_saveexec_b64 s[16:17], vcc
	s_xor_b64 s[16:17], exec, s[16:17]
	s_cbranch_execz .LBB119_1221
; %bb.1062:
	v_bfe_u32 v0, v3, 20, 1
	s_mov_b32 s18, 0x487ffff
	v_add3_u32 v0, v3, v0, s18
	s_mov_b64 s[14:15], exec
	v_lshrrev_b32_e32 v0, 20, v0
                                        ; implicit-def: $vgpr3
	s_andn2_saveexec_b64 s[16:17], s[16:17]
	s_cbranch_execnz .LBB119_1222
.LBB119_1063:
	s_or_b64 exec, exec, s[16:17]
	v_mov_b32_e32 v4, 0
	s_and_saveexec_b64 s[16:17], s[14:15]
.LBB119_1064:
	v_mov_b32_e32 v4, v0
.LBB119_1065:
	s_or_b64 exec, exec, s[16:17]
.LBB119_1066:
	s_or_b64 exec, exec, s[12:13]
	global_store_byte v[1:2], v4, off
.LBB119_1067:
	s_mov_b64 s[14:15], 0
.LBB119_1068:
	s_mov_b64 s[12:13], 0
	s_and_b64 vcc, exec, s[14:15]
	s_cbranch_vccz .LBB119_1109
; %bb.1069:
	s_cmp_gt_i32 s21, 22
	s_mov_b64 s[14:15], -1
	s_cbranch_scc0 .LBB119_1101
; %bb.1070:
	s_cmp_lt_i32 s21, 24
	s_cbranch_scc1 .LBB119_1090
; %bb.1071:
	s_cmp_gt_i32 s21, 24
	s_cbranch_scc0 .LBB119_1079
; %bb.1072:
	s_waitcnt vmcnt(0)
	v_cndmask_b32_e64 v3, 0, 1.0, s[8:9]
	s_mov_b32 s14, 0x47800000
	v_cmp_gt_u32_e32 vcc, s14, v3
	v_mov_b32_e32 v4, 0x80
	s_and_saveexec_b64 s[14:15], vcc
	s_cbranch_execz .LBB119_1078
; %bb.1073:
	s_mov_b32 s16, 0x37ffffff
	v_cmp_lt_u32_e32 vcc, s16, v3
	s_mov_b64 s[16:17], 0
                                        ; implicit-def: $vgpr0
	s_and_saveexec_b64 s[18:19], vcc
	s_xor_b64 s[18:19], exec, s[18:19]
	s_cbranch_execz .LBB119_1361
; %bb.1074:
	v_bfe_u32 v0, v3, 21, 1
	s_mov_b32 s22, 0x88fffff
	v_add3_u32 v0, v3, v0, s22
	s_mov_b64 s[16:17], exec
	v_lshrrev_b32_e32 v0, 21, v0
                                        ; implicit-def: $vgpr3
	s_andn2_saveexec_b64 s[18:19], s[18:19]
	s_cbranch_execnz .LBB119_1362
.LBB119_1075:
	s_or_b64 exec, exec, s[18:19]
	v_mov_b32_e32 v4, 0
	s_and_saveexec_b64 s[18:19], s[16:17]
.LBB119_1076:
	v_mov_b32_e32 v4, v0
.LBB119_1077:
	s_or_b64 exec, exec, s[18:19]
.LBB119_1078:
	s_or_b64 exec, exec, s[14:15]
	s_mov_b64 s[14:15], 0
	global_store_byte v[1:2], v4, off
.LBB119_1079:
	s_and_b64 vcc, exec, s[14:15]
	s_cbranch_vccz .LBB119_1089
; %bb.1080:
	v_cndmask_b32_e64 v0, 0, 1.0, s[8:9]
	s_mov_b32 s14, 0x43f00000
	v_cmp_gt_u32_e32 vcc, s14, v0
                                        ; implicit-def: $vgpr3
	s_and_saveexec_b64 s[14:15], vcc
	s_xor_b64 s[14:15], exec, s[14:15]
	s_cbranch_execz .LBB119_1086
; %bb.1081:
	s_mov_b32 s16, 0x3c7fffff
	v_cmp_lt_u32_e32 vcc, s16, v0
                                        ; implicit-def: $vgpr3
	s_and_saveexec_b64 s[16:17], vcc
	s_xor_b64 s[16:17], exec, s[16:17]
	s_cbranch_execz .LBB119_1083
; %bb.1082:
	s_waitcnt vmcnt(0)
	v_bfe_u32 v3, v0, 20, 1
	s_mov_b32 s18, 0x407ffff
	v_add3_u32 v0, v0, v3, s18
	v_lshrrev_b32_e32 v3, 20, v0
	v_and_b32_e32 v0, 0xff00000, v0
	s_mov_b32 s18, 0x7f00000
	v_mov_b32_e32 v4, 0x7e
	v_cmp_ne_u32_e32 vcc, s18, v0
	v_cndmask_b32_e32 v3, v4, v3, vcc
                                        ; implicit-def: $vgpr0
.LBB119_1083:
	s_andn2_saveexec_b64 s[16:17], s[16:17]
	s_cbranch_execz .LBB119_1085
; %bb.1084:
	s_waitcnt vmcnt(0)
	v_add_f32_e32 v3, 0x46800000, v0
.LBB119_1085:
	s_or_b64 exec, exec, s[16:17]
                                        ; implicit-def: $vgpr0
.LBB119_1086:
	s_andn2_saveexec_b64 s[14:15], s[14:15]
	s_cbranch_execz .LBB119_1088
; %bb.1087:
	s_mov_b32 s16, 0x7f800000
	s_waitcnt vmcnt(0)
	v_mov_b32_e32 v3, 0x7e
	v_mov_b32_e32 v4, 0x7f
	v_cmp_lt_u32_e32 vcc, s16, v0
	v_cndmask_b32_e32 v3, v3, v4, vcc
.LBB119_1088:
	s_or_b64 exec, exec, s[14:15]
	s_waitcnt vmcnt(0)
	global_store_byte v[1:2], v3, off
.LBB119_1089:
	s_mov_b64 s[14:15], 0
.LBB119_1090:
	s_andn2_b64 vcc, exec, s[14:15]
	s_cbranch_vccnz .LBB119_1100
; %bb.1091:
	v_cndmask_b32_e64 v0, 0, 1.0, s[8:9]
	s_mov_b32 s14, 0x47800000
	v_cmp_gt_u32_e32 vcc, s14, v0
                                        ; implicit-def: $vgpr3
	s_and_saveexec_b64 s[14:15], vcc
	s_xor_b64 s[14:15], exec, s[14:15]
	s_cbranch_execz .LBB119_1097
; %bb.1092:
	s_mov_b32 s16, 0x387fffff
	v_cmp_lt_u32_e32 vcc, s16, v0
                                        ; implicit-def: $vgpr3
	s_and_saveexec_b64 s[16:17], vcc
	s_xor_b64 s[16:17], exec, s[16:17]
	s_cbranch_execz .LBB119_1094
; %bb.1093:
	s_waitcnt vmcnt(0)
	v_bfe_u32 v3, v0, 21, 1
	s_mov_b32 s18, 0x80fffff
	v_add3_u32 v0, v0, v3, s18
	v_lshrrev_b32_e32 v3, 21, v0
                                        ; implicit-def: $vgpr0
.LBB119_1094:
	s_andn2_saveexec_b64 s[16:17], s[16:17]
	s_cbranch_execz .LBB119_1096
; %bb.1095:
	s_waitcnt vmcnt(0)
	v_add_f32_e32 v3, 0x43000000, v0
.LBB119_1096:
	s_or_b64 exec, exec, s[16:17]
                                        ; implicit-def: $vgpr0
.LBB119_1097:
	s_andn2_saveexec_b64 s[14:15], s[14:15]
	s_cbranch_execz .LBB119_1099
; %bb.1098:
	s_mov_b32 s16, 0x7f800000
	s_waitcnt vmcnt(0)
	v_mov_b32_e32 v3, 0x7c
	v_mov_b32_e32 v4, 0x7f
	v_cmp_lt_u32_e32 vcc, s16, v0
	v_cndmask_b32_e32 v3, v3, v4, vcc
.LBB119_1099:
	s_or_b64 exec, exec, s[14:15]
	s_waitcnt vmcnt(0)
	global_store_byte v[1:2], v3, off
.LBB119_1100:
	s_mov_b64 s[14:15], 0
.LBB119_1101:
	s_andn2_b64 vcc, exec, s[14:15]
	s_mov_b64 s[14:15], 0
	s_cbranch_vccnz .LBB119_1110
; %bb.1102:
	s_cmp_gt_i32 s21, 14
	s_mov_b64 s[16:17], -1
	s_cbranch_scc0 .LBB119_1106
; %bb.1103:
	s_cmp_eq_u32 s21, 15
	s_mov_b64 s[0:1], -1
	s_cbranch_scc0 .LBB119_1105
; %bb.1104:
	v_cndmask_b32_e64 v0, 0, 1.0, s[8:9]
	s_waitcnt vmcnt(0)
	v_bfe_u32 v3, v0, 16, 1
	s_movk_i32 s0, 0x7fff
	v_add3_u32 v0, v0, v3, s0
	global_store_short_d16_hi v[1:2], v0, off
	s_mov_b64 s[0:1], 0
.LBB119_1105:
	s_mov_b64 s[16:17], 0
.LBB119_1106:
	s_and_b64 vcc, exec, s[16:17]
	s_cbranch_vccz .LBB119_1110
; %bb.1107:
	s_cmp_lg_u32 s21, 11
	s_cselect_b64 s[16:17], -1, 0
	s_andn2_b64 s[0:1], s[0:1], exec
	s_and_b64 s[16:17], s[16:17], exec
	s_mov_b64 s[14:15], -1
	s_or_b64 s[0:1], s[0:1], s[16:17]
	s_branch .LBB119_1110
.LBB119_1108:
	s_mov_b64 s[14:15], 0
	s_mov_b64 s[12:13], -1
	s_mov_b64 s[0:1], s[54:55]
	s_branch .LBB119_1110
.LBB119_1109:
	s_mov_b64 s[14:15], 0
.LBB119_1110:
	s_andn2_b64 s[16:17], s[54:55], exec
	s_and_b64 s[0:1], s[0:1], exec
	s_and_b64 s[12:13], s[12:13], exec
	;; [unrolled: 1-line block ×3, first 2 shown]
	s_or_b64 s[54:55], s[16:17], s[0:1]
	s_or_b64 exec, exec, s[10:11]
	s_and_saveexec_b64 s[0:1], s[54:55]
	s_cbranch_execz .LBB119_1020
.LBB119_1111:
	s_or_b64 s[2:3], s[2:3], exec
	s_andn2_b64 s[14:15], s[14:15], exec
	s_trap 2
	s_or_b64 exec, exec, s[0:1]
	s_and_saveexec_b64 s[0:1], s[14:15]
	s_xor_b64 s[0:1], exec, s[0:1]
	s_cbranch_execnz .LBB119_1021
.LBB119_1112:
	s_or_b64 exec, exec, s[0:1]
	s_and_saveexec_b64 s[0:1], s[12:13]
	s_xor_b64 s[0:1], exec, s[0:1]
	s_cbranch_execz .LBB119_1150
.LBB119_1113:
	s_sext_i32_i16 s12, s20
	s_cmp_lt_i32 s12, 5
	s_mov_b64 s[10:11], -1
	s_cbranch_scc1 .LBB119_1134
; %bb.1114:
	s_cmp_lt_i32 s12, 8
	s_cbranch_scc1 .LBB119_1124
; %bb.1115:
	s_cmp_lt_i32 s12, 9
	s_cbranch_scc1 .LBB119_1121
; %bb.1116:
	s_cmp_gt_i32 s12, 9
	s_cbranch_scc0 .LBB119_1118
; %bb.1117:
	v_cndmask_b32_e64 v0, 0, 1, s[8:9]
	s_waitcnt vmcnt(0)
	v_cvt_f64_u32_e32 v[3:4], v0
	v_mov_b32_e32 v5, 0
	v_mov_b32_e32 v6, v5
	s_mov_b64 s[10:11], 0
	global_store_dwordx4 v[1:2], v[3:6], off
.LBB119_1118:
	s_andn2_b64 vcc, exec, s[10:11]
	s_cbranch_vccnz .LBB119_1120
; %bb.1119:
	s_waitcnt vmcnt(0)
	v_cndmask_b32_e64 v3, 0, 1.0, s[8:9]
	v_mov_b32_e32 v4, 0
	global_store_dwordx2 v[1:2], v[3:4], off
.LBB119_1120:
	s_mov_b64 s[10:11], 0
.LBB119_1121:
	s_andn2_b64 vcc, exec, s[10:11]
	s_cbranch_vccnz .LBB119_1123
; %bb.1122:
	v_cndmask_b32_e64 v0, 0, 1.0, s[8:9]
	v_cvt_f16_f32_e32 v0, v0
	global_store_dword v[1:2], v0, off
.LBB119_1123:
	s_mov_b64 s[10:11], 0
.LBB119_1124:
	s_andn2_b64 vcc, exec, s[10:11]
	s_cbranch_vccnz .LBB119_1133
; %bb.1125:
	s_sext_i32_i16 s12, s20
	s_cmp_lt_i32 s12, 6
	s_mov_b64 s[10:11], -1
	s_cbranch_scc1 .LBB119_1131
; %bb.1126:
	s_cmp_gt_i32 s12, 6
	s_cbranch_scc0 .LBB119_1128
; %bb.1127:
	v_cndmask_b32_e64 v0, 0, 1, s[8:9]
	s_waitcnt vmcnt(0)
	v_cvt_f64_u32_e32 v[3:4], v0
	s_mov_b64 s[10:11], 0
	global_store_dwordx2 v[1:2], v[3:4], off
.LBB119_1128:
	s_andn2_b64 vcc, exec, s[10:11]
	s_cbranch_vccnz .LBB119_1130
; %bb.1129:
	v_cndmask_b32_e64 v0, 0, 1.0, s[8:9]
	global_store_dword v[1:2], v0, off
.LBB119_1130:
	s_mov_b64 s[10:11], 0
.LBB119_1131:
	s_andn2_b64 vcc, exec, s[10:11]
	s_cbranch_vccnz .LBB119_1133
; %bb.1132:
	v_cndmask_b32_e64 v0, 0, 1.0, s[8:9]
	v_cvt_f16_f32_e32 v0, v0
	global_store_short v[1:2], v0, off
.LBB119_1133:
	s_mov_b64 s[10:11], 0
.LBB119_1134:
	s_andn2_b64 vcc, exec, s[10:11]
	s_cbranch_vccnz .LBB119_1150
; %bb.1135:
	s_sext_i32_i16 s12, s20
	s_cmp_lt_i32 s12, 2
	s_mov_b64 s[10:11], -1
	s_cbranch_scc1 .LBB119_1145
; %bb.1136:
	s_cmp_lt_i32 s12, 3
	s_cbranch_scc1 .LBB119_1142
; %bb.1137:
	s_cmp_gt_i32 s12, 3
	s_cbranch_scc0 .LBB119_1139
; %bb.1138:
	s_mov_b32 s10, 0
	s_waitcnt vmcnt(0)
	v_cndmask_b32_e64 v3, 0, 1, s[8:9]
	v_mov_b32_e32 v4, s10
	s_mov_b64 s[10:11], 0
	global_store_dwordx2 v[1:2], v[3:4], off
.LBB119_1139:
	s_andn2_b64 vcc, exec, s[10:11]
	s_cbranch_vccnz .LBB119_1141
; %bb.1140:
	v_cndmask_b32_e64 v0, 0, 1, s[8:9]
	global_store_dword v[1:2], v0, off
.LBB119_1141:
	s_mov_b64 s[10:11], 0
.LBB119_1142:
	s_andn2_b64 vcc, exec, s[10:11]
	s_cbranch_vccnz .LBB119_1144
; %bb.1143:
	v_cndmask_b32_e64 v0, 0, 1, s[8:9]
	global_store_short v[1:2], v0, off
.LBB119_1144:
	s_mov_b64 s[10:11], 0
.LBB119_1145:
	s_andn2_b64 vcc, exec, s[10:11]
	s_cbranch_vccnz .LBB119_1150
; %bb.1146:
	s_sext_i32_i16 s10, s20
	s_cmp_gt_i32 s10, 0
	s_mov_b64 s[10:11], -1
	s_cbranch_scc0 .LBB119_1148
; %bb.1147:
	v_cndmask_b32_e64 v0, 0, 1, s[8:9]
	s_mov_b64 s[10:11], 0
	global_store_byte v[1:2], v0, off
.LBB119_1148:
	s_andn2_b64 vcc, exec, s[10:11]
	s_cbranch_vccnz .LBB119_1150
; %bb.1149:
	v_cndmask_b32_e64 v0, 0, 1, s[8:9]
	global_store_byte v[1:2], v0, off
.LBB119_1150:
	s_or_b64 exec, exec, s[0:1]
	s_and_b64 s[28:29], s[2:3], exec
                                        ; implicit-def: $vgpr15
                                        ; implicit-def: $vgpr8
.LBB119_1151:
	s_or_saveexec_b64 s[30:31], s[42:43]
	s_mov_b64 s[0:1], 0
                                        ; implicit-def: $sgpr10_sgpr11
                                        ; implicit-def: $vgpr0_vgpr1
                                        ; implicit-def: $sgpr22
	s_xor_b64 exec, exec, s[30:31]
	s_cbranch_execz .LBB119_1774
; %bb.1152:
	v_cndmask_b32_e64 v0, 0, 1, s[40:41]
	v_cmp_ne_u32_e64 s[0:1], 1, v0
	s_andn2_b64 vcc, exec, s[40:41]
	s_cbranch_vccnz .LBB119_1158
; %bb.1153:
	s_cmp_lg_u32 s33, 0
	s_mov_b32 s36, 0
	s_cbranch_scc0 .LBB119_1159
; %bb.1154:
	s_min_u32 s37, s74, 15
	s_add_i32 s37, s37, 1
	s_cmp_eq_u32 s74, 2
	s_cbranch_scc1 .LBB119_1160
; %bb.1155:
	s_and_b32 s36, s37, 28
	s_add_u32 s2, s34, 0xc4
	s_addc_u32 s3, s35, 0
	v_mov_b32_e32 v13, 0
	s_mov_b32 s38, 0
	s_mov_b64 s[6:7], s[34:35]
	v_mov_b32_e32 v6, 0
	v_mov_b32_e32 v0, v8
.LBB119_1156:                           ; =>This Inner Loop Header: Depth=1
	s_load_dwordx8 s[16:23], s[6:7], 0x4
	s_load_dwordx4 s[24:27], s[6:7], 0x24
	s_load_dwordx8 s[8:15], s[2:3], 0x0
	s_add_u32 s6, s6, 48
	s_addc_u32 s7, s7, 0
	s_waitcnt lgkmcnt(0)
	v_mul_hi_u32 v1, s17, v0
	s_add_i32 s38, s38, 4
	s_add_u32 s2, s2, 32
	s_addc_u32 s3, s3, 0
	v_add_u32_e32 v1, v0, v1
	v_lshrrev_b32_e32 v1, s18, v1
	v_mul_lo_u32 v2, v1, s16
	s_waitcnt vmcnt(0)
	v_mul_hi_u32 v3, s20, v1
	s_cmp_lg_u32 s36, s38
	v_sub_u32_e32 v0, v0, v2
	v_add_u32_e32 v2, v1, v3
	v_mul_lo_u32 v3, v0, s8
	v_mul_lo_u32 v4, v0, s9
	v_lshrrev_b32_e32 v0, s21, v2
	v_mul_lo_u32 v2, v0, s19
	v_mul_hi_u32 v5, s23, v0
	v_sub_u32_e32 v1, v1, v2
	v_add_u32_e32 v2, v0, v5
	v_lshrrev_b32_e32 v2, s24, v2
	v_mul_hi_u32 v7, s26, v2
	v_mul_lo_u32 v9, v2, s22
	v_mul_lo_u32 v5, v1, s10
	;; [unrolled: 1-line block ×3, first 2 shown]
	v_sub_u32_e32 v9, v0, v9
	v_add_u32_e32 v0, v2, v7
	v_lshrrev_b32_e32 v0, s27, v0
	v_mul_lo_u32 v7, v0, s25
	v_mul_lo_u32 v10, v9, s12
	v_mul_lo_u32 v9, v9, s13
	v_add3_u32 v3, v3, v6, v5
	v_sub_u32_e32 v2, v2, v7
	v_mul_lo_u32 v7, v2, s14
	v_mul_lo_u32 v2, v2, s15
	v_add3_u32 v1, v4, v13, v1
	v_add3_u32 v6, v10, v3, v7
	;; [unrolled: 1-line block ×3, first 2 shown]
	s_cbranch_scc1 .LBB119_1156
; %bb.1157:
	s_and_b32 s8, s37, 3
	s_cmp_eq_u32 s8, 0
	s_cbranch_scc0 .LBB119_1161
	s_branch .LBB119_1163
.LBB119_1158:
                                        ; implicit-def: $vgpr6
                                        ; implicit-def: $vgpr13
	s_branch .LBB119_1164
.LBB119_1159:
	v_mov_b32_e32 v6, 0
	v_mov_b32_e32 v13, 0
	s_branch .LBB119_1163
.LBB119_1160:
	v_mov_b32_e32 v6, 0
	v_mov_b32_e32 v13, 0
	;; [unrolled: 1-line block ×3, first 2 shown]
	s_and_b32 s8, s37, 3
	s_cmp_eq_u32 s8, 0
	s_cbranch_scc1 .LBB119_1163
.LBB119_1161:
	s_lshl_b32 s2, s36, 3
	s_add_u32 s2, s34, s2
	s_addc_u32 s3, s35, 0
	s_add_u32 s2, s2, 0xc4
	s_addc_u32 s3, s3, 0
	s_mul_i32 s6, s36, 12
	s_add_u32 s6, s34, s6
	s_addc_u32 s7, s35, 0
.LBB119_1162:                           ; =>This Inner Loop Header: Depth=1
	s_load_dwordx2 s[10:11], s[6:7], 0x4
	s_load_dword s9, s[6:7], 0xc
	s_load_dwordx2 s[12:13], s[2:3], 0x0
	s_add_u32 s6, s6, 12
	s_addc_u32 s7, s7, 0
	s_waitcnt lgkmcnt(0)
	v_mul_hi_u32 v1, s11, v0
	s_add_u32 s2, s2, 8
	s_addc_u32 s3, s3, 0
	s_add_i32 s8, s8, -1
	v_add_u32_e32 v1, v0, v1
	v_lshrrev_b32_e32 v1, s9, v1
	v_mul_lo_u32 v2, v1, s10
	s_cmp_lg_u32 s8, 0
	v_sub_u32_e32 v0, v0, v2
	v_mad_u64_u32 v[6:7], s[10:11], v0, s12, v[6:7]
	v_mad_u64_u32 v[13:14], s[10:11], v0, s13, v[13:14]
	v_mov_b32_e32 v0, v1
	s_cbranch_scc1 .LBB119_1162
.LBB119_1163:
	s_cbranch_execnz .LBB119_1166
.LBB119_1164:
	s_load_dwordx4 s[8:11], s[34:35], 0x4
	s_load_dwordx2 s[2:3], s[34:35], 0xc4
	s_cmp_lt_u32 s33, 2
	s_waitcnt lgkmcnt(0)
	v_mul_hi_u32 v0, s9, v8
	v_add_u32_e32 v0, v8, v0
	v_lshrrev_b32_e32 v0, s10, v0
	v_mul_lo_u32 v1, v0, s8
	v_sub_u32_e32 v1, v8, v1
	v_mul_lo_u32 v6, v1, s2
	v_mul_lo_u32 v13, v1, s3
	s_cbranch_scc1 .LBB119_1166
; %bb.1165:
	s_load_dwordx4 s[8:11], s[34:35], 0x10
	s_load_dwordx2 s[2:3], s[34:35], 0xcc
	s_waitcnt lgkmcnt(0)
	v_mul_hi_u32 v1, s9, v0
	v_add_u32_e32 v1, v0, v1
	v_lshrrev_b32_e32 v1, s10, v1
	v_mul_lo_u32 v1, v1, s8
	v_sub_u32_e32 v0, v0, v1
	v_mad_u64_u32 v[6:7], s[6:7], v0, s2, v[6:7]
	v_mad_u64_u32 v[13:14], s[2:3], v0, s3, v[13:14]
.LBB119_1166:
	s_and_b64 vcc, exec, s[0:1]
	v_add_u32_e32 v0, 0x80, v8
	s_cbranch_vccnz .LBB119_1172
; %bb.1167:
	s_cmp_lg_u32 s33, 0
	s_mov_b32 s36, 0
	s_cbranch_scc0 .LBB119_1173
; %bb.1168:
	s_min_u32 s37, s74, 15
	s_add_i32 s37, s37, 1
	s_cmp_eq_u32 s74, 2
	s_cbranch_scc1 .LBB119_1174
; %bb.1169:
	s_and_b32 s36, s37, 28
	s_add_u32 s2, s34, 0xc4
	s_addc_u32 s3, s35, 0
	v_mov_b32_e32 v11, 0
	s_mov_b32 s38, 0
	s_mov_b64 s[6:7], s[34:35]
	v_mov_b32_e32 v4, 0
	v_mov_b32_e32 v1, v0
.LBB119_1170:                           ; =>This Inner Loop Header: Depth=1
	s_load_dwordx8 s[16:23], s[6:7], 0x4
	s_load_dwordx4 s[24:27], s[6:7], 0x24
	s_load_dwordx8 s[8:15], s[2:3], 0x0
	s_add_u32 s6, s6, 48
	s_addc_u32 s7, s7, 0
	s_waitcnt lgkmcnt(0)
	v_mul_hi_u32 v2, s17, v1
	s_add_i32 s38, s38, 4
	s_add_u32 s2, s2, 32
	s_addc_u32 s3, s3, 0
	v_add_u32_e32 v2, v1, v2
	v_lshrrev_b32_e32 v2, s18, v2
	s_waitcnt vmcnt(0)
	v_mul_lo_u32 v3, v2, s16
	v_mul_hi_u32 v5, s20, v2
	s_cmp_lg_u32 s36, s38
	v_sub_u32_e32 v1, v1, v3
	v_add_u32_e32 v3, v2, v5
	v_mul_lo_u32 v5, v1, s8
	v_mul_lo_u32 v7, v1, s9
	v_lshrrev_b32_e32 v1, s21, v3
	v_mul_lo_u32 v3, v1, s19
	v_mul_hi_u32 v9, s23, v1
	v_sub_u32_e32 v2, v2, v3
	v_add_u32_e32 v3, v1, v9
	v_lshrrev_b32_e32 v3, s24, v3
	v_mul_hi_u32 v10, s26, v3
	v_mul_lo_u32 v12, v3, s22
	v_mul_lo_u32 v9, v2, s10
	;; [unrolled: 1-line block ×3, first 2 shown]
	v_sub_u32_e32 v12, v1, v12
	v_add_u32_e32 v1, v3, v10
	v_lshrrev_b32_e32 v1, s27, v1
	v_mul_lo_u32 v10, v1, s25
	v_mul_lo_u32 v14, v12, s12
	;; [unrolled: 1-line block ×3, first 2 shown]
	v_add3_u32 v4, v5, v4, v9
	v_sub_u32_e32 v3, v3, v10
	v_mul_lo_u32 v10, v3, s14
	v_mul_lo_u32 v3, v3, s15
	v_add3_u32 v2, v7, v11, v2
	v_add3_u32 v4, v14, v4, v10
	;; [unrolled: 1-line block ×3, first 2 shown]
	s_cbranch_scc1 .LBB119_1170
; %bb.1171:
	s_and_b32 s8, s37, 3
	s_cmp_eq_u32 s8, 0
	s_cbranch_scc0 .LBB119_1175
	s_branch .LBB119_1177
.LBB119_1172:
                                        ; implicit-def: $vgpr4
                                        ; implicit-def: $vgpr11
	s_branch .LBB119_1178
.LBB119_1173:
	v_mov_b32_e32 v4, 0
	v_mov_b32_e32 v11, 0
	s_branch .LBB119_1177
.LBB119_1174:
	v_mov_b32_e32 v4, 0
	v_mov_b32_e32 v11, 0
	;; [unrolled: 1-line block ×3, first 2 shown]
	s_and_b32 s8, s37, 3
	s_cmp_eq_u32 s8, 0
	s_cbranch_scc1 .LBB119_1177
.LBB119_1175:
	s_lshl_b32 s2, s36, 3
	s_add_u32 s2, s34, s2
	s_addc_u32 s3, s35, 0
	s_add_u32 s2, s2, 0xc4
	s_addc_u32 s3, s3, 0
	s_mul_i32 s6, s36, 12
	s_add_u32 s6, s34, s6
	s_addc_u32 s7, s35, 0
.LBB119_1176:                           ; =>This Inner Loop Header: Depth=1
	s_load_dwordx2 s[10:11], s[6:7], 0x4
	s_load_dword s9, s[6:7], 0xc
	s_load_dwordx2 s[12:13], s[2:3], 0x0
	s_add_u32 s6, s6, 12
	s_addc_u32 s7, s7, 0
	s_waitcnt lgkmcnt(0)
	v_mul_hi_u32 v2, s11, v1
	s_add_u32 s2, s2, 8
	s_addc_u32 s3, s3, 0
	s_add_i32 s8, s8, -1
	v_add_u32_e32 v2, v1, v2
	v_lshrrev_b32_e32 v2, s9, v2
	s_waitcnt vmcnt(0)
	v_mul_lo_u32 v3, v2, s10
	s_cmp_lg_u32 s8, 0
	v_sub_u32_e32 v1, v1, v3
	v_mad_u64_u32 v[4:5], s[10:11], v1, s12, v[4:5]
	v_mad_u64_u32 v[11:12], s[10:11], v1, s13, v[11:12]
	v_mov_b32_e32 v1, v2
	s_cbranch_scc1 .LBB119_1176
.LBB119_1177:
	s_cbranch_execnz .LBB119_1180
.LBB119_1178:
	s_load_dwordx4 s[8:11], s[34:35], 0x4
	s_load_dwordx2 s[2:3], s[34:35], 0xc4
	s_cmp_lt_u32 s33, 2
	s_waitcnt lgkmcnt(0)
	v_mul_hi_u32 v1, s9, v0
	v_add_u32_e32 v1, v0, v1
	v_lshrrev_b32_e32 v1, s10, v1
	v_mul_lo_u32 v2, v1, s8
	v_sub_u32_e32 v0, v0, v2
	v_mul_lo_u32 v4, v0, s2
	v_mul_lo_u32 v11, v0, s3
	s_cbranch_scc1 .LBB119_1180
; %bb.1179:
	s_load_dwordx4 s[8:11], s[34:35], 0x10
	s_load_dwordx2 s[2:3], s[34:35], 0xcc
	s_waitcnt lgkmcnt(0)
	v_mul_hi_u32 v0, s9, v1
	v_add_u32_e32 v0, v1, v0
	v_lshrrev_b32_e32 v0, s10, v0
	v_mul_lo_u32 v0, v0, s8
	v_sub_u32_e32 v0, v1, v0
	v_mad_u64_u32 v[4:5], s[6:7], v0, s2, v[4:5]
	v_mad_u64_u32 v[11:12], s[2:3], v0, s3, v[11:12]
.LBB119_1180:
	s_and_b64 vcc, exec, s[0:1]
	v_add_u32_e32 v0, 0x100, v8
	s_cbranch_vccnz .LBB119_1186
; %bb.1181:
	s_cmp_lg_u32 s33, 0
	s_mov_b32 s36, 0
	s_cbranch_scc0 .LBB119_1187
; %bb.1182:
	s_min_u32 s37, s74, 15
	s_add_i32 s37, s37, 1
	s_cmp_eq_u32 s74, 2
	s_cbranch_scc1 .LBB119_1188
; %bb.1183:
	s_and_b32 s36, s37, 28
	s_add_u32 s2, s34, 0xc4
	s_addc_u32 s3, s35, 0
	v_mov_b32_e32 v9, 0
	s_mov_b32 s38, 0
	s_mov_b64 s[6:7], s[34:35]
	v_mov_b32_e32 v2, 0
	v_mov_b32_e32 v1, v0
.LBB119_1184:                           ; =>This Inner Loop Header: Depth=1
	s_load_dwordx8 s[16:23], s[6:7], 0x4
	s_load_dwordx4 s[24:27], s[6:7], 0x24
	s_load_dwordx8 s[8:15], s[2:3], 0x0
	s_add_u32 s6, s6, 48
	s_addc_u32 s7, s7, 0
	s_waitcnt vmcnt(0) lgkmcnt(0)
	v_mul_hi_u32 v3, s17, v1
	s_add_i32 s38, s38, 4
	s_add_u32 s2, s2, 32
	s_addc_u32 s3, s3, 0
	v_add_u32_e32 v3, v1, v3
	v_lshrrev_b32_e32 v3, s18, v3
	v_mul_lo_u32 v5, v3, s16
	v_mul_hi_u32 v7, s20, v3
	s_cmp_lg_u32 s36, s38
	v_sub_u32_e32 v1, v1, v5
	v_add_u32_e32 v5, v3, v7
	v_mul_lo_u32 v7, v1, s8
	v_mul_lo_u32 v8, v1, s9
	v_lshrrev_b32_e32 v1, s21, v5
	v_mul_lo_u32 v5, v1, s19
	v_mul_hi_u32 v10, s23, v1
	v_sub_u32_e32 v3, v3, v5
	v_add_u32_e32 v5, v1, v10
	v_lshrrev_b32_e32 v5, s24, v5
	v_mul_hi_u32 v12, s26, v5
	v_mul_lo_u32 v14, v5, s22
	v_mul_lo_u32 v10, v3, s10
	;; [unrolled: 1-line block ×3, first 2 shown]
	v_sub_u32_e32 v14, v1, v14
	v_add_u32_e32 v1, v5, v12
	v_lshrrev_b32_e32 v1, s27, v1
	v_mul_lo_u32 v12, v1, s25
	v_mul_lo_u32 v16, v14, s12
	;; [unrolled: 1-line block ×3, first 2 shown]
	v_add3_u32 v2, v7, v2, v10
	v_sub_u32_e32 v5, v5, v12
	v_mul_lo_u32 v12, v5, s14
	v_mul_lo_u32 v5, v5, s15
	v_add3_u32 v3, v8, v9, v3
	v_add3_u32 v2, v16, v2, v12
	;; [unrolled: 1-line block ×3, first 2 shown]
	s_cbranch_scc1 .LBB119_1184
; %bb.1185:
	s_and_b32 s8, s37, 3
	s_cmp_eq_u32 s8, 0
	s_cbranch_scc0 .LBB119_1189
	s_branch .LBB119_1191
.LBB119_1186:
                                        ; implicit-def: $vgpr2
                                        ; implicit-def: $vgpr9
	s_branch .LBB119_1192
.LBB119_1187:
	v_mov_b32_e32 v2, 0
	v_mov_b32_e32 v9, 0
	s_branch .LBB119_1191
.LBB119_1188:
	v_mov_b32_e32 v2, 0
	v_mov_b32_e32 v9, 0
	;; [unrolled: 1-line block ×3, first 2 shown]
	s_and_b32 s8, s37, 3
	s_cmp_eq_u32 s8, 0
	s_cbranch_scc1 .LBB119_1191
.LBB119_1189:
	s_lshl_b32 s2, s36, 3
	s_add_u32 s2, s34, s2
	s_addc_u32 s3, s35, 0
	s_add_u32 s2, s2, 0xc4
	s_addc_u32 s3, s3, 0
	s_mul_i32 s6, s36, 12
	s_add_u32 s6, s34, s6
	s_addc_u32 s7, s35, 0
.LBB119_1190:                           ; =>This Inner Loop Header: Depth=1
	s_load_dwordx2 s[10:11], s[6:7], 0x4
	s_load_dword s9, s[6:7], 0xc
	s_load_dwordx2 s[12:13], s[2:3], 0x0
	s_add_u32 s6, s6, 12
	s_addc_u32 s7, s7, 0
	s_waitcnt vmcnt(0) lgkmcnt(0)
	v_mul_hi_u32 v3, s11, v1
	s_add_u32 s2, s2, 8
	s_addc_u32 s3, s3, 0
	s_add_i32 s8, s8, -1
	v_add_u32_e32 v3, v1, v3
	v_lshrrev_b32_e32 v5, s9, v3
	v_mul_lo_u32 v3, v5, s10
	s_cmp_lg_u32 s8, 0
	v_sub_u32_e32 v1, v1, v3
	v_mad_u64_u32 v[2:3], s[10:11], v1, s12, v[2:3]
	v_mad_u64_u32 v[9:10], s[10:11], v1, s13, v[9:10]
	v_mov_b32_e32 v1, v5
	s_cbranch_scc1 .LBB119_1190
.LBB119_1191:
	s_cbranch_execnz .LBB119_1194
.LBB119_1192:
	s_load_dwordx4 s[8:11], s[34:35], 0x4
	s_load_dwordx2 s[2:3], s[34:35], 0xc4
	s_cmp_lt_u32 s33, 2
	s_waitcnt lgkmcnt(0)
	v_mul_hi_u32 v1, s9, v0
	v_add_u32_e32 v1, v0, v1
	v_lshrrev_b32_e32 v1, s10, v1
	v_mul_lo_u32 v2, v1, s8
	v_sub_u32_e32 v0, v0, v2
	v_mul_lo_u32 v2, v0, s2
	v_mul_lo_u32 v9, v0, s3
	s_cbranch_scc1 .LBB119_1194
; %bb.1193:
	s_load_dwordx4 s[8:11], s[34:35], 0x10
	s_load_dwordx2 s[2:3], s[34:35], 0xcc
	s_waitcnt lgkmcnt(0)
	v_mul_hi_u32 v0, s9, v1
	v_add_u32_e32 v0, v1, v0
	v_lshrrev_b32_e32 v0, s10, v0
	v_mul_lo_u32 v0, v0, s8
	v_sub_u32_e32 v0, v1, v0
	s_waitcnt vmcnt(0)
	v_mad_u64_u32 v[2:3], s[6:7], v0, s2, v[2:3]
	v_mad_u64_u32 v[9:10], s[2:3], v0, s3, v[9:10]
.LBB119_1194:
	s_and_b64 vcc, exec, s[0:1]
	s_cbranch_vccnz .LBB119_1200
; %bb.1195:
	s_cmp_lg_u32 s33, 0
	s_mov_b32 s26, 0
	s_cbranch_scc0 .LBB119_1201
; %bb.1196:
	s_min_u32 s27, s74, 15
	s_add_i32 s27, s27, 1
	s_cmp_eq_u32 s74, 2
	s_cbranch_scc1 .LBB119_1202
; %bb.1197:
	s_and_b32 s26, s27, 28
	s_add_u32 s6, s34, 0xc4
	s_addc_u32 s7, s35, 0
	v_mov_b32_e32 v7, 0
	s_mov_b32 s36, 0
	s_mov_b64 s[24:25], s[34:35]
	v_mov_b32_e32 v0, 0
	v_mov_b32_e32 v1, v15
.LBB119_1198:                           ; =>This Inner Loop Header: Depth=1
	s_load_dwordx8 s[16:23], s[24:25], 0x4
	s_load_dwordx4 s[0:3], s[24:25], 0x24
	s_load_dwordx8 s[8:15], s[6:7], 0x0
	s_add_u32 s24, s24, 48
	s_addc_u32 s25, s25, 0
	s_waitcnt vmcnt(0) lgkmcnt(0)
	v_mul_hi_u32 v3, s17, v1
	s_add_i32 s36, s36, 4
	s_add_u32 s6, s6, 32
	s_addc_u32 s7, s7, 0
	v_add_u32_e32 v3, v1, v3
	v_lshrrev_b32_e32 v3, s18, v3
	v_mul_lo_u32 v5, v3, s16
	v_mul_hi_u32 v8, s20, v3
	s_cmp_lg_u32 s26, s36
	v_sub_u32_e32 v1, v1, v5
	v_add_u32_e32 v5, v3, v8
	v_mul_lo_u32 v8, v1, s8
	v_mul_lo_u32 v10, v1, s9
	v_lshrrev_b32_e32 v1, s21, v5
	v_mul_lo_u32 v5, v1, s19
	v_mul_hi_u32 v12, s23, v1
	v_sub_u32_e32 v3, v3, v5
	v_add_u32_e32 v5, v1, v12
	v_lshrrev_b32_e32 v5, s0, v5
	v_mul_hi_u32 v14, s2, v5
	v_mul_lo_u32 v16, v5, s22
	v_mul_lo_u32 v12, v3, s10
	;; [unrolled: 1-line block ×3, first 2 shown]
	v_sub_u32_e32 v16, v1, v16
	v_add_u32_e32 v1, v5, v14
	v_lshrrev_b32_e32 v1, s3, v1
	v_mul_lo_u32 v14, v1, s1
	v_mul_lo_u32 v17, v16, s12
	;; [unrolled: 1-line block ×3, first 2 shown]
	v_add3_u32 v0, v8, v0, v12
	v_sub_u32_e32 v5, v5, v14
	v_mul_lo_u32 v14, v5, s14
	v_mul_lo_u32 v5, v5, s15
	v_add3_u32 v3, v10, v7, v3
	v_add3_u32 v0, v17, v0, v14
	;; [unrolled: 1-line block ×3, first 2 shown]
	s_cbranch_scc1 .LBB119_1198
; %bb.1199:
	s_and_b32 s6, s27, 3
	s_cmp_eq_u32 s6, 0
	s_cbranch_scc0 .LBB119_1203
	s_branch .LBB119_1205
.LBB119_1200:
                                        ; implicit-def: $vgpr0
                                        ; implicit-def: $vgpr7
	s_branch .LBB119_1206
.LBB119_1201:
	v_mov_b32_e32 v0, 0
	v_mov_b32_e32 v7, 0
	s_branch .LBB119_1205
.LBB119_1202:
	v_mov_b32_e32 v0, 0
	v_mov_b32_e32 v7, 0
	;; [unrolled: 1-line block ×3, first 2 shown]
	s_and_b32 s6, s27, 3
	s_cmp_eq_u32 s6, 0
	s_cbranch_scc1 .LBB119_1205
.LBB119_1203:
	s_lshl_b32 s0, s26, 3
	s_add_u32 s0, s34, s0
	s_addc_u32 s1, s35, 0
	s_add_u32 s0, s0, 0xc4
	s_addc_u32 s1, s1, 0
	s_mul_i32 s2, s26, 12
	s_add_u32 s2, s34, s2
	s_addc_u32 s3, s35, 0
.LBB119_1204:                           ; =>This Inner Loop Header: Depth=1
	s_load_dwordx2 s[8:9], s[2:3], 0x4
	s_load_dword s7, s[2:3], 0xc
	s_load_dwordx2 s[10:11], s[0:1], 0x0
	s_add_u32 s2, s2, 12
	s_addc_u32 s3, s3, 0
	s_waitcnt vmcnt(0) lgkmcnt(0)
	v_mul_hi_u32 v3, s9, v1
	s_add_u32 s0, s0, 8
	s_addc_u32 s1, s1, 0
	s_add_i32 s6, s6, -1
	v_add_u32_e32 v3, v1, v3
	v_lshrrev_b32_e32 v3, s7, v3
	v_mul_lo_u32 v5, v3, s8
	s_cmp_lg_u32 s6, 0
	v_sub_u32_e32 v5, v1, v5
	v_mad_u64_u32 v[0:1], s[8:9], v5, s10, v[0:1]
	v_mad_u64_u32 v[7:8], s[8:9], v5, s11, v[7:8]
	v_mov_b32_e32 v1, v3
	s_cbranch_scc1 .LBB119_1204
.LBB119_1205:
	s_cbranch_execnz .LBB119_1208
.LBB119_1206:
	s_load_dwordx4 s[0:3], s[34:35], 0x4
	s_load_dwordx2 s[6:7], s[34:35], 0xc4
	s_cmp_lt_u32 s33, 2
	s_waitcnt lgkmcnt(0)
	v_mul_hi_u32 v0, s1, v15
	v_add_u32_e32 v0, v15, v0
	v_lshrrev_b32_e32 v1, s2, v0
	v_mul_lo_u32 v0, v1, s0
	s_waitcnt vmcnt(0)
	v_sub_u32_e32 v3, v15, v0
	v_mul_lo_u32 v0, v3, s6
	v_mul_lo_u32 v7, v3, s7
	s_cbranch_scc1 .LBB119_1208
; %bb.1207:
	s_load_dwordx4 s[0:3], s[34:35], 0x10
	s_load_dwordx2 s[6:7], s[34:35], 0xcc
	s_waitcnt lgkmcnt(0)
	v_mul_hi_u32 v3, s1, v1
	v_add_u32_e32 v3, v1, v3
	v_lshrrev_b32_e32 v3, s2, v3
	v_mul_lo_u32 v3, v3, s0
	v_sub_u32_e32 v3, v1, v3
	v_mad_u64_u32 v[0:1], s[0:1], v3, s6, v[0:1]
	v_mad_u64_u32 v[7:8], s[0:1], v3, s7, v[7:8]
.LBB119_1208:
	s_load_dwordx4 s[8:11], s[34:35], 0x148
	s_load_dword s16, s[4:5], 0x168
	s_waitcnt lgkmcnt(0)
	v_mov_b32_e32 v1, s11
	s_bfe_u32 s14, s16, 0x80008
	v_add_co_u32_e32 v12, vcc, s10, v13
	s_cmp_lt_i32 s14, 11
	v_addc_co_u32_e32 v13, vcc, 0, v1, vcc
	s_cbranch_scc1 .LBB119_1215
; %bb.1209:
	s_and_b32 s15, 0xffff, s14
	s_cmp_gt_i32 s15, 25
	s_mov_b64 s[4:5], 0
	s_cbranch_scc0 .LBB119_1217
; %bb.1210:
	s_cmp_gt_i32 s15, 28
	s_cbranch_scc0 .LBB119_1218
; %bb.1211:
	s_cmp_gt_i32 s15, 43
	;; [unrolled: 3-line block ×3, first 2 shown]
	s_cbranch_scc0 .LBB119_1220
; %bb.1213:
	s_cmp_eq_u32 s15, 46
	s_mov_b64 s[2:3], 0
	s_cbranch_scc0 .LBB119_1223
; %bb.1214:
	global_load_dword v1, v[12:13], off
	s_mov_b64 s[0:1], 0
	s_mov_b64 s[6:7], -1
	s_waitcnt vmcnt(0)
	v_lshlrev_b32_e32 v1, 16, v1
	v_cvt_f16_f32_e32 v1, v1
	s_branch .LBB119_1224
.LBB119_1215:
	s_mov_b64 s[6:7], 0
                                        ; implicit-def: $vgpr1
	s_mov_b64 s[2:3], s[28:29]
	s_cbranch_execnz .LBB119_1287
.LBB119_1216:
	s_andn2_b64 vcc, exec, s[6:7]
	s_cbranch_vccz .LBB119_1332
	s_branch .LBB119_1771
.LBB119_1217:
	s_mov_b64 s[6:7], 0
	s_mov_b64 s[0:1], 0
                                        ; implicit-def: $vgpr1
	s_cbranch_execnz .LBB119_1252
	s_branch .LBB119_1283
.LBB119_1218:
	s_mov_b64 s[2:3], -1
	s_mov_b64 s[6:7], 0
	s_mov_b64 s[0:1], 0
                                        ; implicit-def: $vgpr1
	s_branch .LBB119_1233
.LBB119_1219:
	s_mov_b64 s[6:7], 0
	s_mov_b64 s[0:1], 0
                                        ; implicit-def: $vgpr1
	s_cbranch_execnz .LBB119_1229
	s_branch .LBB119_1232
.LBB119_1220:
	s_mov_b64 s[2:3], -1
	s_mov_b64 s[6:7], 0
	s_mov_b64 s[0:1], 0
                                        ; implicit-def: $vgpr1
	s_branch .LBB119_1224
.LBB119_1221:
	s_andn2_saveexec_b64 s[16:17], s[16:17]
	s_cbranch_execz .LBB119_1063
.LBB119_1222:
	v_add_f32_e32 v0, 0x46000000, v3
	v_and_b32_e32 v0, 0xff, v0
	v_cmp_ne_u32_e32 vcc, 0, v0
	s_andn2_b64 s[14:15], s[14:15], exec
	s_and_b64 s[18:19], vcc, exec
	s_or_b64 s[14:15], s[14:15], s[18:19]
	s_or_b64 exec, exec, s[16:17]
	v_mov_b32_e32 v4, 0
	s_and_saveexec_b64 s[16:17], s[14:15]
	s_cbranch_execnz .LBB119_1064
	s_branch .LBB119_1065
.LBB119_1223:
	s_mov_b64 s[0:1], -1
                                        ; implicit-def: $vgpr1
	s_mov_b64 s[6:7], 0
.LBB119_1224:
	s_and_b64 vcc, exec, s[2:3]
	s_cbranch_vccz .LBB119_1227
; %bb.1225:
	s_cmp_eq_u32 s15, 44
	s_cbranch_scc0 .LBB119_1228
; %bb.1226:
	global_load_ubyte v1, v[12:13], off
	s_movk_i32 s2, 0xff
	v_mov_b32_e32 v5, 0x7e00
	s_mov_b64 s[0:1], 0
	s_mov_b64 s[6:7], -1
	s_waitcnt vmcnt(0)
	v_lshlrev_b32_e32 v3, 23, v1
	v_cvt_f16_f32_e32 v3, v3
	v_cmp_ne_u32_e32 vcc, s2, v1
	v_cndmask_b32_e32 v3, v5, v3, vcc
	v_cmp_ne_u32_e32 vcc, 0, v1
	v_cndmask_b32_e32 v1, 0, v3, vcc
.LBB119_1227:
	s_branch .LBB119_1232
.LBB119_1228:
	s_mov_b64 s[0:1], -1
                                        ; implicit-def: $vgpr1
	s_branch .LBB119_1232
.LBB119_1229:
	s_cmp_eq_u32 s15, 29
	s_cbranch_scc0 .LBB119_1231
; %bb.1230:
	global_load_dwordx2 v[14:15], v[12:13], off
	s_mov_b64 s[0:1], 0
	s_mov_b64 s[6:7], -1
	s_mov_b64 s[2:3], 0
	s_waitcnt vmcnt(0)
	v_ffbh_u32_e32 v1, v15
	v_min_u32_e32 v1, 32, v1
	v_lshlrev_b64 v[14:15], v1, v[14:15]
	v_sub_u32_e32 v1, 32, v1
	v_min_u32_e32 v3, 1, v14
	v_or_b32_e32 v3, v15, v3
	v_cvt_f32_u32_e32 v3, v3
	v_ldexp_f32 v1, v3, v1
	v_cvt_f16_f32_e32 v1, v1
	s_branch .LBB119_1233
.LBB119_1231:
	s_mov_b64 s[0:1], -1
                                        ; implicit-def: $vgpr1
.LBB119_1232:
	s_mov_b64 s[2:3], 0
.LBB119_1233:
	s_and_b64 vcc, exec, s[2:3]
	s_cbranch_vccz .LBB119_1251
; %bb.1234:
	s_cmp_lt_i32 s15, 27
	s_cbranch_scc1 .LBB119_1237
; %bb.1235:
	s_cmp_gt_i32 s15, 27
	s_cbranch_scc0 .LBB119_1238
; %bb.1236:
	global_load_dword v1, v[12:13], off
	s_mov_b64 s[2:3], 0
	s_waitcnt vmcnt(0)
	v_cvt_f32_u32_e32 v1, v1
	v_cvt_f16_f32_e32 v1, v1
	s_branch .LBB119_1239
.LBB119_1237:
	s_mov_b64 s[2:3], -1
                                        ; implicit-def: $vgpr1
	s_branch .LBB119_1242
.LBB119_1238:
	s_mov_b64 s[2:3], -1
                                        ; implicit-def: $vgpr1
.LBB119_1239:
	s_andn2_b64 vcc, exec, s[2:3]
	s_cbranch_vccnz .LBB119_1241
; %bb.1240:
	global_load_ushort v1, v[12:13], off
	s_waitcnt vmcnt(0)
	v_cvt_f16_u16_e32 v1, v1
.LBB119_1241:
	s_mov_b64 s[2:3], 0
.LBB119_1242:
	s_andn2_b64 vcc, exec, s[2:3]
	s_cbranch_vccnz .LBB119_1250
; %bb.1243:
	global_load_ubyte v3, v[12:13], off
	s_movk_i32 s2, 0x7f
	s_waitcnt vmcnt(0)
	v_cmp_lt_i16_e32 vcc, s2, v3
	s_mov_b64 s[2:3], 0
	s_and_saveexec_b64 s[6:7], vcc
	s_xor_b64 s[6:7], exec, s[6:7]
	s_cbranch_execz .LBB119_1263
; %bb.1244:
	s_movk_i32 s2, 0x80
	v_cmp_eq_u16_e32 vcc, s2, v3
	s_mov_b64 s[2:3], -1
	s_and_saveexec_b64 s[12:13], vcc
; %bb.1245:
	s_xor_b64 s[2:3], exec, -1
; %bb.1246:
	s_or_b64 exec, exec, s[12:13]
	s_and_b64 s[2:3], s[2:3], exec
	s_or_saveexec_b64 s[6:7], s[6:7]
	v_mov_b32_e32 v1, 0x7e00
	s_xor_b64 exec, exec, s[6:7]
	s_cbranch_execnz .LBB119_1264
.LBB119_1247:
	s_or_b64 exec, exec, s[6:7]
	s_and_saveexec_b64 s[6:7], s[2:3]
	s_cbranch_execz .LBB119_1249
.LBB119_1248:
	v_lshlrev_b32_e32 v1, 24, v3
	v_and_b32_e32 v3, 0xffff, v3
	v_and_b32_e32 v5, 7, v3
	v_ffbh_u32_e32 v10, v5
	v_min_u32_e32 v10, 32, v10
	v_subrev_u32_e32 v14, 28, v10
	v_bfe_u32 v8, v3, 3, 4
	v_lshlrev_b32_e32 v3, v14, v3
	v_sub_u32_e32 v10, 29, v10
	v_and_b32_e32 v3, 7, v3
	v_cmp_eq_u32_e32 vcc, 0, v8
	v_cndmask_b32_e32 v8, v8, v10, vcc
	v_cndmask_b32_e32 v3, v5, v3, vcc
	v_mov_b32_e32 v5, 0x3b800000
	v_lshlrev_b32_e32 v3, 20, v3
	v_and_b32_e32 v1, 0x80000000, v1
	v_lshl_add_u32 v5, v8, 23, v5
	v_or3_b32 v1, v1, v5, v3
	v_cvt_f16_f32_e32 v1, v1
.LBB119_1249:
	s_or_b64 exec, exec, s[6:7]
.LBB119_1250:
	s_mov_b64 s[6:7], -1
.LBB119_1251:
	s_branch .LBB119_1283
.LBB119_1252:
	s_cmp_gt_i32 s15, 22
	s_cbranch_scc0 .LBB119_1262
; %bb.1253:
	s_cmp_lt_i32 s15, 24
	s_cbranch_scc1 .LBB119_1265
; %bb.1254:
	s_cmp_gt_i32 s15, 24
	s_cbranch_scc0 .LBB119_1266
; %bb.1255:
	global_load_ubyte v3, v[12:13], off
	s_movk_i32 s2, 0x7f
	s_waitcnt vmcnt(0)
	v_cmp_lt_i16_e32 vcc, s2, v3
	s_mov_b64 s[2:3], 0
	s_and_saveexec_b64 s[4:5], vcc
	s_xor_b64 s[4:5], exec, s[4:5]
	s_cbranch_execz .LBB119_1277
; %bb.1256:
	s_movk_i32 s2, 0x80
	v_cmp_eq_u16_e32 vcc, s2, v3
	s_mov_b64 s[2:3], -1
	s_and_saveexec_b64 s[6:7], vcc
; %bb.1257:
	s_xor_b64 s[2:3], exec, -1
; %bb.1258:
	s_or_b64 exec, exec, s[6:7]
	s_and_b64 s[2:3], s[2:3], exec
	s_or_saveexec_b64 s[4:5], s[4:5]
	v_mov_b32_e32 v1, 0x7e00
	s_xor_b64 exec, exec, s[4:5]
	s_cbranch_execnz .LBB119_1278
.LBB119_1259:
	s_or_b64 exec, exec, s[4:5]
	s_and_saveexec_b64 s[4:5], s[2:3]
	s_cbranch_execz .LBB119_1261
.LBB119_1260:
	v_lshlrev_b32_e32 v1, 24, v3
	v_and_b32_e32 v3, 0xffff, v3
	v_and_b32_e32 v5, 3, v3
	v_ffbh_u32_e32 v10, v5
	v_min_u32_e32 v10, 32, v10
	v_subrev_u32_e32 v14, 29, v10
	v_bfe_u32 v8, v3, 2, 5
	v_lshlrev_b32_e32 v3, v14, v3
	v_sub_u32_e32 v10, 30, v10
	v_and_b32_e32 v3, 3, v3
	v_cmp_eq_u32_e32 vcc, 0, v8
	v_cndmask_b32_e32 v8, v8, v10, vcc
	v_cndmask_b32_e32 v3, v5, v3, vcc
	v_mov_b32_e32 v5, 0x37800000
	v_lshlrev_b32_e32 v3, 21, v3
	v_and_b32_e32 v1, 0x80000000, v1
	v_lshl_add_u32 v5, v8, 23, v5
	v_or3_b32 v1, v1, v5, v3
	v_cvt_f16_f32_e32 v1, v1
.LBB119_1261:
	s_or_b64 exec, exec, s[4:5]
	s_mov_b64 s[2:3], 0
	s_branch .LBB119_1267
.LBB119_1262:
                                        ; implicit-def: $vgpr1
	s_mov_b64 s[4:5], 0
	s_branch .LBB119_1273
.LBB119_1263:
	s_or_saveexec_b64 s[6:7], s[6:7]
	v_mov_b32_e32 v1, 0x7e00
	s_xor_b64 exec, exec, s[6:7]
	s_cbranch_execz .LBB119_1247
.LBB119_1264:
	v_cmp_ne_u16_e32 vcc, 0, v3
	s_andn2_b64 s[2:3], s[2:3], exec
	s_and_b64 s[12:13], vcc, exec
	s_or_b64 s[2:3], s[2:3], s[12:13]
	v_mov_b32_e32 v1, v3
	s_or_b64 exec, exec, s[6:7]
	s_and_saveexec_b64 s[6:7], s[2:3]
	s_cbranch_execnz .LBB119_1248
	s_branch .LBB119_1249
.LBB119_1265:
	s_mov_b64 s[2:3], -1
                                        ; implicit-def: $vgpr1
	s_branch .LBB119_1270
.LBB119_1266:
	s_mov_b64 s[2:3], -1
                                        ; implicit-def: $vgpr1
.LBB119_1267:
	s_and_b64 vcc, exec, s[2:3]
	s_cbranch_vccz .LBB119_1269
; %bb.1268:
	global_load_ubyte v1, v[12:13], off
	s_mov_b32 s2, 0x7f800000
	s_waitcnt vmcnt(0)
	v_lshlrev_b32_e32 v1, 24, v1
	v_and_b32_e32 v3, 0x7f000000, v1
	v_ffbh_u32_e32 v5, v3
	v_min_u32_e32 v5, 32, v5
	v_sub_u32_e64 v5, v5, 4 clamp
	v_lshlrev_b32_e32 v10, v5, v3
	v_lshlrev_b32_e32 v5, 23, v5
	v_lshrrev_b32_e32 v10, 4, v10
	v_add_u32_e32 v8, 0x1000000, v3
	v_sub_u32_e32 v5, v10, v5
	v_ashrrev_i32_e32 v8, 8, v8
	v_add_u32_e32 v5, 0x3c000000, v5
	v_and_or_b32 v5, v8, s2, v5
	v_cmp_ne_u32_e32 vcc, 0, v3
	v_cndmask_b32_e32 v3, 0, v5, vcc
	s_brev_b32 s2, 1
	v_and_or_b32 v1, v1, s2, v3
	v_cvt_f16_f32_e32 v1, v1
.LBB119_1269:
	s_mov_b64 s[2:3], 0
.LBB119_1270:
	s_andn2_b64 vcc, exec, s[2:3]
	s_cbranch_vccnz .LBB119_1272
; %bb.1271:
	global_load_ubyte v1, v[12:13], off
	s_movk_i32 s2, 0x7f00
	s_brev_b32 s3, 16
	s_waitcnt vmcnt(0)
	v_lshlrev_b16_e32 v3, 8, v1
	v_lshlrev_b32_e32 v1, 25, v1
	v_lshrrev_b32_e32 v5, 4, v1
	v_and_or_b32 v8, v3, s2, 0.5
	v_or_b32_e32 v5, 0x70000000, v5
	v_add_f32_e32 v8, -0.5, v8
	v_mul_f32_e32 v5, 0x7800000, v5
	v_cmp_gt_u32_e32 vcc, s3, v1
	v_bfe_i32 v3, v3, 0, 16
	v_cndmask_b32_e32 v1, v5, v8, vcc
	s_brev_b32 s2, 1
	v_and_or_b32 v1, v3, s2, v1
	v_cvt_f16_f32_e32 v1, v1
.LBB119_1272:
	s_mov_b64 s[6:7], -1
	s_mov_b64 s[4:5], 0
	s_cbranch_execnz .LBB119_1283
.LBB119_1273:
	s_cmp_gt_i32 s15, 14
	s_cbranch_scc0 .LBB119_1276
; %bb.1274:
	s_cmp_eq_u32 s15, 15
	s_cbranch_scc0 .LBB119_1279
; %bb.1275:
	global_load_ushort v1, v[12:13], off
	s_mov_b64 s[0:1], 0
	s_mov_b64 s[6:7], -1
	s_waitcnt vmcnt(0)
	v_lshlrev_b32_e32 v1, 16, v1
	v_cvt_f16_f32_e32 v1, v1
	s_branch .LBB119_1280
.LBB119_1276:
	s_mov_b64 s[2:3], -1
                                        ; implicit-def: $vgpr1
	s_branch .LBB119_1281
.LBB119_1277:
	s_or_saveexec_b64 s[4:5], s[4:5]
	v_mov_b32_e32 v1, 0x7e00
	s_xor_b64 exec, exec, s[4:5]
	s_cbranch_execz .LBB119_1259
.LBB119_1278:
	v_cmp_ne_u16_e32 vcc, 0, v3
	s_andn2_b64 s[2:3], s[2:3], exec
	s_and_b64 s[6:7], vcc, exec
	s_or_b64 s[2:3], s[2:3], s[6:7]
	v_mov_b32_e32 v1, v3
	s_or_b64 exec, exec, s[4:5]
	s_and_saveexec_b64 s[4:5], s[2:3]
	s_cbranch_execnz .LBB119_1260
	s_branch .LBB119_1261
.LBB119_1279:
	s_mov_b64 s[0:1], -1
                                        ; implicit-def: $vgpr1
.LBB119_1280:
	s_mov_b64 s[2:3], 0
.LBB119_1281:
	s_and_b64 vcc, exec, s[2:3]
	s_cbranch_vccz .LBB119_1283
; %bb.1282:
	s_cmp_lg_u32 s15, 11
	s_mov_b64 s[4:5], -1
	s_cselect_b64 s[0:1], -1, 0
.LBB119_1283:
	s_and_b64 vcc, exec, s[0:1]
	s_mov_b64 s[2:3], s[28:29]
	s_cbranch_vccnz .LBB119_1359
; %bb.1284:
	s_andn2_b64 vcc, exec, s[4:5]
	s_cbranch_vccnz .LBB119_1286
.LBB119_1285:
	global_load_ubyte v1, v[12:13], off
	s_waitcnt vmcnt(1)
	v_mov_b32_e32 v3, 0x3c00
	s_mov_b64 s[6:7], -1
	s_waitcnt vmcnt(0)
	v_cmp_ne_u16_e32 vcc, 0, v1
	v_cndmask_b32_e32 v1, 0, v3, vcc
.LBB119_1286:
	s_branch .LBB119_1216
.LBB119_1287:
	s_and_b32 s4, 0xffff, s14
	s_cmp_lt_i32 s4, 5
	s_cbranch_scc1 .LBB119_1292
; %bb.1288:
	s_cmp_lt_i32 s4, 8
	s_cbranch_scc1 .LBB119_1293
; %bb.1289:
	;; [unrolled: 3-line block ×3, first 2 shown]
	s_cmp_gt_i32 s4, 9
	s_cbranch_scc0 .LBB119_1295
; %bb.1291:
	global_load_dwordx2 v[14:15], v[12:13], off
	s_movk_i32 s0, 0x1ff
	s_movk_i32 s1, 0xffe
	v_mov_b32_e32 v1, 0x7c00
	s_waitcnt vmcnt(1)
	v_mov_b32_e32 v3, 0x7e00
	s_movk_i32 s5, 0x40f
	s_mov_b32 s6, 0x8000
	s_waitcnt vmcnt(0)
	v_and_or_b32 v5, v15, s0, v14
	v_cmp_ne_u32_e32 vcc, 0, v5
	v_lshrrev_b32_e32 v8, 8, v15
	v_bfe_u32 v10, v15, 20, 11
	v_cndmask_b32_e64 v5, 0, 1, vcc
	v_lshrrev_b32_e32 v14, 16, v15
	v_sub_u32_e32 v15, 0x3f1, v10
	v_and_or_b32 v5, v8, s1, v5
	v_add_u32_e32 v10, 0xfffffc10, v10
	v_med3_i32 v8, v15, 0, 13
	v_or_b32_e32 v15, 0x1000, v5
	v_lshl_or_b32 v16, v10, 12, v5
	v_cmp_ne_u32_e32 vcc, 0, v5
	v_lshrrev_b32_e32 v5, v8, v15
	v_lshlrev_b32_e32 v8, v8, v5
	v_cndmask_b32_e32 v3, v1, v3, vcc
	v_cmp_ne_u32_e32 vcc, v8, v15
	v_cndmask_b32_e64 v8, 0, 1, vcc
	v_or_b32_e32 v5, v5, v8
	v_cmp_gt_i32_e32 vcc, 1, v10
	v_cndmask_b32_e32 v5, v16, v5, vcc
	v_and_b32_e32 v8, 7, v5
	v_cmp_lt_i32_e32 vcc, 5, v8
	v_cndmask_b32_e64 v15, 0, 1, vcc
	v_cmp_eq_u32_e32 vcc, 3, v8
	v_cndmask_b32_e64 v8, 0, 1, vcc
	v_lshrrev_b32_e32 v5, 2, v5
	v_or_b32_e32 v8, v8, v15
	v_add_u32_e32 v5, v5, v8
	v_cmp_gt_i32_e32 vcc, 31, v10
	v_cndmask_b32_e32 v1, v1, v5, vcc
	v_cmp_eq_u32_e32 vcc, s5, v10
	v_cndmask_b32_e32 v1, v1, v3, vcc
	v_and_or_b32 v1, v14, s6, v1
	s_mov_b64 s[0:1], 0
	s_branch .LBB119_1296
.LBB119_1292:
                                        ; implicit-def: $vgpr1
	s_branch .LBB119_1313
.LBB119_1293:
                                        ; implicit-def: $vgpr1
	s_branch .LBB119_1302
.LBB119_1294:
	s_mov_b64 s[0:1], -1
                                        ; implicit-def: $vgpr1
	s_branch .LBB119_1299
.LBB119_1295:
	s_mov_b64 s[0:1], -1
                                        ; implicit-def: $vgpr1
.LBB119_1296:
	s_andn2_b64 vcc, exec, s[0:1]
	s_cbranch_vccnz .LBB119_1298
; %bb.1297:
	global_load_dword v1, v[12:13], off
	s_waitcnt vmcnt(0)
	v_cvt_f16_f32_e32 v1, v1
.LBB119_1298:
	s_mov_b64 s[0:1], 0
.LBB119_1299:
	s_andn2_b64 vcc, exec, s[0:1]
	s_cbranch_vccnz .LBB119_1301
; %bb.1300:
	global_load_dword v1, v[12:13], off
.LBB119_1301:
	s_cbranch_execnz .LBB119_1312
.LBB119_1302:
	s_cmp_lt_i32 s4, 6
	s_cbranch_scc1 .LBB119_1305
; %bb.1303:
	s_cmp_gt_i32 s4, 6
	s_cbranch_scc0 .LBB119_1306
; %bb.1304:
	global_load_dwordx2 v[14:15], v[12:13], off
	s_movk_i32 s0, 0x1ff
	s_movk_i32 s1, 0xffe
	s_waitcnt vmcnt(1)
	v_mov_b32_e32 v1, 0x7c00
	v_mov_b32_e32 v3, 0x7e00
	s_movk_i32 s5, 0x40f
	s_mov_b32 s6, 0x8000
	s_waitcnt vmcnt(0)
	v_and_or_b32 v5, v15, s0, v14
	v_cmp_ne_u32_e32 vcc, 0, v5
	v_lshrrev_b32_e32 v8, 8, v15
	v_bfe_u32 v10, v15, 20, 11
	v_cndmask_b32_e64 v5, 0, 1, vcc
	v_lshrrev_b32_e32 v14, 16, v15
	v_sub_u32_e32 v15, 0x3f1, v10
	v_and_or_b32 v5, v8, s1, v5
	v_add_u32_e32 v10, 0xfffffc10, v10
	v_med3_i32 v8, v15, 0, 13
	v_or_b32_e32 v15, 0x1000, v5
	v_lshl_or_b32 v16, v10, 12, v5
	v_cmp_ne_u32_e32 vcc, 0, v5
	v_lshrrev_b32_e32 v5, v8, v15
	v_lshlrev_b32_e32 v8, v8, v5
	v_cndmask_b32_e32 v3, v1, v3, vcc
	v_cmp_ne_u32_e32 vcc, v8, v15
	v_cndmask_b32_e64 v8, 0, 1, vcc
	v_or_b32_e32 v5, v5, v8
	v_cmp_gt_i32_e32 vcc, 1, v10
	v_cndmask_b32_e32 v5, v16, v5, vcc
	v_and_b32_e32 v8, 7, v5
	v_cmp_lt_i32_e32 vcc, 5, v8
	v_cndmask_b32_e64 v15, 0, 1, vcc
	v_cmp_eq_u32_e32 vcc, 3, v8
	v_cndmask_b32_e64 v8, 0, 1, vcc
	v_lshrrev_b32_e32 v5, 2, v5
	v_or_b32_e32 v8, v8, v15
	v_add_u32_e32 v5, v5, v8
	v_cmp_gt_i32_e32 vcc, 31, v10
	v_cndmask_b32_e32 v1, v1, v5, vcc
	v_cmp_eq_u32_e32 vcc, s5, v10
	v_cndmask_b32_e32 v1, v1, v3, vcc
	v_and_or_b32 v1, v14, s6, v1
	s_mov_b64 s[0:1], 0
	s_branch .LBB119_1307
.LBB119_1305:
	s_mov_b64 s[0:1], -1
                                        ; implicit-def: $vgpr1
	s_branch .LBB119_1310
.LBB119_1306:
	s_mov_b64 s[0:1], -1
                                        ; implicit-def: $vgpr1
.LBB119_1307:
	s_andn2_b64 vcc, exec, s[0:1]
	s_cbranch_vccnz .LBB119_1309
; %bb.1308:
	global_load_dword v1, v[12:13], off
	s_waitcnt vmcnt(0)
	v_cvt_f16_f32_e32 v1, v1
.LBB119_1309:
	s_mov_b64 s[0:1], 0
.LBB119_1310:
	s_andn2_b64 vcc, exec, s[0:1]
	s_cbranch_vccnz .LBB119_1312
; %bb.1311:
	global_load_ushort v1, v[12:13], off
.LBB119_1312:
	s_cbranch_execnz .LBB119_1331
.LBB119_1313:
	s_cmp_lt_i32 s4, 2
	s_cbranch_scc1 .LBB119_1317
; %bb.1314:
	s_cmp_lt_i32 s4, 3
	s_cbranch_scc1 .LBB119_1318
; %bb.1315:
	s_cmp_gt_i32 s4, 3
	s_cbranch_scc0 .LBB119_1319
; %bb.1316:
	global_load_dwordx2 v[14:15], v[12:13], off
	s_mov_b64 s[0:1], 0
	s_waitcnt vmcnt(0)
	v_xor_b32_e32 v3, v14, v15
	v_ffbh_i32_e32 v1, v15
	v_ashrrev_i32_e32 v3, 31, v3
	v_add_u32_e32 v1, -1, v1
	v_add_u32_e32 v3, 32, v3
	v_min_u32_e32 v1, v1, v3
	v_lshlrev_b64 v[14:15], v1, v[14:15]
	v_sub_u32_e32 v1, 32, v1
	v_min_u32_e32 v3, 1, v14
	v_or_b32_e32 v3, v15, v3
	v_cvt_f32_i32_e32 v3, v3
	v_ldexp_f32 v1, v3, v1
	v_cvt_f16_f32_e32 v1, v1
	s_branch .LBB119_1320
.LBB119_1317:
                                        ; implicit-def: $vgpr1
	s_branch .LBB119_1326
.LBB119_1318:
	s_mov_b64 s[0:1], -1
                                        ; implicit-def: $vgpr1
	s_branch .LBB119_1323
.LBB119_1319:
	s_mov_b64 s[0:1], -1
                                        ; implicit-def: $vgpr1
.LBB119_1320:
	s_andn2_b64 vcc, exec, s[0:1]
	s_cbranch_vccnz .LBB119_1322
; %bb.1321:
	global_load_dword v1, v[12:13], off
	s_waitcnt vmcnt(0)
	v_cvt_f32_i32_e32 v1, v1
	v_cvt_f16_f32_e32 v1, v1
.LBB119_1322:
	s_mov_b64 s[0:1], 0
.LBB119_1323:
	s_andn2_b64 vcc, exec, s[0:1]
	s_cbranch_vccnz .LBB119_1325
; %bb.1324:
	global_load_ushort v1, v[12:13], off
	s_waitcnt vmcnt(0)
	v_cvt_f16_i16_e32 v1, v1
.LBB119_1325:
	s_cbranch_execnz .LBB119_1331
.LBB119_1326:
	s_cmp_gt_i32 s4, 0
	s_cbranch_scc0 .LBB119_1328
; %bb.1327:
	global_load_sbyte v1, v[12:13], off
	s_mov_b64 s[0:1], 0
	s_waitcnt vmcnt(0)
	v_cvt_f16_i16_e32 v1, v1
	s_branch .LBB119_1329
.LBB119_1328:
	s_mov_b64 s[0:1], -1
                                        ; implicit-def: $vgpr1
.LBB119_1329:
	s_andn2_b64 vcc, exec, s[0:1]
	s_cbranch_vccnz .LBB119_1331
; %bb.1330:
	global_load_ubyte v1, v[12:13], off
	s_waitcnt vmcnt(0)
	v_cvt_f16_u16_e32 v1, v1
.LBB119_1331:
.LBB119_1332:
	s_load_dwordx2 s[0:1], s[34:35], 0x158
	s_mov_b64 s[6:7], 0
	s_waitcnt lgkmcnt(0)
	s_cmp_lt_i32 s0, 1
	s_cbranch_scc1 .LBB119_1336
; %bb.1333:
	s_cmp_gt_i32 s0, 1
	s_cbranch_scc0 .LBB119_1337
; %bb.1334:
	s_cmp_eq_u32 s0, 2
	s_cbranch_scc0 .LBB119_1338
; %bb.1335:
	s_waitcnt vmcnt(0)
	v_cmp_ge_f16_e64 s[4:5], s1, v1
	s_mov_b64 s[12:13], 0
	s_branch .LBB119_1339
.LBB119_1336:
                                        ; implicit-def: $sgpr4_sgpr5
	s_mov_b64 s[12:13], 0
	s_cbranch_execnz .LBB119_1342
	s_branch .LBB119_1343
.LBB119_1337:
	s_mov_b64 s[12:13], 0
                                        ; implicit-def: $sgpr4_sgpr5
	s_cbranch_execnz .LBB119_1340
	s_branch .LBB119_1341
.LBB119_1338:
	s_mov_b64 s[12:13], -1
                                        ; implicit-def: $sgpr4_sgpr5
.LBB119_1339:
	s_branch .LBB119_1341
.LBB119_1340:
	s_waitcnt vmcnt(0)
	v_cmp_lt_f16_e32 vcc, s1, v1
	s_andn2_b64 s[4:5], s[4:5], exec
	s_and_b64 s[14:15], vcc, exec
	s_or_b64 s[4:5], s[4:5], s[14:15]
.LBB119_1341:
	s_branch .LBB119_1343
.LBB119_1342:
	s_cmp_lg_u32 s0, 0
	s_mov_b64 s[6:7], -1
	s_cselect_b64 s[12:13], -1, 0
.LBB119_1343:
	s_andn2_b64 vcc, exec, s[12:13]
	s_cbranch_vccnz .LBB119_1345
; %bb.1344:
	s_waitcnt vmcnt(0)
	v_cmp_gt_f16_e32 vcc, s1, v1
	s_andn2_b64 s[4:5], s[4:5], exec
	s_and_b64 s[12:13], vcc, exec
	s_or_b64 s[4:5], s[4:5], s[12:13]
	s_cbranch_execz .LBB119_1346
	s_branch .LBB119_1347
.LBB119_1345:
	s_andn2_b64 vcc, exec, s[6:7]
	s_cbranch_vccnz .LBB119_1347
.LBB119_1346:
	s_waitcnt vmcnt(0)
	v_cmp_le_f16_e32 vcc, s1, v1
	s_andn2_b64 s[4:5], s[4:5], exec
	s_and_b64 s[6:7], vcc, exec
	s_or_b64 s[4:5], s[4:5], s[6:7]
.LBB119_1347:
	s_lshr_b32 s6, s16, 8
	s_waitcnt vmcnt(0)
	v_mov_b32_e32 v1, s11
	s_and_b32 s22, s6, 0xff
	v_add_co_u32_e32 v10, vcc, s10, v11
	s_cmp_lt_i32 s22, 11
	v_addc_co_u32_e32 v11, vcc, 0, v1, vcc
	s_cbranch_scc1 .LBB119_1354
; %bb.1348:
	s_and_b32 s20, 0xffff, s22
	s_cmp_gt_i32 s20, 25
	s_mov_b64 s[12:13], 0
	s_cbranch_scc0 .LBB119_1356
; %bb.1349:
	s_cmp_gt_i32 s20, 28
	s_cbranch_scc0 .LBB119_1357
; %bb.1350:
	s_cmp_gt_i32 s20, 43
	;; [unrolled: 3-line block ×3, first 2 shown]
	s_cbranch_scc0 .LBB119_1360
; %bb.1352:
	s_cmp_eq_u32 s20, 46
	s_mov_b64 s[16:17], 0
	s_cbranch_scc0 .LBB119_1363
; %bb.1353:
	global_load_dword v1, v[10:11], off
	s_mov_b64 s[6:7], 0
	s_mov_b64 s[14:15], -1
	s_waitcnt vmcnt(0)
	v_lshlrev_b32_e32 v1, 16, v1
	v_cvt_f16_f32_e32 v1, v1
	s_branch .LBB119_1364
.LBB119_1354:
	s_mov_b64 s[14:15], 0
                                        ; implicit-def: $vgpr1
	s_cbranch_execnz .LBB119_1429
.LBB119_1355:
	s_andn2_b64 vcc, exec, s[14:15]
	s_cbranch_vccnz .LBB119_1771
	s_branch .LBB119_1476
.LBB119_1356:
	s_mov_b64 s[14:15], 0
	s_mov_b64 s[6:7], 0
                                        ; implicit-def: $vgpr1
	s_cbranch_execnz .LBB119_1393
	s_branch .LBB119_1425
.LBB119_1357:
	s_mov_b64 s[16:17], -1
	s_mov_b64 s[14:15], 0
	s_mov_b64 s[6:7], 0
                                        ; implicit-def: $vgpr1
	s_branch .LBB119_1374
.LBB119_1358:
	s_mov_b64 s[16:17], -1
	s_mov_b64 s[14:15], 0
	s_mov_b64 s[6:7], 0
                                        ; implicit-def: $vgpr1
	s_branch .LBB119_1369
.LBB119_1359:
	s_or_b64 s[2:3], s[28:29], exec
	s_trap 2
	s_cbranch_execz .LBB119_1285
	s_branch .LBB119_1286
.LBB119_1360:
	s_mov_b64 s[16:17], -1
	s_mov_b64 s[14:15], 0
	s_mov_b64 s[6:7], 0
                                        ; implicit-def: $vgpr1
	s_branch .LBB119_1364
.LBB119_1361:
	s_andn2_saveexec_b64 s[18:19], s[18:19]
	s_cbranch_execz .LBB119_1075
.LBB119_1362:
	v_add_f32_e32 v0, 0x42800000, v3
	v_and_b32_e32 v0, 0xff, v0
	v_cmp_ne_u32_e32 vcc, 0, v0
	s_andn2_b64 s[16:17], s[16:17], exec
	s_and_b64 s[22:23], vcc, exec
	s_or_b64 s[16:17], s[16:17], s[22:23]
	s_or_b64 exec, exec, s[18:19]
	v_mov_b32_e32 v4, 0
	s_and_saveexec_b64 s[18:19], s[16:17]
	s_cbranch_execnz .LBB119_1076
	s_branch .LBB119_1077
.LBB119_1363:
	s_mov_b64 s[6:7], -1
                                        ; implicit-def: $vgpr1
	s_mov_b64 s[14:15], 0
.LBB119_1364:
	s_and_b64 vcc, exec, s[16:17]
	s_cbranch_vccz .LBB119_1368
; %bb.1365:
	s_cmp_eq_u32 s20, 44
	s_cbranch_scc0 .LBB119_1367
; %bb.1366:
	global_load_ubyte v1, v[10:11], off
	s_movk_i32 s14, 0xff
	v_mov_b32_e32 v5, 0x7e00
	s_mov_b64 s[6:7], 0
	s_waitcnt vmcnt(0)
	v_lshlrev_b32_e32 v3, 23, v1
	v_cvt_f16_f32_e32 v3, v3
	v_cmp_ne_u32_e32 vcc, s14, v1
	s_mov_b64 s[14:15], -1
	v_cndmask_b32_e32 v3, v5, v3, vcc
	v_cmp_ne_u32_e32 vcc, 0, v1
	v_cndmask_b32_e32 v1, 0, v3, vcc
	s_branch .LBB119_1368
.LBB119_1367:
	s_mov_b64 s[6:7], -1
                                        ; implicit-def: $vgpr1
.LBB119_1368:
	s_mov_b64 s[16:17], 0
.LBB119_1369:
	s_and_b64 vcc, exec, s[16:17]
	s_cbranch_vccz .LBB119_1373
; %bb.1370:
	s_cmp_eq_u32 s20, 29
	s_cbranch_scc0 .LBB119_1372
; %bb.1371:
	global_load_dwordx2 v[12:13], v[10:11], off
	s_mov_b64 s[6:7], 0
	s_mov_b64 s[14:15], -1
	s_mov_b64 s[16:17], 0
	s_waitcnt vmcnt(0)
	v_ffbh_u32_e32 v1, v13
	v_min_u32_e32 v1, 32, v1
	v_lshlrev_b64 v[12:13], v1, v[12:13]
	v_sub_u32_e32 v1, 32, v1
	v_min_u32_e32 v3, 1, v12
	v_or_b32_e32 v3, v13, v3
	v_cvt_f32_u32_e32 v3, v3
	v_ldexp_f32 v1, v3, v1
	v_cvt_f16_f32_e32 v1, v1
	s_branch .LBB119_1374
.LBB119_1372:
	s_mov_b64 s[6:7], -1
                                        ; implicit-def: $vgpr1
.LBB119_1373:
	s_mov_b64 s[16:17], 0
.LBB119_1374:
	s_and_b64 vcc, exec, s[16:17]
	s_cbranch_vccz .LBB119_1392
; %bb.1375:
	s_cmp_lt_i32 s20, 27
	s_cbranch_scc1 .LBB119_1378
; %bb.1376:
	s_cmp_gt_i32 s20, 27
	s_cbranch_scc0 .LBB119_1379
; %bb.1377:
	global_load_dword v1, v[10:11], off
	s_mov_b64 s[14:15], 0
	s_waitcnt vmcnt(0)
	v_cvt_f32_u32_e32 v1, v1
	v_cvt_f16_f32_e32 v1, v1
	s_branch .LBB119_1380
.LBB119_1378:
	s_mov_b64 s[14:15], -1
                                        ; implicit-def: $vgpr1
	s_branch .LBB119_1383
.LBB119_1379:
	s_mov_b64 s[14:15], -1
                                        ; implicit-def: $vgpr1
.LBB119_1380:
	s_andn2_b64 vcc, exec, s[14:15]
	s_cbranch_vccnz .LBB119_1382
; %bb.1381:
	global_load_ushort v1, v[10:11], off
	s_waitcnt vmcnt(0)
	v_cvt_f16_u16_e32 v1, v1
.LBB119_1382:
	s_mov_b64 s[14:15], 0
.LBB119_1383:
	s_andn2_b64 vcc, exec, s[14:15]
	s_cbranch_vccnz .LBB119_1391
; %bb.1384:
	global_load_ubyte v3, v[10:11], off
	s_movk_i32 s14, 0x7f
	s_waitcnt vmcnt(0)
	v_cmp_lt_i16_e32 vcc, s14, v3
	s_mov_b64 s[14:15], 0
	s_and_saveexec_b64 s[16:17], vcc
	s_xor_b64 s[16:17], exec, s[16:17]
	s_cbranch_execz .LBB119_1404
; %bb.1385:
	s_movk_i32 s14, 0x80
	v_cmp_eq_u16_e32 vcc, s14, v3
	s_mov_b64 s[14:15], -1
	s_and_saveexec_b64 s[18:19], vcc
; %bb.1386:
	s_xor_b64 s[14:15], exec, -1
; %bb.1387:
	s_or_b64 exec, exec, s[18:19]
	s_and_b64 s[14:15], s[14:15], exec
	s_or_saveexec_b64 s[16:17], s[16:17]
	v_mov_b32_e32 v1, 0x7e00
	s_xor_b64 exec, exec, s[16:17]
	s_cbranch_execnz .LBB119_1405
.LBB119_1388:
	s_or_b64 exec, exec, s[16:17]
	s_and_saveexec_b64 s[16:17], s[14:15]
	s_cbranch_execz .LBB119_1390
.LBB119_1389:
	v_lshlrev_b32_e32 v1, 24, v3
	v_and_b32_e32 v3, 0xffff, v3
	v_and_b32_e32 v5, 7, v3
	v_ffbh_u32_e32 v12, v5
	v_min_u32_e32 v12, 32, v12
	v_subrev_u32_e32 v13, 28, v12
	v_bfe_u32 v8, v3, 3, 4
	v_lshlrev_b32_e32 v3, v13, v3
	v_sub_u32_e32 v12, 29, v12
	v_and_b32_e32 v3, 7, v3
	v_cmp_eq_u32_e32 vcc, 0, v8
	v_cndmask_b32_e32 v8, v8, v12, vcc
	v_cndmask_b32_e32 v3, v5, v3, vcc
	v_mov_b32_e32 v5, 0x3b800000
	v_lshlrev_b32_e32 v3, 20, v3
	v_and_b32_e32 v1, 0x80000000, v1
	v_lshl_add_u32 v5, v8, 23, v5
	v_or3_b32 v1, v1, v5, v3
	v_cvt_f16_f32_e32 v1, v1
.LBB119_1390:
	s_or_b64 exec, exec, s[16:17]
.LBB119_1391:
	s_mov_b64 s[14:15], -1
.LBB119_1392:
	s_branch .LBB119_1425
.LBB119_1393:
	s_cmp_gt_i32 s20, 22
	s_cbranch_scc0 .LBB119_1403
; %bb.1394:
	s_cmp_lt_i32 s20, 24
	s_cbranch_scc1 .LBB119_1406
; %bb.1395:
	s_cmp_gt_i32 s20, 24
	s_cbranch_scc0 .LBB119_1407
; %bb.1396:
	global_load_ubyte v3, v[10:11], off
	s_movk_i32 s12, 0x7f
	s_waitcnt vmcnt(0)
	v_cmp_lt_i16_e32 vcc, s12, v3
	s_mov_b64 s[12:13], 0
	s_and_saveexec_b64 s[14:15], vcc
	s_xor_b64 s[14:15], exec, s[14:15]
	s_cbranch_execz .LBB119_1419
; %bb.1397:
	s_movk_i32 s12, 0x80
	v_cmp_eq_u16_e32 vcc, s12, v3
	s_mov_b64 s[12:13], -1
	s_and_saveexec_b64 s[16:17], vcc
; %bb.1398:
	s_xor_b64 s[12:13], exec, -1
; %bb.1399:
	s_or_b64 exec, exec, s[16:17]
	s_and_b64 s[12:13], s[12:13], exec
	s_or_saveexec_b64 s[14:15], s[14:15]
	v_mov_b32_e32 v1, 0x7e00
	s_xor_b64 exec, exec, s[14:15]
	s_cbranch_execnz .LBB119_1420
.LBB119_1400:
	s_or_b64 exec, exec, s[14:15]
	s_and_saveexec_b64 s[14:15], s[12:13]
	s_cbranch_execz .LBB119_1402
.LBB119_1401:
	v_lshlrev_b32_e32 v1, 24, v3
	v_and_b32_e32 v3, 0xffff, v3
	v_and_b32_e32 v5, 3, v3
	v_ffbh_u32_e32 v12, v5
	v_min_u32_e32 v12, 32, v12
	v_subrev_u32_e32 v13, 29, v12
	v_bfe_u32 v8, v3, 2, 5
	v_lshlrev_b32_e32 v3, v13, v3
	v_sub_u32_e32 v12, 30, v12
	v_and_b32_e32 v3, 3, v3
	v_cmp_eq_u32_e32 vcc, 0, v8
	v_cndmask_b32_e32 v8, v8, v12, vcc
	v_cndmask_b32_e32 v3, v5, v3, vcc
	v_mov_b32_e32 v5, 0x37800000
	v_lshlrev_b32_e32 v3, 21, v3
	v_and_b32_e32 v1, 0x80000000, v1
	v_lshl_add_u32 v5, v8, 23, v5
	v_or3_b32 v1, v1, v5, v3
	v_cvt_f16_f32_e32 v1, v1
.LBB119_1402:
	s_or_b64 exec, exec, s[14:15]
	s_mov_b64 s[12:13], 0
	s_branch .LBB119_1408
.LBB119_1403:
	s_mov_b64 s[12:13], -1
                                        ; implicit-def: $vgpr1
	s_branch .LBB119_1414
.LBB119_1404:
	s_or_saveexec_b64 s[16:17], s[16:17]
	v_mov_b32_e32 v1, 0x7e00
	s_xor_b64 exec, exec, s[16:17]
	s_cbranch_execz .LBB119_1388
.LBB119_1405:
	v_cmp_ne_u16_e32 vcc, 0, v3
	s_andn2_b64 s[14:15], s[14:15], exec
	s_and_b64 s[18:19], vcc, exec
	s_or_b64 s[14:15], s[14:15], s[18:19]
	v_mov_b32_e32 v1, v3
	s_or_b64 exec, exec, s[16:17]
	s_and_saveexec_b64 s[16:17], s[14:15]
	s_cbranch_execnz .LBB119_1389
	s_branch .LBB119_1390
.LBB119_1406:
	s_mov_b64 s[12:13], -1
                                        ; implicit-def: $vgpr1
	s_branch .LBB119_1411
.LBB119_1407:
	s_mov_b64 s[12:13], -1
                                        ; implicit-def: $vgpr1
.LBB119_1408:
	s_and_b64 vcc, exec, s[12:13]
	s_cbranch_vccz .LBB119_1410
; %bb.1409:
	global_load_ubyte v1, v[10:11], off
	s_mov_b32 s12, 0x7f800000
	s_waitcnt vmcnt(0)
	v_lshlrev_b32_e32 v1, 24, v1
	v_and_b32_e32 v3, 0x7f000000, v1
	v_ffbh_u32_e32 v5, v3
	v_min_u32_e32 v5, 32, v5
	v_sub_u32_e64 v5, v5, 4 clamp
	v_lshlrev_b32_e32 v12, v5, v3
	v_lshlrev_b32_e32 v5, 23, v5
	v_lshrrev_b32_e32 v12, 4, v12
	v_add_u32_e32 v8, 0x1000000, v3
	v_sub_u32_e32 v5, v12, v5
	v_ashrrev_i32_e32 v8, 8, v8
	v_add_u32_e32 v5, 0x3c000000, v5
	v_and_or_b32 v5, v8, s12, v5
	v_cmp_ne_u32_e32 vcc, 0, v3
	v_cndmask_b32_e32 v3, 0, v5, vcc
	s_brev_b32 s12, 1
	v_and_or_b32 v1, v1, s12, v3
	v_cvt_f16_f32_e32 v1, v1
.LBB119_1410:
	s_mov_b64 s[12:13], 0
.LBB119_1411:
	s_andn2_b64 vcc, exec, s[12:13]
	s_cbranch_vccnz .LBB119_1413
; %bb.1412:
	global_load_ubyte v1, v[10:11], off
	s_movk_i32 s12, 0x7f00
	s_brev_b32 s13, 16
	s_waitcnt vmcnt(0)
	v_lshlrev_b16_e32 v3, 8, v1
	v_lshlrev_b32_e32 v1, 25, v1
	v_lshrrev_b32_e32 v5, 4, v1
	v_and_or_b32 v8, v3, s12, 0.5
	v_or_b32_e32 v5, 0x70000000, v5
	v_add_f32_e32 v8, -0.5, v8
	v_mul_f32_e32 v5, 0x7800000, v5
	v_cmp_gt_u32_e32 vcc, s13, v1
	v_bfe_i32 v3, v3, 0, 16
	v_cndmask_b32_e32 v1, v5, v8, vcc
	s_brev_b32 s12, 1
	v_and_or_b32 v1, v3, s12, v1
	v_cvt_f16_f32_e32 v1, v1
.LBB119_1413:
	s_mov_b64 s[12:13], 0
	s_mov_b64 s[14:15], -1
.LBB119_1414:
	s_andn2_b64 vcc, exec, s[12:13]
	s_mov_b64 s[12:13], 0
	s_cbranch_vccnz .LBB119_1425
; %bb.1415:
	s_cmp_gt_i32 s20, 14
	s_cbranch_scc0 .LBB119_1418
; %bb.1416:
	s_cmp_eq_u32 s20, 15
	s_cbranch_scc0 .LBB119_1421
; %bb.1417:
	global_load_ushort v1, v[10:11], off
	s_mov_b64 s[6:7], 0
	s_mov_b64 s[14:15], -1
	s_waitcnt vmcnt(0)
	v_lshlrev_b32_e32 v1, 16, v1
	v_cvt_f16_f32_e32 v1, v1
	s_branch .LBB119_1422
.LBB119_1418:
	s_mov_b64 s[16:17], -1
                                        ; implicit-def: $vgpr1
	s_branch .LBB119_1423
.LBB119_1419:
	s_or_saveexec_b64 s[14:15], s[14:15]
	v_mov_b32_e32 v1, 0x7e00
	s_xor_b64 exec, exec, s[14:15]
	s_cbranch_execz .LBB119_1400
.LBB119_1420:
	v_cmp_ne_u16_e32 vcc, 0, v3
	s_andn2_b64 s[12:13], s[12:13], exec
	s_and_b64 s[16:17], vcc, exec
	s_or_b64 s[12:13], s[12:13], s[16:17]
	v_mov_b32_e32 v1, v3
	s_or_b64 exec, exec, s[14:15]
	s_and_saveexec_b64 s[14:15], s[12:13]
	s_cbranch_execnz .LBB119_1401
	s_branch .LBB119_1402
.LBB119_1421:
	s_mov_b64 s[6:7], -1
                                        ; implicit-def: $vgpr1
.LBB119_1422:
	s_mov_b64 s[16:17], 0
.LBB119_1423:
	s_and_b64 vcc, exec, s[16:17]
	s_cbranch_vccz .LBB119_1425
; %bb.1424:
	s_cmp_lg_u32 s20, 11
	s_mov_b64 s[12:13], -1
	s_cselect_b64 s[6:7], -1, 0
.LBB119_1425:
	s_and_b64 vcc, exec, s[6:7]
	s_cbranch_vccnz .LBB119_1504
; %bb.1426:
	s_andn2_b64 vcc, exec, s[12:13]
	s_cbranch_vccnz .LBB119_1428
.LBB119_1427:
	global_load_ubyte v1, v[10:11], off
	v_mov_b32_e32 v3, 0x3c00
	s_mov_b64 s[14:15], -1
	s_waitcnt vmcnt(0)
	v_cmp_ne_u16_e32 vcc, 0, v1
	v_cndmask_b32_e32 v1, 0, v3, vcc
.LBB119_1428:
	s_branch .LBB119_1355
.LBB119_1429:
	s_and_b32 s12, 0xffff, s22
	s_cmp_lt_i32 s12, 5
	s_cbranch_scc1 .LBB119_1434
; %bb.1430:
	s_cmp_lt_i32 s12, 8
	s_cbranch_scc1 .LBB119_1435
; %bb.1431:
	;; [unrolled: 3-line block ×3, first 2 shown]
	s_cmp_gt_i32 s12, 9
	s_cbranch_scc0 .LBB119_1437
; %bb.1433:
	global_load_dwordx2 v[12:13], v[10:11], off
	s_movk_i32 s6, 0x1ff
	s_movk_i32 s7, 0xffe
	v_mov_b32_e32 v1, 0x7c00
	v_mov_b32_e32 v3, 0x7e00
	s_movk_i32 s13, 0x40f
	s_mov_b32 s14, 0x8000
	s_waitcnt vmcnt(0)
	v_and_or_b32 v5, v13, s6, v12
	v_cmp_ne_u32_e32 vcc, 0, v5
	v_lshrrev_b32_e32 v8, 8, v13
	v_bfe_u32 v12, v13, 20, 11
	v_cndmask_b32_e64 v5, 0, 1, vcc
	v_sub_u32_e32 v14, 0x3f1, v12
	v_and_or_b32 v5, v8, s7, v5
	v_add_u32_e32 v12, 0xfffffc10, v12
	v_med3_i32 v8, v14, 0, 13
	v_or_b32_e32 v14, 0x1000, v5
	v_lshl_or_b32 v15, v12, 12, v5
	v_cmp_ne_u32_e32 vcc, 0, v5
	v_lshrrev_b32_e32 v5, v8, v14
	v_lshlrev_b32_e32 v8, v8, v5
	v_cndmask_b32_e32 v3, v1, v3, vcc
	v_cmp_ne_u32_e32 vcc, v8, v14
	v_cndmask_b32_e64 v8, 0, 1, vcc
	v_or_b32_e32 v5, v5, v8
	v_cmp_gt_i32_e32 vcc, 1, v12
	v_cndmask_b32_e32 v5, v15, v5, vcc
	v_and_b32_e32 v8, 7, v5
	v_cmp_lt_i32_e32 vcc, 5, v8
	v_cndmask_b32_e64 v14, 0, 1, vcc
	v_cmp_eq_u32_e32 vcc, 3, v8
	v_cndmask_b32_e64 v8, 0, 1, vcc
	v_lshrrev_b32_e32 v5, 2, v5
	v_or_b32_e32 v8, v8, v14
	v_add_u32_e32 v5, v5, v8
	v_cmp_gt_i32_e32 vcc, 31, v12
	v_cndmask_b32_e32 v1, v1, v5, vcc
	v_cmp_eq_u32_e32 vcc, s13, v12
	v_lshrrev_b32_e32 v13, 16, v13
	v_cndmask_b32_e32 v1, v1, v3, vcc
	v_and_or_b32 v1, v13, s14, v1
	s_mov_b64 s[6:7], 0
	s_branch .LBB119_1438
.LBB119_1434:
                                        ; implicit-def: $vgpr1
	s_branch .LBB119_1456
.LBB119_1435:
	s_mov_b64 s[6:7], -1
                                        ; implicit-def: $vgpr1
	s_branch .LBB119_1444
.LBB119_1436:
	s_mov_b64 s[6:7], -1
                                        ; implicit-def: $vgpr1
	s_branch .LBB119_1441
.LBB119_1437:
	s_mov_b64 s[6:7], -1
                                        ; implicit-def: $vgpr1
.LBB119_1438:
	s_andn2_b64 vcc, exec, s[6:7]
	s_cbranch_vccnz .LBB119_1440
; %bb.1439:
	global_load_dword v1, v[10:11], off
	s_waitcnt vmcnt(0)
	v_cvt_f16_f32_e32 v1, v1
.LBB119_1440:
	s_mov_b64 s[6:7], 0
.LBB119_1441:
	s_andn2_b64 vcc, exec, s[6:7]
	s_cbranch_vccnz .LBB119_1443
; %bb.1442:
	global_load_dword v1, v[10:11], off
.LBB119_1443:
	s_mov_b64 s[6:7], 0
.LBB119_1444:
	s_andn2_b64 vcc, exec, s[6:7]
	s_cbranch_vccnz .LBB119_1455
; %bb.1445:
	s_cmp_lt_i32 s12, 6
	s_cbranch_scc1 .LBB119_1448
; %bb.1446:
	s_cmp_gt_i32 s12, 6
	s_cbranch_scc0 .LBB119_1449
; %bb.1447:
	global_load_dwordx2 v[12:13], v[10:11], off
	s_movk_i32 s6, 0x1ff
	s_movk_i32 s7, 0xffe
	s_waitcnt vmcnt(1)
	v_mov_b32_e32 v1, 0x7c00
	v_mov_b32_e32 v3, 0x7e00
	s_movk_i32 s13, 0x40f
	s_mov_b32 s14, 0x8000
	s_waitcnt vmcnt(0)
	v_and_or_b32 v5, v13, s6, v12
	v_cmp_ne_u32_e32 vcc, 0, v5
	v_lshrrev_b32_e32 v8, 8, v13
	v_bfe_u32 v12, v13, 20, 11
	v_cndmask_b32_e64 v5, 0, 1, vcc
	v_sub_u32_e32 v14, 0x3f1, v12
	v_and_or_b32 v5, v8, s7, v5
	v_add_u32_e32 v12, 0xfffffc10, v12
	v_med3_i32 v8, v14, 0, 13
	v_or_b32_e32 v14, 0x1000, v5
	v_lshl_or_b32 v15, v12, 12, v5
	v_cmp_ne_u32_e32 vcc, 0, v5
	v_lshrrev_b32_e32 v5, v8, v14
	v_lshlrev_b32_e32 v8, v8, v5
	v_cndmask_b32_e32 v3, v1, v3, vcc
	v_cmp_ne_u32_e32 vcc, v8, v14
	v_cndmask_b32_e64 v8, 0, 1, vcc
	v_or_b32_e32 v5, v5, v8
	v_cmp_gt_i32_e32 vcc, 1, v12
	v_cndmask_b32_e32 v5, v15, v5, vcc
	v_and_b32_e32 v8, 7, v5
	v_cmp_lt_i32_e32 vcc, 5, v8
	v_cndmask_b32_e64 v14, 0, 1, vcc
	v_cmp_eq_u32_e32 vcc, 3, v8
	v_cndmask_b32_e64 v8, 0, 1, vcc
	v_lshrrev_b32_e32 v5, 2, v5
	v_or_b32_e32 v8, v8, v14
	v_add_u32_e32 v5, v5, v8
	v_cmp_gt_i32_e32 vcc, 31, v12
	v_cndmask_b32_e32 v1, v1, v5, vcc
	v_cmp_eq_u32_e32 vcc, s13, v12
	v_lshrrev_b32_e32 v13, 16, v13
	v_cndmask_b32_e32 v1, v1, v3, vcc
	v_and_or_b32 v1, v13, s14, v1
	s_mov_b64 s[6:7], 0
	s_branch .LBB119_1450
.LBB119_1448:
	s_mov_b64 s[6:7], -1
                                        ; implicit-def: $vgpr1
	s_branch .LBB119_1453
.LBB119_1449:
	s_mov_b64 s[6:7], -1
                                        ; implicit-def: $vgpr1
.LBB119_1450:
	s_andn2_b64 vcc, exec, s[6:7]
	s_cbranch_vccnz .LBB119_1452
; %bb.1451:
	global_load_dword v1, v[10:11], off
	s_waitcnt vmcnt(0)
	v_cvt_f16_f32_e32 v1, v1
.LBB119_1452:
	s_mov_b64 s[6:7], 0
.LBB119_1453:
	s_andn2_b64 vcc, exec, s[6:7]
	s_cbranch_vccnz .LBB119_1455
; %bb.1454:
	global_load_ushort v1, v[10:11], off
.LBB119_1455:
	s_cbranch_execnz .LBB119_1475
.LBB119_1456:
	s_cmp_lt_i32 s12, 2
	s_cbranch_scc1 .LBB119_1460
; %bb.1457:
	s_cmp_lt_i32 s12, 3
	s_cbranch_scc1 .LBB119_1461
; %bb.1458:
	s_cmp_gt_i32 s12, 3
	s_cbranch_scc0 .LBB119_1462
; %bb.1459:
	global_load_dwordx2 v[12:13], v[10:11], off
	s_mov_b64 s[6:7], 0
	s_waitcnt vmcnt(0)
	v_xor_b32_e32 v3, v12, v13
	v_ffbh_i32_e32 v1, v13
	v_ashrrev_i32_e32 v3, 31, v3
	v_add_u32_e32 v1, -1, v1
	v_add_u32_e32 v3, 32, v3
	v_min_u32_e32 v1, v1, v3
	v_lshlrev_b64 v[12:13], v1, v[12:13]
	v_sub_u32_e32 v1, 32, v1
	v_min_u32_e32 v3, 1, v12
	v_or_b32_e32 v3, v13, v3
	v_cvt_f32_i32_e32 v3, v3
	v_ldexp_f32 v1, v3, v1
	v_cvt_f16_f32_e32 v1, v1
	s_branch .LBB119_1463
.LBB119_1460:
	s_mov_b64 s[6:7], -1
                                        ; implicit-def: $vgpr1
	s_branch .LBB119_1469
.LBB119_1461:
	s_mov_b64 s[6:7], -1
                                        ; implicit-def: $vgpr1
	s_branch .LBB119_1466
.LBB119_1462:
	s_mov_b64 s[6:7], -1
                                        ; implicit-def: $vgpr1
.LBB119_1463:
	s_andn2_b64 vcc, exec, s[6:7]
	s_cbranch_vccnz .LBB119_1465
; %bb.1464:
	global_load_dword v1, v[10:11], off
	s_waitcnt vmcnt(0)
	v_cvt_f32_i32_e32 v1, v1
	v_cvt_f16_f32_e32 v1, v1
.LBB119_1465:
	s_mov_b64 s[6:7], 0
.LBB119_1466:
	s_andn2_b64 vcc, exec, s[6:7]
	s_cbranch_vccnz .LBB119_1468
; %bb.1467:
	global_load_ushort v1, v[10:11], off
	s_waitcnt vmcnt(0)
	v_cvt_f16_i16_e32 v1, v1
.LBB119_1468:
	s_mov_b64 s[6:7], 0
.LBB119_1469:
	s_andn2_b64 vcc, exec, s[6:7]
	s_cbranch_vccnz .LBB119_1475
; %bb.1470:
	s_cmp_gt_i32 s12, 0
	s_cbranch_scc0 .LBB119_1472
; %bb.1471:
	global_load_sbyte v1, v[10:11], off
	s_mov_b64 s[6:7], 0
	s_waitcnt vmcnt(0)
	v_cvt_f16_i16_e32 v1, v1
	s_branch .LBB119_1473
.LBB119_1472:
	s_mov_b64 s[6:7], -1
                                        ; implicit-def: $vgpr1
.LBB119_1473:
	s_andn2_b64 vcc, exec, s[6:7]
	s_cbranch_vccnz .LBB119_1475
; %bb.1474:
	global_load_ubyte v1, v[10:11], off
	s_waitcnt vmcnt(0)
	v_cvt_f16_u16_e32 v1, v1
.LBB119_1475:
.LBB119_1476:
	s_cmp_lt_i32 s0, 1
	s_mov_b64 s[12:13], 0
	s_cbranch_scc1 .LBB119_1480
; %bb.1477:
	s_cmp_gt_i32 s0, 1
	s_cbranch_scc0 .LBB119_1481
; %bb.1478:
	s_cmp_eq_u32 s0, 2
	s_cbranch_scc0 .LBB119_1482
; %bb.1479:
	s_waitcnt vmcnt(0)
	v_cmp_ge_f16_e64 s[6:7], s1, v1
	s_mov_b64 s[14:15], 0
	s_branch .LBB119_1483
.LBB119_1480:
                                        ; implicit-def: $sgpr6_sgpr7
	s_mov_b64 s[14:15], 0
	s_cbranch_execnz .LBB119_1487
	s_branch .LBB119_1488
.LBB119_1481:
	s_mov_b64 s[16:17], -1
	s_mov_b64 s[14:15], 0
                                        ; implicit-def: $sgpr6_sgpr7
	s_branch .LBB119_1484
.LBB119_1482:
	s_mov_b64 s[14:15], -1
                                        ; implicit-def: $sgpr6_sgpr7
.LBB119_1483:
	s_mov_b64 s[16:17], 0
.LBB119_1484:
	s_and_b64 vcc, exec, s[16:17]
	s_cbranch_vccz .LBB119_1486
; %bb.1485:
	s_waitcnt vmcnt(0)
	v_cmp_lt_f16_e32 vcc, s1, v1
	s_andn2_b64 s[6:7], s[6:7], exec
	s_and_b64 s[16:17], vcc, exec
	s_or_b64 s[6:7], s[6:7], s[16:17]
.LBB119_1486:
	s_branch .LBB119_1488
.LBB119_1487:
	s_cmp_lg_u32 s0, 0
	s_mov_b64 s[12:13], -1
	s_cselect_b64 s[14:15], -1, 0
.LBB119_1488:
	s_andn2_b64 vcc, exec, s[14:15]
	s_cbranch_vccnz .LBB119_1490
; %bb.1489:
	s_waitcnt vmcnt(0)
	v_cmp_gt_f16_e32 vcc, s1, v1
	s_andn2_b64 s[6:7], s[6:7], exec
	s_and_b64 s[14:15], vcc, exec
	s_or_b64 s[6:7], s[6:7], s[14:15]
	s_cbranch_execz .LBB119_1491
	s_branch .LBB119_1492
.LBB119_1490:
	s_andn2_b64 vcc, exec, s[12:13]
	s_cbranch_vccnz .LBB119_1492
.LBB119_1491:
	s_waitcnt vmcnt(0)
	v_cmp_le_f16_e32 vcc, s1, v1
	s_andn2_b64 s[6:7], s[6:7], exec
	s_and_b64 s[12:13], vcc, exec
	s_or_b64 s[6:7], s[6:7], s[12:13]
.LBB119_1492:
	s_waitcnt vmcnt(0)
	v_mov_b32_e32 v1, s11
	v_add_co_u32_e32 v8, vcc, s10, v9
	s_cmp_lt_i32 s22, 11
	v_addc_co_u32_e32 v9, vcc, 0, v1, vcc
	s_cbranch_scc1 .LBB119_1499
; %bb.1493:
	s_and_b32 s23, 0xffff, s22
	s_cmp_gt_i32 s23, 25
	s_mov_b64 s[14:15], 0
	s_cbranch_scc0 .LBB119_1501
; %bb.1494:
	s_cmp_gt_i32 s23, 28
	s_cbranch_scc0 .LBB119_1502
; %bb.1495:
	s_cmp_gt_i32 s23, 43
	;; [unrolled: 3-line block ×3, first 2 shown]
	s_cbranch_scc0 .LBB119_1505
; %bb.1497:
	s_cmp_eq_u32 s23, 46
	s_mov_b64 s[18:19], 0
	s_cbranch_scc0 .LBB119_1506
; %bb.1498:
	global_load_dword v1, v[8:9], off
	s_mov_b64 s[12:13], 0
	s_mov_b64 s[16:17], -1
	s_waitcnt vmcnt(0)
	v_lshlrev_b32_e32 v1, 16, v1
	v_cvt_f16_f32_e32 v1, v1
	s_branch .LBB119_1507
.LBB119_1499:
	s_mov_b64 s[16:17], 0
                                        ; implicit-def: $vgpr1
	s_cbranch_execnz .LBB119_1573
.LBB119_1500:
	s_andn2_b64 vcc, exec, s[16:17]
	s_cbranch_vccnz .LBB119_1771
	s_branch .LBB119_1621
.LBB119_1501:
	s_mov_b64 s[18:19], -1
	s_mov_b64 s[16:17], 0
	s_mov_b64 s[12:13], 0
                                        ; implicit-def: $vgpr1
	s_branch .LBB119_1536
.LBB119_1502:
	s_mov_b64 s[18:19], -1
	s_mov_b64 s[16:17], 0
	s_mov_b64 s[12:13], 0
                                        ; implicit-def: $vgpr1
	s_branch .LBB119_1517
.LBB119_1503:
	s_mov_b64 s[18:19], -1
	s_mov_b64 s[16:17], 0
	s_mov_b64 s[12:13], 0
                                        ; implicit-def: $vgpr1
	s_branch .LBB119_1512
.LBB119_1504:
	s_trap 2
	s_or_b64 s[2:3], s[2:3], exec
	s_cbranch_execz .LBB119_1427
	s_branch .LBB119_1428
.LBB119_1505:
	s_mov_b64 s[18:19], -1
	s_mov_b64 s[16:17], 0
	s_mov_b64 s[12:13], 0
                                        ; implicit-def: $vgpr1
	s_branch .LBB119_1507
.LBB119_1506:
	s_mov_b64 s[12:13], -1
                                        ; implicit-def: $vgpr1
	s_mov_b64 s[16:17], 0
.LBB119_1507:
	s_and_b64 vcc, exec, s[18:19]
	s_cbranch_vccz .LBB119_1511
; %bb.1508:
	s_cmp_eq_u32 s23, 44
	s_cbranch_scc0 .LBB119_1510
; %bb.1509:
	global_load_ubyte v1, v[8:9], off
	s_movk_i32 s16, 0xff
	v_mov_b32_e32 v5, 0x7e00
	s_mov_b64 s[12:13], 0
	s_waitcnt vmcnt(0)
	v_lshlrev_b32_e32 v3, 23, v1
	v_cvt_f16_f32_e32 v3, v3
	v_cmp_ne_u32_e32 vcc, s16, v1
	s_mov_b64 s[16:17], -1
	v_cndmask_b32_e32 v3, v5, v3, vcc
	v_cmp_ne_u32_e32 vcc, 0, v1
	v_cndmask_b32_e32 v1, 0, v3, vcc
	s_branch .LBB119_1511
.LBB119_1510:
	s_mov_b64 s[12:13], -1
                                        ; implicit-def: $vgpr1
.LBB119_1511:
	s_mov_b64 s[18:19], 0
.LBB119_1512:
	s_and_b64 vcc, exec, s[18:19]
	s_cbranch_vccz .LBB119_1516
; %bb.1513:
	s_cmp_eq_u32 s23, 29
	s_cbranch_scc0 .LBB119_1515
; %bb.1514:
	global_load_dwordx2 v[10:11], v[8:9], off
	s_mov_b64 s[12:13], 0
	s_mov_b64 s[16:17], -1
	s_mov_b64 s[18:19], 0
	s_waitcnt vmcnt(0)
	v_ffbh_u32_e32 v1, v11
	v_min_u32_e32 v1, 32, v1
	v_lshlrev_b64 v[10:11], v1, v[10:11]
	v_sub_u32_e32 v1, 32, v1
	v_min_u32_e32 v3, 1, v10
	v_or_b32_e32 v3, v11, v3
	v_cvt_f32_u32_e32 v3, v3
	v_ldexp_f32 v1, v3, v1
	v_cvt_f16_f32_e32 v1, v1
	s_branch .LBB119_1517
.LBB119_1515:
	s_mov_b64 s[12:13], -1
                                        ; implicit-def: $vgpr1
.LBB119_1516:
	s_mov_b64 s[18:19], 0
.LBB119_1517:
	s_and_b64 vcc, exec, s[18:19]
	s_cbranch_vccz .LBB119_1535
; %bb.1518:
	s_cmp_lt_i32 s23, 27
	s_cbranch_scc1 .LBB119_1521
; %bb.1519:
	s_cmp_gt_i32 s23, 27
	s_cbranch_scc0 .LBB119_1522
; %bb.1520:
	global_load_dword v1, v[8:9], off
	s_mov_b64 s[16:17], 0
	s_waitcnt vmcnt(0)
	v_cvt_f32_u32_e32 v1, v1
	v_cvt_f16_f32_e32 v1, v1
	s_branch .LBB119_1523
.LBB119_1521:
	s_mov_b64 s[16:17], -1
                                        ; implicit-def: $vgpr1
	s_branch .LBB119_1526
.LBB119_1522:
	s_mov_b64 s[16:17], -1
                                        ; implicit-def: $vgpr1
.LBB119_1523:
	s_andn2_b64 vcc, exec, s[16:17]
	s_cbranch_vccnz .LBB119_1525
; %bb.1524:
	global_load_ushort v1, v[8:9], off
	s_waitcnt vmcnt(0)
	v_cvt_f16_u16_e32 v1, v1
.LBB119_1525:
	s_mov_b64 s[16:17], 0
.LBB119_1526:
	s_andn2_b64 vcc, exec, s[16:17]
	s_cbranch_vccnz .LBB119_1534
; %bb.1527:
	global_load_ubyte v3, v[8:9], off
	s_movk_i32 s16, 0x7f
	s_waitcnt vmcnt(0)
	v_cmp_lt_i16_e32 vcc, s16, v3
	s_mov_b64 s[16:17], 0
	s_and_saveexec_b64 s[18:19], vcc
	s_xor_b64 s[18:19], exec, s[18:19]
	s_cbranch_execz .LBB119_1548
; %bb.1528:
	s_movk_i32 s16, 0x80
	v_cmp_eq_u16_e32 vcc, s16, v3
	s_mov_b64 s[16:17], -1
	s_and_saveexec_b64 s[20:21], vcc
; %bb.1529:
	s_xor_b64 s[16:17], exec, -1
; %bb.1530:
	s_or_b64 exec, exec, s[20:21]
	s_and_b64 s[16:17], s[16:17], exec
	s_or_saveexec_b64 s[18:19], s[18:19]
	v_mov_b32_e32 v1, 0x7e00
	s_xor_b64 exec, exec, s[18:19]
	s_cbranch_execnz .LBB119_1549
.LBB119_1531:
	s_or_b64 exec, exec, s[18:19]
	s_and_saveexec_b64 s[18:19], s[16:17]
	s_cbranch_execz .LBB119_1533
.LBB119_1532:
	v_lshlrev_b32_e32 v1, 24, v3
	v_and_b32_e32 v3, 0xffff, v3
	v_and_b32_e32 v5, 7, v3
	v_ffbh_u32_e32 v11, v5
	v_min_u32_e32 v11, 32, v11
	v_subrev_u32_e32 v12, 28, v11
	v_bfe_u32 v10, v3, 3, 4
	v_lshlrev_b32_e32 v3, v12, v3
	v_sub_u32_e32 v11, 29, v11
	v_and_b32_e32 v3, 7, v3
	v_cmp_eq_u32_e32 vcc, 0, v10
	v_cndmask_b32_e32 v10, v10, v11, vcc
	v_cndmask_b32_e32 v3, v5, v3, vcc
	v_mov_b32_e32 v5, 0x3b800000
	v_lshlrev_b32_e32 v3, 20, v3
	v_and_b32_e32 v1, 0x80000000, v1
	v_lshl_add_u32 v5, v10, 23, v5
	v_or3_b32 v1, v1, v5, v3
	v_cvt_f16_f32_e32 v1, v1
.LBB119_1533:
	s_or_b64 exec, exec, s[18:19]
.LBB119_1534:
	s_mov_b64 s[16:17], -1
.LBB119_1535:
	s_mov_b64 s[18:19], 0
.LBB119_1536:
	s_and_b64 vcc, exec, s[18:19]
	s_cbranch_vccz .LBB119_1569
; %bb.1537:
	s_cmp_gt_i32 s23, 22
	s_cbranch_scc0 .LBB119_1547
; %bb.1538:
	s_cmp_lt_i32 s23, 24
	s_cbranch_scc1 .LBB119_1550
; %bb.1539:
	s_cmp_gt_i32 s23, 24
	s_cbranch_scc0 .LBB119_1551
; %bb.1540:
	global_load_ubyte v3, v[8:9], off
	s_movk_i32 s14, 0x7f
	s_waitcnt vmcnt(0)
	v_cmp_lt_i16_e32 vcc, s14, v3
	s_mov_b64 s[14:15], 0
	s_and_saveexec_b64 s[16:17], vcc
	s_xor_b64 s[16:17], exec, s[16:17]
	s_cbranch_execz .LBB119_1563
; %bb.1541:
	s_movk_i32 s14, 0x80
	v_cmp_eq_u16_e32 vcc, s14, v3
	s_mov_b64 s[14:15], -1
	s_and_saveexec_b64 s[18:19], vcc
; %bb.1542:
	s_xor_b64 s[14:15], exec, -1
; %bb.1543:
	s_or_b64 exec, exec, s[18:19]
	s_and_b64 s[14:15], s[14:15], exec
	s_or_saveexec_b64 s[16:17], s[16:17]
	v_mov_b32_e32 v1, 0x7e00
	s_xor_b64 exec, exec, s[16:17]
	s_cbranch_execnz .LBB119_1564
.LBB119_1544:
	s_or_b64 exec, exec, s[16:17]
	s_and_saveexec_b64 s[16:17], s[14:15]
	s_cbranch_execz .LBB119_1546
.LBB119_1545:
	v_lshlrev_b32_e32 v1, 24, v3
	v_and_b32_e32 v3, 0xffff, v3
	v_and_b32_e32 v5, 3, v3
	v_ffbh_u32_e32 v11, v5
	v_min_u32_e32 v11, 32, v11
	v_subrev_u32_e32 v12, 29, v11
	v_bfe_u32 v10, v3, 2, 5
	v_lshlrev_b32_e32 v3, v12, v3
	v_sub_u32_e32 v11, 30, v11
	v_and_b32_e32 v3, 3, v3
	v_cmp_eq_u32_e32 vcc, 0, v10
	v_cndmask_b32_e32 v10, v10, v11, vcc
	v_cndmask_b32_e32 v3, v5, v3, vcc
	v_mov_b32_e32 v5, 0x37800000
	v_lshlrev_b32_e32 v3, 21, v3
	v_and_b32_e32 v1, 0x80000000, v1
	v_lshl_add_u32 v5, v10, 23, v5
	v_or3_b32 v1, v1, v5, v3
	v_cvt_f16_f32_e32 v1, v1
.LBB119_1546:
	s_or_b64 exec, exec, s[16:17]
	s_mov_b64 s[14:15], 0
	s_branch .LBB119_1552
.LBB119_1547:
	s_mov_b64 s[14:15], -1
                                        ; implicit-def: $vgpr1
	s_branch .LBB119_1558
.LBB119_1548:
	s_or_saveexec_b64 s[18:19], s[18:19]
	v_mov_b32_e32 v1, 0x7e00
	s_xor_b64 exec, exec, s[18:19]
	s_cbranch_execz .LBB119_1531
.LBB119_1549:
	v_cmp_ne_u16_e32 vcc, 0, v3
	s_andn2_b64 s[16:17], s[16:17], exec
	s_and_b64 s[20:21], vcc, exec
	s_or_b64 s[16:17], s[16:17], s[20:21]
	v_mov_b32_e32 v1, v3
	s_or_b64 exec, exec, s[18:19]
	s_and_saveexec_b64 s[18:19], s[16:17]
	s_cbranch_execnz .LBB119_1532
	s_branch .LBB119_1533
.LBB119_1550:
	s_mov_b64 s[14:15], -1
                                        ; implicit-def: $vgpr1
	s_branch .LBB119_1555
.LBB119_1551:
	s_mov_b64 s[14:15], -1
                                        ; implicit-def: $vgpr1
.LBB119_1552:
	s_and_b64 vcc, exec, s[14:15]
	s_cbranch_vccz .LBB119_1554
; %bb.1553:
	global_load_ubyte v1, v[8:9], off
	s_mov_b32 s14, 0x7f800000
	s_waitcnt vmcnt(0)
	v_lshlrev_b32_e32 v1, 24, v1
	v_and_b32_e32 v3, 0x7f000000, v1
	v_ffbh_u32_e32 v5, v3
	v_min_u32_e32 v5, 32, v5
	v_sub_u32_e64 v5, v5, 4 clamp
	v_lshlrev_b32_e32 v11, v5, v3
	v_lshlrev_b32_e32 v5, 23, v5
	v_lshrrev_b32_e32 v11, 4, v11
	v_add_u32_e32 v10, 0x1000000, v3
	v_sub_u32_e32 v5, v11, v5
	v_ashrrev_i32_e32 v10, 8, v10
	v_add_u32_e32 v5, 0x3c000000, v5
	v_and_or_b32 v5, v10, s14, v5
	v_cmp_ne_u32_e32 vcc, 0, v3
	v_cndmask_b32_e32 v3, 0, v5, vcc
	s_brev_b32 s14, 1
	v_and_or_b32 v1, v1, s14, v3
	v_cvt_f16_f32_e32 v1, v1
.LBB119_1554:
	s_mov_b64 s[14:15], 0
.LBB119_1555:
	s_andn2_b64 vcc, exec, s[14:15]
	s_cbranch_vccnz .LBB119_1557
; %bb.1556:
	global_load_ubyte v1, v[8:9], off
	s_movk_i32 s14, 0x7f00
	s_brev_b32 s15, 16
	s_waitcnt vmcnt(0)
	v_lshlrev_b16_e32 v3, 8, v1
	v_lshlrev_b32_e32 v1, 25, v1
	v_lshrrev_b32_e32 v5, 4, v1
	v_and_or_b32 v10, v3, s14, 0.5
	v_or_b32_e32 v5, 0x70000000, v5
	v_add_f32_e32 v10, -0.5, v10
	v_mul_f32_e32 v5, 0x7800000, v5
	v_cmp_gt_u32_e32 vcc, s15, v1
	v_bfe_i32 v3, v3, 0, 16
	v_cndmask_b32_e32 v1, v5, v10, vcc
	s_brev_b32 s14, 1
	v_and_or_b32 v1, v3, s14, v1
	v_cvt_f16_f32_e32 v1, v1
.LBB119_1557:
	s_mov_b64 s[14:15], 0
	s_mov_b64 s[16:17], -1
.LBB119_1558:
	s_andn2_b64 vcc, exec, s[14:15]
	s_mov_b64 s[14:15], 0
	s_cbranch_vccnz .LBB119_1569
; %bb.1559:
	s_cmp_gt_i32 s23, 14
	s_cbranch_scc0 .LBB119_1562
; %bb.1560:
	s_cmp_eq_u32 s23, 15
	s_cbranch_scc0 .LBB119_1565
; %bb.1561:
	global_load_ushort v1, v[8:9], off
	s_mov_b64 s[12:13], 0
	s_mov_b64 s[16:17], -1
	s_waitcnt vmcnt(0)
	v_lshlrev_b32_e32 v1, 16, v1
	v_cvt_f16_f32_e32 v1, v1
	s_branch .LBB119_1566
.LBB119_1562:
	s_mov_b64 s[18:19], -1
                                        ; implicit-def: $vgpr1
	s_branch .LBB119_1567
.LBB119_1563:
	s_or_saveexec_b64 s[16:17], s[16:17]
	v_mov_b32_e32 v1, 0x7e00
	s_xor_b64 exec, exec, s[16:17]
	s_cbranch_execz .LBB119_1544
.LBB119_1564:
	v_cmp_ne_u16_e32 vcc, 0, v3
	s_andn2_b64 s[14:15], s[14:15], exec
	s_and_b64 s[18:19], vcc, exec
	s_or_b64 s[14:15], s[14:15], s[18:19]
	v_mov_b32_e32 v1, v3
	s_or_b64 exec, exec, s[16:17]
	s_and_saveexec_b64 s[16:17], s[14:15]
	s_cbranch_execnz .LBB119_1545
	s_branch .LBB119_1546
.LBB119_1565:
	s_mov_b64 s[12:13], -1
                                        ; implicit-def: $vgpr1
.LBB119_1566:
	s_mov_b64 s[18:19], 0
.LBB119_1567:
	s_and_b64 vcc, exec, s[18:19]
	s_cbranch_vccz .LBB119_1569
; %bb.1568:
	s_cmp_lg_u32 s23, 11
	s_mov_b64 s[14:15], -1
	s_cselect_b64 s[12:13], -1, 0
.LBB119_1569:
	s_and_b64 vcc, exec, s[12:13]
	s_cbranch_vccnz .LBB119_1648
; %bb.1570:
	s_andn2_b64 vcc, exec, s[14:15]
	s_cbranch_vccnz .LBB119_1572
.LBB119_1571:
	global_load_ubyte v1, v[8:9], off
	v_mov_b32_e32 v3, 0x3c00
	s_mov_b64 s[16:17], -1
	s_waitcnt vmcnt(0)
	v_cmp_ne_u16_e32 vcc, 0, v1
	v_cndmask_b32_e32 v1, 0, v3, vcc
.LBB119_1572:
	s_branch .LBB119_1500
.LBB119_1573:
	s_and_b32 s14, 0xffff, s22
	s_cmp_lt_i32 s14, 5
	s_cbranch_scc1 .LBB119_1578
; %bb.1574:
	s_cmp_lt_i32 s14, 8
	s_cbranch_scc1 .LBB119_1579
; %bb.1575:
	;; [unrolled: 3-line block ×3, first 2 shown]
	s_cmp_gt_i32 s14, 9
	s_cbranch_scc0 .LBB119_1581
; %bb.1577:
	global_load_dwordx2 v[10:11], v[8:9], off
	s_movk_i32 s12, 0x1ff
	s_movk_i32 s13, 0xffe
	v_mov_b32_e32 v1, 0x7c00
	v_mov_b32_e32 v3, 0x7e00
	s_movk_i32 s15, 0x40f
	s_mov_b32 s16, 0x8000
	s_waitcnt vmcnt(0)
	v_and_or_b32 v5, v11, s12, v10
	v_cmp_ne_u32_e32 vcc, 0, v5
	v_lshrrev_b32_e32 v10, 8, v11
	v_bfe_u32 v12, v11, 20, 11
	v_cndmask_b32_e64 v5, 0, 1, vcc
	v_sub_u32_e32 v13, 0x3f1, v12
	v_and_or_b32 v5, v10, s13, v5
	v_add_u32_e32 v12, 0xfffffc10, v12
	v_med3_i32 v10, v13, 0, 13
	v_or_b32_e32 v13, 0x1000, v5
	v_lshl_or_b32 v14, v12, 12, v5
	v_cmp_ne_u32_e32 vcc, 0, v5
	v_lshrrev_b32_e32 v5, v10, v13
	v_lshlrev_b32_e32 v10, v10, v5
	v_cndmask_b32_e32 v3, v1, v3, vcc
	v_cmp_ne_u32_e32 vcc, v10, v13
	v_cndmask_b32_e64 v10, 0, 1, vcc
	v_or_b32_e32 v5, v5, v10
	v_cmp_gt_i32_e32 vcc, 1, v12
	v_cndmask_b32_e32 v5, v14, v5, vcc
	v_and_b32_e32 v10, 7, v5
	v_cmp_lt_i32_e32 vcc, 5, v10
	v_cndmask_b32_e64 v13, 0, 1, vcc
	v_cmp_eq_u32_e32 vcc, 3, v10
	v_cndmask_b32_e64 v10, 0, 1, vcc
	v_lshrrev_b32_e32 v5, 2, v5
	v_or_b32_e32 v10, v10, v13
	v_add_u32_e32 v5, v5, v10
	v_cmp_gt_i32_e32 vcc, 31, v12
	v_cndmask_b32_e32 v1, v1, v5, vcc
	v_cmp_eq_u32_e32 vcc, s15, v12
	v_lshrrev_b32_e32 v11, 16, v11
	v_cndmask_b32_e32 v1, v1, v3, vcc
	v_and_or_b32 v1, v11, s16, v1
	s_mov_b64 s[12:13], 0
	s_branch .LBB119_1582
.LBB119_1578:
	s_mov_b64 s[12:13], -1
                                        ; implicit-def: $vgpr1
	s_branch .LBB119_1600
.LBB119_1579:
	s_mov_b64 s[12:13], -1
                                        ; implicit-def: $vgpr1
	s_branch .LBB119_1588
.LBB119_1580:
	s_mov_b64 s[12:13], -1
                                        ; implicit-def: $vgpr1
	s_branch .LBB119_1585
.LBB119_1581:
	s_mov_b64 s[12:13], -1
                                        ; implicit-def: $vgpr1
.LBB119_1582:
	s_andn2_b64 vcc, exec, s[12:13]
	s_cbranch_vccnz .LBB119_1584
; %bb.1583:
	global_load_dword v1, v[8:9], off
	s_waitcnt vmcnt(0)
	v_cvt_f16_f32_e32 v1, v1
.LBB119_1584:
	s_mov_b64 s[12:13], 0
.LBB119_1585:
	s_andn2_b64 vcc, exec, s[12:13]
	s_cbranch_vccnz .LBB119_1587
; %bb.1586:
	global_load_dword v1, v[8:9], off
.LBB119_1587:
	s_mov_b64 s[12:13], 0
.LBB119_1588:
	s_andn2_b64 vcc, exec, s[12:13]
	s_cbranch_vccnz .LBB119_1599
; %bb.1589:
	s_cmp_lt_i32 s14, 6
	s_cbranch_scc1 .LBB119_1592
; %bb.1590:
	s_cmp_gt_i32 s14, 6
	s_cbranch_scc0 .LBB119_1593
; %bb.1591:
	global_load_dwordx2 v[10:11], v[8:9], off
	s_movk_i32 s12, 0x1ff
	s_movk_i32 s13, 0xffe
	s_waitcnt vmcnt(1)
	v_mov_b32_e32 v1, 0x7c00
	v_mov_b32_e32 v3, 0x7e00
	s_movk_i32 s15, 0x40f
	s_mov_b32 s16, 0x8000
	s_waitcnt vmcnt(0)
	v_and_or_b32 v5, v11, s12, v10
	v_cmp_ne_u32_e32 vcc, 0, v5
	v_lshrrev_b32_e32 v10, 8, v11
	v_bfe_u32 v12, v11, 20, 11
	v_cndmask_b32_e64 v5, 0, 1, vcc
	v_sub_u32_e32 v13, 0x3f1, v12
	v_and_or_b32 v5, v10, s13, v5
	v_add_u32_e32 v12, 0xfffffc10, v12
	v_med3_i32 v10, v13, 0, 13
	v_or_b32_e32 v13, 0x1000, v5
	v_lshl_or_b32 v14, v12, 12, v5
	v_cmp_ne_u32_e32 vcc, 0, v5
	v_lshrrev_b32_e32 v5, v10, v13
	v_lshlrev_b32_e32 v10, v10, v5
	v_cndmask_b32_e32 v3, v1, v3, vcc
	v_cmp_ne_u32_e32 vcc, v10, v13
	v_cndmask_b32_e64 v10, 0, 1, vcc
	v_or_b32_e32 v5, v5, v10
	v_cmp_gt_i32_e32 vcc, 1, v12
	v_cndmask_b32_e32 v5, v14, v5, vcc
	v_and_b32_e32 v10, 7, v5
	v_cmp_lt_i32_e32 vcc, 5, v10
	v_cndmask_b32_e64 v13, 0, 1, vcc
	v_cmp_eq_u32_e32 vcc, 3, v10
	v_cndmask_b32_e64 v10, 0, 1, vcc
	v_lshrrev_b32_e32 v5, 2, v5
	v_or_b32_e32 v10, v10, v13
	v_add_u32_e32 v5, v5, v10
	v_cmp_gt_i32_e32 vcc, 31, v12
	v_cndmask_b32_e32 v1, v1, v5, vcc
	v_cmp_eq_u32_e32 vcc, s15, v12
	v_lshrrev_b32_e32 v11, 16, v11
	v_cndmask_b32_e32 v1, v1, v3, vcc
	v_and_or_b32 v1, v11, s16, v1
	s_mov_b64 s[12:13], 0
	s_branch .LBB119_1594
.LBB119_1592:
	s_mov_b64 s[12:13], -1
                                        ; implicit-def: $vgpr1
	s_branch .LBB119_1597
.LBB119_1593:
	s_mov_b64 s[12:13], -1
                                        ; implicit-def: $vgpr1
.LBB119_1594:
	s_andn2_b64 vcc, exec, s[12:13]
	s_cbranch_vccnz .LBB119_1596
; %bb.1595:
	global_load_dword v1, v[8:9], off
	s_waitcnt vmcnt(0)
	v_cvt_f16_f32_e32 v1, v1
.LBB119_1596:
	s_mov_b64 s[12:13], 0
.LBB119_1597:
	s_andn2_b64 vcc, exec, s[12:13]
	s_cbranch_vccnz .LBB119_1599
; %bb.1598:
	global_load_ushort v1, v[8:9], off
.LBB119_1599:
	s_mov_b64 s[12:13], 0
.LBB119_1600:
	s_andn2_b64 vcc, exec, s[12:13]
	s_cbranch_vccnz .LBB119_1620
; %bb.1601:
	s_cmp_lt_i32 s14, 2
	s_cbranch_scc1 .LBB119_1605
; %bb.1602:
	s_cmp_lt_i32 s14, 3
	s_cbranch_scc1 .LBB119_1606
; %bb.1603:
	s_cmp_gt_i32 s14, 3
	s_cbranch_scc0 .LBB119_1607
; %bb.1604:
	global_load_dwordx2 v[10:11], v[8:9], off
	s_mov_b64 s[12:13], 0
	s_waitcnt vmcnt(0)
	v_xor_b32_e32 v3, v10, v11
	v_ffbh_i32_e32 v1, v11
	v_ashrrev_i32_e32 v3, 31, v3
	v_add_u32_e32 v1, -1, v1
	v_add_u32_e32 v3, 32, v3
	v_min_u32_e32 v1, v1, v3
	v_lshlrev_b64 v[10:11], v1, v[10:11]
	v_sub_u32_e32 v1, 32, v1
	v_min_u32_e32 v3, 1, v10
	v_or_b32_e32 v3, v11, v3
	v_cvt_f32_i32_e32 v3, v3
	v_ldexp_f32 v1, v3, v1
	v_cvt_f16_f32_e32 v1, v1
	s_branch .LBB119_1608
.LBB119_1605:
	s_mov_b64 s[12:13], -1
                                        ; implicit-def: $vgpr1
	s_branch .LBB119_1614
.LBB119_1606:
	s_mov_b64 s[12:13], -1
                                        ; implicit-def: $vgpr1
	s_branch .LBB119_1611
.LBB119_1607:
	s_mov_b64 s[12:13], -1
                                        ; implicit-def: $vgpr1
.LBB119_1608:
	s_andn2_b64 vcc, exec, s[12:13]
	s_cbranch_vccnz .LBB119_1610
; %bb.1609:
	global_load_dword v1, v[8:9], off
	s_waitcnt vmcnt(0)
	v_cvt_f32_i32_e32 v1, v1
	v_cvt_f16_f32_e32 v1, v1
.LBB119_1610:
	s_mov_b64 s[12:13], 0
.LBB119_1611:
	s_andn2_b64 vcc, exec, s[12:13]
	s_cbranch_vccnz .LBB119_1613
; %bb.1612:
	global_load_ushort v1, v[8:9], off
	s_waitcnt vmcnt(0)
	v_cvt_f16_i16_e32 v1, v1
.LBB119_1613:
	s_mov_b64 s[12:13], 0
.LBB119_1614:
	s_andn2_b64 vcc, exec, s[12:13]
	s_cbranch_vccnz .LBB119_1620
; %bb.1615:
	s_cmp_gt_i32 s14, 0
	s_cbranch_scc0 .LBB119_1617
; %bb.1616:
	global_load_sbyte v1, v[8:9], off
	s_mov_b64 s[12:13], 0
	s_waitcnt vmcnt(0)
	v_cvt_f16_i16_e32 v1, v1
	s_branch .LBB119_1618
.LBB119_1617:
	s_mov_b64 s[12:13], -1
                                        ; implicit-def: $vgpr1
.LBB119_1618:
	s_andn2_b64 vcc, exec, s[12:13]
	s_cbranch_vccnz .LBB119_1620
; %bb.1619:
	global_load_ubyte v1, v[8:9], off
	s_waitcnt vmcnt(0)
	v_cvt_f16_u16_e32 v1, v1
.LBB119_1620:
.LBB119_1621:
	s_cmp_lt_i32 s0, 1
	s_mov_b64 s[14:15], 0
	s_cbranch_scc1 .LBB119_1625
; %bb.1622:
	s_cmp_gt_i32 s0, 1
	s_cbranch_scc0 .LBB119_1628
; %bb.1623:
	s_cmp_eq_u32 s0, 2
	s_cbranch_scc0 .LBB119_1629
; %bb.1624:
	s_waitcnt vmcnt(0)
	v_cmp_ge_f16_e64 s[12:13], s1, v1
	s_mov_b64 s[16:17], 0
	s_branch .LBB119_1630
.LBB119_1625:
                                        ; implicit-def: $sgpr12_sgpr13
	s_mov_b64 s[16:17], 0
	s_cbranch_execnz .LBB119_1634
.LBB119_1626:
	s_andn2_b64 vcc, exec, s[16:17]
	s_cbranch_vccnz .LBB119_1635
.LBB119_1627:
	s_waitcnt vmcnt(0)
	v_cmp_gt_f16_e32 vcc, s1, v1
	s_andn2_b64 s[12:13], s[12:13], exec
	s_and_b64 s[16:17], vcc, exec
	s_or_b64 s[12:13], s[12:13], s[16:17]
	s_cbranch_execz .LBB119_1636
	s_branch .LBB119_1637
.LBB119_1628:
	s_mov_b64 s[18:19], -1
	s_mov_b64 s[16:17], 0
                                        ; implicit-def: $sgpr12_sgpr13
	s_branch .LBB119_1631
.LBB119_1629:
	s_mov_b64 s[16:17], -1
                                        ; implicit-def: $sgpr12_sgpr13
.LBB119_1630:
	s_mov_b64 s[18:19], 0
.LBB119_1631:
	s_and_b64 vcc, exec, s[18:19]
	s_cbranch_vccz .LBB119_1633
; %bb.1632:
	s_waitcnt vmcnt(0)
	v_cmp_lt_f16_e32 vcc, s1, v1
	s_andn2_b64 s[12:13], s[12:13], exec
	s_and_b64 s[18:19], vcc, exec
	s_or_b64 s[12:13], s[12:13], s[18:19]
.LBB119_1633:
	s_branch .LBB119_1626
.LBB119_1634:
	s_cmp_lg_u32 s0, 0
	s_mov_b64 s[14:15], -1
	s_cselect_b64 s[16:17], -1, 0
	s_andn2_b64 vcc, exec, s[16:17]
	s_cbranch_vccz .LBB119_1627
.LBB119_1635:
	s_andn2_b64 vcc, exec, s[14:15]
	s_cbranch_vccnz .LBB119_1637
.LBB119_1636:
	s_waitcnt vmcnt(0)
	v_cmp_le_f16_e32 vcc, s1, v1
	s_andn2_b64 s[12:13], s[12:13], exec
	s_and_b64 s[14:15], vcc, exec
	s_or_b64 s[12:13], s[12:13], s[14:15]
.LBB119_1637:
	s_waitcnt vmcnt(0)
	v_mov_b32_e32 v1, s11
	v_add_co_u32_e32 v7, vcc, s10, v7
	s_cmp_lt_i32 s22, 11
	v_addc_co_u32_e32 v8, vcc, 0, v1, vcc
	s_cbranch_scc1 .LBB119_1644
; %bb.1638:
	s_and_b32 s23, 0xffff, s22
	s_cmp_gt_i32 s23, 25
	s_mov_b64 s[14:15], 0
	s_cbranch_scc0 .LBB119_1645
; %bb.1639:
	s_cmp_gt_i32 s23, 28
	s_cbranch_scc0 .LBB119_1646
; %bb.1640:
	s_cmp_gt_i32 s23, 43
	;; [unrolled: 3-line block ×3, first 2 shown]
	s_cbranch_scc0 .LBB119_1649
; %bb.1642:
	s_cmp_eq_u32 s23, 46
	s_mov_b64 s[18:19], 0
	s_cbranch_scc0 .LBB119_1650
; %bb.1643:
	global_load_dword v1, v[7:8], off
	s_mov_b64 s[10:11], 0
	s_mov_b64 s[16:17], -1
	s_waitcnt vmcnt(0)
	v_lshlrev_b32_e32 v1, 16, v1
	v_cvt_f16_f32_e32 v1, v1
	s_branch .LBB119_1651
.LBB119_1644:
	s_mov_b64 s[10:11], -1
	s_mov_b64 s[16:17], 0
                                        ; implicit-def: $vgpr1
	s_branch .LBB119_1717
.LBB119_1645:
	s_mov_b64 s[18:19], -1
	s_mov_b64 s[16:17], 0
	s_mov_b64 s[10:11], 0
                                        ; implicit-def: $vgpr1
	s_branch .LBB119_1680
.LBB119_1646:
	s_mov_b64 s[18:19], -1
	s_mov_b64 s[16:17], 0
	s_mov_b64 s[10:11], 0
                                        ; implicit-def: $vgpr1
	s_branch .LBB119_1661
.LBB119_1647:
	s_mov_b64 s[18:19], -1
	s_mov_b64 s[16:17], 0
	s_mov_b64 s[10:11], 0
                                        ; implicit-def: $vgpr1
	s_branch .LBB119_1656
.LBB119_1648:
	s_trap 2
	s_or_b64 s[2:3], s[2:3], exec
	s_cbranch_execz .LBB119_1571
	s_branch .LBB119_1572
.LBB119_1649:
	s_mov_b64 s[18:19], -1
	s_mov_b64 s[16:17], 0
	s_mov_b64 s[10:11], 0
                                        ; implicit-def: $vgpr1
	s_branch .LBB119_1651
.LBB119_1650:
	s_mov_b64 s[10:11], -1
                                        ; implicit-def: $vgpr1
	s_mov_b64 s[16:17], 0
.LBB119_1651:
	s_and_b64 vcc, exec, s[18:19]
	s_cbranch_vccz .LBB119_1655
; %bb.1652:
	s_cmp_eq_u32 s23, 44
	s_cbranch_scc0 .LBB119_1654
; %bb.1653:
	global_load_ubyte v1, v[7:8], off
	s_movk_i32 s16, 0xff
	v_mov_b32_e32 v5, 0x7e00
	s_mov_b64 s[10:11], 0
	s_waitcnt vmcnt(0)
	v_lshlrev_b32_e32 v3, 23, v1
	v_cvt_f16_f32_e32 v3, v3
	v_cmp_ne_u32_e32 vcc, s16, v1
	s_mov_b64 s[16:17], -1
	v_cndmask_b32_e32 v3, v5, v3, vcc
	v_cmp_ne_u32_e32 vcc, 0, v1
	v_cndmask_b32_e32 v1, 0, v3, vcc
	s_branch .LBB119_1655
.LBB119_1654:
	s_mov_b64 s[10:11], -1
                                        ; implicit-def: $vgpr1
.LBB119_1655:
	s_mov_b64 s[18:19], 0
.LBB119_1656:
	s_and_b64 vcc, exec, s[18:19]
	s_cbranch_vccz .LBB119_1660
; %bb.1657:
	s_cmp_eq_u32 s23, 29
	s_cbranch_scc0 .LBB119_1659
; %bb.1658:
	global_load_dwordx2 v[9:10], v[7:8], off
	s_mov_b64 s[10:11], 0
	s_mov_b64 s[16:17], -1
	s_mov_b64 s[18:19], 0
	s_waitcnt vmcnt(0)
	v_ffbh_u32_e32 v1, v10
	v_min_u32_e32 v1, 32, v1
	v_lshlrev_b64 v[9:10], v1, v[9:10]
	v_sub_u32_e32 v1, 32, v1
	v_min_u32_e32 v3, 1, v9
	v_or_b32_e32 v3, v10, v3
	v_cvt_f32_u32_e32 v3, v3
	v_ldexp_f32 v1, v3, v1
	v_cvt_f16_f32_e32 v1, v1
	s_branch .LBB119_1661
.LBB119_1659:
	s_mov_b64 s[10:11], -1
                                        ; implicit-def: $vgpr1
.LBB119_1660:
	s_mov_b64 s[18:19], 0
.LBB119_1661:
	s_and_b64 vcc, exec, s[18:19]
	s_cbranch_vccz .LBB119_1679
; %bb.1662:
	s_cmp_lt_i32 s23, 27
	s_cbranch_scc1 .LBB119_1665
; %bb.1663:
	s_cmp_gt_i32 s23, 27
	s_cbranch_scc0 .LBB119_1666
; %bb.1664:
	global_load_dword v1, v[7:8], off
	s_mov_b64 s[16:17], 0
	s_waitcnt vmcnt(0)
	v_cvt_f32_u32_e32 v1, v1
	v_cvt_f16_f32_e32 v1, v1
	s_branch .LBB119_1667
.LBB119_1665:
	s_mov_b64 s[16:17], -1
                                        ; implicit-def: $vgpr1
	s_branch .LBB119_1670
.LBB119_1666:
	s_mov_b64 s[16:17], -1
                                        ; implicit-def: $vgpr1
.LBB119_1667:
	s_andn2_b64 vcc, exec, s[16:17]
	s_cbranch_vccnz .LBB119_1669
; %bb.1668:
	global_load_ushort v1, v[7:8], off
	s_waitcnt vmcnt(0)
	v_cvt_f16_u16_e32 v1, v1
.LBB119_1669:
	s_mov_b64 s[16:17], 0
.LBB119_1670:
	s_andn2_b64 vcc, exec, s[16:17]
	s_cbranch_vccnz .LBB119_1678
; %bb.1671:
	global_load_ubyte v3, v[7:8], off
	s_movk_i32 s16, 0x7f
	s_waitcnt vmcnt(0)
	v_cmp_lt_i16_e32 vcc, s16, v3
	s_mov_b64 s[16:17], 0
	s_and_saveexec_b64 s[18:19], vcc
	s_xor_b64 s[18:19], exec, s[18:19]
	s_cbranch_execz .LBB119_1692
; %bb.1672:
	s_movk_i32 s16, 0x80
	v_cmp_eq_u16_e32 vcc, s16, v3
	s_mov_b64 s[16:17], -1
	s_and_saveexec_b64 s[20:21], vcc
; %bb.1673:
	s_xor_b64 s[16:17], exec, -1
; %bb.1674:
	s_or_b64 exec, exec, s[20:21]
	s_and_b64 s[16:17], s[16:17], exec
	s_or_saveexec_b64 s[18:19], s[18:19]
	v_mov_b32_e32 v1, 0x7e00
	s_xor_b64 exec, exec, s[18:19]
	s_cbranch_execnz .LBB119_1693
.LBB119_1675:
	s_or_b64 exec, exec, s[18:19]
	s_and_saveexec_b64 s[18:19], s[16:17]
	s_cbranch_execz .LBB119_1677
.LBB119_1676:
	v_lshlrev_b32_e32 v1, 24, v3
	v_and_b32_e32 v3, 0xffff, v3
	v_and_b32_e32 v5, 7, v3
	v_ffbh_u32_e32 v10, v5
	v_min_u32_e32 v10, 32, v10
	v_subrev_u32_e32 v11, 28, v10
	v_bfe_u32 v9, v3, 3, 4
	v_lshlrev_b32_e32 v3, v11, v3
	v_sub_u32_e32 v10, 29, v10
	v_and_b32_e32 v3, 7, v3
	v_cmp_eq_u32_e32 vcc, 0, v9
	v_cndmask_b32_e32 v9, v9, v10, vcc
	v_cndmask_b32_e32 v3, v5, v3, vcc
	v_mov_b32_e32 v5, 0x3b800000
	v_lshlrev_b32_e32 v3, 20, v3
	v_and_b32_e32 v1, 0x80000000, v1
	v_lshl_add_u32 v5, v9, 23, v5
	v_or3_b32 v1, v1, v5, v3
	v_cvt_f16_f32_e32 v1, v1
.LBB119_1677:
	s_or_b64 exec, exec, s[18:19]
.LBB119_1678:
	s_mov_b64 s[16:17], -1
.LBB119_1679:
	s_mov_b64 s[18:19], 0
.LBB119_1680:
	s_and_b64 vcc, exec, s[18:19]
	s_cbranch_vccz .LBB119_1713
; %bb.1681:
	s_cmp_gt_i32 s23, 22
	s_cbranch_scc0 .LBB119_1691
; %bb.1682:
	s_cmp_lt_i32 s23, 24
	s_cbranch_scc1 .LBB119_1694
; %bb.1683:
	s_cmp_gt_i32 s23, 24
	s_cbranch_scc0 .LBB119_1695
; %bb.1684:
	global_load_ubyte v3, v[7:8], off
	s_movk_i32 s14, 0x7f
	s_waitcnt vmcnt(0)
	v_cmp_lt_i16_e32 vcc, s14, v3
	s_mov_b64 s[14:15], 0
	s_and_saveexec_b64 s[16:17], vcc
	s_xor_b64 s[16:17], exec, s[16:17]
	s_cbranch_execz .LBB119_1707
; %bb.1685:
	s_movk_i32 s14, 0x80
	v_cmp_eq_u16_e32 vcc, s14, v3
	s_mov_b64 s[14:15], -1
	s_and_saveexec_b64 s[18:19], vcc
; %bb.1686:
	s_xor_b64 s[14:15], exec, -1
; %bb.1687:
	s_or_b64 exec, exec, s[18:19]
	s_and_b64 s[14:15], s[14:15], exec
	s_or_saveexec_b64 s[16:17], s[16:17]
	v_mov_b32_e32 v1, 0x7e00
	s_xor_b64 exec, exec, s[16:17]
	s_cbranch_execnz .LBB119_1708
.LBB119_1688:
	s_or_b64 exec, exec, s[16:17]
	s_and_saveexec_b64 s[16:17], s[14:15]
	s_cbranch_execz .LBB119_1690
.LBB119_1689:
	v_lshlrev_b32_e32 v1, 24, v3
	v_and_b32_e32 v3, 0xffff, v3
	v_and_b32_e32 v5, 3, v3
	v_ffbh_u32_e32 v10, v5
	v_min_u32_e32 v10, 32, v10
	v_subrev_u32_e32 v11, 29, v10
	v_bfe_u32 v9, v3, 2, 5
	v_lshlrev_b32_e32 v3, v11, v3
	v_sub_u32_e32 v10, 30, v10
	v_and_b32_e32 v3, 3, v3
	v_cmp_eq_u32_e32 vcc, 0, v9
	v_cndmask_b32_e32 v9, v9, v10, vcc
	v_cndmask_b32_e32 v3, v5, v3, vcc
	v_mov_b32_e32 v5, 0x37800000
	v_lshlrev_b32_e32 v3, 21, v3
	v_and_b32_e32 v1, 0x80000000, v1
	v_lshl_add_u32 v5, v9, 23, v5
	v_or3_b32 v1, v1, v5, v3
	v_cvt_f16_f32_e32 v1, v1
.LBB119_1690:
	s_or_b64 exec, exec, s[16:17]
	s_mov_b64 s[14:15], 0
	s_branch .LBB119_1696
.LBB119_1691:
	s_mov_b64 s[14:15], -1
                                        ; implicit-def: $vgpr1
	s_branch .LBB119_1702
.LBB119_1692:
	s_or_saveexec_b64 s[18:19], s[18:19]
	v_mov_b32_e32 v1, 0x7e00
	s_xor_b64 exec, exec, s[18:19]
	s_cbranch_execz .LBB119_1675
.LBB119_1693:
	v_cmp_ne_u16_e32 vcc, 0, v3
	s_andn2_b64 s[16:17], s[16:17], exec
	s_and_b64 s[20:21], vcc, exec
	s_or_b64 s[16:17], s[16:17], s[20:21]
	v_mov_b32_e32 v1, v3
	s_or_b64 exec, exec, s[18:19]
	s_and_saveexec_b64 s[18:19], s[16:17]
	s_cbranch_execnz .LBB119_1676
	s_branch .LBB119_1677
.LBB119_1694:
	s_mov_b64 s[14:15], -1
                                        ; implicit-def: $vgpr1
	s_branch .LBB119_1699
.LBB119_1695:
	s_mov_b64 s[14:15], -1
                                        ; implicit-def: $vgpr1
.LBB119_1696:
	s_and_b64 vcc, exec, s[14:15]
	s_cbranch_vccz .LBB119_1698
; %bb.1697:
	global_load_ubyte v1, v[7:8], off
	s_mov_b32 s14, 0x7f800000
	s_waitcnt vmcnt(0)
	v_lshlrev_b32_e32 v1, 24, v1
	v_and_b32_e32 v3, 0x7f000000, v1
	v_ffbh_u32_e32 v5, v3
	v_min_u32_e32 v5, 32, v5
	v_sub_u32_e64 v5, v5, 4 clamp
	v_lshlrev_b32_e32 v10, v5, v3
	v_lshlrev_b32_e32 v5, 23, v5
	v_lshrrev_b32_e32 v10, 4, v10
	v_add_u32_e32 v9, 0x1000000, v3
	v_sub_u32_e32 v5, v10, v5
	v_ashrrev_i32_e32 v9, 8, v9
	v_add_u32_e32 v5, 0x3c000000, v5
	v_and_or_b32 v5, v9, s14, v5
	v_cmp_ne_u32_e32 vcc, 0, v3
	v_cndmask_b32_e32 v3, 0, v5, vcc
	s_brev_b32 s14, 1
	v_and_or_b32 v1, v1, s14, v3
	v_cvt_f16_f32_e32 v1, v1
.LBB119_1698:
	s_mov_b64 s[14:15], 0
.LBB119_1699:
	s_andn2_b64 vcc, exec, s[14:15]
	s_cbranch_vccnz .LBB119_1701
; %bb.1700:
	global_load_ubyte v1, v[7:8], off
	s_movk_i32 s14, 0x7f00
	s_brev_b32 s15, 16
	s_waitcnt vmcnt(0)
	v_lshlrev_b16_e32 v3, 8, v1
	v_lshlrev_b32_e32 v1, 25, v1
	v_lshrrev_b32_e32 v5, 4, v1
	v_and_or_b32 v9, v3, s14, 0.5
	v_or_b32_e32 v5, 0x70000000, v5
	v_add_f32_e32 v9, -0.5, v9
	v_mul_f32_e32 v5, 0x7800000, v5
	v_cmp_gt_u32_e32 vcc, s15, v1
	v_bfe_i32 v3, v3, 0, 16
	v_cndmask_b32_e32 v1, v5, v9, vcc
	s_brev_b32 s14, 1
	v_and_or_b32 v1, v3, s14, v1
	v_cvt_f16_f32_e32 v1, v1
.LBB119_1701:
	s_mov_b64 s[14:15], 0
	s_mov_b64 s[16:17], -1
.LBB119_1702:
	s_andn2_b64 vcc, exec, s[14:15]
	s_mov_b64 s[14:15], 0
	s_cbranch_vccnz .LBB119_1713
; %bb.1703:
	s_cmp_gt_i32 s23, 14
	s_cbranch_scc0 .LBB119_1706
; %bb.1704:
	s_cmp_eq_u32 s23, 15
	s_cbranch_scc0 .LBB119_1709
; %bb.1705:
	global_load_ushort v1, v[7:8], off
	s_mov_b64 s[10:11], 0
	s_mov_b64 s[16:17], -1
	s_waitcnt vmcnt(0)
	v_lshlrev_b32_e32 v1, 16, v1
	v_cvt_f16_f32_e32 v1, v1
	s_branch .LBB119_1710
.LBB119_1706:
	s_mov_b64 s[18:19], -1
                                        ; implicit-def: $vgpr1
	s_branch .LBB119_1711
.LBB119_1707:
	s_or_saveexec_b64 s[16:17], s[16:17]
	v_mov_b32_e32 v1, 0x7e00
	s_xor_b64 exec, exec, s[16:17]
	s_cbranch_execz .LBB119_1688
.LBB119_1708:
	v_cmp_ne_u16_e32 vcc, 0, v3
	s_andn2_b64 s[14:15], s[14:15], exec
	s_and_b64 s[18:19], vcc, exec
	s_or_b64 s[14:15], s[14:15], s[18:19]
	v_mov_b32_e32 v1, v3
	s_or_b64 exec, exec, s[16:17]
	s_and_saveexec_b64 s[16:17], s[14:15]
	s_cbranch_execnz .LBB119_1689
	s_branch .LBB119_1690
.LBB119_1709:
	s_mov_b64 s[10:11], -1
                                        ; implicit-def: $vgpr1
.LBB119_1710:
	s_mov_b64 s[18:19], 0
.LBB119_1711:
	s_and_b64 vcc, exec, s[18:19]
	s_cbranch_vccz .LBB119_1713
; %bb.1712:
	s_cmp_lg_u32 s23, 11
	s_mov_b64 s[14:15], -1
	s_cselect_b64 s[10:11], -1, 0
.LBB119_1713:
	s_and_b64 vcc, exec, s[10:11]
	s_cbranch_vccnz .LBB119_2265
; %bb.1714:
	s_andn2_b64 vcc, exec, s[14:15]
	s_cbranch_vccnz .LBB119_1716
.LBB119_1715:
	global_load_ubyte v1, v[7:8], off
	v_mov_b32_e32 v3, 0x3c00
	s_mov_b64 s[16:17], -1
	s_waitcnt vmcnt(0)
	v_cmp_ne_u16_e32 vcc, 0, v1
	v_cndmask_b32_e32 v1, 0, v3, vcc
.LBB119_1716:
	s_mov_b64 s[10:11], 0
.LBB119_1717:
	s_and_b64 vcc, exec, s[10:11]
	s_cbranch_vccz .LBB119_1766
; %bb.1718:
	s_and_b32 s14, 0xffff, s22
	s_cmp_lt_i32 s14, 5
	s_cbranch_scc1 .LBB119_1723
; %bb.1719:
	s_cmp_lt_i32 s14, 8
	s_cbranch_scc1 .LBB119_1724
; %bb.1720:
	;; [unrolled: 3-line block ×3, first 2 shown]
	s_cmp_gt_i32 s14, 9
	s_cbranch_scc0 .LBB119_1726
; %bb.1722:
	global_load_dwordx2 v[9:10], v[7:8], off
	s_movk_i32 s10, 0x1ff
	s_movk_i32 s11, 0xffe
	v_mov_b32_e32 v1, 0x7c00
	v_mov_b32_e32 v3, 0x7e00
	s_movk_i32 s15, 0x40f
	s_mov_b32 s16, 0x8000
	s_waitcnt vmcnt(0)
	v_and_or_b32 v5, v10, s10, v9
	v_cmp_ne_u32_e32 vcc, 0, v5
	v_lshrrev_b32_e32 v9, 8, v10
	v_bfe_u32 v11, v10, 20, 11
	v_cndmask_b32_e64 v5, 0, 1, vcc
	v_sub_u32_e32 v12, 0x3f1, v11
	v_and_or_b32 v5, v9, s11, v5
	v_add_u32_e32 v11, 0xfffffc10, v11
	v_med3_i32 v9, v12, 0, 13
	v_or_b32_e32 v12, 0x1000, v5
	v_lshl_or_b32 v13, v11, 12, v5
	v_cmp_ne_u32_e32 vcc, 0, v5
	v_lshrrev_b32_e32 v5, v9, v12
	v_lshlrev_b32_e32 v9, v9, v5
	v_cndmask_b32_e32 v3, v1, v3, vcc
	v_cmp_ne_u32_e32 vcc, v9, v12
	v_cndmask_b32_e64 v9, 0, 1, vcc
	v_or_b32_e32 v5, v5, v9
	v_cmp_gt_i32_e32 vcc, 1, v11
	v_cndmask_b32_e32 v5, v13, v5, vcc
	v_and_b32_e32 v9, 7, v5
	v_cmp_lt_i32_e32 vcc, 5, v9
	v_cndmask_b32_e64 v12, 0, 1, vcc
	v_cmp_eq_u32_e32 vcc, 3, v9
	v_cndmask_b32_e64 v9, 0, 1, vcc
	v_lshrrev_b32_e32 v5, 2, v5
	v_or_b32_e32 v9, v9, v12
	v_add_u32_e32 v5, v5, v9
	v_cmp_gt_i32_e32 vcc, 31, v11
	v_cndmask_b32_e32 v1, v1, v5, vcc
	v_cmp_eq_u32_e32 vcc, s15, v11
	v_lshrrev_b32_e32 v10, 16, v10
	v_cndmask_b32_e32 v1, v1, v3, vcc
	v_and_or_b32 v1, v10, s16, v1
	s_mov_b64 s[10:11], 0
	s_branch .LBB119_1727
.LBB119_1723:
	s_mov_b64 s[10:11], -1
                                        ; implicit-def: $vgpr1
	s_branch .LBB119_1745
.LBB119_1724:
	s_mov_b64 s[10:11], -1
                                        ; implicit-def: $vgpr1
	s_branch .LBB119_1733
.LBB119_1725:
	s_mov_b64 s[10:11], -1
                                        ; implicit-def: $vgpr1
	s_branch .LBB119_1730
.LBB119_1726:
	s_mov_b64 s[10:11], -1
                                        ; implicit-def: $vgpr1
.LBB119_1727:
	s_andn2_b64 vcc, exec, s[10:11]
	s_cbranch_vccnz .LBB119_1729
; %bb.1728:
	global_load_dword v1, v[7:8], off
	s_waitcnt vmcnt(0)
	v_cvt_f16_f32_e32 v1, v1
.LBB119_1729:
	s_mov_b64 s[10:11], 0
.LBB119_1730:
	s_andn2_b64 vcc, exec, s[10:11]
	s_cbranch_vccnz .LBB119_1732
; %bb.1731:
	global_load_dword v1, v[7:8], off
.LBB119_1732:
	s_mov_b64 s[10:11], 0
.LBB119_1733:
	s_andn2_b64 vcc, exec, s[10:11]
	s_cbranch_vccnz .LBB119_1744
; %bb.1734:
	s_cmp_lt_i32 s14, 6
	s_cbranch_scc1 .LBB119_1737
; %bb.1735:
	s_cmp_gt_i32 s14, 6
	s_cbranch_scc0 .LBB119_1738
; %bb.1736:
	global_load_dwordx2 v[9:10], v[7:8], off
	s_movk_i32 s10, 0x1ff
	s_movk_i32 s11, 0xffe
	s_waitcnt vmcnt(1)
	v_mov_b32_e32 v1, 0x7c00
	v_mov_b32_e32 v3, 0x7e00
	s_movk_i32 s15, 0x40f
	s_mov_b32 s16, 0x8000
	s_waitcnt vmcnt(0)
	v_and_or_b32 v5, v10, s10, v9
	v_cmp_ne_u32_e32 vcc, 0, v5
	v_lshrrev_b32_e32 v9, 8, v10
	v_bfe_u32 v11, v10, 20, 11
	v_cndmask_b32_e64 v5, 0, 1, vcc
	v_sub_u32_e32 v12, 0x3f1, v11
	v_and_or_b32 v5, v9, s11, v5
	v_add_u32_e32 v11, 0xfffffc10, v11
	v_med3_i32 v9, v12, 0, 13
	v_or_b32_e32 v12, 0x1000, v5
	v_lshl_or_b32 v13, v11, 12, v5
	v_cmp_ne_u32_e32 vcc, 0, v5
	v_lshrrev_b32_e32 v5, v9, v12
	v_lshlrev_b32_e32 v9, v9, v5
	v_cndmask_b32_e32 v3, v1, v3, vcc
	v_cmp_ne_u32_e32 vcc, v9, v12
	v_cndmask_b32_e64 v9, 0, 1, vcc
	v_or_b32_e32 v5, v5, v9
	v_cmp_gt_i32_e32 vcc, 1, v11
	v_cndmask_b32_e32 v5, v13, v5, vcc
	v_and_b32_e32 v9, 7, v5
	v_cmp_lt_i32_e32 vcc, 5, v9
	v_cndmask_b32_e64 v12, 0, 1, vcc
	v_cmp_eq_u32_e32 vcc, 3, v9
	v_cndmask_b32_e64 v9, 0, 1, vcc
	v_lshrrev_b32_e32 v5, 2, v5
	v_or_b32_e32 v9, v9, v12
	v_add_u32_e32 v5, v5, v9
	v_cmp_gt_i32_e32 vcc, 31, v11
	v_cndmask_b32_e32 v1, v1, v5, vcc
	v_cmp_eq_u32_e32 vcc, s15, v11
	v_lshrrev_b32_e32 v10, 16, v10
	v_cndmask_b32_e32 v1, v1, v3, vcc
	v_and_or_b32 v1, v10, s16, v1
	s_mov_b64 s[10:11], 0
	s_branch .LBB119_1739
.LBB119_1737:
	s_mov_b64 s[10:11], -1
                                        ; implicit-def: $vgpr1
	s_branch .LBB119_1742
.LBB119_1738:
	s_mov_b64 s[10:11], -1
                                        ; implicit-def: $vgpr1
.LBB119_1739:
	s_andn2_b64 vcc, exec, s[10:11]
	s_cbranch_vccnz .LBB119_1741
; %bb.1740:
	global_load_dword v1, v[7:8], off
	s_waitcnt vmcnt(0)
	v_cvt_f16_f32_e32 v1, v1
.LBB119_1741:
	s_mov_b64 s[10:11], 0
.LBB119_1742:
	s_andn2_b64 vcc, exec, s[10:11]
	s_cbranch_vccnz .LBB119_1744
; %bb.1743:
	global_load_ushort v1, v[7:8], off
.LBB119_1744:
	s_mov_b64 s[10:11], 0
.LBB119_1745:
	s_andn2_b64 vcc, exec, s[10:11]
	s_cbranch_vccnz .LBB119_1765
; %bb.1746:
	s_cmp_lt_i32 s14, 2
	s_cbranch_scc1 .LBB119_1750
; %bb.1747:
	s_cmp_lt_i32 s14, 3
	s_cbranch_scc1 .LBB119_1751
; %bb.1748:
	s_cmp_gt_i32 s14, 3
	s_cbranch_scc0 .LBB119_1752
; %bb.1749:
	global_load_dwordx2 v[9:10], v[7:8], off
	s_mov_b64 s[10:11], 0
	s_waitcnt vmcnt(0)
	v_xor_b32_e32 v3, v9, v10
	v_ffbh_i32_e32 v1, v10
	v_ashrrev_i32_e32 v3, 31, v3
	v_add_u32_e32 v1, -1, v1
	v_add_u32_e32 v3, 32, v3
	v_min_u32_e32 v1, v1, v3
	v_lshlrev_b64 v[9:10], v1, v[9:10]
	v_sub_u32_e32 v1, 32, v1
	v_min_u32_e32 v3, 1, v9
	v_or_b32_e32 v3, v10, v3
	v_cvt_f32_i32_e32 v3, v3
	v_ldexp_f32 v1, v3, v1
	v_cvt_f16_f32_e32 v1, v1
	s_branch .LBB119_1753
.LBB119_1750:
	s_mov_b64 s[10:11], -1
                                        ; implicit-def: $vgpr1
	s_branch .LBB119_1759
.LBB119_1751:
	s_mov_b64 s[10:11], -1
                                        ; implicit-def: $vgpr1
	s_branch .LBB119_1756
.LBB119_1752:
	s_mov_b64 s[10:11], -1
                                        ; implicit-def: $vgpr1
.LBB119_1753:
	s_andn2_b64 vcc, exec, s[10:11]
	s_cbranch_vccnz .LBB119_1755
; %bb.1754:
	global_load_dword v1, v[7:8], off
	s_waitcnt vmcnt(0)
	v_cvt_f32_i32_e32 v1, v1
	v_cvt_f16_f32_e32 v1, v1
.LBB119_1755:
	s_mov_b64 s[10:11], 0
.LBB119_1756:
	s_andn2_b64 vcc, exec, s[10:11]
	s_cbranch_vccnz .LBB119_1758
; %bb.1757:
	global_load_ushort v1, v[7:8], off
	s_waitcnt vmcnt(0)
	v_cvt_f16_i16_e32 v1, v1
.LBB119_1758:
	s_mov_b64 s[10:11], 0
.LBB119_1759:
	s_andn2_b64 vcc, exec, s[10:11]
	s_cbranch_vccnz .LBB119_1765
; %bb.1760:
	s_cmp_gt_i32 s14, 0
	s_cbranch_scc0 .LBB119_1762
; %bb.1761:
	global_load_sbyte v1, v[7:8], off
	s_mov_b64 s[10:11], 0
	s_waitcnt vmcnt(0)
	v_cvt_f16_i16_e32 v1, v1
	s_branch .LBB119_1763
.LBB119_1762:
	s_mov_b64 s[10:11], -1
                                        ; implicit-def: $vgpr1
.LBB119_1763:
	s_andn2_b64 vcc, exec, s[10:11]
	s_cbranch_vccnz .LBB119_1765
; %bb.1764:
	global_load_ubyte v1, v[7:8], off
	s_waitcnt vmcnt(0)
	v_cvt_f16_u16_e32 v1, v1
.LBB119_1765:
	s_mov_b64 s[16:17], -1
.LBB119_1766:
	s_andn2_b64 vcc, exec, s[16:17]
	s_cbranch_vccnz .LBB119_1771
; %bb.1767:
	s_cmp_lt_i32 s0, 1
	s_mov_b64 s[14:15], 0
	s_cbranch_scc1 .LBB119_1817
; %bb.1768:
	s_cmp_gt_i32 s0, 1
	s_cbranch_scc0 .LBB119_1818
; %bb.1769:
	s_cmp_eq_u32 s0, 2
	s_cbranch_scc0 .LBB119_1819
; %bb.1770:
	s_waitcnt vmcnt(0)
	v_cmp_ge_f16_e64 s[10:11], s1, v1
	s_mov_b64 s[16:17], 0
	s_branch .LBB119_1820
.LBB119_1771:
	s_mov_b64 s[0:1], 0
                                        ; implicit-def: $sgpr10_sgpr11
.LBB119_1772:
	s_mov_b64 s[4:5], 0
                                        ; implicit-def: $vgpr0_vgpr1
                                        ; implicit-def: $sgpr22
.LBB119_1773:
	s_and_b64 s[6:7], s[4:5], exec
	s_andn2_b64 s[4:5], s[28:29], exec
	s_and_b64 s[2:3], s[2:3], exec
	s_and_b64 s[0:1], s[0:1], exec
	s_or_b64 s[28:29], s[4:5], s[2:3]
.LBB119_1774:
	s_or_b64 exec, exec, s[30:31]
	s_and_saveexec_b64 s[2:3], s[28:29]
	s_cbranch_execz .LBB119_1777
; %bb.1775:
	; divergent unreachable
	s_or_b64 exec, exec, s[2:3]
	s_and_saveexec_b64 s[2:3], s[6:7]
	s_xor_b64 s[2:3], exec, s[2:3]
	s_cbranch_execnz .LBB119_1778
.LBB119_1776:
	s_or_b64 exec, exec, s[2:3]
	s_and_saveexec_b64 s[2:3], s[0:1]
	s_cbranch_execnz .LBB119_1779
	s_branch .LBB119_1816
.LBB119_1777:
	s_or_b64 exec, exec, s[2:3]
	s_and_saveexec_b64 s[2:3], s[6:7]
	s_xor_b64 s[2:3], exec, s[2:3]
	s_cbranch_execz .LBB119_1776
.LBB119_1778:
	v_cndmask_b32_e64 v2, 0, 1, s[10:11]
	s_waitcnt vmcnt(0)
	global_store_byte v[0:1], v2, off
	s_or_b64 exec, exec, s[2:3]
	s_and_saveexec_b64 s[2:3], s[0:1]
	s_cbranch_execz .LBB119_1816
.LBB119_1779:
	s_sext_i32_i16 s2, s22
	s_cmp_lt_i32 s2, 5
	s_mov_b64 s[0:1], -1
	s_cbranch_scc1 .LBB119_1800
; %bb.1780:
	s_cmp_lt_i32 s2, 8
	s_cbranch_scc1 .LBB119_1790
; %bb.1781:
	s_cmp_lt_i32 s2, 9
	s_cbranch_scc1 .LBB119_1787
; %bb.1782:
	s_cmp_gt_i32 s2, 9
	s_cbranch_scc0 .LBB119_1784
; %bb.1783:
	v_cndmask_b32_e64 v2, 0, 1, s[10:11]
	s_waitcnt vmcnt(0)
	v_cvt_f64_u32_e32 v[2:3], v2
	v_mov_b32_e32 v4, 0
	v_mov_b32_e32 v5, v4
	s_mov_b64 s[0:1], 0
	global_store_dwordx4 v[0:1], v[2:5], off
.LBB119_1784:
	s_andn2_b64 vcc, exec, s[0:1]
	s_cbranch_vccnz .LBB119_1786
; %bb.1785:
	v_cndmask_b32_e64 v2, 0, 1.0, s[10:11]
	s_waitcnt vmcnt(0)
	v_mov_b32_e32 v3, 0
	global_store_dwordx2 v[0:1], v[2:3], off
.LBB119_1786:
	s_mov_b64 s[0:1], 0
.LBB119_1787:
	s_andn2_b64 vcc, exec, s[0:1]
	s_cbranch_vccnz .LBB119_1789
; %bb.1788:
	v_cndmask_b32_e64 v2, 0, 1.0, s[10:11]
	v_cvt_f16_f32_e32 v2, v2
	s_waitcnt vmcnt(0)
	global_store_dword v[0:1], v2, off
.LBB119_1789:
	s_mov_b64 s[0:1], 0
.LBB119_1790:
	s_andn2_b64 vcc, exec, s[0:1]
	s_cbranch_vccnz .LBB119_1799
; %bb.1791:
	s_sext_i32_i16 s2, s22
	s_cmp_lt_i32 s2, 6
	s_mov_b64 s[0:1], -1
	s_cbranch_scc1 .LBB119_1797
; %bb.1792:
	s_cmp_gt_i32 s2, 6
	s_cbranch_scc0 .LBB119_1794
; %bb.1793:
	v_cndmask_b32_e64 v2, 0, 1, s[10:11]
	s_waitcnt vmcnt(0)
	v_cvt_f64_u32_e32 v[2:3], v2
	s_mov_b64 s[0:1], 0
	global_store_dwordx2 v[0:1], v[2:3], off
.LBB119_1794:
	s_andn2_b64 vcc, exec, s[0:1]
	s_cbranch_vccnz .LBB119_1796
; %bb.1795:
	v_cndmask_b32_e64 v2, 0, 1.0, s[10:11]
	s_waitcnt vmcnt(0)
	global_store_dword v[0:1], v2, off
.LBB119_1796:
	s_mov_b64 s[0:1], 0
.LBB119_1797:
	s_andn2_b64 vcc, exec, s[0:1]
	s_cbranch_vccnz .LBB119_1799
; %bb.1798:
	v_cndmask_b32_e64 v2, 0, 1.0, s[10:11]
	v_cvt_f16_f32_e32 v2, v2
	s_waitcnt vmcnt(0)
	global_store_short v[0:1], v2, off
.LBB119_1799:
	s_mov_b64 s[0:1], 0
.LBB119_1800:
	s_andn2_b64 vcc, exec, s[0:1]
	s_cbranch_vccnz .LBB119_1816
; %bb.1801:
	s_sext_i32_i16 s2, s22
	s_cmp_lt_i32 s2, 2
	s_mov_b64 s[0:1], -1
	s_cbranch_scc1 .LBB119_1811
; %bb.1802:
	s_cmp_lt_i32 s2, 3
	s_cbranch_scc1 .LBB119_1808
; %bb.1803:
	s_cmp_gt_i32 s2, 3
	s_cbranch_scc0 .LBB119_1805
; %bb.1804:
	s_mov_b32 s0, 0
	v_cndmask_b32_e64 v2, 0, 1, s[10:11]
	s_waitcnt vmcnt(0)
	v_mov_b32_e32 v3, s0
	global_store_dwordx2 v[0:1], v[2:3], off
	s_mov_b64 s[0:1], 0
.LBB119_1805:
	s_andn2_b64 vcc, exec, s[0:1]
	s_cbranch_vccnz .LBB119_1807
; %bb.1806:
	v_cndmask_b32_e64 v2, 0, 1, s[10:11]
	s_waitcnt vmcnt(0)
	global_store_dword v[0:1], v2, off
.LBB119_1807:
	s_mov_b64 s[0:1], 0
.LBB119_1808:
	s_andn2_b64 vcc, exec, s[0:1]
	s_cbranch_vccnz .LBB119_1810
; %bb.1809:
	v_cndmask_b32_e64 v2, 0, 1, s[10:11]
	s_waitcnt vmcnt(0)
	global_store_short v[0:1], v2, off
.LBB119_1810:
	s_mov_b64 s[0:1], 0
.LBB119_1811:
	s_andn2_b64 vcc, exec, s[0:1]
	s_cbranch_vccnz .LBB119_1816
; %bb.1812:
	s_sext_i32_i16 s0, s22
	s_cmp_gt_i32 s0, 0
	s_mov_b64 s[0:1], -1
	s_cbranch_scc0 .LBB119_1814
; %bb.1813:
	v_cndmask_b32_e64 v2, 0, 1, s[10:11]
	s_waitcnt vmcnt(0)
	global_store_byte v[0:1], v2, off
	s_mov_b64 s[0:1], 0
.LBB119_1814:
	s_andn2_b64 vcc, exec, s[0:1]
	s_cbranch_vccnz .LBB119_1816
; %bb.1815:
	v_cndmask_b32_e64 v2, 0, 1, s[10:11]
	s_waitcnt vmcnt(0)
	global_store_byte v[0:1], v2, off
	s_endpgm
.LBB119_1816:
	s_endpgm
.LBB119_1817:
	s_mov_b64 s[18:19], -1
                                        ; implicit-def: $sgpr10_sgpr11
	s_mov_b64 s[16:17], 0
	s_branch .LBB119_1824
.LBB119_1818:
	s_mov_b64 s[18:19], -1
	s_mov_b64 s[16:17], 0
                                        ; implicit-def: $sgpr10_sgpr11
	s_branch .LBB119_1821
.LBB119_1819:
	s_mov_b64 s[16:17], -1
                                        ; implicit-def: $sgpr10_sgpr11
.LBB119_1820:
	s_mov_b64 s[18:19], 0
.LBB119_1821:
	s_and_b64 vcc, exec, s[18:19]
	s_cbranch_vccz .LBB119_1823
; %bb.1822:
	s_waitcnt vmcnt(0)
	v_cmp_lt_f16_e32 vcc, s1, v1
	s_andn2_b64 s[10:11], s[10:11], exec
	s_and_b64 s[18:19], vcc, exec
	s_or_b64 s[10:11], s[10:11], s[18:19]
.LBB119_1823:
	s_mov_b64 s[18:19], 0
.LBB119_1824:
	s_and_b64 vcc, exec, s[18:19]
	s_cbranch_vccz .LBB119_1906
; %bb.1825:
	s_cmp_lg_u32 s0, 0
	s_mov_b64 s[14:15], -1
	s_cselect_b64 s[16:17], -1, 0
	s_andn2_b64 vcc, exec, s[16:17]
	s_cbranch_vccz .LBB119_1907
.LBB119_1826:
	s_andn2_b64 vcc, exec, s[14:15]
	s_cbranch_vccnz .LBB119_1828
.LBB119_1827:
	s_waitcnt vmcnt(0)
	v_cmp_le_f16_e32 vcc, s1, v1
	s_andn2_b64 s[0:1], s[10:11], exec
	s_and_b64 s[10:11], vcc, exec
	s_or_b64 s[10:11], s[0:1], s[10:11]
.LBB119_1828:
	s_load_dword s0, s[34:35], 0x160
	s_waitcnt vmcnt(0)
	v_mov_b32_e32 v1, s9
	v_add_co_u32_e32 v5, vcc, s8, v6
	v_addc_co_u32_e32 v6, vcc, 0, v1, vcc
	s_waitcnt lgkmcnt(0)
	s_and_b32 s22, s0, 0xff
	s_cmp_lt_i32 s22, 11
	s_cbranch_scc1 .LBB119_1908
; %bb.1829:
	s_and_b32 s23, 0xffff, s22
	s_mov_b64 s[18:19], -1
	s_mov_b64 s[14:15], 0
	s_cmp_gt_i32 s23, 25
	s_mov_b64 s[16:17], 0
	s_mov_b64 s[0:1], 0
	s_cbranch_scc0 .LBB119_1862
; %bb.1830:
	s_cmp_gt_i32 s23, 28
	s_cbranch_scc0 .LBB119_1845
; %bb.1831:
	s_cmp_gt_i32 s23, 43
	;; [unrolled: 3-line block ×3, first 2 shown]
	s_cbranch_scc0 .LBB119_1835
; %bb.1833:
	s_mov_b64 s[0:1], -1
	s_mov_b64 s[18:19], 0
	s_cmp_eq_u32 s23, 46
	s_cbranch_scc0 .LBB119_1835
; %bb.1834:
	v_cndmask_b32_e64 v1, 0, 1.0, s[4:5]
	v_bfe_u32 v3, v1, 16, 1
	s_movk_i32 s0, 0x7fff
	v_add3_u32 v1, v1, v3, s0
	v_lshrrev_b32_e32 v1, 16, v1
	global_store_dword v[5:6], v1, off
	s_mov_b64 s[0:1], 0
	s_mov_b64 s[16:17], -1
.LBB119_1835:
	s_and_b64 vcc, exec, s[18:19]
	s_cbranch_vccz .LBB119_1840
; %bb.1836:
	s_cmp_eq_u32 s23, 44
	s_mov_b64 s[0:1], -1
	s_cbranch_scc0 .LBB119_1840
; %bb.1837:
	v_cndmask_b32_e64 v3, 0, 1.0, s[4:5]
	v_lshrrev_b32_e32 v1, 23, v3
	s_movk_i32 s0, 0xff
	v_cmp_ne_u32_e32 vcc, s0, v1
	v_mov_b32_e32 v7, 0xff
	s_and_saveexec_b64 s[16:17], vcc
; %bb.1838:
	s_mov_b32 s0, 0x3fffff
	v_and_b32_e32 v7, 0x400000, v3
	v_and_or_b32 v3, v3, s0, v1
	v_cmp_ne_u32_e32 vcc, 0, v7
	v_cmp_ne_u32_e64 s[0:1], 0, v3
	s_and_b64 s[0:1], vcc, s[0:1]
	v_cndmask_b32_e64 v3, 0, 1, s[0:1]
	v_add_u32_e32 v7, v1, v3
; %bb.1839:
	s_or_b64 exec, exec, s[16:17]
	s_mov_b64 s[0:1], 0
	s_mov_b64 s[16:17], -1
	global_store_byte v[5:6], v7, off
.LBB119_1840:
	s_mov_b64 s[18:19], 0
.LBB119_1841:
	s_and_b64 vcc, exec, s[18:19]
	s_cbranch_vccz .LBB119_1844
; %bb.1842:
	s_cmp_eq_u32 s23, 29
	s_mov_b64 s[0:1], -1
	s_cbranch_scc0 .LBB119_1844
; %bb.1843:
	s_mov_b32 s0, 0
	v_cndmask_b32_e64 v7, 0, 1, s[4:5]
	v_mov_b32_e32 v8, s0
	global_store_dwordx2 v[5:6], v[7:8], off
	s_mov_b64 s[0:1], 0
	s_mov_b64 s[16:17], -1
.LBB119_1844:
	s_mov_b64 s[18:19], 0
.LBB119_1845:
	s_and_b64 vcc, exec, s[18:19]
	s_cbranch_vccz .LBB119_1861
; %bb.1846:
	s_cmp_lt_i32 s23, 27
	s_mov_b64 s[16:17], -1
	s_cbranch_scc1 .LBB119_1852
; %bb.1847:
	s_cmp_gt_i32 s23, 27
	s_cbranch_scc0 .LBB119_1849
; %bb.1848:
	v_cndmask_b32_e64 v1, 0, 1, s[4:5]
	s_mov_b64 s[16:17], 0
	global_store_dword v[5:6], v1, off
.LBB119_1849:
	s_andn2_b64 vcc, exec, s[16:17]
	s_cbranch_vccnz .LBB119_1851
; %bb.1850:
	v_cndmask_b32_e64 v1, 0, 1, s[4:5]
	global_store_short v[5:6], v1, off
.LBB119_1851:
	s_mov_b64 s[16:17], 0
.LBB119_1852:
	s_andn2_b64 vcc, exec, s[16:17]
	s_cbranch_vccnz .LBB119_1860
; %bb.1853:
	v_cndmask_b32_e64 v3, 0, 1.0, s[4:5]
	s_mov_b32 s16, 0x43800000
	v_cmp_gt_u32_e32 vcc, s16, v3
	v_mov_b32_e32 v7, 0x80
	s_and_saveexec_b64 s[16:17], vcc
	s_cbranch_execz .LBB119_1859
; %bb.1854:
	s_mov_b32 s18, 0x3bffffff
	v_cmp_lt_u32_e32 vcc, s18, v3
	s_mov_b64 s[18:19], 0
                                        ; implicit-def: $vgpr1
	s_and_saveexec_b64 s[20:21], vcc
	s_xor_b64 s[20:21], exec, s[20:21]
	s_cbranch_execz .LBB119_2266
; %bb.1855:
	v_bfe_u32 v1, v3, 20, 1
	s_mov_b32 s24, 0x487ffff
	v_add3_u32 v1, v3, v1, s24
	s_mov_b64 s[18:19], exec
	v_lshrrev_b32_e32 v1, 20, v1
                                        ; implicit-def: $vgpr3
	s_andn2_saveexec_b64 s[20:21], s[20:21]
	s_cbranch_execnz .LBB119_2267
.LBB119_1856:
	s_or_b64 exec, exec, s[20:21]
	v_mov_b32_e32 v7, 0
	s_and_saveexec_b64 s[20:21], s[18:19]
.LBB119_1857:
	v_mov_b32_e32 v7, v1
.LBB119_1858:
	s_or_b64 exec, exec, s[20:21]
.LBB119_1859:
	s_or_b64 exec, exec, s[16:17]
	global_store_byte v[5:6], v7, off
.LBB119_1860:
	s_mov_b64 s[16:17], -1
.LBB119_1861:
	s_mov_b64 s[18:19], 0
.LBB119_1862:
	s_and_b64 vcc, exec, s[18:19]
	s_cbranch_vccz .LBB119_1902
; %bb.1863:
	s_cmp_gt_i32 s23, 22
	s_mov_b64 s[14:15], -1
	s_cbranch_scc0 .LBB119_1895
; %bb.1864:
	s_cmp_lt_i32 s23, 24
	s_cbranch_scc1 .LBB119_1884
; %bb.1865:
	s_cmp_gt_i32 s23, 24
	s_cbranch_scc0 .LBB119_1873
; %bb.1866:
	v_cndmask_b32_e64 v3, 0, 1.0, s[4:5]
	s_mov_b32 s14, 0x47800000
	v_cmp_gt_u32_e32 vcc, s14, v3
	v_mov_b32_e32 v7, 0x80
	s_and_saveexec_b64 s[14:15], vcc
	s_cbranch_execz .LBB119_1872
; %bb.1867:
	s_mov_b32 s16, 0x37ffffff
	v_cmp_lt_u32_e32 vcc, s16, v3
	s_mov_b64 s[16:17], 0
                                        ; implicit-def: $vgpr1
	s_and_saveexec_b64 s[18:19], vcc
	s_xor_b64 s[18:19], exec, s[18:19]
	s_cbranch_execz .LBB119_2269
; %bb.1868:
	v_bfe_u32 v1, v3, 21, 1
	s_mov_b32 s20, 0x88fffff
	v_add3_u32 v1, v3, v1, s20
	s_mov_b64 s[16:17], exec
	v_lshrrev_b32_e32 v1, 21, v1
                                        ; implicit-def: $vgpr3
	s_andn2_saveexec_b64 s[18:19], s[18:19]
	s_cbranch_execnz .LBB119_2270
.LBB119_1869:
	s_or_b64 exec, exec, s[18:19]
	v_mov_b32_e32 v7, 0
	s_and_saveexec_b64 s[18:19], s[16:17]
.LBB119_1870:
	v_mov_b32_e32 v7, v1
.LBB119_1871:
	s_or_b64 exec, exec, s[18:19]
.LBB119_1872:
	s_or_b64 exec, exec, s[14:15]
	s_mov_b64 s[14:15], 0
	global_store_byte v[5:6], v7, off
.LBB119_1873:
	s_and_b64 vcc, exec, s[14:15]
	s_cbranch_vccz .LBB119_1883
; %bb.1874:
	v_cndmask_b32_e64 v1, 0, 1.0, s[4:5]
	s_mov_b32 s14, 0x43f00000
	v_cmp_gt_u32_e32 vcc, s14, v1
                                        ; implicit-def: $vgpr3
	s_and_saveexec_b64 s[14:15], vcc
	s_xor_b64 s[14:15], exec, s[14:15]
	s_cbranch_execz .LBB119_1880
; %bb.1875:
	s_mov_b32 s16, 0x3c7fffff
	v_cmp_lt_u32_e32 vcc, s16, v1
                                        ; implicit-def: $vgpr3
	s_and_saveexec_b64 s[16:17], vcc
	s_xor_b64 s[16:17], exec, s[16:17]
; %bb.1876:
	v_bfe_u32 v3, v1, 20, 1
	s_mov_b32 s18, 0x407ffff
	v_add3_u32 v1, v1, v3, s18
	v_lshrrev_b32_e32 v3, 20, v1
	v_and_b32_e32 v1, 0xff00000, v1
	s_mov_b32 s18, 0x7f00000
	v_mov_b32_e32 v7, 0x7e
	v_cmp_ne_u32_e32 vcc, s18, v1
	v_cndmask_b32_e32 v3, v7, v3, vcc
                                        ; implicit-def: $vgpr1
; %bb.1877:
	s_andn2_saveexec_b64 s[16:17], s[16:17]
; %bb.1878:
	v_add_f32_e32 v3, 0x46800000, v1
; %bb.1879:
	s_or_b64 exec, exec, s[16:17]
                                        ; implicit-def: $vgpr1
.LBB119_1880:
	s_andn2_saveexec_b64 s[14:15], s[14:15]
; %bb.1881:
	s_mov_b32 s16, 0x7f800000
	v_mov_b32_e32 v3, 0x7e
	v_mov_b32_e32 v7, 0x7f
	v_cmp_lt_u32_e32 vcc, s16, v1
	v_cndmask_b32_e32 v3, v3, v7, vcc
; %bb.1882:
	s_or_b64 exec, exec, s[14:15]
	global_store_byte v[5:6], v3, off
.LBB119_1883:
	s_mov_b64 s[14:15], 0
.LBB119_1884:
	s_andn2_b64 vcc, exec, s[14:15]
	s_cbranch_vccnz .LBB119_1894
; %bb.1885:
	v_cndmask_b32_e64 v1, 0, 1.0, s[4:5]
	s_mov_b32 s14, 0x47800000
	v_cmp_gt_u32_e32 vcc, s14, v1
                                        ; implicit-def: $vgpr3
	s_and_saveexec_b64 s[14:15], vcc
	s_xor_b64 s[14:15], exec, s[14:15]
	s_cbranch_execz .LBB119_1891
; %bb.1886:
	s_mov_b32 s16, 0x387fffff
	v_cmp_lt_u32_e32 vcc, s16, v1
                                        ; implicit-def: $vgpr3
	s_and_saveexec_b64 s[16:17], vcc
	s_xor_b64 s[16:17], exec, s[16:17]
; %bb.1887:
	v_bfe_u32 v3, v1, 21, 1
	s_mov_b32 s18, 0x80fffff
	v_add3_u32 v1, v1, v3, s18
	v_lshrrev_b32_e32 v3, 21, v1
                                        ; implicit-def: $vgpr1
; %bb.1888:
	s_andn2_saveexec_b64 s[16:17], s[16:17]
; %bb.1889:
	v_add_f32_e32 v3, 0x43000000, v1
; %bb.1890:
	s_or_b64 exec, exec, s[16:17]
                                        ; implicit-def: $vgpr1
.LBB119_1891:
	s_andn2_saveexec_b64 s[14:15], s[14:15]
; %bb.1892:
	s_mov_b32 s16, 0x7f800000
	v_mov_b32_e32 v3, 0x7c
	v_mov_b32_e32 v7, 0x7f
	v_cmp_lt_u32_e32 vcc, s16, v1
	v_cndmask_b32_e32 v3, v3, v7, vcc
; %bb.1893:
	s_or_b64 exec, exec, s[14:15]
	global_store_byte v[5:6], v3, off
.LBB119_1894:
	s_mov_b64 s[14:15], 0
	s_mov_b64 s[16:17], -1
.LBB119_1895:
	s_andn2_b64 vcc, exec, s[14:15]
	s_mov_b64 s[14:15], 0
	s_cbranch_vccnz .LBB119_1902
; %bb.1896:
	s_cmp_gt_i32 s23, 14
	s_mov_b64 s[18:19], -1
	s_cbranch_scc0 .LBB119_1900
; %bb.1897:
	s_cmp_eq_u32 s23, 15
	s_mov_b64 s[0:1], -1
	s_cbranch_scc0 .LBB119_1899
; %bb.1898:
	v_cndmask_b32_e64 v1, 0, 1.0, s[4:5]
	v_bfe_u32 v3, v1, 16, 1
	s_movk_i32 s0, 0x7fff
	v_add3_u32 v1, v1, v3, s0
	global_store_short_d16_hi v[5:6], v1, off
	s_mov_b64 s[0:1], 0
	s_mov_b64 s[16:17], -1
.LBB119_1899:
	s_mov_b64 s[18:19], 0
.LBB119_1900:
	s_and_b64 vcc, exec, s[18:19]
	s_cbranch_vccz .LBB119_1902
; %bb.1901:
	s_cmp_lg_u32 s23, 11
	s_mov_b64 s[14:15], -1
	s_cselect_b64 s[0:1], -1, 0
.LBB119_1902:
	s_and_b64 vcc, exec, s[0:1]
	s_cbranch_vccnz .LBB119_2268
; %bb.1903:
	s_andn2_b64 vcc, exec, s[14:15]
	s_cbranch_vccnz .LBB119_1905
.LBB119_1904:
	v_cndmask_b32_e64 v1, 0, 1, s[4:5]
	s_mov_b64 s[16:17], -1
	global_store_byte v[5:6], v1, off
.LBB119_1905:
	s_mov_b64 s[0:1], 0
	s_branch .LBB119_1909
.LBB119_1906:
	s_andn2_b64 vcc, exec, s[16:17]
	s_cbranch_vccnz .LBB119_1826
.LBB119_1907:
	s_waitcnt vmcnt(0)
	v_cmp_gt_f16_e32 vcc, s1, v1
	s_andn2_b64 s[10:11], s[10:11], exec
	s_and_b64 s[16:17], vcc, exec
	s_or_b64 s[10:11], s[10:11], s[16:17]
	s_cbranch_execz .LBB119_1827
	s_branch .LBB119_1828
.LBB119_1908:
	s_mov_b64 s[0:1], -1
	s_mov_b64 s[16:17], 0
.LBB119_1909:
	s_and_b64 vcc, exec, s[0:1]
	s_cbranch_vccz .LBB119_1948
; %bb.1910:
	s_and_b32 s14, 0xffff, s22
	s_cmp_lt_i32 s14, 5
	s_mov_b64 s[0:1], -1
	s_cbranch_scc1 .LBB119_1931
; %bb.1911:
	s_cmp_lt_i32 s14, 8
	s_cbranch_scc1 .LBB119_1921
; %bb.1912:
	s_cmp_lt_i32 s14, 9
	s_cbranch_scc1 .LBB119_1918
; %bb.1913:
	s_cmp_gt_i32 s14, 9
	s_cbranch_scc0 .LBB119_1915
; %bb.1914:
	v_cndmask_b32_e64 v1, 0, 1, s[4:5]
	v_cvt_f64_u32_e32 v[7:8], v1
	v_mov_b32_e32 v9, 0
	v_mov_b32_e32 v10, v9
	s_mov_b64 s[0:1], 0
	global_store_dwordx4 v[5:6], v[7:10], off
.LBB119_1915:
	s_andn2_b64 vcc, exec, s[0:1]
	s_cbranch_vccnz .LBB119_1917
; %bb.1916:
	v_cndmask_b32_e64 v7, 0, 1.0, s[4:5]
	v_mov_b32_e32 v8, 0
	global_store_dwordx2 v[5:6], v[7:8], off
.LBB119_1917:
	s_mov_b64 s[0:1], 0
.LBB119_1918:
	s_andn2_b64 vcc, exec, s[0:1]
	s_cbranch_vccnz .LBB119_1920
; %bb.1919:
	v_cndmask_b32_e64 v1, 0, 1.0, s[4:5]
	v_cvt_f16_f32_e32 v1, v1
	global_store_dword v[5:6], v1, off
.LBB119_1920:
	s_mov_b64 s[0:1], 0
.LBB119_1921:
	s_andn2_b64 vcc, exec, s[0:1]
	s_cbranch_vccnz .LBB119_1930
; %bb.1922:
	s_cmp_lt_i32 s14, 6
	s_mov_b64 s[0:1], -1
	s_cbranch_scc1 .LBB119_1928
; %bb.1923:
	s_cmp_gt_i32 s14, 6
	s_cbranch_scc0 .LBB119_1925
; %bb.1924:
	v_cndmask_b32_e64 v1, 0, 1, s[4:5]
	v_cvt_f64_u32_e32 v[7:8], v1
	s_mov_b64 s[0:1], 0
	global_store_dwordx2 v[5:6], v[7:8], off
.LBB119_1925:
	s_andn2_b64 vcc, exec, s[0:1]
	s_cbranch_vccnz .LBB119_1927
; %bb.1926:
	v_cndmask_b32_e64 v1, 0, 1.0, s[4:5]
	global_store_dword v[5:6], v1, off
.LBB119_1927:
	s_mov_b64 s[0:1], 0
.LBB119_1928:
	s_andn2_b64 vcc, exec, s[0:1]
	s_cbranch_vccnz .LBB119_1930
; %bb.1929:
	v_cndmask_b32_e64 v1, 0, 1.0, s[4:5]
	v_cvt_f16_f32_e32 v1, v1
	global_store_short v[5:6], v1, off
.LBB119_1930:
	s_mov_b64 s[0:1], 0
.LBB119_1931:
	s_andn2_b64 vcc, exec, s[0:1]
	s_cbranch_vccnz .LBB119_1947
; %bb.1932:
	s_cmp_lt_i32 s14, 2
	s_mov_b64 s[0:1], -1
	s_cbranch_scc1 .LBB119_1942
; %bb.1933:
	s_cmp_lt_i32 s14, 3
	s_cbranch_scc1 .LBB119_1939
; %bb.1934:
	s_cmp_gt_i32 s14, 3
	s_cbranch_scc0 .LBB119_1936
; %bb.1935:
	s_mov_b32 s0, 0
	v_cndmask_b32_e64 v7, 0, 1, s[4:5]
	v_mov_b32_e32 v8, s0
	global_store_dwordx2 v[5:6], v[7:8], off
	s_mov_b64 s[0:1], 0
.LBB119_1936:
	s_andn2_b64 vcc, exec, s[0:1]
	s_cbranch_vccnz .LBB119_1938
; %bb.1937:
	v_cndmask_b32_e64 v1, 0, 1, s[4:5]
	global_store_dword v[5:6], v1, off
.LBB119_1938:
	s_mov_b64 s[0:1], 0
.LBB119_1939:
	s_andn2_b64 vcc, exec, s[0:1]
	s_cbranch_vccnz .LBB119_1941
; %bb.1940:
	v_cndmask_b32_e64 v1, 0, 1, s[4:5]
	global_store_short v[5:6], v1, off
.LBB119_1941:
	s_mov_b64 s[0:1], 0
.LBB119_1942:
	s_andn2_b64 vcc, exec, s[0:1]
	s_cbranch_vccnz .LBB119_1947
; %bb.1943:
	s_mov_b64 s[0:1], -1
	s_cmp_gt_i32 s14, 0
	v_cndmask_b32_e64 v1, 0, 1, s[4:5]
	s_cbranch_scc0 .LBB119_1945
; %bb.1944:
	global_store_byte v[5:6], v1, off
	s_mov_b64 s[0:1], 0
.LBB119_1945:
	s_andn2_b64 vcc, exec, s[0:1]
	s_cbranch_vccnz .LBB119_1947
; %bb.1946:
	global_store_byte v[5:6], v1, off
.LBB119_1947:
	s_mov_b64 s[16:17], -1
.LBB119_1948:
	s_andn2_b64 vcc, exec, s[16:17]
	s_cbranch_vccnz .LBB119_2263
; %bb.1949:
	v_mov_b32_e32 v1, s9
	s_and_b32 s20, 0xffff, s22
	v_add_co_u32_e32 v3, vcc, s8, v4
	s_cmp_lt_i32 s20, 11
	v_addc_co_u32_e32 v4, vcc, 0, v1, vcc
	s_cbranch_scc1 .LBB119_2027
; %bb.1950:
	s_mov_b64 s[16:17], -1
	s_mov_b64 s[4:5], 0
	s_cmp_gt_i32 s20, 25
	s_mov_b64 s[14:15], 0
	s_mov_b64 s[0:1], 0
	s_cbranch_scc0 .LBB119_1983
; %bb.1951:
	s_cmp_gt_i32 s20, 28
	s_cbranch_scc0 .LBB119_1966
; %bb.1952:
	s_cmp_gt_i32 s20, 43
	;; [unrolled: 3-line block ×3, first 2 shown]
	s_cbranch_scc0 .LBB119_1956
; %bb.1954:
	s_mov_b64 s[0:1], -1
	s_mov_b64 s[16:17], 0
	s_cmp_eq_u32 s20, 46
	s_cbranch_scc0 .LBB119_1956
; %bb.1955:
	v_cndmask_b32_e64 v1, 0, 1.0, s[6:7]
	v_bfe_u32 v5, v1, 16, 1
	s_movk_i32 s0, 0x7fff
	v_add3_u32 v1, v1, v5, s0
	v_lshrrev_b32_e32 v1, 16, v1
	global_store_dword v[3:4], v1, off
	s_mov_b64 s[0:1], 0
	s_mov_b64 s[14:15], -1
.LBB119_1956:
	s_and_b64 vcc, exec, s[16:17]
	s_cbranch_vccz .LBB119_1961
; %bb.1957:
	s_cmp_eq_u32 s20, 44
	s_mov_b64 s[0:1], -1
	s_cbranch_scc0 .LBB119_1961
; %bb.1958:
	v_cndmask_b32_e64 v5, 0, 1.0, s[6:7]
	v_lshrrev_b32_e32 v1, 23, v5
	s_movk_i32 s0, 0xff
	v_cmp_ne_u32_e32 vcc, s0, v1
	v_mov_b32_e32 v6, 0xff
	s_and_saveexec_b64 s[14:15], vcc
; %bb.1959:
	s_mov_b32 s0, 0x3fffff
	v_and_b32_e32 v6, 0x400000, v5
	v_and_or_b32 v5, v5, s0, v1
	v_cmp_ne_u32_e32 vcc, 0, v6
	v_cmp_ne_u32_e64 s[0:1], 0, v5
	s_and_b64 s[0:1], vcc, s[0:1]
	v_cndmask_b32_e64 v5, 0, 1, s[0:1]
	v_add_u32_e32 v6, v1, v5
; %bb.1960:
	s_or_b64 exec, exec, s[14:15]
	s_mov_b64 s[0:1], 0
	s_mov_b64 s[14:15], -1
	global_store_byte v[3:4], v6, off
.LBB119_1961:
	s_mov_b64 s[16:17], 0
.LBB119_1962:
	s_and_b64 vcc, exec, s[16:17]
	s_cbranch_vccz .LBB119_1965
; %bb.1963:
	s_cmp_eq_u32 s20, 29
	s_mov_b64 s[0:1], -1
	s_cbranch_scc0 .LBB119_1965
; %bb.1964:
	s_mov_b32 s0, 0
	v_cndmask_b32_e64 v5, 0, 1, s[6:7]
	v_mov_b32_e32 v6, s0
	global_store_dwordx2 v[3:4], v[5:6], off
	s_mov_b64 s[0:1], 0
	s_mov_b64 s[14:15], -1
.LBB119_1965:
	s_mov_b64 s[16:17], 0
.LBB119_1966:
	s_and_b64 vcc, exec, s[16:17]
	s_cbranch_vccz .LBB119_1982
; %bb.1967:
	s_cmp_lt_i32 s20, 27
	s_mov_b64 s[14:15], -1
	s_cbranch_scc1 .LBB119_1973
; %bb.1968:
	s_cmp_gt_i32 s20, 27
	s_cbranch_scc0 .LBB119_1970
; %bb.1969:
	v_cndmask_b32_e64 v1, 0, 1, s[6:7]
	s_mov_b64 s[14:15], 0
	global_store_dword v[3:4], v1, off
.LBB119_1970:
	s_andn2_b64 vcc, exec, s[14:15]
	s_cbranch_vccnz .LBB119_1972
; %bb.1971:
	v_cndmask_b32_e64 v1, 0, 1, s[6:7]
	global_store_short v[3:4], v1, off
.LBB119_1972:
	s_mov_b64 s[14:15], 0
.LBB119_1973:
	s_andn2_b64 vcc, exec, s[14:15]
	s_cbranch_vccnz .LBB119_1981
; %bb.1974:
	v_cndmask_b32_e64 v5, 0, 1.0, s[6:7]
	s_mov_b32 s14, 0x43800000
	v_cmp_gt_u32_e32 vcc, s14, v5
	v_mov_b32_e32 v6, 0x80
	s_and_saveexec_b64 s[14:15], vcc
	s_cbranch_execz .LBB119_1980
; %bb.1975:
	s_mov_b32 s16, 0x3bffffff
	v_cmp_lt_u32_e32 vcc, s16, v5
	s_mov_b64 s[16:17], 0
                                        ; implicit-def: $vgpr1
	s_and_saveexec_b64 s[18:19], vcc
	s_xor_b64 s[18:19], exec, s[18:19]
	s_cbranch_execz .LBB119_2271
; %bb.1976:
	v_bfe_u32 v1, v5, 20, 1
	s_mov_b32 s21, 0x487ffff
	v_add3_u32 v1, v5, v1, s21
	s_mov_b64 s[16:17], exec
	v_lshrrev_b32_e32 v1, 20, v1
                                        ; implicit-def: $vgpr5
	s_andn2_saveexec_b64 s[18:19], s[18:19]
	s_cbranch_execnz .LBB119_2272
.LBB119_1977:
	s_or_b64 exec, exec, s[18:19]
	v_mov_b32_e32 v6, 0
	s_and_saveexec_b64 s[18:19], s[16:17]
.LBB119_1978:
	v_mov_b32_e32 v6, v1
.LBB119_1979:
	s_or_b64 exec, exec, s[18:19]
.LBB119_1980:
	s_or_b64 exec, exec, s[14:15]
	global_store_byte v[3:4], v6, off
.LBB119_1981:
	s_mov_b64 s[14:15], -1
.LBB119_1982:
	s_mov_b64 s[16:17], 0
.LBB119_1983:
	s_and_b64 vcc, exec, s[16:17]
	s_cbranch_vccz .LBB119_2023
; %bb.1984:
	s_cmp_gt_i32 s20, 22
	s_mov_b64 s[4:5], -1
	s_cbranch_scc0 .LBB119_2016
; %bb.1985:
	s_cmp_lt_i32 s20, 24
	s_cbranch_scc1 .LBB119_2005
; %bb.1986:
	s_cmp_gt_i32 s20, 24
	s_cbranch_scc0 .LBB119_1994
; %bb.1987:
	v_cndmask_b32_e64 v5, 0, 1.0, s[6:7]
	s_mov_b32 s4, 0x47800000
	v_cmp_gt_u32_e32 vcc, s4, v5
	v_mov_b32_e32 v6, 0x80
	s_and_saveexec_b64 s[4:5], vcc
	s_cbranch_execz .LBB119_1993
; %bb.1988:
	s_mov_b32 s14, 0x37ffffff
	v_cmp_lt_u32_e32 vcc, s14, v5
	s_mov_b64 s[14:15], 0
                                        ; implicit-def: $vgpr1
	s_and_saveexec_b64 s[16:17], vcc
	s_xor_b64 s[16:17], exec, s[16:17]
	s_cbranch_execz .LBB119_2274
; %bb.1989:
	v_bfe_u32 v1, v5, 21, 1
	s_mov_b32 s18, 0x88fffff
	v_add3_u32 v1, v5, v1, s18
	s_mov_b64 s[14:15], exec
	v_lshrrev_b32_e32 v1, 21, v1
                                        ; implicit-def: $vgpr5
	s_andn2_saveexec_b64 s[16:17], s[16:17]
	s_cbranch_execnz .LBB119_2275
.LBB119_1990:
	s_or_b64 exec, exec, s[16:17]
	v_mov_b32_e32 v6, 0
	s_and_saveexec_b64 s[16:17], s[14:15]
.LBB119_1991:
	v_mov_b32_e32 v6, v1
.LBB119_1992:
	s_or_b64 exec, exec, s[16:17]
.LBB119_1993:
	s_or_b64 exec, exec, s[4:5]
	s_mov_b64 s[4:5], 0
	global_store_byte v[3:4], v6, off
.LBB119_1994:
	s_and_b64 vcc, exec, s[4:5]
	s_cbranch_vccz .LBB119_2004
; %bb.1995:
	v_cndmask_b32_e64 v1, 0, 1.0, s[6:7]
	s_mov_b32 s4, 0x43f00000
	v_cmp_gt_u32_e32 vcc, s4, v1
                                        ; implicit-def: $vgpr5
	s_and_saveexec_b64 s[4:5], vcc
	s_xor_b64 s[4:5], exec, s[4:5]
	s_cbranch_execz .LBB119_2001
; %bb.1996:
	s_mov_b32 s14, 0x3c7fffff
	v_cmp_lt_u32_e32 vcc, s14, v1
                                        ; implicit-def: $vgpr5
	s_and_saveexec_b64 s[14:15], vcc
	s_xor_b64 s[14:15], exec, s[14:15]
; %bb.1997:
	v_bfe_u32 v5, v1, 20, 1
	s_mov_b32 s16, 0x407ffff
	v_add3_u32 v1, v1, v5, s16
	v_lshrrev_b32_e32 v5, 20, v1
	v_and_b32_e32 v1, 0xff00000, v1
	s_mov_b32 s16, 0x7f00000
	v_mov_b32_e32 v6, 0x7e
	v_cmp_ne_u32_e32 vcc, s16, v1
	v_cndmask_b32_e32 v5, v6, v5, vcc
                                        ; implicit-def: $vgpr1
; %bb.1998:
	s_andn2_saveexec_b64 s[14:15], s[14:15]
; %bb.1999:
	v_add_f32_e32 v5, 0x46800000, v1
; %bb.2000:
	s_or_b64 exec, exec, s[14:15]
                                        ; implicit-def: $vgpr1
.LBB119_2001:
	s_andn2_saveexec_b64 s[4:5], s[4:5]
; %bb.2002:
	s_mov_b32 s14, 0x7f800000
	v_mov_b32_e32 v5, 0x7e
	v_mov_b32_e32 v6, 0x7f
	v_cmp_lt_u32_e32 vcc, s14, v1
	v_cndmask_b32_e32 v5, v5, v6, vcc
; %bb.2003:
	s_or_b64 exec, exec, s[4:5]
	global_store_byte v[3:4], v5, off
.LBB119_2004:
	s_mov_b64 s[4:5], 0
.LBB119_2005:
	s_andn2_b64 vcc, exec, s[4:5]
	s_cbranch_vccnz .LBB119_2015
; %bb.2006:
	v_cndmask_b32_e64 v1, 0, 1.0, s[6:7]
	s_mov_b32 s4, 0x47800000
	v_cmp_gt_u32_e32 vcc, s4, v1
                                        ; implicit-def: $vgpr5
	s_and_saveexec_b64 s[4:5], vcc
	s_xor_b64 s[4:5], exec, s[4:5]
	s_cbranch_execz .LBB119_2012
; %bb.2007:
	s_mov_b32 s14, 0x387fffff
	v_cmp_lt_u32_e32 vcc, s14, v1
                                        ; implicit-def: $vgpr5
	s_and_saveexec_b64 s[14:15], vcc
	s_xor_b64 s[14:15], exec, s[14:15]
; %bb.2008:
	v_bfe_u32 v5, v1, 21, 1
	s_mov_b32 s16, 0x80fffff
	v_add3_u32 v1, v1, v5, s16
	v_lshrrev_b32_e32 v5, 21, v1
                                        ; implicit-def: $vgpr1
; %bb.2009:
	s_andn2_saveexec_b64 s[14:15], s[14:15]
; %bb.2010:
	v_add_f32_e32 v5, 0x43000000, v1
; %bb.2011:
	s_or_b64 exec, exec, s[14:15]
                                        ; implicit-def: $vgpr1
.LBB119_2012:
	s_andn2_saveexec_b64 s[4:5], s[4:5]
; %bb.2013:
	s_mov_b32 s14, 0x7f800000
	v_mov_b32_e32 v5, 0x7c
	v_mov_b32_e32 v6, 0x7f
	v_cmp_lt_u32_e32 vcc, s14, v1
	v_cndmask_b32_e32 v5, v5, v6, vcc
; %bb.2014:
	s_or_b64 exec, exec, s[4:5]
	global_store_byte v[3:4], v5, off
.LBB119_2015:
	s_mov_b64 s[4:5], 0
	s_mov_b64 s[14:15], -1
.LBB119_2016:
	s_andn2_b64 vcc, exec, s[4:5]
	s_mov_b64 s[4:5], 0
	s_cbranch_vccnz .LBB119_2023
; %bb.2017:
	s_cmp_gt_i32 s20, 14
	s_mov_b64 s[16:17], -1
	s_cbranch_scc0 .LBB119_2021
; %bb.2018:
	s_cmp_eq_u32 s20, 15
	s_mov_b64 s[0:1], -1
	s_cbranch_scc0 .LBB119_2020
; %bb.2019:
	v_cndmask_b32_e64 v1, 0, 1.0, s[6:7]
	v_bfe_u32 v5, v1, 16, 1
	s_movk_i32 s0, 0x7fff
	v_add3_u32 v1, v1, v5, s0
	global_store_short_d16_hi v[3:4], v1, off
	s_mov_b64 s[0:1], 0
	s_mov_b64 s[14:15], -1
.LBB119_2020:
	s_mov_b64 s[16:17], 0
.LBB119_2021:
	s_and_b64 vcc, exec, s[16:17]
	s_cbranch_vccz .LBB119_2023
; %bb.2022:
	s_cmp_lg_u32 s20, 11
	s_mov_b64 s[4:5], -1
	s_cselect_b64 s[0:1], -1, 0
.LBB119_2023:
	s_and_b64 vcc, exec, s[0:1]
	s_cbranch_vccnz .LBB119_2273
; %bb.2024:
	s_andn2_b64 vcc, exec, s[4:5]
	s_cbranch_vccnz .LBB119_2026
.LBB119_2025:
	v_cndmask_b32_e64 v1, 0, 1, s[6:7]
	s_mov_b64 s[14:15], -1
	global_store_byte v[3:4], v1, off
.LBB119_2026:
	s_mov_b64 s[0:1], 0
	s_branch .LBB119_2028
.LBB119_2027:
	s_mov_b64 s[0:1], -1
	s_mov_b64 s[14:15], 0
.LBB119_2028:
	s_and_b64 vcc, exec, s[0:1]
	s_cbranch_vccz .LBB119_2067
; %bb.2029:
	s_cmp_lt_i32 s20, 5
	s_mov_b64 s[0:1], -1
	s_cbranch_scc1 .LBB119_2050
; %bb.2030:
	s_cmp_lt_i32 s20, 8
	s_cbranch_scc1 .LBB119_2040
; %bb.2031:
	s_cmp_lt_i32 s20, 9
	s_cbranch_scc1 .LBB119_2037
; %bb.2032:
	s_cmp_gt_i32 s20, 9
	s_cbranch_scc0 .LBB119_2034
; %bb.2033:
	v_cndmask_b32_e64 v1, 0, 1, s[6:7]
	v_cvt_f64_u32_e32 v[5:6], v1
	v_mov_b32_e32 v7, 0
	v_mov_b32_e32 v8, v7
	s_mov_b64 s[0:1], 0
	global_store_dwordx4 v[3:4], v[5:8], off
.LBB119_2034:
	s_andn2_b64 vcc, exec, s[0:1]
	s_cbranch_vccnz .LBB119_2036
; %bb.2035:
	v_cndmask_b32_e64 v5, 0, 1.0, s[6:7]
	v_mov_b32_e32 v6, 0
	global_store_dwordx2 v[3:4], v[5:6], off
.LBB119_2036:
	s_mov_b64 s[0:1], 0
.LBB119_2037:
	s_andn2_b64 vcc, exec, s[0:1]
	s_cbranch_vccnz .LBB119_2039
; %bb.2038:
	v_cndmask_b32_e64 v1, 0, 1.0, s[6:7]
	v_cvt_f16_f32_e32 v1, v1
	global_store_dword v[3:4], v1, off
.LBB119_2039:
	s_mov_b64 s[0:1], 0
.LBB119_2040:
	s_andn2_b64 vcc, exec, s[0:1]
	s_cbranch_vccnz .LBB119_2049
; %bb.2041:
	s_cmp_lt_i32 s20, 6
	s_mov_b64 s[0:1], -1
	s_cbranch_scc1 .LBB119_2047
; %bb.2042:
	s_cmp_gt_i32 s20, 6
	s_cbranch_scc0 .LBB119_2044
; %bb.2043:
	v_cndmask_b32_e64 v1, 0, 1, s[6:7]
	v_cvt_f64_u32_e32 v[5:6], v1
	s_mov_b64 s[0:1], 0
	global_store_dwordx2 v[3:4], v[5:6], off
.LBB119_2044:
	s_andn2_b64 vcc, exec, s[0:1]
	s_cbranch_vccnz .LBB119_2046
; %bb.2045:
	v_cndmask_b32_e64 v1, 0, 1.0, s[6:7]
	global_store_dword v[3:4], v1, off
.LBB119_2046:
	s_mov_b64 s[0:1], 0
.LBB119_2047:
	s_andn2_b64 vcc, exec, s[0:1]
	s_cbranch_vccnz .LBB119_2049
; %bb.2048:
	v_cndmask_b32_e64 v1, 0, 1.0, s[6:7]
	v_cvt_f16_f32_e32 v1, v1
	global_store_short v[3:4], v1, off
.LBB119_2049:
	s_mov_b64 s[0:1], 0
.LBB119_2050:
	s_andn2_b64 vcc, exec, s[0:1]
	s_cbranch_vccnz .LBB119_2066
; %bb.2051:
	s_cmp_lt_i32 s20, 2
	s_mov_b64 s[0:1], -1
	s_cbranch_scc1 .LBB119_2061
; %bb.2052:
	s_cmp_lt_i32 s20, 3
	s_cbranch_scc1 .LBB119_2058
; %bb.2053:
	s_cmp_gt_i32 s20, 3
	s_cbranch_scc0 .LBB119_2055
; %bb.2054:
	s_mov_b32 s0, 0
	v_cndmask_b32_e64 v5, 0, 1, s[6:7]
	v_mov_b32_e32 v6, s0
	global_store_dwordx2 v[3:4], v[5:6], off
	s_mov_b64 s[0:1], 0
.LBB119_2055:
	s_andn2_b64 vcc, exec, s[0:1]
	s_cbranch_vccnz .LBB119_2057
; %bb.2056:
	v_cndmask_b32_e64 v1, 0, 1, s[6:7]
	global_store_dword v[3:4], v1, off
.LBB119_2057:
	s_mov_b64 s[0:1], 0
.LBB119_2058:
	s_andn2_b64 vcc, exec, s[0:1]
	s_cbranch_vccnz .LBB119_2060
; %bb.2059:
	v_cndmask_b32_e64 v1, 0, 1, s[6:7]
	global_store_short v[3:4], v1, off
.LBB119_2060:
	s_mov_b64 s[0:1], 0
.LBB119_2061:
	s_andn2_b64 vcc, exec, s[0:1]
	s_cbranch_vccnz .LBB119_2066
; %bb.2062:
	s_mov_b64 s[0:1], -1
	s_cmp_gt_i32 s20, 0
	v_cndmask_b32_e64 v1, 0, 1, s[6:7]
	s_cbranch_scc0 .LBB119_2064
; %bb.2063:
	global_store_byte v[3:4], v1, off
	s_mov_b64 s[0:1], 0
.LBB119_2064:
	s_andn2_b64 vcc, exec, s[0:1]
	s_cbranch_vccnz .LBB119_2066
; %bb.2065:
	global_store_byte v[3:4], v1, off
.LBB119_2066:
	s_mov_b64 s[14:15], -1
.LBB119_2067:
	s_andn2_b64 vcc, exec, s[14:15]
	s_cbranch_vccnz .LBB119_2263
; %bb.2068:
	v_mov_b32_e32 v3, s9
	v_add_co_u32_e32 v1, vcc, s8, v2
	s_cmp_lt_i32 s20, 11
	v_addc_co_u32_e32 v2, vcc, 0, v3, vcc
	s_cbranch_scc1 .LBB119_2146
; %bb.2069:
	s_mov_b64 s[14:15], -1
	s_mov_b64 s[4:5], 0
	s_cmp_gt_i32 s20, 25
	s_mov_b64 s[6:7], 0
	s_mov_b64 s[0:1], 0
	s_cbranch_scc0 .LBB119_2102
; %bb.2070:
	s_cmp_gt_i32 s20, 28
	s_cbranch_scc0 .LBB119_2085
; %bb.2071:
	s_cmp_gt_i32 s20, 43
	;; [unrolled: 3-line block ×3, first 2 shown]
	s_cbranch_scc0 .LBB119_2075
; %bb.2073:
	s_mov_b64 s[0:1], -1
	s_mov_b64 s[14:15], 0
	s_cmp_eq_u32 s20, 46
	s_cbranch_scc0 .LBB119_2075
; %bb.2074:
	v_cndmask_b32_e64 v3, 0, 1.0, s[12:13]
	v_bfe_u32 v4, v3, 16, 1
	s_movk_i32 s0, 0x7fff
	v_add3_u32 v3, v3, v4, s0
	v_lshrrev_b32_e32 v3, 16, v3
	global_store_dword v[1:2], v3, off
	s_mov_b64 s[0:1], 0
	s_mov_b64 s[6:7], -1
.LBB119_2075:
	s_and_b64 vcc, exec, s[14:15]
	s_cbranch_vccz .LBB119_2080
; %bb.2076:
	s_cmp_eq_u32 s20, 44
	s_mov_b64 s[0:1], -1
	s_cbranch_scc0 .LBB119_2080
; %bb.2077:
	v_cndmask_b32_e64 v4, 0, 1.0, s[12:13]
	v_lshrrev_b32_e32 v3, 23, v4
	s_movk_i32 s0, 0xff
	v_cmp_ne_u32_e32 vcc, s0, v3
	v_mov_b32_e32 v5, 0xff
	s_and_saveexec_b64 s[6:7], vcc
; %bb.2078:
	s_mov_b32 s0, 0x3fffff
	v_and_b32_e32 v5, 0x400000, v4
	v_and_or_b32 v4, v4, s0, v3
	v_cmp_ne_u32_e32 vcc, 0, v5
	v_cmp_ne_u32_e64 s[0:1], 0, v4
	s_and_b64 s[0:1], vcc, s[0:1]
	v_cndmask_b32_e64 v4, 0, 1, s[0:1]
	v_add_u32_e32 v5, v3, v4
; %bb.2079:
	s_or_b64 exec, exec, s[6:7]
	s_mov_b64 s[0:1], 0
	s_mov_b64 s[6:7], -1
	global_store_byte v[1:2], v5, off
.LBB119_2080:
	s_mov_b64 s[14:15], 0
.LBB119_2081:
	s_and_b64 vcc, exec, s[14:15]
	s_cbranch_vccz .LBB119_2084
; %bb.2082:
	s_cmp_eq_u32 s20, 29
	s_mov_b64 s[0:1], -1
	s_cbranch_scc0 .LBB119_2084
; %bb.2083:
	s_mov_b32 s0, 0
	v_cndmask_b32_e64 v3, 0, 1, s[12:13]
	v_mov_b32_e32 v4, s0
	global_store_dwordx2 v[1:2], v[3:4], off
	s_mov_b64 s[0:1], 0
	s_mov_b64 s[6:7], -1
.LBB119_2084:
	s_mov_b64 s[14:15], 0
.LBB119_2085:
	s_and_b64 vcc, exec, s[14:15]
	s_cbranch_vccz .LBB119_2101
; %bb.2086:
	s_cmp_lt_i32 s20, 27
	s_mov_b64 s[6:7], -1
	s_cbranch_scc1 .LBB119_2092
; %bb.2087:
	s_cmp_gt_i32 s20, 27
	s_cbranch_scc0 .LBB119_2089
; %bb.2088:
	v_cndmask_b32_e64 v3, 0, 1, s[12:13]
	s_mov_b64 s[6:7], 0
	global_store_dword v[1:2], v3, off
.LBB119_2089:
	s_andn2_b64 vcc, exec, s[6:7]
	s_cbranch_vccnz .LBB119_2091
; %bb.2090:
	v_cndmask_b32_e64 v3, 0, 1, s[12:13]
	global_store_short v[1:2], v3, off
.LBB119_2091:
	s_mov_b64 s[6:7], 0
.LBB119_2092:
	s_andn2_b64 vcc, exec, s[6:7]
	s_cbranch_vccnz .LBB119_2100
; %bb.2093:
	v_cndmask_b32_e64 v4, 0, 1.0, s[12:13]
	s_mov_b32 s6, 0x43800000
	v_cmp_gt_u32_e32 vcc, s6, v4
	v_mov_b32_e32 v5, 0x80
	s_and_saveexec_b64 s[6:7], vcc
	s_cbranch_execz .LBB119_2099
; %bb.2094:
	s_mov_b32 s14, 0x3bffffff
	v_cmp_lt_u32_e32 vcc, s14, v4
	s_mov_b64 s[14:15], 0
                                        ; implicit-def: $vgpr3
	s_and_saveexec_b64 s[16:17], vcc
	s_xor_b64 s[16:17], exec, s[16:17]
	s_cbranch_execz .LBB119_2276
; %bb.2095:
	v_bfe_u32 v3, v4, 20, 1
	s_mov_b32 s18, 0x487ffff
	v_add3_u32 v3, v4, v3, s18
	s_mov_b64 s[14:15], exec
	v_lshrrev_b32_e32 v3, 20, v3
                                        ; implicit-def: $vgpr4
	s_andn2_saveexec_b64 s[16:17], s[16:17]
	s_cbranch_execnz .LBB119_2277
.LBB119_2096:
	s_or_b64 exec, exec, s[16:17]
	v_mov_b32_e32 v5, 0
	s_and_saveexec_b64 s[16:17], s[14:15]
.LBB119_2097:
	v_mov_b32_e32 v5, v3
.LBB119_2098:
	s_or_b64 exec, exec, s[16:17]
.LBB119_2099:
	s_or_b64 exec, exec, s[6:7]
	global_store_byte v[1:2], v5, off
.LBB119_2100:
	s_mov_b64 s[6:7], -1
.LBB119_2101:
	s_mov_b64 s[14:15], 0
.LBB119_2102:
	s_and_b64 vcc, exec, s[14:15]
	s_cbranch_vccz .LBB119_2142
; %bb.2103:
	s_cmp_gt_i32 s20, 22
	s_mov_b64 s[4:5], -1
	s_cbranch_scc0 .LBB119_2135
; %bb.2104:
	s_cmp_lt_i32 s20, 24
	s_cbranch_scc1 .LBB119_2124
; %bb.2105:
	s_cmp_gt_i32 s20, 24
	s_cbranch_scc0 .LBB119_2113
; %bb.2106:
	v_cndmask_b32_e64 v4, 0, 1.0, s[12:13]
	s_mov_b32 s4, 0x47800000
	v_cmp_gt_u32_e32 vcc, s4, v4
	v_mov_b32_e32 v5, 0x80
	s_and_saveexec_b64 s[4:5], vcc
	s_cbranch_execz .LBB119_2112
; %bb.2107:
	s_mov_b32 s6, 0x37ffffff
	v_cmp_lt_u32_e32 vcc, s6, v4
	s_mov_b64 s[6:7], 0
                                        ; implicit-def: $vgpr3
	s_and_saveexec_b64 s[14:15], vcc
	s_xor_b64 s[14:15], exec, s[14:15]
	s_cbranch_execz .LBB119_2279
; %bb.2108:
	v_bfe_u32 v3, v4, 21, 1
	s_mov_b32 s16, 0x88fffff
	v_add3_u32 v3, v4, v3, s16
	s_mov_b64 s[6:7], exec
	v_lshrrev_b32_e32 v3, 21, v3
                                        ; implicit-def: $vgpr4
	s_andn2_saveexec_b64 s[14:15], s[14:15]
	s_cbranch_execnz .LBB119_2280
.LBB119_2109:
	s_or_b64 exec, exec, s[14:15]
	v_mov_b32_e32 v5, 0
	s_and_saveexec_b64 s[14:15], s[6:7]
.LBB119_2110:
	v_mov_b32_e32 v5, v3
.LBB119_2111:
	s_or_b64 exec, exec, s[14:15]
.LBB119_2112:
	s_or_b64 exec, exec, s[4:5]
	s_mov_b64 s[4:5], 0
	global_store_byte v[1:2], v5, off
.LBB119_2113:
	s_and_b64 vcc, exec, s[4:5]
	s_cbranch_vccz .LBB119_2123
; %bb.2114:
	v_cndmask_b32_e64 v3, 0, 1.0, s[12:13]
	s_mov_b32 s4, 0x43f00000
	v_cmp_gt_u32_e32 vcc, s4, v3
                                        ; implicit-def: $vgpr4
	s_and_saveexec_b64 s[4:5], vcc
	s_xor_b64 s[4:5], exec, s[4:5]
	s_cbranch_execz .LBB119_2120
; %bb.2115:
	s_mov_b32 s6, 0x3c7fffff
	v_cmp_lt_u32_e32 vcc, s6, v3
                                        ; implicit-def: $vgpr4
	s_and_saveexec_b64 s[6:7], vcc
	s_xor_b64 s[6:7], exec, s[6:7]
; %bb.2116:
	v_bfe_u32 v4, v3, 20, 1
	s_mov_b32 s14, 0x407ffff
	v_add3_u32 v3, v3, v4, s14
	v_lshrrev_b32_e32 v4, 20, v3
	v_and_b32_e32 v3, 0xff00000, v3
	s_mov_b32 s14, 0x7f00000
	v_mov_b32_e32 v5, 0x7e
	v_cmp_ne_u32_e32 vcc, s14, v3
	v_cndmask_b32_e32 v4, v5, v4, vcc
                                        ; implicit-def: $vgpr3
; %bb.2117:
	s_andn2_saveexec_b64 s[6:7], s[6:7]
; %bb.2118:
	v_add_f32_e32 v4, 0x46800000, v3
; %bb.2119:
	s_or_b64 exec, exec, s[6:7]
                                        ; implicit-def: $vgpr3
.LBB119_2120:
	s_andn2_saveexec_b64 s[4:5], s[4:5]
; %bb.2121:
	s_mov_b32 s6, 0x7f800000
	v_mov_b32_e32 v4, 0x7e
	v_mov_b32_e32 v5, 0x7f
	v_cmp_lt_u32_e32 vcc, s6, v3
	v_cndmask_b32_e32 v4, v4, v5, vcc
; %bb.2122:
	s_or_b64 exec, exec, s[4:5]
	global_store_byte v[1:2], v4, off
.LBB119_2123:
	s_mov_b64 s[4:5], 0
.LBB119_2124:
	s_andn2_b64 vcc, exec, s[4:5]
	s_cbranch_vccnz .LBB119_2134
; %bb.2125:
	v_cndmask_b32_e64 v3, 0, 1.0, s[12:13]
	s_mov_b32 s4, 0x47800000
	v_cmp_gt_u32_e32 vcc, s4, v3
                                        ; implicit-def: $vgpr4
	s_and_saveexec_b64 s[4:5], vcc
	s_xor_b64 s[4:5], exec, s[4:5]
	s_cbranch_execz .LBB119_2131
; %bb.2126:
	s_mov_b32 s6, 0x387fffff
	v_cmp_lt_u32_e32 vcc, s6, v3
                                        ; implicit-def: $vgpr4
	s_and_saveexec_b64 s[6:7], vcc
	s_xor_b64 s[6:7], exec, s[6:7]
; %bb.2127:
	v_bfe_u32 v4, v3, 21, 1
	s_mov_b32 s14, 0x80fffff
	v_add3_u32 v3, v3, v4, s14
	v_lshrrev_b32_e32 v4, 21, v3
                                        ; implicit-def: $vgpr3
; %bb.2128:
	s_andn2_saveexec_b64 s[6:7], s[6:7]
; %bb.2129:
	v_add_f32_e32 v4, 0x43000000, v3
; %bb.2130:
	s_or_b64 exec, exec, s[6:7]
                                        ; implicit-def: $vgpr3
.LBB119_2131:
	s_andn2_saveexec_b64 s[4:5], s[4:5]
; %bb.2132:
	s_mov_b32 s6, 0x7f800000
	v_mov_b32_e32 v4, 0x7c
	v_mov_b32_e32 v5, 0x7f
	v_cmp_lt_u32_e32 vcc, s6, v3
	v_cndmask_b32_e32 v4, v4, v5, vcc
; %bb.2133:
	s_or_b64 exec, exec, s[4:5]
	global_store_byte v[1:2], v4, off
.LBB119_2134:
	s_mov_b64 s[4:5], 0
	s_mov_b64 s[6:7], -1
.LBB119_2135:
	s_andn2_b64 vcc, exec, s[4:5]
	s_mov_b64 s[4:5], 0
	s_cbranch_vccnz .LBB119_2142
; %bb.2136:
	s_cmp_gt_i32 s20, 14
	s_mov_b64 s[14:15], -1
	s_cbranch_scc0 .LBB119_2140
; %bb.2137:
	s_cmp_eq_u32 s20, 15
	s_mov_b64 s[0:1], -1
	s_cbranch_scc0 .LBB119_2139
; %bb.2138:
	v_cndmask_b32_e64 v3, 0, 1.0, s[12:13]
	v_bfe_u32 v4, v3, 16, 1
	s_movk_i32 s0, 0x7fff
	v_add3_u32 v3, v3, v4, s0
	global_store_short_d16_hi v[1:2], v3, off
	s_mov_b64 s[0:1], 0
	s_mov_b64 s[6:7], -1
.LBB119_2139:
	s_mov_b64 s[14:15], 0
.LBB119_2140:
	s_and_b64 vcc, exec, s[14:15]
	s_cbranch_vccz .LBB119_2142
; %bb.2141:
	s_cmp_lg_u32 s20, 11
	s_mov_b64 s[4:5], -1
	s_cselect_b64 s[0:1], -1, 0
.LBB119_2142:
	s_and_b64 vcc, exec, s[0:1]
	s_cbranch_vccnz .LBB119_2278
; %bb.2143:
	s_andn2_b64 vcc, exec, s[4:5]
	s_cbranch_vccnz .LBB119_2145
.LBB119_2144:
	v_cndmask_b32_e64 v3, 0, 1, s[12:13]
	s_mov_b64 s[6:7], -1
	global_store_byte v[1:2], v3, off
.LBB119_2145:
	s_mov_b64 s[0:1], 0
	s_branch .LBB119_2147
.LBB119_2146:
	s_mov_b64 s[0:1], -1
	s_mov_b64 s[6:7], 0
.LBB119_2147:
	s_and_b64 vcc, exec, s[0:1]
	s_cbranch_vccz .LBB119_2186
; %bb.2148:
	s_cmp_lt_i32 s20, 5
	s_mov_b64 s[0:1], -1
	s_cbranch_scc1 .LBB119_2169
; %bb.2149:
	s_cmp_lt_i32 s20, 8
	s_cbranch_scc1 .LBB119_2159
; %bb.2150:
	s_cmp_lt_i32 s20, 9
	s_cbranch_scc1 .LBB119_2156
; %bb.2151:
	s_cmp_gt_i32 s20, 9
	s_cbranch_scc0 .LBB119_2153
; %bb.2152:
	v_cndmask_b32_e64 v3, 0, 1, s[12:13]
	v_cvt_f64_u32_e32 v[3:4], v3
	v_mov_b32_e32 v5, 0
	v_mov_b32_e32 v6, v5
	s_mov_b64 s[0:1], 0
	global_store_dwordx4 v[1:2], v[3:6], off
.LBB119_2153:
	s_andn2_b64 vcc, exec, s[0:1]
	s_cbranch_vccnz .LBB119_2155
; %bb.2154:
	v_cndmask_b32_e64 v3, 0, 1.0, s[12:13]
	v_mov_b32_e32 v4, 0
	global_store_dwordx2 v[1:2], v[3:4], off
.LBB119_2155:
	s_mov_b64 s[0:1], 0
.LBB119_2156:
	s_andn2_b64 vcc, exec, s[0:1]
	s_cbranch_vccnz .LBB119_2158
; %bb.2157:
	v_cndmask_b32_e64 v3, 0, 1.0, s[12:13]
	v_cvt_f16_f32_e32 v3, v3
	global_store_dword v[1:2], v3, off
.LBB119_2158:
	s_mov_b64 s[0:1], 0
.LBB119_2159:
	s_andn2_b64 vcc, exec, s[0:1]
	s_cbranch_vccnz .LBB119_2168
; %bb.2160:
	s_cmp_lt_i32 s20, 6
	s_mov_b64 s[0:1], -1
	s_cbranch_scc1 .LBB119_2166
; %bb.2161:
	s_cmp_gt_i32 s20, 6
	s_cbranch_scc0 .LBB119_2163
; %bb.2162:
	v_cndmask_b32_e64 v3, 0, 1, s[12:13]
	v_cvt_f64_u32_e32 v[3:4], v3
	s_mov_b64 s[0:1], 0
	global_store_dwordx2 v[1:2], v[3:4], off
.LBB119_2163:
	s_andn2_b64 vcc, exec, s[0:1]
	s_cbranch_vccnz .LBB119_2165
; %bb.2164:
	v_cndmask_b32_e64 v3, 0, 1.0, s[12:13]
	global_store_dword v[1:2], v3, off
.LBB119_2165:
	s_mov_b64 s[0:1], 0
.LBB119_2166:
	s_andn2_b64 vcc, exec, s[0:1]
	s_cbranch_vccnz .LBB119_2168
; %bb.2167:
	v_cndmask_b32_e64 v3, 0, 1.0, s[12:13]
	v_cvt_f16_f32_e32 v3, v3
	global_store_short v[1:2], v3, off
.LBB119_2168:
	s_mov_b64 s[0:1], 0
.LBB119_2169:
	s_andn2_b64 vcc, exec, s[0:1]
	s_cbranch_vccnz .LBB119_2185
; %bb.2170:
	s_cmp_lt_i32 s20, 2
	s_mov_b64 s[0:1], -1
	s_cbranch_scc1 .LBB119_2180
; %bb.2171:
	s_cmp_lt_i32 s20, 3
	s_cbranch_scc1 .LBB119_2177
; %bb.2172:
	s_cmp_gt_i32 s20, 3
	s_cbranch_scc0 .LBB119_2174
; %bb.2173:
	s_mov_b32 s0, 0
	v_cndmask_b32_e64 v3, 0, 1, s[12:13]
	v_mov_b32_e32 v4, s0
	global_store_dwordx2 v[1:2], v[3:4], off
	s_mov_b64 s[0:1], 0
.LBB119_2174:
	s_andn2_b64 vcc, exec, s[0:1]
	s_cbranch_vccnz .LBB119_2176
; %bb.2175:
	v_cndmask_b32_e64 v3, 0, 1, s[12:13]
	global_store_dword v[1:2], v3, off
.LBB119_2176:
	s_mov_b64 s[0:1], 0
.LBB119_2177:
	s_andn2_b64 vcc, exec, s[0:1]
	s_cbranch_vccnz .LBB119_2179
; %bb.2178:
	v_cndmask_b32_e64 v3, 0, 1, s[12:13]
	global_store_short v[1:2], v3, off
.LBB119_2179:
	s_mov_b64 s[0:1], 0
.LBB119_2180:
	s_andn2_b64 vcc, exec, s[0:1]
	s_cbranch_vccnz .LBB119_2185
; %bb.2181:
	s_cmp_gt_i32 s20, 0
	s_mov_b64 s[0:1], -1
	s_cbranch_scc0 .LBB119_2183
; %bb.2182:
	v_cndmask_b32_e64 v3, 0, 1, s[12:13]
	global_store_byte v[1:2], v3, off
	s_mov_b64 s[0:1], 0
.LBB119_2183:
	s_andn2_b64 vcc, exec, s[0:1]
	s_cbranch_vccnz .LBB119_2185
; %bb.2184:
	v_cndmask_b32_e64 v3, 0, 1, s[12:13]
	global_store_byte v[1:2], v3, off
.LBB119_2185:
	s_mov_b64 s[6:7], -1
.LBB119_2186:
	s_andn2_b64 vcc, exec, s[6:7]
	s_cbranch_vccnz .LBB119_2263
; %bb.2187:
	v_mov_b32_e32 v1, s9
	v_add_co_u32_e32 v0, vcc, s8, v0
	s_cmp_lt_i32 s20, 11
	v_addc_co_u32_e32 v1, vcc, 0, v1, vcc
	s_cbranch_scc1 .LBB119_2264
; %bb.2188:
	s_mov_b64 s[6:7], -1
	s_mov_b64 s[4:5], 0
	s_cmp_gt_i32 s20, 25
	s_mov_b64 s[0:1], 0
	s_cbranch_scc0 .LBB119_2221
; %bb.2189:
	s_cmp_gt_i32 s20, 28
	s_cbranch_scc0 .LBB119_2205
; %bb.2190:
	s_cmp_gt_i32 s20, 43
	;; [unrolled: 3-line block ×3, first 2 shown]
	s_cbranch_scc0 .LBB119_2195
; %bb.2192:
	s_cmp_eq_u32 s20, 46
	s_mov_b64 s[0:1], -1
	s_cbranch_scc0 .LBB119_2194
; %bb.2193:
	v_cndmask_b32_e64 v2, 0, 1.0, s[10:11]
	v_bfe_u32 v3, v2, 16, 1
	s_movk_i32 s0, 0x7fff
	v_add3_u32 v2, v2, v3, s0
	v_lshrrev_b32_e32 v2, 16, v2
	global_store_dword v[0:1], v2, off
	s_mov_b64 s[0:1], 0
.LBB119_2194:
	s_mov_b64 s[6:7], 0
.LBB119_2195:
	s_and_b64 vcc, exec, s[6:7]
	s_cbranch_vccz .LBB119_2200
; %bb.2196:
	s_cmp_eq_u32 s20, 44
	s_mov_b64 s[0:1], -1
	s_cbranch_scc0 .LBB119_2200
; %bb.2197:
	v_cndmask_b32_e64 v3, 0, 1.0, s[10:11]
	v_lshrrev_b32_e32 v2, 23, v3
	s_movk_i32 s0, 0xff
	v_cmp_ne_u32_e32 vcc, s0, v2
	v_mov_b32_e32 v4, 0xff
	s_and_saveexec_b64 s[6:7], vcc
; %bb.2198:
	s_mov_b32 s0, 0x3fffff
	v_and_b32_e32 v4, 0x400000, v3
	v_and_or_b32 v3, v3, s0, v2
	v_cmp_ne_u32_e32 vcc, 0, v4
	v_cmp_ne_u32_e64 s[0:1], 0, v3
	s_and_b64 s[0:1], vcc, s[0:1]
	v_cndmask_b32_e64 v3, 0, 1, s[0:1]
	v_add_u32_e32 v4, v2, v3
; %bb.2199:
	s_or_b64 exec, exec, s[6:7]
	s_mov_b64 s[0:1], 0
	global_store_byte v[0:1], v4, off
.LBB119_2200:
	s_mov_b64 s[6:7], 0
.LBB119_2201:
	s_and_b64 vcc, exec, s[6:7]
	s_cbranch_vccz .LBB119_2204
; %bb.2202:
	s_cmp_eq_u32 s20, 29
	s_mov_b64 s[0:1], -1
	s_cbranch_scc0 .LBB119_2204
; %bb.2203:
	s_mov_b32 s0, 0
	v_cndmask_b32_e64 v2, 0, 1, s[10:11]
	v_mov_b32_e32 v3, s0
	global_store_dwordx2 v[0:1], v[2:3], off
	s_mov_b64 s[0:1], 0
.LBB119_2204:
	s_mov_b64 s[6:7], 0
.LBB119_2205:
	s_and_b64 vcc, exec, s[6:7]
	s_cbranch_vccz .LBB119_2220
; %bb.2206:
	s_cmp_lt_i32 s20, 27
	s_mov_b64 s[6:7], -1
	s_cbranch_scc1 .LBB119_2212
; %bb.2207:
	s_cmp_gt_i32 s20, 27
	s_cbranch_scc0 .LBB119_2209
; %bb.2208:
	v_cndmask_b32_e64 v2, 0, 1, s[10:11]
	global_store_dword v[0:1], v2, off
	s_mov_b64 s[6:7], 0
.LBB119_2209:
	s_andn2_b64 vcc, exec, s[6:7]
	s_cbranch_vccnz .LBB119_2211
; %bb.2210:
	v_cndmask_b32_e64 v2, 0, 1, s[10:11]
	global_store_short v[0:1], v2, off
.LBB119_2211:
	s_mov_b64 s[6:7], 0
.LBB119_2212:
	s_andn2_b64 vcc, exec, s[6:7]
	s_cbranch_vccnz .LBB119_2220
; %bb.2213:
	v_cndmask_b32_e64 v3, 0, 1.0, s[10:11]
	s_mov_b32 s6, 0x43800000
	v_cmp_gt_u32_e32 vcc, s6, v3
	v_mov_b32_e32 v4, 0x80
	s_and_saveexec_b64 s[6:7], vcc
	s_cbranch_execz .LBB119_2219
; %bb.2214:
	s_mov_b32 s8, 0x3bffffff
	v_cmp_lt_u32_e32 vcc, s8, v3
	s_mov_b64 s[8:9], 0
                                        ; implicit-def: $vgpr2
	s_and_saveexec_b64 s[12:13], vcc
	s_xor_b64 s[12:13], exec, s[12:13]
	s_cbranch_execz .LBB119_2281
; %bb.2215:
	v_bfe_u32 v2, v3, 20, 1
	s_mov_b32 s14, 0x487ffff
	v_add3_u32 v2, v3, v2, s14
	s_mov_b64 s[8:9], exec
	v_lshrrev_b32_e32 v2, 20, v2
                                        ; implicit-def: $vgpr3
	s_andn2_saveexec_b64 s[12:13], s[12:13]
	s_cbranch_execnz .LBB119_2282
.LBB119_2216:
	s_or_b64 exec, exec, s[12:13]
	v_mov_b32_e32 v4, 0
	s_and_saveexec_b64 s[12:13], s[8:9]
.LBB119_2217:
	v_mov_b32_e32 v4, v2
.LBB119_2218:
	s_or_b64 exec, exec, s[12:13]
.LBB119_2219:
	s_or_b64 exec, exec, s[6:7]
	global_store_byte v[0:1], v4, off
.LBB119_2220:
	s_mov_b64 s[6:7], 0
.LBB119_2221:
	s_and_b64 vcc, exec, s[6:7]
	s_cbranch_vccz .LBB119_2261
; %bb.2222:
	s_cmp_gt_i32 s20, 22
	s_mov_b64 s[4:5], -1
	s_cbranch_scc0 .LBB119_2254
; %bb.2223:
	s_cmp_lt_i32 s20, 24
	s_cbranch_scc1 .LBB119_2243
; %bb.2224:
	s_cmp_gt_i32 s20, 24
	s_cbranch_scc0 .LBB119_2232
; %bb.2225:
	v_cndmask_b32_e64 v3, 0, 1.0, s[10:11]
	s_mov_b32 s4, 0x47800000
	v_cmp_gt_u32_e32 vcc, s4, v3
	v_mov_b32_e32 v4, 0x80
	s_and_saveexec_b64 s[4:5], vcc
	s_cbranch_execz .LBB119_2231
; %bb.2226:
	s_mov_b32 s6, 0x37ffffff
	v_cmp_lt_u32_e32 vcc, s6, v3
	s_mov_b64 s[6:7], 0
                                        ; implicit-def: $vgpr2
	s_and_saveexec_b64 s[8:9], vcc
	s_xor_b64 s[8:9], exec, s[8:9]
	s_cbranch_execz .LBB119_2284
; %bb.2227:
	v_bfe_u32 v2, v3, 21, 1
	s_mov_b32 s12, 0x88fffff
	v_add3_u32 v2, v3, v2, s12
	s_mov_b64 s[6:7], exec
	v_lshrrev_b32_e32 v2, 21, v2
                                        ; implicit-def: $vgpr3
	s_andn2_saveexec_b64 s[8:9], s[8:9]
	s_cbranch_execnz .LBB119_2285
.LBB119_2228:
	s_or_b64 exec, exec, s[8:9]
	v_mov_b32_e32 v4, 0
	s_and_saveexec_b64 s[8:9], s[6:7]
.LBB119_2229:
	v_mov_b32_e32 v4, v2
.LBB119_2230:
	s_or_b64 exec, exec, s[8:9]
.LBB119_2231:
	s_or_b64 exec, exec, s[4:5]
	s_mov_b64 s[4:5], 0
	global_store_byte v[0:1], v4, off
.LBB119_2232:
	s_and_b64 vcc, exec, s[4:5]
	s_cbranch_vccz .LBB119_2242
; %bb.2233:
	v_cndmask_b32_e64 v2, 0, 1.0, s[10:11]
	s_mov_b32 s4, 0x43f00000
	v_cmp_gt_u32_e32 vcc, s4, v2
                                        ; implicit-def: $vgpr3
	s_and_saveexec_b64 s[4:5], vcc
	s_xor_b64 s[4:5], exec, s[4:5]
	s_cbranch_execz .LBB119_2239
; %bb.2234:
	s_mov_b32 s6, 0x3c7fffff
	v_cmp_lt_u32_e32 vcc, s6, v2
                                        ; implicit-def: $vgpr3
	s_and_saveexec_b64 s[6:7], vcc
	s_xor_b64 s[6:7], exec, s[6:7]
; %bb.2235:
	v_bfe_u32 v3, v2, 20, 1
	s_mov_b32 s8, 0x407ffff
	v_add3_u32 v2, v2, v3, s8
	v_lshrrev_b32_e32 v3, 20, v2
	v_and_b32_e32 v2, 0xff00000, v2
	s_mov_b32 s8, 0x7f00000
	v_mov_b32_e32 v4, 0x7e
	v_cmp_ne_u32_e32 vcc, s8, v2
	v_cndmask_b32_e32 v3, v4, v3, vcc
                                        ; implicit-def: $vgpr2
; %bb.2236:
	s_andn2_saveexec_b64 s[6:7], s[6:7]
; %bb.2237:
	v_add_f32_e32 v3, 0x46800000, v2
; %bb.2238:
	s_or_b64 exec, exec, s[6:7]
                                        ; implicit-def: $vgpr2
.LBB119_2239:
	s_andn2_saveexec_b64 s[4:5], s[4:5]
; %bb.2240:
	s_mov_b32 s6, 0x7f800000
	v_mov_b32_e32 v3, 0x7e
	v_mov_b32_e32 v4, 0x7f
	v_cmp_lt_u32_e32 vcc, s6, v2
	v_cndmask_b32_e32 v3, v3, v4, vcc
; %bb.2241:
	s_or_b64 exec, exec, s[4:5]
	global_store_byte v[0:1], v3, off
.LBB119_2242:
	s_mov_b64 s[4:5], 0
.LBB119_2243:
	s_andn2_b64 vcc, exec, s[4:5]
	s_cbranch_vccnz .LBB119_2253
; %bb.2244:
	v_cndmask_b32_e64 v2, 0, 1.0, s[10:11]
	s_mov_b32 s4, 0x47800000
	v_cmp_gt_u32_e32 vcc, s4, v2
                                        ; implicit-def: $vgpr3
	s_and_saveexec_b64 s[4:5], vcc
	s_xor_b64 s[4:5], exec, s[4:5]
	s_cbranch_execz .LBB119_2250
; %bb.2245:
	s_mov_b32 s6, 0x387fffff
	v_cmp_lt_u32_e32 vcc, s6, v2
                                        ; implicit-def: $vgpr3
	s_and_saveexec_b64 s[6:7], vcc
	s_xor_b64 s[6:7], exec, s[6:7]
; %bb.2246:
	v_bfe_u32 v3, v2, 21, 1
	s_mov_b32 s8, 0x80fffff
	v_add3_u32 v2, v2, v3, s8
	v_lshrrev_b32_e32 v3, 21, v2
                                        ; implicit-def: $vgpr2
; %bb.2247:
	s_andn2_saveexec_b64 s[6:7], s[6:7]
; %bb.2248:
	v_add_f32_e32 v3, 0x43000000, v2
; %bb.2249:
	s_or_b64 exec, exec, s[6:7]
                                        ; implicit-def: $vgpr2
.LBB119_2250:
	s_andn2_saveexec_b64 s[4:5], s[4:5]
; %bb.2251:
	s_mov_b32 s6, 0x7f800000
	v_mov_b32_e32 v3, 0x7c
	v_mov_b32_e32 v4, 0x7f
	v_cmp_lt_u32_e32 vcc, s6, v2
	v_cndmask_b32_e32 v3, v3, v4, vcc
; %bb.2252:
	s_or_b64 exec, exec, s[4:5]
	global_store_byte v[0:1], v3, off
.LBB119_2253:
	s_mov_b64 s[4:5], 0
.LBB119_2254:
	s_andn2_b64 vcc, exec, s[4:5]
	s_mov_b64 s[4:5], 0
	s_cbranch_vccnz .LBB119_2261
; %bb.2255:
	s_cmp_gt_i32 s20, 14
	s_mov_b64 s[6:7], -1
	s_cbranch_scc0 .LBB119_2259
; %bb.2256:
	s_cmp_eq_u32 s20, 15
	s_mov_b64 s[0:1], -1
	s_cbranch_scc0 .LBB119_2258
; %bb.2257:
	v_cndmask_b32_e64 v2, 0, 1.0, s[10:11]
	v_bfe_u32 v3, v2, 16, 1
	s_movk_i32 s0, 0x7fff
	v_add3_u32 v2, v2, v3, s0
	global_store_short_d16_hi v[0:1], v2, off
	s_mov_b64 s[0:1], 0
.LBB119_2258:
	s_mov_b64 s[6:7], 0
.LBB119_2259:
	s_and_b64 vcc, exec, s[6:7]
	s_cbranch_vccz .LBB119_2261
; %bb.2260:
	s_cmp_lg_u32 s20, 11
	s_mov_b64 s[4:5], -1
	s_cselect_b64 s[0:1], -1, 0
.LBB119_2261:
	s_and_b64 vcc, exec, s[0:1]
	s_cbranch_vccnz .LBB119_2283
.LBB119_2262:
	s_mov_b64 s[0:1], 0
	s_branch .LBB119_1773
.LBB119_2263:
	s_mov_b64 s[0:1], 0
	s_branch .LBB119_1772
.LBB119_2264:
	s_mov_b64 s[4:5], 0
	s_mov_b64 s[0:1], -1
	s_branch .LBB119_1773
.LBB119_2265:
	s_trap 2
	s_or_b64 s[2:3], s[2:3], exec
	s_cbranch_execz .LBB119_1715
	s_branch .LBB119_1716
.LBB119_2266:
	s_andn2_saveexec_b64 s[20:21], s[20:21]
	s_cbranch_execz .LBB119_1856
.LBB119_2267:
	v_add_f32_e32 v1, 0x46000000, v3
	v_and_b32_e32 v1, 0xff, v1
	v_cmp_ne_u32_e32 vcc, 0, v1
	s_andn2_b64 s[18:19], s[18:19], exec
	s_and_b64 s[24:25], vcc, exec
	s_or_b64 s[18:19], s[18:19], s[24:25]
	s_or_b64 exec, exec, s[20:21]
	v_mov_b32_e32 v7, 0
	s_and_saveexec_b64 s[20:21], s[18:19]
	s_cbranch_execnz .LBB119_1857
	s_branch .LBB119_1858
.LBB119_2268:
	s_trap 2
	s_or_b64 s[2:3], s[2:3], exec
	s_cbranch_execz .LBB119_1904
	s_branch .LBB119_1905
.LBB119_2269:
	s_andn2_saveexec_b64 s[18:19], s[18:19]
	s_cbranch_execz .LBB119_1869
.LBB119_2270:
	v_add_f32_e32 v1, 0x42800000, v3
	v_and_b32_e32 v1, 0xff, v1
	v_cmp_ne_u32_e32 vcc, 0, v1
	s_andn2_b64 s[16:17], s[16:17], exec
	s_and_b64 s[20:21], vcc, exec
	s_or_b64 s[16:17], s[16:17], s[20:21]
	s_or_b64 exec, exec, s[18:19]
	v_mov_b32_e32 v7, 0
	s_and_saveexec_b64 s[18:19], s[16:17]
	s_cbranch_execnz .LBB119_1870
	s_branch .LBB119_1871
.LBB119_2271:
	s_andn2_saveexec_b64 s[18:19], s[18:19]
	s_cbranch_execz .LBB119_1977
.LBB119_2272:
	v_add_f32_e32 v1, 0x46000000, v5
	v_and_b32_e32 v1, 0xff, v1
	v_cmp_ne_u32_e32 vcc, 0, v1
	s_andn2_b64 s[16:17], s[16:17], exec
	s_and_b64 s[24:25], vcc, exec
	s_or_b64 s[16:17], s[16:17], s[24:25]
	s_or_b64 exec, exec, s[18:19]
	v_mov_b32_e32 v6, 0
	s_and_saveexec_b64 s[18:19], s[16:17]
	s_cbranch_execnz .LBB119_1978
	s_branch .LBB119_1979
.LBB119_2273:
	s_trap 2
	s_or_b64 s[2:3], s[2:3], exec
	s_cbranch_execz .LBB119_2025
	s_branch .LBB119_2026
.LBB119_2274:
	s_andn2_saveexec_b64 s[16:17], s[16:17]
	s_cbranch_execz .LBB119_1990
.LBB119_2275:
	v_add_f32_e32 v1, 0x42800000, v5
	v_and_b32_e32 v1, 0xff, v1
	v_cmp_ne_u32_e32 vcc, 0, v1
	s_andn2_b64 s[14:15], s[14:15], exec
	s_and_b64 s[18:19], vcc, exec
	s_or_b64 s[14:15], s[14:15], s[18:19]
	s_or_b64 exec, exec, s[16:17]
	v_mov_b32_e32 v6, 0
	s_and_saveexec_b64 s[16:17], s[14:15]
	s_cbranch_execnz .LBB119_1991
	s_branch .LBB119_1992
.LBB119_2276:
	s_andn2_saveexec_b64 s[16:17], s[16:17]
	s_cbranch_execz .LBB119_2096
.LBB119_2277:
	v_add_f32_e32 v3, 0x46000000, v4
	v_and_b32_e32 v3, 0xff, v3
	v_cmp_ne_u32_e32 vcc, 0, v3
	s_andn2_b64 s[14:15], s[14:15], exec
	s_and_b64 s[18:19], vcc, exec
	s_or_b64 s[14:15], s[14:15], s[18:19]
	s_or_b64 exec, exec, s[16:17]
	v_mov_b32_e32 v5, 0
	s_and_saveexec_b64 s[16:17], s[14:15]
	s_cbranch_execnz .LBB119_2097
	s_branch .LBB119_2098
.LBB119_2278:
	s_trap 2
	s_or_b64 s[2:3], s[2:3], exec
	s_cbranch_execz .LBB119_2144
	s_branch .LBB119_2145
.LBB119_2279:
	s_andn2_saveexec_b64 s[14:15], s[14:15]
	s_cbranch_execz .LBB119_2109
.LBB119_2280:
	v_add_f32_e32 v3, 0x42800000, v4
	v_and_b32_e32 v3, 0xff, v3
	v_cmp_ne_u32_e32 vcc, 0, v3
	s_andn2_b64 s[6:7], s[6:7], exec
	s_and_b64 s[16:17], vcc, exec
	s_or_b64 s[6:7], s[6:7], s[16:17]
	s_or_b64 exec, exec, s[14:15]
	v_mov_b32_e32 v5, 0
	s_and_saveexec_b64 s[14:15], s[6:7]
	s_cbranch_execnz .LBB119_2110
	s_branch .LBB119_2111
.LBB119_2281:
	s_andn2_saveexec_b64 s[12:13], s[12:13]
	s_cbranch_execz .LBB119_2216
.LBB119_2282:
	v_add_f32_e32 v2, 0x46000000, v3
	v_and_b32_e32 v2, 0xff, v2
	v_cmp_ne_u32_e32 vcc, 0, v2
	s_andn2_b64 s[8:9], s[8:9], exec
	s_and_b64 s[14:15], vcc, exec
	s_or_b64 s[8:9], s[8:9], s[14:15]
	s_or_b64 exec, exec, s[12:13]
	v_mov_b32_e32 v4, 0
	s_and_saveexec_b64 s[12:13], s[8:9]
	s_cbranch_execnz .LBB119_2217
	s_branch .LBB119_2218
.LBB119_2283:
	s_mov_b64 s[4:5], 0
	s_or_b64 s[2:3], s[2:3], exec
	s_trap 2
	s_branch .LBB119_2262
.LBB119_2284:
	s_andn2_saveexec_b64 s[8:9], s[8:9]
	s_cbranch_execz .LBB119_2228
.LBB119_2285:
	v_add_f32_e32 v2, 0x42800000, v3
	v_and_b32_e32 v2, 0xff, v2
	v_cmp_ne_u32_e32 vcc, 0, v2
	s_andn2_b64 s[6:7], s[6:7], exec
	s_and_b64 s[12:13], vcc, exec
	s_or_b64 s[6:7], s[6:7], s[12:13]
	s_or_b64 exec, exec, s[8:9]
	v_mov_b32_e32 v4, 0
	s_and_saveexec_b64 s[8:9], s[6:7]
	s_cbranch_execnz .LBB119_2229
	s_branch .LBB119_2230
	.section	.rodata,"a",@progbits
	.p2align	6, 0x0
	.amdhsa_kernel _ZN2at6native32elementwise_kernel_manual_unrollILi128ELi4EZNS0_15gpu_kernel_implIZNS0_21compare_scalar_kernelIN3c104HalfEEEvRNS_18TensorIteratorBaseENS0_12_GLOBAL__N_16OpTypeET_EUlS5_E_EEvS7_RKSA_EUlibE0_EEviT1_
		.amdhsa_group_segment_fixed_size 0
		.amdhsa_private_segment_fixed_size 0
		.amdhsa_kernarg_size 368
		.amdhsa_user_sgpr_count 6
		.amdhsa_user_sgpr_private_segment_buffer 1
		.amdhsa_user_sgpr_dispatch_ptr 0
		.amdhsa_user_sgpr_queue_ptr 0
		.amdhsa_user_sgpr_kernarg_segment_ptr 1
		.amdhsa_user_sgpr_dispatch_id 0
		.amdhsa_user_sgpr_flat_scratch_init 0
		.amdhsa_user_sgpr_private_segment_size 0
		.amdhsa_uses_dynamic_stack 0
		.amdhsa_system_sgpr_private_segment_wavefront_offset 0
		.amdhsa_system_sgpr_workgroup_id_x 1
		.amdhsa_system_sgpr_workgroup_id_y 0
		.amdhsa_system_sgpr_workgroup_id_z 0
		.amdhsa_system_sgpr_workgroup_info 0
		.amdhsa_system_vgpr_workitem_id 0
		.amdhsa_next_free_vgpr 18
		.amdhsa_next_free_sgpr 80
		.amdhsa_reserve_vcc 1
		.amdhsa_reserve_flat_scratch 0
		.amdhsa_float_round_mode_32 0
		.amdhsa_float_round_mode_16_64 0
		.amdhsa_float_denorm_mode_32 3
		.amdhsa_float_denorm_mode_16_64 3
		.amdhsa_dx10_clamp 1
		.amdhsa_ieee_mode 1
		.amdhsa_fp16_overflow 0
		.amdhsa_exception_fp_ieee_invalid_op 0
		.amdhsa_exception_fp_denorm_src 0
		.amdhsa_exception_fp_ieee_div_zero 0
		.amdhsa_exception_fp_ieee_overflow 0
		.amdhsa_exception_fp_ieee_underflow 0
		.amdhsa_exception_fp_ieee_inexact 0
		.amdhsa_exception_int_div_zero 0
	.end_amdhsa_kernel
	.section	.text._ZN2at6native32elementwise_kernel_manual_unrollILi128ELi4EZNS0_15gpu_kernel_implIZNS0_21compare_scalar_kernelIN3c104HalfEEEvRNS_18TensorIteratorBaseENS0_12_GLOBAL__N_16OpTypeET_EUlS5_E_EEvS7_RKSA_EUlibE0_EEviT1_,"axG",@progbits,_ZN2at6native32elementwise_kernel_manual_unrollILi128ELi4EZNS0_15gpu_kernel_implIZNS0_21compare_scalar_kernelIN3c104HalfEEEvRNS_18TensorIteratorBaseENS0_12_GLOBAL__N_16OpTypeET_EUlS5_E_EEvS7_RKSA_EUlibE0_EEviT1_,comdat
.Lfunc_end119:
	.size	_ZN2at6native32elementwise_kernel_manual_unrollILi128ELi4EZNS0_15gpu_kernel_implIZNS0_21compare_scalar_kernelIN3c104HalfEEEvRNS_18TensorIteratorBaseENS0_12_GLOBAL__N_16OpTypeET_EUlS5_E_EEvS7_RKSA_EUlibE0_EEviT1_, .Lfunc_end119-_ZN2at6native32elementwise_kernel_manual_unrollILi128ELi4EZNS0_15gpu_kernel_implIZNS0_21compare_scalar_kernelIN3c104HalfEEEvRNS_18TensorIteratorBaseENS0_12_GLOBAL__N_16OpTypeET_EUlS5_E_EEvS7_RKSA_EUlibE0_EEviT1_
                                        ; -- End function
	.set _ZN2at6native32elementwise_kernel_manual_unrollILi128ELi4EZNS0_15gpu_kernel_implIZNS0_21compare_scalar_kernelIN3c104HalfEEEvRNS_18TensorIteratorBaseENS0_12_GLOBAL__N_16OpTypeET_EUlS5_E_EEvS7_RKSA_EUlibE0_EEviT1_.num_vgpr, 18
	.set _ZN2at6native32elementwise_kernel_manual_unrollILi128ELi4EZNS0_15gpu_kernel_implIZNS0_21compare_scalar_kernelIN3c104HalfEEEvRNS_18TensorIteratorBaseENS0_12_GLOBAL__N_16OpTypeET_EUlS5_E_EEvS7_RKSA_EUlibE0_EEviT1_.num_agpr, 0
	.set _ZN2at6native32elementwise_kernel_manual_unrollILi128ELi4EZNS0_15gpu_kernel_implIZNS0_21compare_scalar_kernelIN3c104HalfEEEvRNS_18TensorIteratorBaseENS0_12_GLOBAL__N_16OpTypeET_EUlS5_E_EEvS7_RKSA_EUlibE0_EEviT1_.numbered_sgpr, 80
	.set _ZN2at6native32elementwise_kernel_manual_unrollILi128ELi4EZNS0_15gpu_kernel_implIZNS0_21compare_scalar_kernelIN3c104HalfEEEvRNS_18TensorIteratorBaseENS0_12_GLOBAL__N_16OpTypeET_EUlS5_E_EEvS7_RKSA_EUlibE0_EEviT1_.num_named_barrier, 0
	.set _ZN2at6native32elementwise_kernel_manual_unrollILi128ELi4EZNS0_15gpu_kernel_implIZNS0_21compare_scalar_kernelIN3c104HalfEEEvRNS_18TensorIteratorBaseENS0_12_GLOBAL__N_16OpTypeET_EUlS5_E_EEvS7_RKSA_EUlibE0_EEviT1_.private_seg_size, 0
	.set _ZN2at6native32elementwise_kernel_manual_unrollILi128ELi4EZNS0_15gpu_kernel_implIZNS0_21compare_scalar_kernelIN3c104HalfEEEvRNS_18TensorIteratorBaseENS0_12_GLOBAL__N_16OpTypeET_EUlS5_E_EEvS7_RKSA_EUlibE0_EEviT1_.uses_vcc, 1
	.set _ZN2at6native32elementwise_kernel_manual_unrollILi128ELi4EZNS0_15gpu_kernel_implIZNS0_21compare_scalar_kernelIN3c104HalfEEEvRNS_18TensorIteratorBaseENS0_12_GLOBAL__N_16OpTypeET_EUlS5_E_EEvS7_RKSA_EUlibE0_EEviT1_.uses_flat_scratch, 0
	.set _ZN2at6native32elementwise_kernel_manual_unrollILi128ELi4EZNS0_15gpu_kernel_implIZNS0_21compare_scalar_kernelIN3c104HalfEEEvRNS_18TensorIteratorBaseENS0_12_GLOBAL__N_16OpTypeET_EUlS5_E_EEvS7_RKSA_EUlibE0_EEviT1_.has_dyn_sized_stack, 0
	.set _ZN2at6native32elementwise_kernel_manual_unrollILi128ELi4EZNS0_15gpu_kernel_implIZNS0_21compare_scalar_kernelIN3c104HalfEEEvRNS_18TensorIteratorBaseENS0_12_GLOBAL__N_16OpTypeET_EUlS5_E_EEvS7_RKSA_EUlibE0_EEviT1_.has_recursion, 0
	.set _ZN2at6native32elementwise_kernel_manual_unrollILi128ELi4EZNS0_15gpu_kernel_implIZNS0_21compare_scalar_kernelIN3c104HalfEEEvRNS_18TensorIteratorBaseENS0_12_GLOBAL__N_16OpTypeET_EUlS5_E_EEvS7_RKSA_EUlibE0_EEviT1_.has_indirect_call, 0
	.section	.AMDGPU.csdata,"",@progbits
; Kernel info:
; codeLenInByte = 41884
; TotalNumSgprs: 84
; NumVgprs: 18
; ScratchSize: 0
; MemoryBound: 0
; FloatMode: 240
; IeeeMode: 1
; LDSByteSize: 0 bytes/workgroup (compile time only)
; SGPRBlocks: 10
; VGPRBlocks: 4
; NumSGPRsForWavesPerEU: 84
; NumVGPRsForWavesPerEU: 18
; Occupancy: 9
; WaveLimiterHint : 1
; COMPUTE_PGM_RSRC2:SCRATCH_EN: 0
; COMPUTE_PGM_RSRC2:USER_SGPR: 6
; COMPUTE_PGM_RSRC2:TRAP_HANDLER: 0
; COMPUTE_PGM_RSRC2:TGID_X_EN: 1
; COMPUTE_PGM_RSRC2:TGID_Y_EN: 0
; COMPUTE_PGM_RSRC2:TGID_Z_EN: 0
; COMPUTE_PGM_RSRC2:TIDIG_COMP_CNT: 0
	.section	.text._ZN2at6native29vectorized_elementwise_kernelILi16ENS0_12_GLOBAL__N_114CompareFunctorIN3c104HalfEEESt5arrayIPcLm3EEEEviT0_T1_,"axG",@progbits,_ZN2at6native29vectorized_elementwise_kernelILi16ENS0_12_GLOBAL__N_114CompareFunctorIN3c104HalfEEESt5arrayIPcLm3EEEEviT0_T1_,comdat
	.globl	_ZN2at6native29vectorized_elementwise_kernelILi16ENS0_12_GLOBAL__N_114CompareFunctorIN3c104HalfEEESt5arrayIPcLm3EEEEviT0_T1_ ; -- Begin function _ZN2at6native29vectorized_elementwise_kernelILi16ENS0_12_GLOBAL__N_114CompareFunctorIN3c104HalfEEESt5arrayIPcLm3EEEEviT0_T1_
	.p2align	8
	.type	_ZN2at6native29vectorized_elementwise_kernelILi16ENS0_12_GLOBAL__N_114CompareFunctorIN3c104HalfEEESt5arrayIPcLm3EEEEviT0_T1_,@function
_ZN2at6native29vectorized_elementwise_kernelILi16ENS0_12_GLOBAL__N_114CompareFunctorIN3c104HalfEEESt5arrayIPcLm3EEEEviT0_T1_: ; @_ZN2at6native29vectorized_elementwise_kernelILi16ENS0_12_GLOBAL__N_114CompareFunctorIN3c104HalfEEESt5arrayIPcLm3EEEEviT0_T1_
; %bb.0:
	s_load_dwordx2 s[12:13], s[4:5], 0x0
	s_load_dwordx4 s[8:11], s[4:5], 0x8
	s_load_dwordx2 s[14:15], s[4:5], 0x18
	s_lshl_b32 s2, s6, 12
	s_mov_b64 s[0:1], -1
	s_waitcnt lgkmcnt(0)
	s_sub_i32 s12, s12, s2
	s_cmpk_gt_i32 s12, 0xfff
	s_cbranch_scc0 .LBB120_211
; %bb.1:
	s_ashr_i32 s3, s2, 31
	s_lshl_b64 s[0:1], s[2:3], 1
	s_add_u32 s4, s10, s0
	s_addc_u32 s5, s11, s1
	s_add_u32 s0, s14, s0
	v_lshlrev_b32_e32 v17, 5, v0
	s_addc_u32 s1, s15, s1
	global_load_dwordx4 v[9:12], v17, s[4:5]
	global_load_dwordx4 v[1:4], v17, s[4:5] offset:16
	global_load_dwordx4 v[13:16], v17, s[0:1]
	global_load_dwordx4 v[5:8], v17, s[0:1] offset:16
	s_cmp_lt_i32 s13, 1
	s_mov_b64 s[4:5], 0
	s_cbranch_scc1 .LBB120_5
; %bb.2:
	s_cmp_gt_i32 s13, 1
	s_cbranch_scc0 .LBB120_6
; %bb.3:
	s_cmp_eq_u32 s13, 2
	s_cbranch_scc0 .LBB120_7
; %bb.4:
	s_waitcnt vmcnt(1)
	v_cmp_le_f16_e64 s[0:1], v9, v13
	s_mov_b64 s[6:7], 0
	s_branch .LBB120_8
.LBB120_5:
                                        ; implicit-def: $sgpr0_sgpr1
	s_mov_b64 s[6:7], 0
	s_cbranch_execnz .LBB120_11
	s_branch .LBB120_12
.LBB120_6:
	s_mov_b64 s[6:7], 0
                                        ; implicit-def: $sgpr0_sgpr1
	s_cbranch_execnz .LBB120_9
	s_branch .LBB120_10
.LBB120_7:
	s_mov_b64 s[6:7], -1
                                        ; implicit-def: $sgpr0_sgpr1
.LBB120_8:
	s_branch .LBB120_10
.LBB120_9:
	s_waitcnt vmcnt(1)
	v_cmp_gt_f16_e32 vcc, v9, v13
	s_andn2_b64 s[0:1], s[0:1], exec
	s_and_b64 s[16:17], vcc, exec
	s_or_b64 s[0:1], s[0:1], s[16:17]
.LBB120_10:
	s_branch .LBB120_12
.LBB120_11:
	s_cmp_lg_u32 s13, 0
	s_mov_b64 s[4:5], -1
	s_cselect_b64 s[6:7], -1, 0
.LBB120_12:
	s_andn2_b64 vcc, exec, s[6:7]
	s_cbranch_vccz .LBB120_18
; %bb.13:
	s_andn2_b64 vcc, exec, s[4:5]
	s_cbranch_vccz .LBB120_19
.LBB120_14:
	s_cmp_lt_i32 s13, 1
	s_mov_b64 s[6:7], 0
	s_cbranch_scc1 .LBB120_20
.LBB120_15:
	s_cmp_gt_i32 s13, 1
	s_cbranch_scc0 .LBB120_21
; %bb.16:
	s_cmp_eq_u32 s13, 2
	s_cbranch_scc0 .LBB120_251
; %bb.17:
	s_waitcnt vmcnt(1)
	v_cmp_le_f16_sdwa s[4:5], v9, v13 src0_sel:WORD_1 src1_sel:WORD_1
	s_mov_b64 s[16:17], 0
	s_branch .LBB120_23
.LBB120_18:
	s_waitcnt vmcnt(1)
	v_cmp_lt_f16_e32 vcc, v9, v13
	s_andn2_b64 s[0:1], s[0:1], exec
	s_and_b64 s[6:7], vcc, exec
	s_or_b64 s[0:1], s[0:1], s[6:7]
	s_cbranch_execnz .LBB120_14
.LBB120_19:
	s_waitcnt vmcnt(1)
	v_cmp_ge_f16_e32 vcc, v9, v13
	s_andn2_b64 s[0:1], s[0:1], exec
	s_and_b64 s[4:5], vcc, exec
	s_or_b64 s[0:1], s[0:1], s[4:5]
	s_cmp_lt_i32 s13, 1
	s_mov_b64 s[6:7], 0
	s_cbranch_scc0 .LBB120_15
.LBB120_20:
                                        ; implicit-def: $sgpr4_sgpr5
	s_mov_b64 s[16:17], 0
	s_cbranch_execnz .LBB120_24
	s_branch .LBB120_25
.LBB120_21:
	s_mov_b64 s[16:17], 0
                                        ; implicit-def: $sgpr4_sgpr5
	s_cbranch_execz .LBB120_23
; %bb.22:
	s_waitcnt vmcnt(1)
	v_cmp_gt_f16_sdwa s[18:19], v9, v13 src0_sel:WORD_1 src1_sel:WORD_1
	s_andn2_b64 s[4:5], s[4:5], exec
	s_and_b64 s[18:19], s[18:19], exec
	s_or_b64 s[4:5], s[4:5], s[18:19]
.LBB120_23:
	s_branch .LBB120_25
.LBB120_24:
	s_cmp_lg_u32 s13, 0
	s_mov_b64 s[6:7], -1
	s_cselect_b64 s[16:17], -1, 0
.LBB120_25:
	s_andn2_b64 vcc, exec, s[16:17]
	s_cbranch_vccz .LBB120_31
; %bb.26:
	s_andn2_b64 vcc, exec, s[6:7]
	s_cbranch_vccz .LBB120_32
.LBB120_27:
	s_cmp_lt_i32 s13, 1
	s_mov_b64 s[16:17], 0
	s_cbranch_scc1 .LBB120_33
.LBB120_28:
	s_cmp_gt_i32 s13, 1
	s_cbranch_scc0 .LBB120_34
; %bb.29:
	s_cmp_eq_u32 s13, 2
	s_cbranch_scc0 .LBB120_252
; %bb.30:
	s_waitcnt vmcnt(1)
	v_cmp_le_f16_e64 s[6:7], v10, v14
	s_mov_b64 s[18:19], 0
	s_branch .LBB120_36
.LBB120_31:
	s_waitcnt vmcnt(1)
	v_cmp_lt_f16_sdwa s[16:17], v9, v13 src0_sel:WORD_1 src1_sel:WORD_1
	s_andn2_b64 s[4:5], s[4:5], exec
	s_and_b64 s[16:17], s[16:17], exec
	s_or_b64 s[4:5], s[4:5], s[16:17]
	s_cbranch_execnz .LBB120_27
.LBB120_32:
	s_waitcnt vmcnt(1)
	v_cmp_ge_f16_sdwa s[6:7], v9, v13 src0_sel:WORD_1 src1_sel:WORD_1
	s_andn2_b64 s[4:5], s[4:5], exec
	s_and_b64 s[6:7], s[6:7], exec
	s_or_b64 s[4:5], s[4:5], s[6:7]
	s_cmp_lt_i32 s13, 1
	s_mov_b64 s[16:17], 0
	s_cbranch_scc0 .LBB120_28
.LBB120_33:
                                        ; implicit-def: $sgpr6_sgpr7
	s_mov_b64 s[18:19], 0
	s_cbranch_execnz .LBB120_37
	s_branch .LBB120_38
.LBB120_34:
	s_mov_b64 s[18:19], 0
                                        ; implicit-def: $sgpr6_sgpr7
	s_cbranch_execz .LBB120_36
; %bb.35:
	s_waitcnt vmcnt(1)
	v_cmp_gt_f16_e32 vcc, v10, v14
	s_andn2_b64 s[6:7], s[6:7], exec
	s_and_b64 s[20:21], vcc, exec
	s_or_b64 s[6:7], s[6:7], s[20:21]
.LBB120_36:
	s_branch .LBB120_38
.LBB120_37:
	s_cmp_lg_u32 s13, 0
	s_mov_b64 s[16:17], -1
	s_cselect_b64 s[18:19], -1, 0
.LBB120_38:
	s_andn2_b64 vcc, exec, s[18:19]
	s_cbranch_vccz .LBB120_44
; %bb.39:
	s_andn2_b64 vcc, exec, s[16:17]
	s_cbranch_vccz .LBB120_45
.LBB120_40:
	s_cmp_lt_i32 s13, 1
	s_mov_b64 s[18:19], 0
	s_cbranch_scc1 .LBB120_46
.LBB120_41:
	s_cmp_gt_i32 s13, 1
	s_cbranch_scc0 .LBB120_47
; %bb.42:
	s_cmp_eq_u32 s13, 2
	s_cbranch_scc0 .LBB120_253
; %bb.43:
	s_waitcnt vmcnt(1)
	v_cmp_le_f16_sdwa s[16:17], v10, v14 src0_sel:WORD_1 src1_sel:WORD_1
	s_mov_b64 s[20:21], 0
	s_branch .LBB120_49
.LBB120_44:
	s_waitcnt vmcnt(1)
	v_cmp_lt_f16_e32 vcc, v10, v14
	s_andn2_b64 s[6:7], s[6:7], exec
	s_and_b64 s[18:19], vcc, exec
	s_or_b64 s[6:7], s[6:7], s[18:19]
	s_cbranch_execnz .LBB120_40
.LBB120_45:
	s_waitcnt vmcnt(1)
	v_cmp_ge_f16_e32 vcc, v10, v14
	s_andn2_b64 s[6:7], s[6:7], exec
	s_and_b64 s[16:17], vcc, exec
	s_or_b64 s[6:7], s[6:7], s[16:17]
	s_cmp_lt_i32 s13, 1
	s_mov_b64 s[18:19], 0
	s_cbranch_scc0 .LBB120_41
.LBB120_46:
                                        ; implicit-def: $sgpr16_sgpr17
	s_mov_b64 s[20:21], 0
	s_cbranch_execnz .LBB120_50
	s_branch .LBB120_51
.LBB120_47:
	s_mov_b64 s[20:21], 0
                                        ; implicit-def: $sgpr16_sgpr17
	s_cbranch_execz .LBB120_49
; %bb.48:
	s_waitcnt vmcnt(1)
	v_cmp_gt_f16_sdwa s[22:23], v10, v14 src0_sel:WORD_1 src1_sel:WORD_1
	s_andn2_b64 s[16:17], s[16:17], exec
	s_and_b64 s[22:23], s[22:23], exec
	s_or_b64 s[16:17], s[16:17], s[22:23]
.LBB120_49:
	s_branch .LBB120_51
.LBB120_50:
	s_cmp_lg_u32 s13, 0
	s_mov_b64 s[18:19], -1
	s_cselect_b64 s[20:21], -1, 0
.LBB120_51:
	s_andn2_b64 vcc, exec, s[20:21]
	s_cbranch_vccz .LBB120_57
; %bb.52:
	s_andn2_b64 vcc, exec, s[18:19]
	s_cbranch_vccz .LBB120_58
.LBB120_53:
	s_cmp_lt_i32 s13, 1
	s_mov_b64 s[20:21], 0
	s_cbranch_scc1 .LBB120_59
.LBB120_54:
	s_cmp_gt_i32 s13, 1
	s_cbranch_scc0 .LBB120_60
; %bb.55:
	s_cmp_eq_u32 s13, 2
	s_cbranch_scc0 .LBB120_254
; %bb.56:
	s_waitcnt vmcnt(1)
	v_cmp_le_f16_e64 s[18:19], v11, v15
	s_mov_b64 s[22:23], 0
	s_branch .LBB120_62
.LBB120_57:
	s_waitcnt vmcnt(1)
	v_cmp_lt_f16_sdwa s[20:21], v10, v14 src0_sel:WORD_1 src1_sel:WORD_1
	s_andn2_b64 s[16:17], s[16:17], exec
	s_and_b64 s[20:21], s[20:21], exec
	s_or_b64 s[16:17], s[16:17], s[20:21]
	s_cbranch_execnz .LBB120_53
.LBB120_58:
	s_waitcnt vmcnt(1)
	v_cmp_ge_f16_sdwa s[18:19], v10, v14 src0_sel:WORD_1 src1_sel:WORD_1
	s_andn2_b64 s[16:17], s[16:17], exec
	s_and_b64 s[18:19], s[18:19], exec
	s_or_b64 s[16:17], s[16:17], s[18:19]
	s_cmp_lt_i32 s13, 1
	s_mov_b64 s[20:21], 0
	s_cbranch_scc0 .LBB120_54
.LBB120_59:
                                        ; implicit-def: $sgpr18_sgpr19
	s_mov_b64 s[22:23], 0
	s_cbranch_execnz .LBB120_63
	s_branch .LBB120_64
.LBB120_60:
	s_mov_b64 s[22:23], 0
                                        ; implicit-def: $sgpr18_sgpr19
	s_cbranch_execz .LBB120_62
; %bb.61:
	s_waitcnt vmcnt(1)
	v_cmp_gt_f16_e32 vcc, v11, v15
	s_andn2_b64 s[18:19], s[18:19], exec
	s_and_b64 s[24:25], vcc, exec
	s_or_b64 s[18:19], s[18:19], s[24:25]
.LBB120_62:
	s_branch .LBB120_64
.LBB120_63:
	s_cmp_lg_u32 s13, 0
	s_mov_b64 s[20:21], -1
	s_cselect_b64 s[22:23], -1, 0
.LBB120_64:
	s_andn2_b64 vcc, exec, s[22:23]
	s_cbranch_vccz .LBB120_70
; %bb.65:
	s_andn2_b64 vcc, exec, s[20:21]
	s_cbranch_vccz .LBB120_71
.LBB120_66:
	s_cmp_lt_i32 s13, 1
	s_mov_b64 s[22:23], 0
	s_cbranch_scc1 .LBB120_72
.LBB120_67:
	s_cmp_gt_i32 s13, 1
	s_cbranch_scc0 .LBB120_73
; %bb.68:
	s_cmp_eq_u32 s13, 2
	s_cbranch_scc0 .LBB120_255
; %bb.69:
	s_waitcnt vmcnt(1)
	v_cmp_le_f16_sdwa s[20:21], v11, v15 src0_sel:WORD_1 src1_sel:WORD_1
	s_mov_b64 s[24:25], 0
	s_branch .LBB120_75
.LBB120_70:
	s_waitcnt vmcnt(1)
	v_cmp_lt_f16_e32 vcc, v11, v15
	s_andn2_b64 s[18:19], s[18:19], exec
	s_and_b64 s[22:23], vcc, exec
	s_or_b64 s[18:19], s[18:19], s[22:23]
	s_cbranch_execnz .LBB120_66
.LBB120_71:
	s_waitcnt vmcnt(1)
	v_cmp_ge_f16_e32 vcc, v11, v15
	s_andn2_b64 s[18:19], s[18:19], exec
	s_and_b64 s[20:21], vcc, exec
	s_or_b64 s[18:19], s[18:19], s[20:21]
	s_cmp_lt_i32 s13, 1
	s_mov_b64 s[22:23], 0
	s_cbranch_scc0 .LBB120_67
.LBB120_72:
                                        ; implicit-def: $sgpr20_sgpr21
	s_mov_b64 s[24:25], 0
	s_cbranch_execnz .LBB120_76
	s_branch .LBB120_77
.LBB120_73:
	s_mov_b64 s[24:25], 0
                                        ; implicit-def: $sgpr20_sgpr21
	s_cbranch_execz .LBB120_75
; %bb.74:
	s_waitcnt vmcnt(1)
	v_cmp_gt_f16_sdwa s[26:27], v11, v15 src0_sel:WORD_1 src1_sel:WORD_1
	s_andn2_b64 s[20:21], s[20:21], exec
	s_and_b64 s[26:27], s[26:27], exec
	s_or_b64 s[20:21], s[20:21], s[26:27]
.LBB120_75:
	s_branch .LBB120_77
.LBB120_76:
	s_cmp_lg_u32 s13, 0
	s_mov_b64 s[22:23], -1
	s_cselect_b64 s[24:25], -1, 0
.LBB120_77:
	s_andn2_b64 vcc, exec, s[24:25]
	s_cbranch_vccz .LBB120_83
; %bb.78:
	s_andn2_b64 vcc, exec, s[22:23]
	s_cbranch_vccz .LBB120_84
.LBB120_79:
	s_cmp_lt_i32 s13, 1
	s_mov_b64 s[24:25], 0
	s_cbranch_scc1 .LBB120_85
.LBB120_80:
	s_cmp_gt_i32 s13, 1
	s_cbranch_scc0 .LBB120_86
; %bb.81:
	s_cmp_eq_u32 s13, 2
	s_cbranch_scc0 .LBB120_256
; %bb.82:
	s_waitcnt vmcnt(1)
	v_cmp_le_f16_e64 s[22:23], v12, v16
	s_mov_b64 s[26:27], 0
	s_branch .LBB120_88
.LBB120_83:
	s_waitcnt vmcnt(1)
	v_cmp_lt_f16_sdwa s[24:25], v11, v15 src0_sel:WORD_1 src1_sel:WORD_1
	s_andn2_b64 s[20:21], s[20:21], exec
	s_and_b64 s[24:25], s[24:25], exec
	s_or_b64 s[20:21], s[20:21], s[24:25]
	s_cbranch_execnz .LBB120_79
.LBB120_84:
	s_waitcnt vmcnt(1)
	v_cmp_ge_f16_sdwa s[22:23], v11, v15 src0_sel:WORD_1 src1_sel:WORD_1
	s_andn2_b64 s[20:21], s[20:21], exec
	s_and_b64 s[22:23], s[22:23], exec
	s_or_b64 s[20:21], s[20:21], s[22:23]
	s_cmp_lt_i32 s13, 1
	s_mov_b64 s[24:25], 0
	s_cbranch_scc0 .LBB120_80
.LBB120_85:
                                        ; implicit-def: $sgpr22_sgpr23
	s_mov_b64 s[26:27], 0
	s_cbranch_execnz .LBB120_89
	s_branch .LBB120_90
.LBB120_86:
	s_mov_b64 s[26:27], 0
                                        ; implicit-def: $sgpr22_sgpr23
	s_cbranch_execz .LBB120_88
; %bb.87:
	s_waitcnt vmcnt(1)
	v_cmp_gt_f16_e32 vcc, v12, v16
	s_andn2_b64 s[22:23], s[22:23], exec
	s_and_b64 s[28:29], vcc, exec
	s_or_b64 s[22:23], s[22:23], s[28:29]
.LBB120_88:
	s_branch .LBB120_90
.LBB120_89:
	s_cmp_lg_u32 s13, 0
	s_mov_b64 s[24:25], -1
	s_cselect_b64 s[26:27], -1, 0
.LBB120_90:
	s_andn2_b64 vcc, exec, s[26:27]
	s_cbranch_vccz .LBB120_96
; %bb.91:
	s_andn2_b64 vcc, exec, s[24:25]
	s_cbranch_vccz .LBB120_97
.LBB120_92:
	s_cmp_lt_i32 s13, 1
	s_mov_b64 s[26:27], 0
	s_cbranch_scc1 .LBB120_98
.LBB120_93:
	s_cmp_gt_i32 s13, 1
	s_cbranch_scc0 .LBB120_99
; %bb.94:
	s_cmp_eq_u32 s13, 2
	s_cbranch_scc0 .LBB120_257
; %bb.95:
	s_waitcnt vmcnt(1)
	v_cmp_le_f16_sdwa s[24:25], v12, v16 src0_sel:WORD_1 src1_sel:WORD_1
	s_mov_b64 s[28:29], 0
	s_branch .LBB120_101
.LBB120_96:
	s_waitcnt vmcnt(1)
	v_cmp_lt_f16_e32 vcc, v12, v16
	s_andn2_b64 s[22:23], s[22:23], exec
	s_and_b64 s[26:27], vcc, exec
	s_or_b64 s[22:23], s[22:23], s[26:27]
	s_cbranch_execnz .LBB120_92
.LBB120_97:
	s_waitcnt vmcnt(1)
	v_cmp_ge_f16_e32 vcc, v12, v16
	s_andn2_b64 s[22:23], s[22:23], exec
	s_and_b64 s[24:25], vcc, exec
	s_or_b64 s[22:23], s[22:23], s[24:25]
	s_cmp_lt_i32 s13, 1
	s_mov_b64 s[26:27], 0
	s_cbranch_scc0 .LBB120_93
.LBB120_98:
                                        ; implicit-def: $sgpr24_sgpr25
	s_mov_b64 s[28:29], 0
	s_cbranch_execnz .LBB120_102
	s_branch .LBB120_103
.LBB120_99:
	s_mov_b64 s[28:29], 0
                                        ; implicit-def: $sgpr24_sgpr25
	s_cbranch_execz .LBB120_101
; %bb.100:
	s_waitcnt vmcnt(1)
	v_cmp_gt_f16_sdwa s[30:31], v12, v16 src0_sel:WORD_1 src1_sel:WORD_1
	s_andn2_b64 s[24:25], s[24:25], exec
	s_and_b64 s[30:31], s[30:31], exec
	s_or_b64 s[24:25], s[24:25], s[30:31]
.LBB120_101:
	s_branch .LBB120_103
.LBB120_102:
	s_cmp_lg_u32 s13, 0
	s_mov_b64 s[26:27], -1
	s_cselect_b64 s[28:29], -1, 0
.LBB120_103:
	s_andn2_b64 vcc, exec, s[28:29]
	s_cbranch_vccz .LBB120_109
; %bb.104:
	s_andn2_b64 vcc, exec, s[26:27]
	s_cbranch_vccz .LBB120_110
.LBB120_105:
	s_cmp_lt_i32 s13, 1
	s_mov_b64 s[28:29], 0
	s_cbranch_scc1 .LBB120_111
.LBB120_106:
	s_cmp_gt_i32 s13, 1
	s_cbranch_scc0 .LBB120_112
; %bb.107:
	s_cmp_eq_u32 s13, 2
	s_cbranch_scc0 .LBB120_258
; %bb.108:
	s_waitcnt vmcnt(0)
	v_cmp_le_f16_e64 s[26:27], v1, v5
	s_mov_b64 s[30:31], 0
	s_branch .LBB120_114
.LBB120_109:
	s_waitcnt vmcnt(1)
	v_cmp_lt_f16_sdwa s[28:29], v12, v16 src0_sel:WORD_1 src1_sel:WORD_1
	s_andn2_b64 s[24:25], s[24:25], exec
	s_and_b64 s[28:29], s[28:29], exec
	s_or_b64 s[24:25], s[24:25], s[28:29]
	s_cbranch_execnz .LBB120_105
.LBB120_110:
	s_waitcnt vmcnt(1)
	v_cmp_ge_f16_sdwa s[26:27], v12, v16 src0_sel:WORD_1 src1_sel:WORD_1
	s_andn2_b64 s[24:25], s[24:25], exec
	s_and_b64 s[26:27], s[26:27], exec
	s_or_b64 s[24:25], s[24:25], s[26:27]
	s_cmp_lt_i32 s13, 1
	s_mov_b64 s[28:29], 0
	s_cbranch_scc0 .LBB120_106
.LBB120_111:
                                        ; implicit-def: $sgpr26_sgpr27
	s_mov_b64 s[30:31], 0
	s_cbranch_execnz .LBB120_115
	s_branch .LBB120_116
.LBB120_112:
	s_mov_b64 s[30:31], 0
                                        ; implicit-def: $sgpr26_sgpr27
	s_cbranch_execz .LBB120_114
; %bb.113:
	s_waitcnt vmcnt(0)
	v_cmp_gt_f16_e32 vcc, v1, v5
	s_andn2_b64 s[26:27], s[26:27], exec
	s_and_b64 s[34:35], vcc, exec
	s_or_b64 s[26:27], s[26:27], s[34:35]
.LBB120_114:
	s_branch .LBB120_116
.LBB120_115:
	s_cmp_lg_u32 s13, 0
	s_mov_b64 s[28:29], -1
	s_cselect_b64 s[30:31], -1, 0
.LBB120_116:
	s_andn2_b64 vcc, exec, s[30:31]
	s_cbranch_vccz .LBB120_122
; %bb.117:
	s_andn2_b64 vcc, exec, s[28:29]
	s_cbranch_vccz .LBB120_123
.LBB120_118:
	s_cmp_lt_i32 s13, 1
	s_mov_b64 s[30:31], 0
	s_cbranch_scc1 .LBB120_124
.LBB120_119:
	s_cmp_gt_i32 s13, 1
	s_cbranch_scc0 .LBB120_125
; %bb.120:
	s_cmp_eq_u32 s13, 2
	s_cbranch_scc0 .LBB120_259
; %bb.121:
	s_waitcnt vmcnt(0)
	v_cmp_le_f16_sdwa s[28:29], v1, v5 src0_sel:WORD_1 src1_sel:WORD_1
	s_mov_b64 s[34:35], 0
	s_branch .LBB120_127
.LBB120_122:
	s_waitcnt vmcnt(0)
	v_cmp_lt_f16_e32 vcc, v1, v5
	s_andn2_b64 s[26:27], s[26:27], exec
	s_and_b64 s[30:31], vcc, exec
	s_or_b64 s[26:27], s[26:27], s[30:31]
	s_cbranch_execnz .LBB120_118
.LBB120_123:
	s_waitcnt vmcnt(0)
	v_cmp_ge_f16_e32 vcc, v1, v5
	s_andn2_b64 s[26:27], s[26:27], exec
	s_and_b64 s[28:29], vcc, exec
	s_or_b64 s[26:27], s[26:27], s[28:29]
	s_cmp_lt_i32 s13, 1
	s_mov_b64 s[30:31], 0
	s_cbranch_scc0 .LBB120_119
.LBB120_124:
                                        ; implicit-def: $sgpr28_sgpr29
	s_mov_b64 s[34:35], 0
	s_cbranch_execnz .LBB120_128
	s_branch .LBB120_129
.LBB120_125:
	s_mov_b64 s[34:35], 0
                                        ; implicit-def: $sgpr28_sgpr29
	s_cbranch_execz .LBB120_127
; %bb.126:
	s_waitcnt vmcnt(0)
	v_cmp_gt_f16_sdwa s[36:37], v1, v5 src0_sel:WORD_1 src1_sel:WORD_1
	s_andn2_b64 s[28:29], s[28:29], exec
	s_and_b64 s[36:37], s[36:37], exec
	s_or_b64 s[28:29], s[28:29], s[36:37]
.LBB120_127:
	s_branch .LBB120_129
.LBB120_128:
	s_cmp_lg_u32 s13, 0
	s_mov_b64 s[30:31], -1
	s_cselect_b64 s[34:35], -1, 0
.LBB120_129:
	s_andn2_b64 vcc, exec, s[34:35]
	s_cbranch_vccz .LBB120_135
; %bb.130:
	s_andn2_b64 vcc, exec, s[30:31]
	s_cbranch_vccz .LBB120_136
.LBB120_131:
	s_cmp_lt_i32 s13, 1
	s_mov_b64 s[34:35], 0
	s_cbranch_scc1 .LBB120_137
.LBB120_132:
	s_cmp_gt_i32 s13, 1
	s_cbranch_scc0 .LBB120_138
; %bb.133:
	s_cmp_eq_u32 s13, 2
	s_cbranch_scc0 .LBB120_260
; %bb.134:
	s_waitcnt vmcnt(0)
	v_cmp_le_f16_e64 s[30:31], v2, v6
	s_mov_b64 s[36:37], 0
	s_branch .LBB120_140
.LBB120_135:
	s_waitcnt vmcnt(0)
	v_cmp_lt_f16_sdwa s[34:35], v1, v5 src0_sel:WORD_1 src1_sel:WORD_1
	s_andn2_b64 s[28:29], s[28:29], exec
	s_and_b64 s[34:35], s[34:35], exec
	s_or_b64 s[28:29], s[28:29], s[34:35]
	s_cbranch_execnz .LBB120_131
.LBB120_136:
	s_waitcnt vmcnt(0)
	v_cmp_ge_f16_sdwa s[30:31], v1, v5 src0_sel:WORD_1 src1_sel:WORD_1
	s_andn2_b64 s[28:29], s[28:29], exec
	s_and_b64 s[30:31], s[30:31], exec
	s_or_b64 s[28:29], s[28:29], s[30:31]
	s_cmp_lt_i32 s13, 1
	s_mov_b64 s[34:35], 0
	s_cbranch_scc0 .LBB120_132
.LBB120_137:
                                        ; implicit-def: $sgpr30_sgpr31
	s_mov_b64 s[36:37], 0
	s_cbranch_execnz .LBB120_141
	s_branch .LBB120_142
.LBB120_138:
	s_mov_b64 s[36:37], 0
                                        ; implicit-def: $sgpr30_sgpr31
	s_cbranch_execz .LBB120_140
; %bb.139:
	s_waitcnt vmcnt(0)
	v_cmp_gt_f16_e32 vcc, v2, v6
	s_andn2_b64 s[30:31], s[30:31], exec
	s_and_b64 s[38:39], vcc, exec
	s_or_b64 s[30:31], s[30:31], s[38:39]
.LBB120_140:
	s_branch .LBB120_142
.LBB120_141:
	s_cmp_lg_u32 s13, 0
	s_mov_b64 s[34:35], -1
	s_cselect_b64 s[36:37], -1, 0
.LBB120_142:
	s_andn2_b64 vcc, exec, s[36:37]
	s_cbranch_vccz .LBB120_148
; %bb.143:
	s_andn2_b64 vcc, exec, s[34:35]
	s_cbranch_vccz .LBB120_149
.LBB120_144:
	s_cmp_lt_i32 s13, 1
	s_mov_b64 s[36:37], 0
	s_cbranch_scc1 .LBB120_150
.LBB120_145:
	s_cmp_gt_i32 s13, 1
	s_cbranch_scc0 .LBB120_151
; %bb.146:
	s_cmp_eq_u32 s13, 2
	s_cbranch_scc0 .LBB120_261
; %bb.147:
	s_waitcnt vmcnt(0)
	v_cmp_le_f16_sdwa s[34:35], v2, v6 src0_sel:WORD_1 src1_sel:WORD_1
	s_mov_b64 s[38:39], 0
	s_branch .LBB120_153
.LBB120_148:
	s_waitcnt vmcnt(0)
	v_cmp_lt_f16_e32 vcc, v2, v6
	s_andn2_b64 s[30:31], s[30:31], exec
	s_and_b64 s[36:37], vcc, exec
	s_or_b64 s[30:31], s[30:31], s[36:37]
	s_cbranch_execnz .LBB120_144
.LBB120_149:
	s_waitcnt vmcnt(0)
	v_cmp_ge_f16_e32 vcc, v2, v6
	s_andn2_b64 s[30:31], s[30:31], exec
	s_and_b64 s[34:35], vcc, exec
	s_or_b64 s[30:31], s[30:31], s[34:35]
	s_cmp_lt_i32 s13, 1
	s_mov_b64 s[36:37], 0
	s_cbranch_scc0 .LBB120_145
.LBB120_150:
                                        ; implicit-def: $sgpr34_sgpr35
	s_mov_b64 s[38:39], 0
	s_cbranch_execnz .LBB120_154
	s_branch .LBB120_155
.LBB120_151:
	s_mov_b64 s[38:39], 0
                                        ; implicit-def: $sgpr34_sgpr35
	s_cbranch_execz .LBB120_153
; %bb.152:
	s_waitcnt vmcnt(0)
	v_cmp_gt_f16_sdwa s[40:41], v2, v6 src0_sel:WORD_1 src1_sel:WORD_1
	s_andn2_b64 s[34:35], s[34:35], exec
	s_and_b64 s[40:41], s[40:41], exec
	s_or_b64 s[34:35], s[34:35], s[40:41]
.LBB120_153:
	s_branch .LBB120_155
.LBB120_154:
	s_cmp_lg_u32 s13, 0
	s_mov_b64 s[36:37], -1
	s_cselect_b64 s[38:39], -1, 0
.LBB120_155:
	s_andn2_b64 vcc, exec, s[38:39]
	s_cbranch_vccz .LBB120_161
; %bb.156:
	s_andn2_b64 vcc, exec, s[36:37]
	s_cbranch_vccz .LBB120_162
.LBB120_157:
	s_cmp_lt_i32 s13, 1
	s_mov_b64 s[38:39], 0
	s_cbranch_scc1 .LBB120_163
.LBB120_158:
	s_cmp_gt_i32 s13, 1
	s_cbranch_scc0 .LBB120_164
; %bb.159:
	s_cmp_eq_u32 s13, 2
	s_cbranch_scc0 .LBB120_262
; %bb.160:
	s_waitcnt vmcnt(0)
	v_cmp_le_f16_e64 s[36:37], v3, v7
	s_mov_b64 s[40:41], 0
	s_branch .LBB120_166
.LBB120_161:
	s_waitcnt vmcnt(0)
	v_cmp_lt_f16_sdwa s[38:39], v2, v6 src0_sel:WORD_1 src1_sel:WORD_1
	s_andn2_b64 s[34:35], s[34:35], exec
	s_and_b64 s[38:39], s[38:39], exec
	s_or_b64 s[34:35], s[34:35], s[38:39]
	s_cbranch_execnz .LBB120_157
.LBB120_162:
	s_waitcnt vmcnt(0)
	v_cmp_ge_f16_sdwa s[36:37], v2, v6 src0_sel:WORD_1 src1_sel:WORD_1
	s_andn2_b64 s[34:35], s[34:35], exec
	s_and_b64 s[36:37], s[36:37], exec
	s_or_b64 s[34:35], s[34:35], s[36:37]
	s_cmp_lt_i32 s13, 1
	s_mov_b64 s[38:39], 0
	s_cbranch_scc0 .LBB120_158
.LBB120_163:
                                        ; implicit-def: $sgpr36_sgpr37
	s_mov_b64 s[40:41], 0
	s_cbranch_execnz .LBB120_167
	s_branch .LBB120_168
.LBB120_164:
	s_mov_b64 s[40:41], 0
                                        ; implicit-def: $sgpr36_sgpr37
	s_cbranch_execz .LBB120_166
; %bb.165:
	s_waitcnt vmcnt(0)
	v_cmp_gt_f16_e32 vcc, v3, v7
	s_andn2_b64 s[36:37], s[36:37], exec
	s_and_b64 s[42:43], vcc, exec
	s_or_b64 s[36:37], s[36:37], s[42:43]
.LBB120_166:
	s_branch .LBB120_168
.LBB120_167:
	s_cmp_lg_u32 s13, 0
	s_mov_b64 s[38:39], -1
	s_cselect_b64 s[40:41], -1, 0
.LBB120_168:
	s_andn2_b64 vcc, exec, s[40:41]
	s_cbranch_vccz .LBB120_174
; %bb.169:
	s_andn2_b64 vcc, exec, s[38:39]
	s_cbranch_vccz .LBB120_175
.LBB120_170:
	s_cmp_lt_i32 s13, 1
	s_mov_b64 s[40:41], 0
	s_cbranch_scc1 .LBB120_176
.LBB120_171:
	s_cmp_gt_i32 s13, 1
	s_cbranch_scc0 .LBB120_177
; %bb.172:
	s_cmp_eq_u32 s13, 2
	s_cbranch_scc0 .LBB120_263
; %bb.173:
	s_waitcnt vmcnt(0)
	v_cmp_le_f16_sdwa s[38:39], v3, v7 src0_sel:WORD_1 src1_sel:WORD_1
	s_mov_b64 s[42:43], 0
	s_branch .LBB120_179
.LBB120_174:
	s_waitcnt vmcnt(0)
	v_cmp_lt_f16_e32 vcc, v3, v7
	s_andn2_b64 s[36:37], s[36:37], exec
	s_and_b64 s[40:41], vcc, exec
	s_or_b64 s[36:37], s[36:37], s[40:41]
	s_cbranch_execnz .LBB120_170
.LBB120_175:
	s_waitcnt vmcnt(0)
	v_cmp_ge_f16_e32 vcc, v3, v7
	s_andn2_b64 s[36:37], s[36:37], exec
	s_and_b64 s[38:39], vcc, exec
	s_or_b64 s[36:37], s[36:37], s[38:39]
	s_cmp_lt_i32 s13, 1
	s_mov_b64 s[40:41], 0
	s_cbranch_scc0 .LBB120_171
.LBB120_176:
                                        ; implicit-def: $sgpr38_sgpr39
	s_mov_b64 s[42:43], 0
	s_cbranch_execnz .LBB120_180
	s_branch .LBB120_181
.LBB120_177:
	s_mov_b64 s[42:43], 0
                                        ; implicit-def: $sgpr38_sgpr39
	s_cbranch_execz .LBB120_179
; %bb.178:
	s_waitcnt vmcnt(0)
	v_cmp_gt_f16_sdwa s[44:45], v3, v7 src0_sel:WORD_1 src1_sel:WORD_1
	s_andn2_b64 s[38:39], s[38:39], exec
	s_and_b64 s[44:45], s[44:45], exec
	s_or_b64 s[38:39], s[38:39], s[44:45]
.LBB120_179:
	s_branch .LBB120_181
.LBB120_180:
	s_cmp_lg_u32 s13, 0
	s_mov_b64 s[40:41], -1
	s_cselect_b64 s[42:43], -1, 0
.LBB120_181:
	s_andn2_b64 vcc, exec, s[42:43]
	s_cbranch_vccz .LBB120_187
; %bb.182:
	s_andn2_b64 vcc, exec, s[40:41]
	s_cbranch_vccz .LBB120_188
.LBB120_183:
	s_cmp_lt_i32 s13, 1
	s_mov_b64 s[42:43], 0
	s_cbranch_scc1 .LBB120_189
.LBB120_184:
	s_cmp_gt_i32 s13, 1
	s_cbranch_scc0 .LBB120_190
; %bb.185:
	s_cmp_eq_u32 s13, 2
	s_cbranch_scc0 .LBB120_264
; %bb.186:
	s_waitcnt vmcnt(0)
	v_cmp_le_f16_e64 s[40:41], v4, v8
	s_mov_b64 s[44:45], 0
	s_branch .LBB120_192
.LBB120_187:
	s_waitcnt vmcnt(0)
	v_cmp_lt_f16_sdwa s[42:43], v3, v7 src0_sel:WORD_1 src1_sel:WORD_1
	s_andn2_b64 s[38:39], s[38:39], exec
	s_and_b64 s[42:43], s[42:43], exec
	s_or_b64 s[38:39], s[38:39], s[42:43]
	s_cbranch_execnz .LBB120_183
.LBB120_188:
	s_waitcnt vmcnt(0)
	v_cmp_ge_f16_sdwa s[40:41], v3, v7 src0_sel:WORD_1 src1_sel:WORD_1
	s_andn2_b64 s[38:39], s[38:39], exec
	s_and_b64 s[40:41], s[40:41], exec
	s_or_b64 s[38:39], s[38:39], s[40:41]
	s_cmp_lt_i32 s13, 1
	s_mov_b64 s[42:43], 0
	s_cbranch_scc0 .LBB120_184
.LBB120_189:
                                        ; implicit-def: $sgpr40_sgpr41
	s_mov_b64 s[44:45], 0
	s_cbranch_execnz .LBB120_193
	s_branch .LBB120_194
.LBB120_190:
	s_mov_b64 s[44:45], 0
                                        ; implicit-def: $sgpr40_sgpr41
	s_cbranch_execz .LBB120_192
; %bb.191:
	s_waitcnt vmcnt(0)
	v_cmp_gt_f16_e32 vcc, v4, v8
	s_andn2_b64 s[40:41], s[40:41], exec
	s_and_b64 s[46:47], vcc, exec
	s_or_b64 s[40:41], s[40:41], s[46:47]
.LBB120_192:
	s_branch .LBB120_194
.LBB120_193:
	s_cmp_lg_u32 s13, 0
	s_mov_b64 s[42:43], -1
	s_cselect_b64 s[44:45], -1, 0
.LBB120_194:
	s_andn2_b64 vcc, exec, s[44:45]
	s_cbranch_vccz .LBB120_200
; %bb.195:
	s_andn2_b64 vcc, exec, s[42:43]
	s_cbranch_vccz .LBB120_201
.LBB120_196:
	s_cmp_lt_i32 s13, 1
	s_mov_b64 s[44:45], 0
	s_cbranch_scc1 .LBB120_202
.LBB120_197:
	s_cmp_gt_i32 s13, 1
	s_cbranch_scc0 .LBB120_203
; %bb.198:
	s_cmp_eq_u32 s13, 2
	s_cbranch_scc0 .LBB120_265
; %bb.199:
	s_waitcnt vmcnt(0)
	v_cmp_le_f16_sdwa s[42:43], v4, v8 src0_sel:WORD_1 src1_sel:WORD_1
	s_mov_b64 s[46:47], 0
	s_branch .LBB120_205
.LBB120_200:
	s_waitcnt vmcnt(0)
	v_cmp_lt_f16_e32 vcc, v4, v8
	s_andn2_b64 s[40:41], s[40:41], exec
	s_and_b64 s[44:45], vcc, exec
	s_or_b64 s[40:41], s[40:41], s[44:45]
	s_cbranch_execnz .LBB120_196
.LBB120_201:
	s_waitcnt vmcnt(0)
	v_cmp_ge_f16_e32 vcc, v4, v8
	s_andn2_b64 s[40:41], s[40:41], exec
	s_and_b64 s[42:43], vcc, exec
	s_or_b64 s[40:41], s[40:41], s[42:43]
	s_cmp_lt_i32 s13, 1
	s_mov_b64 s[44:45], 0
	s_cbranch_scc0 .LBB120_197
.LBB120_202:
                                        ; implicit-def: $sgpr42_sgpr43
	s_mov_b64 s[46:47], 0
	s_cbranch_execnz .LBB120_206
	s_branch .LBB120_207
.LBB120_203:
	s_mov_b64 s[46:47], 0
                                        ; implicit-def: $sgpr42_sgpr43
	s_cbranch_execz .LBB120_205
; %bb.204:
	s_waitcnt vmcnt(0)
	v_cmp_gt_f16_sdwa s[48:49], v4, v8 src0_sel:WORD_1 src1_sel:WORD_1
	s_andn2_b64 s[42:43], s[42:43], exec
	s_and_b64 s[48:49], s[48:49], exec
	s_or_b64 s[42:43], s[42:43], s[48:49]
.LBB120_205:
	s_branch .LBB120_207
.LBB120_206:
	s_cmp_lg_u32 s13, 0
	s_mov_b64 s[44:45], -1
	s_cselect_b64 s[46:47], -1, 0
.LBB120_207:
	s_andn2_b64 vcc, exec, s[46:47]
	s_cbranch_vccz .LBB120_249
; %bb.208:
	s_andn2_b64 vcc, exec, s[44:45]
	s_cbranch_vccnz .LBB120_210
.LBB120_209:
	s_waitcnt vmcnt(0)
	v_cmp_ge_f16_sdwa s[44:45], v4, v8 src0_sel:WORD_1 src1_sel:WORD_1
	s_andn2_b64 s[42:43], s[42:43], exec
	s_and_b64 s[44:45], s[44:45], exec
	s_or_b64 s[42:43], s[42:43], s[44:45]
.LBB120_210:
	s_waitcnt vmcnt(2)
	v_cndmask_b32_e64 v1, 0, 1, s[4:5]
	v_lshlrev_b16_e32 v1, 8, v1
	v_cndmask_b32_e64 v2, 0, 1, s[0:1]
	v_or_b32_e32 v1, v2, v1
	v_cndmask_b32_e64 v2, 0, 1, s[16:17]
	v_lshlrev_b16_e32 v2, 8, v2
	v_cndmask_b32_e64 v3, 0, 1, s[6:7]
	v_or_b32_sdwa v2, v3, v2 dst_sel:WORD_1 dst_unused:UNUSED_PAD src0_sel:DWORD src1_sel:DWORD
	v_or_b32_sdwa v1, v1, v2 dst_sel:DWORD dst_unused:UNUSED_PAD src0_sel:WORD_0 src1_sel:DWORD
	v_cndmask_b32_e64 v2, 0, 1, s[20:21]
	v_lshlrev_b16_e32 v2, 8, v2
	v_cndmask_b32_e64 v3, 0, 1, s[18:19]
	v_or_b32_e32 v2, v3, v2
	v_cndmask_b32_e64 v3, 0, 1, s[24:25]
	v_lshlrev_b16_e32 v3, 8, v3
	v_cndmask_b32_e64 v4, 0, 1, s[22:23]
	v_or_b32_sdwa v3, v4, v3 dst_sel:WORD_1 dst_unused:UNUSED_PAD src0_sel:DWORD src1_sel:DWORD
	v_or_b32_sdwa v2, v2, v3 dst_sel:DWORD dst_unused:UNUSED_PAD src0_sel:WORD_0 src1_sel:DWORD
	v_cndmask_b32_e64 v3, 0, 1, s[28:29]
	v_lshlrev_b16_e32 v3, 8, v3
	v_cndmask_b32_e64 v4, 0, 1, s[26:27]
	v_or_b32_e32 v3, v4, v3
	v_cndmask_b32_e64 v4, 0, 1, s[34:35]
	v_lshlrev_b16_e32 v4, 8, v4
	s_waitcnt vmcnt(0)
	v_cndmask_b32_e64 v6, 0, 1, s[30:31]
	v_or_b32_sdwa v4, v6, v4 dst_sel:WORD_1 dst_unused:UNUSED_PAD src0_sel:DWORD src1_sel:DWORD
	v_or_b32_sdwa v3, v3, v4 dst_sel:DWORD dst_unused:UNUSED_PAD src0_sel:WORD_0 src1_sel:DWORD
	v_cndmask_b32_e64 v4, 0, 1, s[38:39]
	v_lshlrev_b16_e32 v4, 8, v4
	v_cndmask_b32_e64 v6, 0, 1, s[36:37]
	v_or_b32_e32 v4, v6, v4
	v_cndmask_b32_e64 v6, 0, 1, s[42:43]
	v_lshlrev_b16_e32 v6, 8, v6
	v_cndmask_b32_e64 v7, 0, 1, s[40:41]
	s_add_u32 s44, s8, s2
	v_or_b32_sdwa v6, v7, v6 dst_sel:WORD_1 dst_unused:UNUSED_PAD src0_sel:DWORD src1_sel:DWORD
	s_addc_u32 s45, s9, s3
	v_lshlrev_b32_e32 v5, 4, v0
	v_or_b32_sdwa v4, v4, v6 dst_sel:DWORD dst_unused:UNUSED_PAD src0_sel:WORD_0 src1_sel:DWORD
	global_store_dwordx4 v5, v[1:4], s[44:45]
	s_mov_b64 s[0:1], 0
.LBB120_211:
	s_and_b64 vcc, exec, s[0:1]
	s_cbranch_vccz .LBB120_519
; %bb.212:
	v_cmp_gt_i32_e64 s[0:1], s12, v0
	v_mov_b32_e32 v14, 0
	v_or_b32_e32 v1, s2, v0
	v_mov_b32_e32 v7, 0
	v_mov_b32_e32 v10, 0
	;; [unrolled: 1-line block ×3, first 2 shown]
	s_and_saveexec_b64 s[4:5], s[0:1]
	s_cbranch_execz .LBB120_214
; %bb.213:
	v_mov_b32_e32 v2, 0
	v_lshlrev_b64 v[2:3], 1, v[1:2]
	v_mov_b32_e32 v5, s15
	v_add_co_u32_e32 v4, vcc, s14, v2
	v_addc_co_u32_e32 v5, vcc, v5, v3, vcc
	v_mov_b32_e32 v6, s11
	v_add_co_u32_e32 v2, vcc, s10, v2
	v_addc_co_u32_e32 v3, vcc, v6, v3, vcc
	global_load_ushort v7, v[2:3], off
	global_load_ushort v10, v[4:5], off
	v_or_b32_e32 v6, 0x100, v0
.LBB120_214:
	s_or_b64 exec, exec, s[4:5]
	v_cmp_gt_i32_e32 vcc, s12, v6
	v_mov_b32_e32 v34, 0
	s_and_saveexec_b64 s[4:5], vcc
	s_cbranch_execz .LBB120_216
; %bb.215:
	v_add_u32_e32 v2, s2, v6
	v_mov_b32_e32 v3, 0
	v_lshlrev_b64 v[2:3], 1, v[2:3]
	v_mov_b32_e32 v5, s15
	v_add_co_u32_e32 v4, vcc, s14, v2
	v_addc_co_u32_e32 v5, vcc, v5, v3, vcc
	v_mov_b32_e32 v8, s11
	v_add_co_u32_e32 v2, vcc, s10, v2
	v_addc_co_u32_e32 v3, vcc, v8, v3, vcc
	global_load_ushort v14, v[2:3], off
	global_load_ushort v34, v[4:5], off
	v_add_u32_e32 v6, 0x100, v6
.LBB120_216:
	s_or_b64 exec, exec, s[4:5]
	v_cmp_gt_i32_e32 vcc, s12, v6
	v_mov_b32_e32 v21, 0
	v_mov_b32_e32 v16, 0
	v_mov_b32_e32 v33, 0
	s_and_saveexec_b64 s[4:5], vcc
	s_cbranch_execz .LBB120_218
; %bb.217:
	v_add_u32_e32 v2, s2, v6
	v_mov_b32_e32 v3, 0
	v_lshlrev_b64 v[2:3], 1, v[2:3]
	v_mov_b32_e32 v5, s15
	v_add_co_u32_e32 v4, vcc, s14, v2
	v_addc_co_u32_e32 v5, vcc, v5, v3, vcc
	v_mov_b32_e32 v8, s11
	v_add_co_u32_e32 v2, vcc, s10, v2
	v_addc_co_u32_e32 v3, vcc, v8, v3, vcc
	global_load_ushort v16, v[2:3], off
	global_load_ushort v33, v[4:5], off
	v_add_u32_e32 v6, 0x100, v6
.LBB120_218:
	s_or_b64 exec, exec, s[4:5]
	v_cmp_gt_i32_e32 vcc, s12, v6
	v_mov_b32_e32 v32, 0
	s_and_saveexec_b64 s[4:5], vcc
	s_cbranch_execz .LBB120_220
; %bb.219:
	v_add_u32_e32 v2, s2, v6
	v_mov_b32_e32 v3, 0
	v_lshlrev_b64 v[2:3], 1, v[2:3]
	v_mov_b32_e32 v5, s15
	v_add_co_u32_e32 v4, vcc, s14, v2
	v_addc_co_u32_e32 v5, vcc, v5, v3, vcc
	v_mov_b32_e32 v8, s11
	v_add_co_u32_e32 v2, vcc, s10, v2
	v_addc_co_u32_e32 v3, vcc, v8, v3, vcc
	global_load_ushort v21, v[2:3], off
	global_load_ushort v32, v[4:5], off
	v_add_u32_e32 v6, 0x100, v6
.LBB120_220:
	s_or_b64 exec, exec, s[4:5]
	v_cmp_gt_i32_e32 vcc, s12, v6
	v_mov_b32_e32 v27, 0
	v_mov_b32_e32 v24, 0
	v_mov_b32_e32 v31, 0
	s_and_saveexec_b64 s[4:5], vcc
	s_cbranch_execz .LBB120_222
; %bb.221:
	v_add_u32_e32 v2, s2, v6
	v_mov_b32_e32 v3, 0
	v_lshlrev_b64 v[2:3], 1, v[2:3]
	v_mov_b32_e32 v5, s15
	v_add_co_u32_e32 v4, vcc, s14, v2
	v_addc_co_u32_e32 v5, vcc, v5, v3, vcc
	v_mov_b32_e32 v8, s11
	v_add_co_u32_e32 v2, vcc, s10, v2
	v_addc_co_u32_e32 v3, vcc, v8, v3, vcc
	global_load_ushort v24, v[2:3], off
	global_load_ushort v31, v[4:5], off
	v_add_u32_e32 v6, 0x100, v6
.LBB120_222:
	s_or_b64 exec, exec, s[4:5]
	v_cmp_gt_i32_e32 vcc, s12, v6
	v_mov_b32_e32 v30, 0
	s_and_saveexec_b64 s[4:5], vcc
	s_cbranch_execz .LBB120_224
; %bb.223:
	v_add_u32_e32 v2, s2, v6
	v_mov_b32_e32 v3, 0
	v_lshlrev_b64 v[2:3], 1, v[2:3]
	v_mov_b32_e32 v5, s15
	v_add_co_u32_e32 v4, vcc, s14, v2
	v_addc_co_u32_e32 v5, vcc, v5, v3, vcc
	v_mov_b32_e32 v8, s11
	v_add_co_u32_e32 v2, vcc, s10, v2
	v_addc_co_u32_e32 v3, vcc, v8, v3, vcc
	global_load_ushort v27, v[2:3], off
	global_load_ushort v30, v[4:5], off
	v_add_u32_e32 v6, 0x100, v6
.LBB120_224:
	s_or_b64 exec, exec, s[4:5]
	v_cmp_gt_i32_e32 vcc, s12, v6
	v_mov_b32_e32 v25, 0
	v_mov_b32_e32 v28, 0
	v_mov_b32_e32 v29, 0
	s_and_saveexec_b64 s[4:5], vcc
	s_cbranch_execz .LBB120_226
; %bb.225:
	v_add_u32_e32 v2, s2, v6
	v_mov_b32_e32 v3, 0
	v_lshlrev_b64 v[2:3], 1, v[2:3]
	v_mov_b32_e32 v5, s15
	v_add_co_u32_e32 v4, vcc, s14, v2
	v_addc_co_u32_e32 v5, vcc, v5, v3, vcc
	v_mov_b32_e32 v8, s11
	v_add_co_u32_e32 v2, vcc, s10, v2
	v_addc_co_u32_e32 v3, vcc, v8, v3, vcc
	global_load_ushort v28, v[2:3], off
	global_load_ushort v29, v[4:5], off
	v_add_u32_e32 v6, 0x100, v6
.LBB120_226:
	s_or_b64 exec, exec, s[4:5]
	v_cmp_gt_i32_e32 vcc, s12, v6
	v_mov_b32_e32 v26, 0
	s_and_saveexec_b64 s[4:5], vcc
	s_cbranch_execz .LBB120_228
; %bb.227:
	v_add_u32_e32 v2, s2, v6
	v_mov_b32_e32 v3, 0
	v_lshlrev_b64 v[2:3], 1, v[2:3]
	v_mov_b32_e32 v5, s15
	v_add_co_u32_e32 v4, vcc, s14, v2
	v_addc_co_u32_e32 v5, vcc, v5, v3, vcc
	v_mov_b32_e32 v8, s11
	v_add_co_u32_e32 v2, vcc, s10, v2
	v_addc_co_u32_e32 v3, vcc, v8, v3, vcc
	global_load_ushort v25, v[2:3], off
	global_load_ushort v26, v[4:5], off
	v_add_u32_e32 v6, 0x100, v6
.LBB120_228:
	s_or_b64 exec, exec, s[4:5]
	v_cmp_gt_i32_e32 vcc, s12, v6
	v_mov_b32_e32 v19, 0
	v_mov_b32_e32 v22, 0
	v_mov_b32_e32 v23, 0
	s_and_saveexec_b64 s[4:5], vcc
	s_cbranch_execz .LBB120_230
; %bb.229:
	v_add_u32_e32 v2, s2, v6
	v_mov_b32_e32 v3, 0
	v_lshlrev_b64 v[2:3], 1, v[2:3]
	v_mov_b32_e32 v5, s15
	v_add_co_u32_e32 v4, vcc, s14, v2
	v_addc_co_u32_e32 v5, vcc, v5, v3, vcc
	v_mov_b32_e32 v8, s11
	v_add_co_u32_e32 v2, vcc, s10, v2
	v_addc_co_u32_e32 v3, vcc, v8, v3, vcc
	global_load_ushort v22, v[2:3], off
	global_load_ushort v23, v[4:5], off
	v_add_u32_e32 v6, 0x100, v6
.LBB120_230:
	s_or_b64 exec, exec, s[4:5]
	v_cmp_gt_i32_e32 vcc, s12, v6
	v_mov_b32_e32 v20, 0
	s_and_saveexec_b64 s[4:5], vcc
	s_cbranch_execz .LBB120_232
; %bb.231:
	v_add_u32_e32 v2, s2, v6
	v_mov_b32_e32 v3, 0
	v_lshlrev_b64 v[2:3], 1, v[2:3]
	v_mov_b32_e32 v5, s15
	v_add_co_u32_e32 v4, vcc, s14, v2
	v_addc_co_u32_e32 v5, vcc, v5, v3, vcc
	v_mov_b32_e32 v8, s11
	v_add_co_u32_e32 v2, vcc, s10, v2
	v_addc_co_u32_e32 v3, vcc, v8, v3, vcc
	global_load_ushort v19, v[2:3], off
	global_load_ushort v20, v[4:5], off
	v_add_u32_e32 v6, 0x100, v6
.LBB120_232:
	s_or_b64 exec, exec, s[4:5]
	v_cmp_gt_i32_e32 vcc, s12, v6
	v_mov_b32_e32 v13, 0
	v_mov_b32_e32 v17, 0
	v_mov_b32_e32 v18, 0
	s_and_saveexec_b64 s[4:5], vcc
	s_cbranch_execz .LBB120_234
; %bb.233:
	v_add_u32_e32 v2, s2, v6
	v_mov_b32_e32 v3, 0
	v_lshlrev_b64 v[2:3], 1, v[2:3]
	v_mov_b32_e32 v5, s15
	v_add_co_u32_e32 v4, vcc, s14, v2
	v_addc_co_u32_e32 v5, vcc, v5, v3, vcc
	v_mov_b32_e32 v8, s11
	v_add_co_u32_e32 v2, vcc, s10, v2
	v_addc_co_u32_e32 v3, vcc, v8, v3, vcc
	global_load_ushort v17, v[2:3], off
	global_load_ushort v18, v[4:5], off
	v_add_u32_e32 v6, 0x100, v6
.LBB120_234:
	s_or_b64 exec, exec, s[4:5]
	v_cmp_gt_i32_e32 vcc, s12, v6
	v_mov_b32_e32 v15, 0
	s_and_saveexec_b64 s[4:5], vcc
	s_cbranch_execz .LBB120_236
; %bb.235:
	v_add_u32_e32 v2, s2, v6
	v_mov_b32_e32 v3, 0
	v_lshlrev_b64 v[2:3], 1, v[2:3]
	v_mov_b32_e32 v5, s15
	v_add_co_u32_e32 v4, vcc, s14, v2
	v_addc_co_u32_e32 v5, vcc, v5, v3, vcc
	v_mov_b32_e32 v8, s11
	v_add_co_u32_e32 v2, vcc, s10, v2
	v_addc_co_u32_e32 v3, vcc, v8, v3, vcc
	global_load_ushort v13, v[2:3], off
	global_load_ushort v15, v[4:5], off
	v_add_u32_e32 v6, 0x100, v6
.LBB120_236:
	s_or_b64 exec, exec, s[4:5]
	v_cmp_gt_i32_e32 vcc, s12, v6
	v_mov_b32_e32 v8, 0
	v_mov_b32_e32 v11, 0
	v_mov_b32_e32 v12, 0
	s_and_saveexec_b64 s[4:5], vcc
	s_cbranch_execz .LBB120_238
; %bb.237:
	v_add_u32_e32 v2, s2, v6
	v_mov_b32_e32 v3, 0
	v_lshlrev_b64 v[2:3], 1, v[2:3]
	v_mov_b32_e32 v5, s15
	v_add_co_u32_e32 v4, vcc, s14, v2
	v_addc_co_u32_e32 v5, vcc, v5, v3, vcc
	v_mov_b32_e32 v9, s11
	v_add_co_u32_e32 v2, vcc, s10, v2
	v_addc_co_u32_e32 v3, vcc, v9, v3, vcc
	global_load_ushort v11, v[2:3], off
	global_load_ushort v12, v[4:5], off
	v_add_u32_e32 v6, 0x100, v6
.LBB120_238:
	s_or_b64 exec, exec, s[4:5]
	v_cmp_gt_i32_e32 vcc, s12, v6
	v_mov_b32_e32 v9, 0
	s_and_saveexec_b64 s[4:5], vcc
	s_cbranch_execz .LBB120_240
; %bb.239:
	v_add_u32_e32 v2, s2, v6
	v_mov_b32_e32 v3, 0
	v_lshlrev_b64 v[2:3], 1, v[2:3]
	v_mov_b32_e32 v5, s15
	v_add_co_u32_e32 v4, vcc, s14, v2
	v_addc_co_u32_e32 v5, vcc, v5, v3, vcc
	v_mov_b32_e32 v8, s11
	v_add_co_u32_e32 v2, vcc, s10, v2
	v_addc_co_u32_e32 v3, vcc, v8, v3, vcc
	global_load_ushort v8, v[2:3], off
	global_load_ushort v9, v[4:5], off
	v_add_u32_e32 v6, 0x100, v6
.LBB120_240:
	s_or_b64 exec, exec, s[4:5]
	v_cmp_gt_i32_e32 vcc, s12, v6
	v_mov_b32_e32 v2, 0
	v_mov_b32_e32 v4, 0
	v_mov_b32_e32 v5, 0
	s_and_saveexec_b64 s[4:5], vcc
	s_cbranch_execz .LBB120_242
; %bb.241:
	v_add_u32_e32 v3, s2, v6
	v_mov_b32_e32 v4, 0
	v_lshlrev_b64 v[3:4], 1, v[3:4]
	v_mov_b32_e32 v5, s15
	v_add_co_u32_e32 v35, vcc, s14, v3
	v_addc_co_u32_e32 v36, vcc, v5, v4, vcc
	v_mov_b32_e32 v5, s11
	v_add_co_u32_e32 v37, vcc, s10, v3
	v_addc_co_u32_e32 v38, vcc, v5, v4, vcc
	global_load_ushort v4, v[37:38], off
	global_load_ushort v5, v[35:36], off
	v_add_u32_e32 v6, 0x100, v6
.LBB120_242:
	s_or_b64 exec, exec, s[4:5]
	v_cmp_gt_i32_e32 vcc, s12, v6
	v_mov_b32_e32 v3, 0
	s_and_saveexec_b64 s[4:5], vcc
	s_cbranch_execz .LBB120_244
; %bb.243:
	v_add_u32_e32 v2, s2, v6
	v_mov_b32_e32 v3, 0
	v_lshlrev_b64 v[2:3], 1, v[2:3]
	v_mov_b32_e32 v6, s15
	v_add_co_u32_e32 v35, vcc, s14, v2
	v_addc_co_u32_e32 v36, vcc, v6, v3, vcc
	v_mov_b32_e32 v6, s11
	v_add_co_u32_e32 v37, vcc, s10, v2
	v_addc_co_u32_e32 v38, vcc, v6, v3, vcc
	global_load_ushort v2, v[37:38], off
	global_load_ushort v3, v[35:36], off
.LBB120_244:
	s_or_b64 exec, exec, s[4:5]
                                        ; implicit-def: $vgpr6
	s_and_saveexec_b64 s[4:5], s[0:1]
	s_cbranch_execz .LBB120_276
; %bb.245:
	s_cmp_lt_i32 s13, 1
	s_mov_b64 s[6:7], 0
	s_cbranch_scc1 .LBB120_250
; %bb.246:
	s_cmp_gt_i32 s13, 1
	s_cbranch_scc0 .LBB120_266
; %bb.247:
	s_cmp_eq_u32 s13, 2
	s_cbranch_scc0 .LBB120_267
; %bb.248:
	s_waitcnt vmcnt(0)
	v_cmp_le_f16_e64 s[10:11], v7, v10
	s_mov_b64 s[14:15], 0
	s_branch .LBB120_268
.LBB120_249:
	s_waitcnt vmcnt(0)
	v_cmp_lt_f16_sdwa s[46:47], v4, v8 src0_sel:WORD_1 src1_sel:WORD_1
	s_andn2_b64 s[42:43], s[42:43], exec
	s_and_b64 s[46:47], s[46:47], exec
	s_or_b64 s[42:43], s[42:43], s[46:47]
	s_cbranch_execz .LBB120_209
	s_branch .LBB120_210
.LBB120_250:
                                        ; implicit-def: $sgpr10_sgpr11
	s_mov_b64 s[14:15], 0
	s_cbranch_execnz .LBB120_271
	s_branch .LBB120_272
.LBB120_251:
	s_mov_b64 s[16:17], -1
                                        ; implicit-def: $sgpr4_sgpr5
	s_branch .LBB120_23
.LBB120_252:
	s_mov_b64 s[18:19], -1
                                        ; implicit-def: $sgpr6_sgpr7
	s_branch .LBB120_36
.LBB120_253:
	s_mov_b64 s[20:21], -1
                                        ; implicit-def: $sgpr16_sgpr17
	s_branch .LBB120_49
.LBB120_254:
	s_mov_b64 s[22:23], -1
                                        ; implicit-def: $sgpr18_sgpr19
	s_branch .LBB120_62
.LBB120_255:
	s_mov_b64 s[24:25], -1
                                        ; implicit-def: $sgpr20_sgpr21
	s_branch .LBB120_75
.LBB120_256:
	s_mov_b64 s[26:27], -1
                                        ; implicit-def: $sgpr22_sgpr23
	s_branch .LBB120_88
.LBB120_257:
	s_mov_b64 s[28:29], -1
                                        ; implicit-def: $sgpr24_sgpr25
	s_branch .LBB120_101
.LBB120_258:
	s_mov_b64 s[30:31], -1
                                        ; implicit-def: $sgpr26_sgpr27
	s_branch .LBB120_114
.LBB120_259:
	s_mov_b64 s[34:35], -1
                                        ; implicit-def: $sgpr28_sgpr29
	s_branch .LBB120_127
.LBB120_260:
	s_mov_b64 s[36:37], -1
                                        ; implicit-def: $sgpr30_sgpr31
	s_branch .LBB120_140
.LBB120_261:
	s_mov_b64 s[38:39], -1
                                        ; implicit-def: $sgpr34_sgpr35
	s_branch .LBB120_153
.LBB120_262:
	s_mov_b64 s[40:41], -1
                                        ; implicit-def: $sgpr36_sgpr37
	s_branch .LBB120_166
.LBB120_263:
	s_mov_b64 s[42:43], -1
                                        ; implicit-def: $sgpr38_sgpr39
	s_branch .LBB120_179
.LBB120_264:
	s_mov_b64 s[44:45], -1
                                        ; implicit-def: $sgpr40_sgpr41
	s_branch .LBB120_192
.LBB120_265:
	s_mov_b64 s[46:47], -1
                                        ; implicit-def: $sgpr42_sgpr43
	s_branch .LBB120_205
.LBB120_266:
	s_mov_b64 s[14:15], 0
                                        ; implicit-def: $sgpr10_sgpr11
	s_cbranch_execnz .LBB120_269
	s_branch .LBB120_270
.LBB120_267:
	s_mov_b64 s[14:15], -1
                                        ; implicit-def: $sgpr10_sgpr11
.LBB120_268:
	s_branch .LBB120_270
.LBB120_269:
	s_waitcnt vmcnt(0)
	v_cmp_gt_f16_e32 vcc, v7, v10
	s_andn2_b64 s[10:11], s[10:11], exec
	s_and_b64 s[16:17], vcc, exec
	s_or_b64 s[10:11], s[10:11], s[16:17]
.LBB120_270:
	s_branch .LBB120_272
.LBB120_271:
	s_cmp_lg_u32 s13, 0
	s_mov_b64 s[6:7], -1
	s_cselect_b64 s[14:15], -1, 0
.LBB120_272:
	s_andn2_b64 vcc, exec, s[14:15]
	s_cbranch_vccz .LBB120_281
; %bb.273:
	s_andn2_b64 vcc, exec, s[6:7]
	s_cbranch_vccnz .LBB120_275
.LBB120_274:
	s_waitcnt vmcnt(0)
	v_cmp_ge_f16_e32 vcc, v7, v10
	s_andn2_b64 s[6:7], s[10:11], exec
	s_and_b64 s[10:11], vcc, exec
	s_or_b64 s[10:11], s[6:7], s[10:11]
.LBB120_275:
	v_cndmask_b32_e64 v6, 0, 1, s[10:11]
.LBB120_276:
	s_or_b64 exec, exec, s[4:5]
	s_waitcnt vmcnt(1)
	v_or_b32_e32 v7, 0x100, v0
	v_cmp_gt_i32_e32 vcc, s12, v7
                                        ; implicit-def: $vgpr10
	s_and_saveexec_b64 s[4:5], vcc
	s_cbranch_execz .LBB120_291
; %bb.277:
	s_cmp_lt_i32 s13, 1
	s_mov_b64 s[6:7], 0
	s_cbranch_scc1 .LBB120_282
; %bb.278:
	s_cmp_gt_i32 s13, 1
	s_cbranch_scc0 .LBB120_283
; %bb.279:
	s_cmp_eq_u32 s13, 2
	s_cbranch_scc0 .LBB120_535
; %bb.280:
	s_waitcnt vmcnt(0)
	v_cmp_le_f16_e64 s[10:11], v14, v34
	s_mov_b64 s[14:15], 0
	s_branch .LBB120_285
.LBB120_281:
	s_waitcnt vmcnt(0)
	v_cmp_lt_f16_e32 vcc, v7, v10
	s_andn2_b64 s[10:11], s[10:11], exec
	s_and_b64 s[14:15], vcc, exec
	s_or_b64 s[10:11], s[10:11], s[14:15]
	s_cbranch_execz .LBB120_274
	s_branch .LBB120_275
.LBB120_282:
                                        ; implicit-def: $sgpr10_sgpr11
	s_mov_b64 s[14:15], 0
	s_cbranch_execnz .LBB120_286
	s_branch .LBB120_287
.LBB120_283:
	s_mov_b64 s[14:15], 0
                                        ; implicit-def: $sgpr10_sgpr11
	s_cbranch_execz .LBB120_285
; %bb.284:
	s_waitcnt vmcnt(0)
	v_cmp_gt_f16_e32 vcc, v14, v34
	s_andn2_b64 s[10:11], s[10:11], exec
	s_and_b64 s[16:17], vcc, exec
	s_or_b64 s[10:11], s[10:11], s[16:17]
.LBB120_285:
	s_branch .LBB120_287
.LBB120_286:
	s_cmp_lg_u32 s13, 0
	s_mov_b64 s[6:7], -1
	s_cselect_b64 s[14:15], -1, 0
.LBB120_287:
	s_andn2_b64 vcc, exec, s[14:15]
	s_cbranch_vccz .LBB120_296
; %bb.288:
	s_andn2_b64 vcc, exec, s[6:7]
	s_cbranch_vccnz .LBB120_290
.LBB120_289:
	s_waitcnt vmcnt(0)
	v_cmp_ge_f16_e32 vcc, v14, v34
	s_andn2_b64 s[6:7], s[10:11], exec
	s_and_b64 s[10:11], vcc, exec
	s_or_b64 s[10:11], s[6:7], s[10:11]
.LBB120_290:
	s_waitcnt vmcnt(0)
	v_cndmask_b32_e64 v10, 0, 1, s[10:11]
.LBB120_291:
	s_or_b64 exec, exec, s[4:5]
	v_or_b32_e32 v14, 0x200, v0
	v_cmp_gt_i32_e32 vcc, s12, v14
                                        ; implicit-def: $vgpr14
	s_and_saveexec_b64 s[4:5], vcc
	s_cbranch_execz .LBB120_306
; %bb.292:
	s_cmp_lt_i32 s13, 1
	s_mov_b64 s[6:7], 0
	s_cbranch_scc1 .LBB120_297
; %bb.293:
	s_cmp_gt_i32 s13, 1
	s_cbranch_scc0 .LBB120_298
; %bb.294:
	s_cmp_eq_u32 s13, 2
	s_cbranch_scc0 .LBB120_536
; %bb.295:
	s_waitcnt vmcnt(0)
	v_cmp_le_f16_e64 s[10:11], v16, v33
	s_mov_b64 s[14:15], 0
	s_branch .LBB120_300
.LBB120_296:
	s_waitcnt vmcnt(0)
	v_cmp_lt_f16_e32 vcc, v14, v34
	s_andn2_b64 s[10:11], s[10:11], exec
	s_and_b64 s[14:15], vcc, exec
	s_or_b64 s[10:11], s[10:11], s[14:15]
	s_cbranch_execz .LBB120_289
	s_branch .LBB120_290
.LBB120_297:
                                        ; implicit-def: $sgpr10_sgpr11
	s_mov_b64 s[14:15], 0
	s_cbranch_execnz .LBB120_301
	s_branch .LBB120_302
.LBB120_298:
	s_mov_b64 s[14:15], 0
                                        ; implicit-def: $sgpr10_sgpr11
	s_cbranch_execz .LBB120_300
; %bb.299:
	s_waitcnt vmcnt(0)
	v_cmp_gt_f16_e32 vcc, v16, v33
	s_andn2_b64 s[10:11], s[10:11], exec
	s_and_b64 s[16:17], vcc, exec
	s_or_b64 s[10:11], s[10:11], s[16:17]
.LBB120_300:
	s_branch .LBB120_302
.LBB120_301:
	s_cmp_lg_u32 s13, 0
	s_mov_b64 s[6:7], -1
	s_cselect_b64 s[14:15], -1, 0
.LBB120_302:
	s_andn2_b64 vcc, exec, s[14:15]
	s_cbranch_vccz .LBB120_311
; %bb.303:
	s_andn2_b64 vcc, exec, s[6:7]
	s_cbranch_vccnz .LBB120_305
.LBB120_304:
	s_waitcnt vmcnt(0)
	v_cmp_ge_f16_e32 vcc, v16, v33
	s_andn2_b64 s[6:7], s[10:11], exec
	s_and_b64 s[10:11], vcc, exec
	s_or_b64 s[10:11], s[6:7], s[10:11]
.LBB120_305:
	v_cndmask_b32_e64 v14, 0, 1, s[10:11]
.LBB120_306:
	s_or_b64 exec, exec, s[4:5]
	v_or_b32_e32 v16, 0x300, v0
	v_cmp_gt_i32_e32 vcc, s12, v16
                                        ; implicit-def: $vgpr16
	s_and_saveexec_b64 s[4:5], vcc
	s_cbranch_execz .LBB120_321
; %bb.307:
	s_cmp_lt_i32 s13, 1
	s_mov_b64 s[6:7], 0
	s_cbranch_scc1 .LBB120_312
; %bb.308:
	s_cmp_gt_i32 s13, 1
	s_cbranch_scc0 .LBB120_313
; %bb.309:
	s_cmp_eq_u32 s13, 2
	s_cbranch_scc0 .LBB120_537
; %bb.310:
	s_waitcnt vmcnt(0)
	v_cmp_le_f16_e64 s[10:11], v21, v32
	s_mov_b64 s[14:15], 0
	s_branch .LBB120_315
.LBB120_311:
	s_waitcnt vmcnt(0)
	v_cmp_lt_f16_e32 vcc, v16, v33
	s_andn2_b64 s[10:11], s[10:11], exec
	s_and_b64 s[14:15], vcc, exec
	s_or_b64 s[10:11], s[10:11], s[14:15]
	s_cbranch_execz .LBB120_304
	s_branch .LBB120_305
.LBB120_312:
                                        ; implicit-def: $sgpr10_sgpr11
	s_mov_b64 s[14:15], 0
	s_cbranch_execnz .LBB120_316
	s_branch .LBB120_317
.LBB120_313:
	s_mov_b64 s[14:15], 0
                                        ; implicit-def: $sgpr10_sgpr11
	s_cbranch_execz .LBB120_315
; %bb.314:
	s_waitcnt vmcnt(0)
	v_cmp_gt_f16_e32 vcc, v21, v32
	s_andn2_b64 s[10:11], s[10:11], exec
	s_and_b64 s[16:17], vcc, exec
	s_or_b64 s[10:11], s[10:11], s[16:17]
.LBB120_315:
	s_branch .LBB120_317
.LBB120_316:
	s_cmp_lg_u32 s13, 0
	s_mov_b64 s[6:7], -1
	s_cselect_b64 s[14:15], -1, 0
.LBB120_317:
	s_andn2_b64 vcc, exec, s[14:15]
	s_cbranch_vccz .LBB120_326
; %bb.318:
	s_andn2_b64 vcc, exec, s[6:7]
	s_cbranch_vccnz .LBB120_320
.LBB120_319:
	s_waitcnt vmcnt(0)
	v_cmp_ge_f16_e32 vcc, v21, v32
	s_andn2_b64 s[6:7], s[10:11], exec
	s_and_b64 s[10:11], vcc, exec
	s_or_b64 s[10:11], s[6:7], s[10:11]
.LBB120_320:
	v_cndmask_b32_e64 v16, 0, 1, s[10:11]
.LBB120_321:
	s_or_b64 exec, exec, s[4:5]
	v_or_b32_e32 v21, 0x400, v0
	v_cmp_gt_i32_e32 vcc, s12, v21
                                        ; implicit-def: $vgpr21
	s_and_saveexec_b64 s[4:5], vcc
	s_cbranch_execz .LBB120_336
; %bb.322:
	s_cmp_lt_i32 s13, 1
	s_mov_b64 s[6:7], 0
	s_cbranch_scc1 .LBB120_327
; %bb.323:
	s_cmp_gt_i32 s13, 1
	s_cbranch_scc0 .LBB120_328
; %bb.324:
	s_cmp_eq_u32 s13, 2
	s_cbranch_scc0 .LBB120_538
; %bb.325:
	s_waitcnt vmcnt(0)
	v_cmp_le_f16_e64 s[10:11], v24, v31
	s_mov_b64 s[14:15], 0
	s_branch .LBB120_330
.LBB120_326:
	s_waitcnt vmcnt(0)
	v_cmp_lt_f16_e32 vcc, v21, v32
	s_andn2_b64 s[10:11], s[10:11], exec
	s_and_b64 s[14:15], vcc, exec
	s_or_b64 s[10:11], s[10:11], s[14:15]
	s_cbranch_execz .LBB120_319
	s_branch .LBB120_320
.LBB120_327:
                                        ; implicit-def: $sgpr10_sgpr11
	s_mov_b64 s[14:15], 0
	s_cbranch_execnz .LBB120_331
	s_branch .LBB120_332
.LBB120_328:
	s_mov_b64 s[14:15], 0
                                        ; implicit-def: $sgpr10_sgpr11
	s_cbranch_execz .LBB120_330
; %bb.329:
	s_waitcnt vmcnt(0)
	v_cmp_gt_f16_e32 vcc, v24, v31
	s_andn2_b64 s[10:11], s[10:11], exec
	s_and_b64 s[16:17], vcc, exec
	s_or_b64 s[10:11], s[10:11], s[16:17]
.LBB120_330:
	s_branch .LBB120_332
.LBB120_331:
	s_cmp_lg_u32 s13, 0
	s_mov_b64 s[6:7], -1
	s_cselect_b64 s[14:15], -1, 0
.LBB120_332:
	s_andn2_b64 vcc, exec, s[14:15]
	s_cbranch_vccz .LBB120_341
; %bb.333:
	s_andn2_b64 vcc, exec, s[6:7]
	s_cbranch_vccnz .LBB120_335
.LBB120_334:
	s_waitcnt vmcnt(0)
	v_cmp_ge_f16_e32 vcc, v24, v31
	s_andn2_b64 s[6:7], s[10:11], exec
	s_and_b64 s[10:11], vcc, exec
	s_or_b64 s[10:11], s[6:7], s[10:11]
.LBB120_335:
	v_cndmask_b32_e64 v21, 0, 1, s[10:11]
.LBB120_336:
	s_or_b64 exec, exec, s[4:5]
	v_or_b32_e32 v24, 0x500, v0
	v_cmp_gt_i32_e32 vcc, s12, v24
                                        ; implicit-def: $vgpr24
	s_and_saveexec_b64 s[4:5], vcc
	s_cbranch_execz .LBB120_351
; %bb.337:
	s_cmp_lt_i32 s13, 1
	s_mov_b64 s[6:7], 0
	s_cbranch_scc1 .LBB120_342
; %bb.338:
	s_cmp_gt_i32 s13, 1
	s_cbranch_scc0 .LBB120_343
; %bb.339:
	s_cmp_eq_u32 s13, 2
	s_cbranch_scc0 .LBB120_539
; %bb.340:
	s_waitcnt vmcnt(0)
	v_cmp_le_f16_e64 s[10:11], v27, v30
	s_mov_b64 s[14:15], 0
	s_branch .LBB120_345
.LBB120_341:
	s_waitcnt vmcnt(0)
	v_cmp_lt_f16_e32 vcc, v24, v31
	s_andn2_b64 s[10:11], s[10:11], exec
	s_and_b64 s[14:15], vcc, exec
	s_or_b64 s[10:11], s[10:11], s[14:15]
	s_cbranch_execz .LBB120_334
	s_branch .LBB120_335
.LBB120_342:
                                        ; implicit-def: $sgpr10_sgpr11
	s_mov_b64 s[14:15], 0
	s_cbranch_execnz .LBB120_346
	s_branch .LBB120_347
.LBB120_343:
	s_mov_b64 s[14:15], 0
                                        ; implicit-def: $sgpr10_sgpr11
	s_cbranch_execz .LBB120_345
; %bb.344:
	s_waitcnt vmcnt(0)
	v_cmp_gt_f16_e32 vcc, v27, v30
	s_andn2_b64 s[10:11], s[10:11], exec
	s_and_b64 s[16:17], vcc, exec
	s_or_b64 s[10:11], s[10:11], s[16:17]
.LBB120_345:
	s_branch .LBB120_347
.LBB120_346:
	s_cmp_lg_u32 s13, 0
	s_mov_b64 s[6:7], -1
	s_cselect_b64 s[14:15], -1, 0
.LBB120_347:
	s_andn2_b64 vcc, exec, s[14:15]
	s_cbranch_vccz .LBB120_356
; %bb.348:
	s_andn2_b64 vcc, exec, s[6:7]
	s_cbranch_vccnz .LBB120_350
.LBB120_349:
	s_waitcnt vmcnt(0)
	v_cmp_ge_f16_e32 vcc, v27, v30
	s_andn2_b64 s[6:7], s[10:11], exec
	s_and_b64 s[10:11], vcc, exec
	s_or_b64 s[10:11], s[6:7], s[10:11]
.LBB120_350:
	v_cndmask_b32_e64 v24, 0, 1, s[10:11]
.LBB120_351:
	s_or_b64 exec, exec, s[4:5]
	v_or_b32_e32 v27, 0x600, v0
	v_cmp_gt_i32_e32 vcc, s12, v27
                                        ; implicit-def: $vgpr27
	s_and_saveexec_b64 s[4:5], vcc
	s_cbranch_execz .LBB120_366
; %bb.352:
	s_cmp_lt_i32 s13, 1
	s_mov_b64 s[6:7], 0
	s_cbranch_scc1 .LBB120_357
; %bb.353:
	s_cmp_gt_i32 s13, 1
	s_cbranch_scc0 .LBB120_358
; %bb.354:
	s_cmp_eq_u32 s13, 2
	s_cbranch_scc0 .LBB120_540
; %bb.355:
	s_waitcnt vmcnt(0)
	v_cmp_le_f16_e64 s[10:11], v28, v29
	s_mov_b64 s[14:15], 0
	s_branch .LBB120_360
.LBB120_356:
	s_waitcnt vmcnt(0)
	v_cmp_lt_f16_e32 vcc, v27, v30
	s_andn2_b64 s[10:11], s[10:11], exec
	s_and_b64 s[14:15], vcc, exec
	s_or_b64 s[10:11], s[10:11], s[14:15]
	s_cbranch_execz .LBB120_349
	s_branch .LBB120_350
.LBB120_357:
                                        ; implicit-def: $sgpr10_sgpr11
	s_mov_b64 s[14:15], 0
	s_cbranch_execnz .LBB120_361
	s_branch .LBB120_362
.LBB120_358:
	s_mov_b64 s[14:15], 0
                                        ; implicit-def: $sgpr10_sgpr11
	s_cbranch_execz .LBB120_360
; %bb.359:
	s_waitcnt vmcnt(0)
	v_cmp_gt_f16_e32 vcc, v28, v29
	s_andn2_b64 s[10:11], s[10:11], exec
	s_and_b64 s[16:17], vcc, exec
	s_or_b64 s[10:11], s[10:11], s[16:17]
.LBB120_360:
	s_branch .LBB120_362
.LBB120_361:
	s_cmp_lg_u32 s13, 0
	s_mov_b64 s[6:7], -1
	s_cselect_b64 s[14:15], -1, 0
.LBB120_362:
	s_andn2_b64 vcc, exec, s[14:15]
	s_cbranch_vccz .LBB120_371
; %bb.363:
	s_andn2_b64 vcc, exec, s[6:7]
	s_cbranch_vccnz .LBB120_365
.LBB120_364:
	s_waitcnt vmcnt(0)
	v_cmp_ge_f16_e32 vcc, v28, v29
	s_andn2_b64 s[6:7], s[10:11], exec
	s_and_b64 s[10:11], vcc, exec
	s_or_b64 s[10:11], s[6:7], s[10:11]
.LBB120_365:
	v_cndmask_b32_e64 v27, 0, 1, s[10:11]
.LBB120_366:
	s_or_b64 exec, exec, s[4:5]
	v_or_b32_e32 v28, 0x700, v0
	v_cmp_gt_i32_e32 vcc, s12, v28
                                        ; implicit-def: $vgpr28
	s_and_saveexec_b64 s[4:5], vcc
	s_cbranch_execz .LBB120_381
; %bb.367:
	s_cmp_lt_i32 s13, 1
	s_mov_b64 s[6:7], 0
	s_cbranch_scc1 .LBB120_372
; %bb.368:
	s_cmp_gt_i32 s13, 1
	s_cbranch_scc0 .LBB120_373
; %bb.369:
	s_cmp_eq_u32 s13, 2
	s_cbranch_scc0 .LBB120_541
; %bb.370:
	s_waitcnt vmcnt(0)
	v_cmp_le_f16_e64 s[10:11], v25, v26
	s_mov_b64 s[14:15], 0
	s_branch .LBB120_375
.LBB120_371:
	s_waitcnt vmcnt(0)
	v_cmp_lt_f16_e32 vcc, v28, v29
	s_andn2_b64 s[10:11], s[10:11], exec
	s_and_b64 s[14:15], vcc, exec
	s_or_b64 s[10:11], s[10:11], s[14:15]
	s_cbranch_execz .LBB120_364
	s_branch .LBB120_365
.LBB120_372:
                                        ; implicit-def: $sgpr10_sgpr11
	s_mov_b64 s[14:15], 0
	s_cbranch_execnz .LBB120_376
	s_branch .LBB120_377
.LBB120_373:
	s_mov_b64 s[14:15], 0
                                        ; implicit-def: $sgpr10_sgpr11
	s_cbranch_execz .LBB120_375
; %bb.374:
	s_waitcnt vmcnt(0)
	v_cmp_gt_f16_e32 vcc, v25, v26
	s_andn2_b64 s[10:11], s[10:11], exec
	s_and_b64 s[16:17], vcc, exec
	s_or_b64 s[10:11], s[10:11], s[16:17]
.LBB120_375:
	s_branch .LBB120_377
.LBB120_376:
	s_cmp_lg_u32 s13, 0
	s_mov_b64 s[6:7], -1
	s_cselect_b64 s[14:15], -1, 0
.LBB120_377:
	s_andn2_b64 vcc, exec, s[14:15]
	s_cbranch_vccz .LBB120_386
; %bb.378:
	s_andn2_b64 vcc, exec, s[6:7]
	s_cbranch_vccnz .LBB120_380
.LBB120_379:
	s_waitcnt vmcnt(0)
	v_cmp_ge_f16_e32 vcc, v25, v26
	s_andn2_b64 s[6:7], s[10:11], exec
	s_and_b64 s[10:11], vcc, exec
	s_or_b64 s[10:11], s[6:7], s[10:11]
.LBB120_380:
	v_cndmask_b32_e64 v28, 0, 1, s[10:11]
.LBB120_381:
	s_or_b64 exec, exec, s[4:5]
	v_or_b32_e32 v25, 0x800, v0
	v_cmp_gt_i32_e32 vcc, s12, v25
                                        ; implicit-def: $vgpr25
	s_and_saveexec_b64 s[4:5], vcc
	s_cbranch_execz .LBB120_396
; %bb.382:
	s_cmp_lt_i32 s13, 1
	s_mov_b64 s[6:7], 0
	s_cbranch_scc1 .LBB120_387
; %bb.383:
	s_cmp_gt_i32 s13, 1
	s_cbranch_scc0 .LBB120_388
; %bb.384:
	s_cmp_eq_u32 s13, 2
	s_cbranch_scc0 .LBB120_542
; %bb.385:
	s_waitcnt vmcnt(0)
	v_cmp_le_f16_e64 s[10:11], v22, v23
	s_mov_b64 s[14:15], 0
	s_branch .LBB120_390
.LBB120_386:
	s_waitcnt vmcnt(0)
	v_cmp_lt_f16_e32 vcc, v25, v26
	s_andn2_b64 s[10:11], s[10:11], exec
	s_and_b64 s[14:15], vcc, exec
	s_or_b64 s[10:11], s[10:11], s[14:15]
	s_cbranch_execz .LBB120_379
	s_branch .LBB120_380
.LBB120_387:
                                        ; implicit-def: $sgpr10_sgpr11
	s_mov_b64 s[14:15], 0
	s_cbranch_execnz .LBB120_391
	s_branch .LBB120_392
.LBB120_388:
	s_mov_b64 s[14:15], 0
                                        ; implicit-def: $sgpr10_sgpr11
	s_cbranch_execz .LBB120_390
; %bb.389:
	s_waitcnt vmcnt(0)
	v_cmp_gt_f16_e32 vcc, v22, v23
	s_andn2_b64 s[10:11], s[10:11], exec
	s_and_b64 s[16:17], vcc, exec
	s_or_b64 s[10:11], s[10:11], s[16:17]
.LBB120_390:
	s_branch .LBB120_392
.LBB120_391:
	s_cmp_lg_u32 s13, 0
	s_mov_b64 s[6:7], -1
	s_cselect_b64 s[14:15], -1, 0
.LBB120_392:
	s_andn2_b64 vcc, exec, s[14:15]
	s_cbranch_vccz .LBB120_401
; %bb.393:
	s_andn2_b64 vcc, exec, s[6:7]
	s_cbranch_vccnz .LBB120_395
.LBB120_394:
	s_waitcnt vmcnt(0)
	v_cmp_ge_f16_e32 vcc, v22, v23
	s_andn2_b64 s[6:7], s[10:11], exec
	s_and_b64 s[10:11], vcc, exec
	s_or_b64 s[10:11], s[6:7], s[10:11]
.LBB120_395:
	v_cndmask_b32_e64 v25, 0, 1, s[10:11]
.LBB120_396:
	s_or_b64 exec, exec, s[4:5]
	v_or_b32_e32 v22, 0x900, v0
	v_cmp_gt_i32_e32 vcc, s12, v22
                                        ; implicit-def: $vgpr22
	s_and_saveexec_b64 s[4:5], vcc
	s_cbranch_execz .LBB120_411
; %bb.397:
	s_cmp_lt_i32 s13, 1
	s_mov_b64 s[6:7], 0
	s_cbranch_scc1 .LBB120_402
; %bb.398:
	s_cmp_gt_i32 s13, 1
	s_cbranch_scc0 .LBB120_403
; %bb.399:
	s_cmp_eq_u32 s13, 2
	s_cbranch_scc0 .LBB120_543
; %bb.400:
	s_waitcnt vmcnt(0)
	v_cmp_le_f16_e64 s[10:11], v19, v20
	s_mov_b64 s[14:15], 0
	s_branch .LBB120_405
.LBB120_401:
	s_waitcnt vmcnt(0)
	v_cmp_lt_f16_e32 vcc, v22, v23
	s_andn2_b64 s[10:11], s[10:11], exec
	s_and_b64 s[14:15], vcc, exec
	s_or_b64 s[10:11], s[10:11], s[14:15]
	s_cbranch_execz .LBB120_394
	s_branch .LBB120_395
.LBB120_402:
                                        ; implicit-def: $sgpr10_sgpr11
	s_mov_b64 s[14:15], 0
	s_cbranch_execnz .LBB120_406
	s_branch .LBB120_407
.LBB120_403:
	s_mov_b64 s[14:15], 0
                                        ; implicit-def: $sgpr10_sgpr11
	s_cbranch_execz .LBB120_405
; %bb.404:
	s_waitcnt vmcnt(0)
	v_cmp_gt_f16_e32 vcc, v19, v20
	s_andn2_b64 s[10:11], s[10:11], exec
	s_and_b64 s[16:17], vcc, exec
	s_or_b64 s[10:11], s[10:11], s[16:17]
.LBB120_405:
	s_branch .LBB120_407
.LBB120_406:
	s_cmp_lg_u32 s13, 0
	s_mov_b64 s[6:7], -1
	s_cselect_b64 s[14:15], -1, 0
.LBB120_407:
	s_andn2_b64 vcc, exec, s[14:15]
	s_cbranch_vccz .LBB120_416
; %bb.408:
	s_andn2_b64 vcc, exec, s[6:7]
	s_cbranch_vccnz .LBB120_410
.LBB120_409:
	s_waitcnt vmcnt(0)
	v_cmp_ge_f16_e32 vcc, v19, v20
	s_andn2_b64 s[6:7], s[10:11], exec
	s_and_b64 s[10:11], vcc, exec
	s_or_b64 s[10:11], s[6:7], s[10:11]
.LBB120_410:
	v_cndmask_b32_e64 v22, 0, 1, s[10:11]
.LBB120_411:
	s_or_b64 exec, exec, s[4:5]
	v_or_b32_e32 v19, 0xa00, v0
	v_cmp_gt_i32_e32 vcc, s12, v19
                                        ; implicit-def: $vgpr19
	s_and_saveexec_b64 s[4:5], vcc
	s_cbranch_execz .LBB120_426
; %bb.412:
	s_cmp_lt_i32 s13, 1
	s_mov_b64 s[6:7], 0
	s_cbranch_scc1 .LBB120_417
; %bb.413:
	s_cmp_gt_i32 s13, 1
	s_cbranch_scc0 .LBB120_418
; %bb.414:
	s_cmp_eq_u32 s13, 2
	s_cbranch_scc0 .LBB120_544
; %bb.415:
	s_waitcnt vmcnt(0)
	v_cmp_le_f16_e64 s[10:11], v17, v18
	s_mov_b64 s[14:15], 0
	s_branch .LBB120_420
.LBB120_416:
	s_waitcnt vmcnt(0)
	v_cmp_lt_f16_e32 vcc, v19, v20
	s_andn2_b64 s[10:11], s[10:11], exec
	s_and_b64 s[14:15], vcc, exec
	s_or_b64 s[10:11], s[10:11], s[14:15]
	s_cbranch_execz .LBB120_409
	s_branch .LBB120_410
.LBB120_417:
                                        ; implicit-def: $sgpr10_sgpr11
	s_mov_b64 s[14:15], 0
	s_cbranch_execnz .LBB120_421
	s_branch .LBB120_422
.LBB120_418:
	s_mov_b64 s[14:15], 0
                                        ; implicit-def: $sgpr10_sgpr11
	s_cbranch_execz .LBB120_420
; %bb.419:
	s_waitcnt vmcnt(0)
	v_cmp_gt_f16_e32 vcc, v17, v18
	s_andn2_b64 s[10:11], s[10:11], exec
	s_and_b64 s[16:17], vcc, exec
	s_or_b64 s[10:11], s[10:11], s[16:17]
.LBB120_420:
	s_branch .LBB120_422
.LBB120_421:
	s_cmp_lg_u32 s13, 0
	s_mov_b64 s[6:7], -1
	s_cselect_b64 s[14:15], -1, 0
.LBB120_422:
	s_andn2_b64 vcc, exec, s[14:15]
	s_cbranch_vccz .LBB120_431
; %bb.423:
	s_andn2_b64 vcc, exec, s[6:7]
	s_cbranch_vccnz .LBB120_425
.LBB120_424:
	s_waitcnt vmcnt(0)
	v_cmp_ge_f16_e32 vcc, v17, v18
	s_andn2_b64 s[6:7], s[10:11], exec
	s_and_b64 s[10:11], vcc, exec
	s_or_b64 s[10:11], s[6:7], s[10:11]
.LBB120_425:
	v_cndmask_b32_e64 v19, 0, 1, s[10:11]
.LBB120_426:
	s_or_b64 exec, exec, s[4:5]
	v_or_b32_e32 v17, 0xb00, v0
	v_cmp_gt_i32_e32 vcc, s12, v17
                                        ; implicit-def: $vgpr17
	s_and_saveexec_b64 s[4:5], vcc
	s_cbranch_execz .LBB120_441
; %bb.427:
	s_cmp_lt_i32 s13, 1
	s_mov_b64 s[6:7], 0
	s_cbranch_scc1 .LBB120_432
; %bb.428:
	s_cmp_gt_i32 s13, 1
	s_cbranch_scc0 .LBB120_433
; %bb.429:
	s_cmp_eq_u32 s13, 2
	s_cbranch_scc0 .LBB120_545
; %bb.430:
	s_waitcnt vmcnt(0)
	v_cmp_le_f16_e64 s[10:11], v13, v15
	s_mov_b64 s[14:15], 0
	s_branch .LBB120_435
.LBB120_431:
	s_waitcnt vmcnt(0)
	v_cmp_lt_f16_e32 vcc, v17, v18
	s_andn2_b64 s[10:11], s[10:11], exec
	s_and_b64 s[14:15], vcc, exec
	s_or_b64 s[10:11], s[10:11], s[14:15]
	s_cbranch_execz .LBB120_424
	s_branch .LBB120_425
.LBB120_432:
                                        ; implicit-def: $sgpr10_sgpr11
	s_mov_b64 s[14:15], 0
	s_cbranch_execnz .LBB120_436
	s_branch .LBB120_437
.LBB120_433:
	s_mov_b64 s[14:15], 0
                                        ; implicit-def: $sgpr10_sgpr11
	s_cbranch_execz .LBB120_435
; %bb.434:
	s_waitcnt vmcnt(0)
	v_cmp_gt_f16_e32 vcc, v13, v15
	s_andn2_b64 s[10:11], s[10:11], exec
	s_and_b64 s[16:17], vcc, exec
	s_or_b64 s[10:11], s[10:11], s[16:17]
.LBB120_435:
	s_branch .LBB120_437
.LBB120_436:
	s_cmp_lg_u32 s13, 0
	s_mov_b64 s[6:7], -1
	s_cselect_b64 s[14:15], -1, 0
.LBB120_437:
	s_andn2_b64 vcc, exec, s[14:15]
	s_cbranch_vccz .LBB120_446
; %bb.438:
	s_andn2_b64 vcc, exec, s[6:7]
	s_cbranch_vccnz .LBB120_440
.LBB120_439:
	s_waitcnt vmcnt(0)
	v_cmp_ge_f16_e32 vcc, v13, v15
	s_andn2_b64 s[6:7], s[10:11], exec
	s_and_b64 s[10:11], vcc, exec
	s_or_b64 s[10:11], s[6:7], s[10:11]
.LBB120_440:
	v_cndmask_b32_e64 v17, 0, 1, s[10:11]
.LBB120_441:
	s_or_b64 exec, exec, s[4:5]
	v_or_b32_e32 v13, 0xc00, v0
	v_cmp_gt_i32_e32 vcc, s12, v13
                                        ; implicit-def: $vgpr13
	s_and_saveexec_b64 s[4:5], vcc
	s_cbranch_execz .LBB120_456
; %bb.442:
	s_cmp_lt_i32 s13, 1
	s_mov_b64 s[6:7], 0
	s_cbranch_scc1 .LBB120_447
; %bb.443:
	s_cmp_gt_i32 s13, 1
	s_cbranch_scc0 .LBB120_448
; %bb.444:
	s_cmp_eq_u32 s13, 2
	s_cbranch_scc0 .LBB120_546
; %bb.445:
	s_waitcnt vmcnt(0)
	v_cmp_le_f16_e64 s[10:11], v11, v12
	s_mov_b64 s[14:15], 0
	s_branch .LBB120_450
.LBB120_446:
	s_waitcnt vmcnt(0)
	v_cmp_lt_f16_e32 vcc, v13, v15
	s_andn2_b64 s[10:11], s[10:11], exec
	s_and_b64 s[14:15], vcc, exec
	s_or_b64 s[10:11], s[10:11], s[14:15]
	s_cbranch_execz .LBB120_439
	s_branch .LBB120_440
.LBB120_447:
                                        ; implicit-def: $sgpr10_sgpr11
	s_mov_b64 s[14:15], 0
	s_cbranch_execnz .LBB120_451
	s_branch .LBB120_452
.LBB120_448:
	s_mov_b64 s[14:15], 0
                                        ; implicit-def: $sgpr10_sgpr11
	s_cbranch_execz .LBB120_450
; %bb.449:
	s_waitcnt vmcnt(0)
	v_cmp_gt_f16_e32 vcc, v11, v12
	s_andn2_b64 s[10:11], s[10:11], exec
	s_and_b64 s[16:17], vcc, exec
	s_or_b64 s[10:11], s[10:11], s[16:17]
.LBB120_450:
	s_branch .LBB120_452
.LBB120_451:
	s_cmp_lg_u32 s13, 0
	s_mov_b64 s[6:7], -1
	s_cselect_b64 s[14:15], -1, 0
.LBB120_452:
	s_andn2_b64 vcc, exec, s[14:15]
	s_cbranch_vccz .LBB120_461
; %bb.453:
	s_andn2_b64 vcc, exec, s[6:7]
	s_cbranch_vccnz .LBB120_455
.LBB120_454:
	s_waitcnt vmcnt(0)
	v_cmp_ge_f16_e32 vcc, v11, v12
	s_andn2_b64 s[6:7], s[10:11], exec
	s_and_b64 s[10:11], vcc, exec
	s_or_b64 s[10:11], s[6:7], s[10:11]
.LBB120_455:
	v_cndmask_b32_e64 v13, 0, 1, s[10:11]
.LBB120_456:
	s_or_b64 exec, exec, s[4:5]
	v_or_b32_e32 v11, 0xd00, v0
	v_cmp_gt_i32_e32 vcc, s12, v11
                                        ; implicit-def: $vgpr11
	s_and_saveexec_b64 s[4:5], vcc
	s_cbranch_execz .LBB120_471
; %bb.457:
	s_cmp_lt_i32 s13, 1
	s_mov_b64 s[6:7], 0
	s_cbranch_scc1 .LBB120_462
; %bb.458:
	s_cmp_gt_i32 s13, 1
	s_cbranch_scc0 .LBB120_463
; %bb.459:
	s_cmp_eq_u32 s13, 2
	s_cbranch_scc0 .LBB120_547
; %bb.460:
	s_waitcnt vmcnt(0)
	v_cmp_le_f16_e64 s[10:11], v8, v9
	s_mov_b64 s[14:15], 0
	s_branch .LBB120_465
.LBB120_461:
	s_waitcnt vmcnt(0)
	v_cmp_lt_f16_e32 vcc, v11, v12
	s_andn2_b64 s[10:11], s[10:11], exec
	s_and_b64 s[14:15], vcc, exec
	s_or_b64 s[10:11], s[10:11], s[14:15]
	s_cbranch_execz .LBB120_454
	s_branch .LBB120_455
.LBB120_462:
                                        ; implicit-def: $sgpr10_sgpr11
	s_mov_b64 s[14:15], 0
	s_cbranch_execnz .LBB120_466
	s_branch .LBB120_467
.LBB120_463:
	s_mov_b64 s[14:15], 0
                                        ; implicit-def: $sgpr10_sgpr11
	s_cbranch_execz .LBB120_465
; %bb.464:
	s_waitcnt vmcnt(0)
	v_cmp_gt_f16_e32 vcc, v8, v9
	s_andn2_b64 s[10:11], s[10:11], exec
	s_and_b64 s[16:17], vcc, exec
	s_or_b64 s[10:11], s[10:11], s[16:17]
.LBB120_465:
	s_branch .LBB120_467
.LBB120_466:
	s_cmp_lg_u32 s13, 0
	s_mov_b64 s[6:7], -1
	s_cselect_b64 s[14:15], -1, 0
.LBB120_467:
	s_andn2_b64 vcc, exec, s[14:15]
	s_cbranch_vccz .LBB120_476
; %bb.468:
	s_andn2_b64 vcc, exec, s[6:7]
	s_cbranch_vccnz .LBB120_470
.LBB120_469:
	s_waitcnt vmcnt(0)
	v_cmp_ge_f16_e32 vcc, v8, v9
	s_andn2_b64 s[6:7], s[10:11], exec
	s_and_b64 s[10:11], vcc, exec
	s_or_b64 s[10:11], s[6:7], s[10:11]
.LBB120_470:
	v_cndmask_b32_e64 v11, 0, 1, s[10:11]
.LBB120_471:
	s_or_b64 exec, exec, s[4:5]
	v_or_b32_e32 v8, 0xe00, v0
	v_cmp_gt_i32_e32 vcc, s12, v8
                                        ; implicit-def: $vgpr8
	s_and_saveexec_b64 s[4:5], vcc
	s_cbranch_execz .LBB120_486
; %bb.472:
	s_cmp_lt_i32 s13, 1
	s_mov_b64 s[6:7], 0
	s_cbranch_scc1 .LBB120_477
; %bb.473:
	s_cmp_gt_i32 s13, 1
	s_cbranch_scc0 .LBB120_478
; %bb.474:
	s_cmp_eq_u32 s13, 2
	s_cbranch_scc0 .LBB120_548
; %bb.475:
	s_waitcnt vmcnt(0)
	v_cmp_le_f16_e64 s[10:11], v4, v5
	s_mov_b64 s[14:15], 0
	s_branch .LBB120_480
.LBB120_476:
	s_waitcnt vmcnt(0)
	v_cmp_lt_f16_e32 vcc, v8, v9
	s_andn2_b64 s[10:11], s[10:11], exec
	s_and_b64 s[14:15], vcc, exec
	s_or_b64 s[10:11], s[10:11], s[14:15]
	s_cbranch_execz .LBB120_469
	s_branch .LBB120_470
.LBB120_477:
                                        ; implicit-def: $sgpr10_sgpr11
	s_mov_b64 s[14:15], 0
	s_cbranch_execnz .LBB120_481
	s_branch .LBB120_482
.LBB120_478:
	s_mov_b64 s[14:15], 0
                                        ; implicit-def: $sgpr10_sgpr11
	s_cbranch_execz .LBB120_480
; %bb.479:
	s_waitcnt vmcnt(0)
	v_cmp_gt_f16_e32 vcc, v4, v5
	s_andn2_b64 s[10:11], s[10:11], exec
	s_and_b64 s[16:17], vcc, exec
	s_or_b64 s[10:11], s[10:11], s[16:17]
.LBB120_480:
	s_branch .LBB120_482
.LBB120_481:
	s_cmp_lg_u32 s13, 0
	s_mov_b64 s[6:7], -1
	s_cselect_b64 s[14:15], -1, 0
.LBB120_482:
	s_andn2_b64 vcc, exec, s[14:15]
	s_cbranch_vccz .LBB120_491
; %bb.483:
	s_andn2_b64 vcc, exec, s[6:7]
	s_cbranch_vccnz .LBB120_485
.LBB120_484:
	s_waitcnt vmcnt(0)
	v_cmp_ge_f16_e32 vcc, v4, v5
	s_andn2_b64 s[6:7], s[10:11], exec
	s_and_b64 s[10:11], vcc, exec
	s_or_b64 s[10:11], s[6:7], s[10:11]
.LBB120_485:
	v_cndmask_b32_e64 v8, 0, 1, s[10:11]
.LBB120_486:
	s_or_b64 exec, exec, s[4:5]
	v_or_b32_e32 v4, 0xf00, v0
	v_cmp_gt_i32_e32 vcc, s12, v4
                                        ; implicit-def: $vgpr4
	s_and_saveexec_b64 s[4:5], vcc
	s_cbranch_execz .LBB120_501
; %bb.487:
	s_cmp_lt_i32 s13, 1
	s_mov_b64 s[6:7], 0
	s_cbranch_scc1 .LBB120_492
; %bb.488:
	s_cmp_gt_i32 s13, 1
	s_cbranch_scc0 .LBB120_493
; %bb.489:
	s_cmp_eq_u32 s13, 2
	s_cbranch_scc0 .LBB120_549
; %bb.490:
	s_waitcnt vmcnt(0)
	v_cmp_le_f16_e64 s[10:11], v2, v3
	s_mov_b64 s[14:15], 0
	s_branch .LBB120_495
.LBB120_491:
	s_waitcnt vmcnt(0)
	v_cmp_lt_f16_e32 vcc, v4, v5
	s_andn2_b64 s[10:11], s[10:11], exec
	s_and_b64 s[14:15], vcc, exec
	s_or_b64 s[10:11], s[10:11], s[14:15]
	s_cbranch_execz .LBB120_484
	s_branch .LBB120_485
.LBB120_492:
                                        ; implicit-def: $sgpr10_sgpr11
	s_mov_b64 s[14:15], 0
	s_cbranch_execnz .LBB120_496
	s_branch .LBB120_497
.LBB120_493:
	s_mov_b64 s[14:15], 0
                                        ; implicit-def: $sgpr10_sgpr11
	s_cbranch_execz .LBB120_495
; %bb.494:
	s_waitcnt vmcnt(0)
	v_cmp_gt_f16_e32 vcc, v2, v3
	s_andn2_b64 s[10:11], s[10:11], exec
	s_and_b64 s[16:17], vcc, exec
	s_or_b64 s[10:11], s[10:11], s[16:17]
.LBB120_495:
	s_branch .LBB120_497
.LBB120_496:
	s_cmp_lg_u32 s13, 0
	s_mov_b64 s[6:7], -1
	s_cselect_b64 s[14:15], -1, 0
.LBB120_497:
	s_andn2_b64 vcc, exec, s[14:15]
	s_cbranch_vccz .LBB120_534
; %bb.498:
	s_andn2_b64 vcc, exec, s[6:7]
	s_cbranch_vccnz .LBB120_500
.LBB120_499:
	s_waitcnt vmcnt(0)
	v_cmp_ge_f16_e32 vcc, v2, v3
	s_andn2_b64 s[6:7], s[10:11], exec
	s_and_b64 s[10:11], vcc, exec
	s_or_b64 s[10:11], s[6:7], s[10:11]
.LBB120_500:
	v_cndmask_b32_e64 v4, 0, 1, s[10:11]
.LBB120_501:
	s_or_b64 exec, exec, s[4:5]
	s_and_saveexec_b64 s[4:5], s[0:1]
	s_xor_b64 s[0:1], exec, s[4:5]
	s_cbranch_execz .LBB120_503
; %bb.502:
	v_mov_b32_e32 v0, v7
	global_store_byte v1, v6, s[8:9]
.LBB120_503:
	s_or_b64 exec, exec, s[0:1]
	v_cmp_gt_i32_e32 vcc, s12, v0
	s_and_saveexec_b64 s[0:1], vcc
	s_cbranch_execnz .LBB120_520
; %bb.504:
	s_or_b64 exec, exec, s[0:1]
	v_cmp_gt_i32_e32 vcc, s12, v0
	s_and_saveexec_b64 s[0:1], vcc
	s_cbranch_execnz .LBB120_521
.LBB120_505:
	s_or_b64 exec, exec, s[0:1]
	v_cmp_gt_i32_e32 vcc, s12, v0
	s_and_saveexec_b64 s[0:1], vcc
	s_cbranch_execnz .LBB120_522
.LBB120_506:
	s_or_b64 exec, exec, s[0:1]
	v_cmp_gt_i32_e32 vcc, s12, v0
	s_and_saveexec_b64 s[0:1], vcc
	s_cbranch_execnz .LBB120_523
.LBB120_507:
	s_or_b64 exec, exec, s[0:1]
	v_cmp_gt_i32_e32 vcc, s12, v0
	s_and_saveexec_b64 s[0:1], vcc
	s_cbranch_execnz .LBB120_524
.LBB120_508:
	s_or_b64 exec, exec, s[0:1]
	v_cmp_gt_i32_e32 vcc, s12, v0
	s_and_saveexec_b64 s[0:1], vcc
	s_cbranch_execnz .LBB120_525
.LBB120_509:
	s_or_b64 exec, exec, s[0:1]
	v_cmp_gt_i32_e32 vcc, s12, v0
	s_and_saveexec_b64 s[0:1], vcc
	s_cbranch_execnz .LBB120_526
.LBB120_510:
	s_or_b64 exec, exec, s[0:1]
	v_cmp_gt_i32_e32 vcc, s12, v0
	s_and_saveexec_b64 s[0:1], vcc
	s_cbranch_execnz .LBB120_527
.LBB120_511:
	s_or_b64 exec, exec, s[0:1]
	v_cmp_gt_i32_e32 vcc, s12, v0
	s_and_saveexec_b64 s[0:1], vcc
	s_cbranch_execnz .LBB120_528
.LBB120_512:
	s_or_b64 exec, exec, s[0:1]
	v_cmp_gt_i32_e32 vcc, s12, v0
	s_and_saveexec_b64 s[0:1], vcc
	s_cbranch_execnz .LBB120_529
.LBB120_513:
	s_or_b64 exec, exec, s[0:1]
	v_cmp_gt_i32_e32 vcc, s12, v0
	s_and_saveexec_b64 s[0:1], vcc
	s_cbranch_execnz .LBB120_530
.LBB120_514:
	s_or_b64 exec, exec, s[0:1]
	v_cmp_gt_i32_e32 vcc, s12, v0
	s_and_saveexec_b64 s[0:1], vcc
	s_cbranch_execnz .LBB120_531
.LBB120_515:
	s_or_b64 exec, exec, s[0:1]
	v_cmp_gt_i32_e32 vcc, s12, v0
	s_and_saveexec_b64 s[0:1], vcc
	s_cbranch_execnz .LBB120_532
.LBB120_516:
	s_or_b64 exec, exec, s[0:1]
	v_cmp_gt_i32_e32 vcc, s12, v0
	s_and_saveexec_b64 s[0:1], vcc
	s_cbranch_execnz .LBB120_533
.LBB120_517:
	s_or_b64 exec, exec, s[0:1]
	v_cmp_gt_i32_e32 vcc, s12, v0
	s_and_saveexec_b64 s[0:1], vcc
	s_cbranch_execz .LBB120_519
.LBB120_518:
	v_add_u32_e32 v0, s2, v0
	global_store_byte v0, v4, s[8:9]
.LBB120_519:
	s_endpgm
.LBB120_520:
	v_add_u32_e32 v1, s2, v0
	v_add_u32_e32 v0, 0x100, v0
	s_waitcnt vmcnt(0)
	global_store_byte v1, v10, s[8:9]
	s_or_b64 exec, exec, s[0:1]
	v_cmp_gt_i32_e32 vcc, s12, v0
	s_and_saveexec_b64 s[0:1], vcc
	s_cbranch_execz .LBB120_505
.LBB120_521:
	v_add_u32_e32 v1, s2, v0
	v_add_u32_e32 v0, 0x100, v0
	global_store_byte v1, v14, s[8:9]
	s_or_b64 exec, exec, s[0:1]
	v_cmp_gt_i32_e32 vcc, s12, v0
	s_and_saveexec_b64 s[0:1], vcc
	s_cbranch_execz .LBB120_506
.LBB120_522:
	v_add_u32_e32 v1, s2, v0
	v_add_u32_e32 v0, 0x100, v0
	global_store_byte v1, v16, s[8:9]
	s_or_b64 exec, exec, s[0:1]
	v_cmp_gt_i32_e32 vcc, s12, v0
	s_and_saveexec_b64 s[0:1], vcc
	s_cbranch_execz .LBB120_507
.LBB120_523:
	v_add_u32_e32 v1, s2, v0
	v_add_u32_e32 v0, 0x100, v0
	global_store_byte v1, v21, s[8:9]
	s_or_b64 exec, exec, s[0:1]
	v_cmp_gt_i32_e32 vcc, s12, v0
	s_and_saveexec_b64 s[0:1], vcc
	s_cbranch_execz .LBB120_508
.LBB120_524:
	v_add_u32_e32 v1, s2, v0
	v_add_u32_e32 v0, 0x100, v0
	global_store_byte v1, v24, s[8:9]
	s_or_b64 exec, exec, s[0:1]
	v_cmp_gt_i32_e32 vcc, s12, v0
	s_and_saveexec_b64 s[0:1], vcc
	s_cbranch_execz .LBB120_509
.LBB120_525:
	v_add_u32_e32 v1, s2, v0
	v_add_u32_e32 v0, 0x100, v0
	global_store_byte v1, v27, s[8:9]
	s_or_b64 exec, exec, s[0:1]
	v_cmp_gt_i32_e32 vcc, s12, v0
	s_and_saveexec_b64 s[0:1], vcc
	s_cbranch_execz .LBB120_510
.LBB120_526:
	v_add_u32_e32 v1, s2, v0
	v_add_u32_e32 v0, 0x100, v0
	global_store_byte v1, v28, s[8:9]
	s_or_b64 exec, exec, s[0:1]
	v_cmp_gt_i32_e32 vcc, s12, v0
	s_and_saveexec_b64 s[0:1], vcc
	s_cbranch_execz .LBB120_511
.LBB120_527:
	v_add_u32_e32 v1, s2, v0
	v_add_u32_e32 v0, 0x100, v0
	global_store_byte v1, v25, s[8:9]
	s_or_b64 exec, exec, s[0:1]
	v_cmp_gt_i32_e32 vcc, s12, v0
	s_and_saveexec_b64 s[0:1], vcc
	s_cbranch_execz .LBB120_512
.LBB120_528:
	v_add_u32_e32 v1, s2, v0
	v_add_u32_e32 v0, 0x100, v0
	global_store_byte v1, v22, s[8:9]
	s_or_b64 exec, exec, s[0:1]
	v_cmp_gt_i32_e32 vcc, s12, v0
	s_and_saveexec_b64 s[0:1], vcc
	s_cbranch_execz .LBB120_513
.LBB120_529:
	v_add_u32_e32 v1, s2, v0
	v_add_u32_e32 v0, 0x100, v0
	global_store_byte v1, v19, s[8:9]
	s_or_b64 exec, exec, s[0:1]
	v_cmp_gt_i32_e32 vcc, s12, v0
	s_and_saveexec_b64 s[0:1], vcc
	s_cbranch_execz .LBB120_514
.LBB120_530:
	v_add_u32_e32 v1, s2, v0
	v_add_u32_e32 v0, 0x100, v0
	global_store_byte v1, v17, s[8:9]
	s_or_b64 exec, exec, s[0:1]
	v_cmp_gt_i32_e32 vcc, s12, v0
	s_and_saveexec_b64 s[0:1], vcc
	s_cbranch_execz .LBB120_515
.LBB120_531:
	v_add_u32_e32 v1, s2, v0
	v_add_u32_e32 v0, 0x100, v0
	global_store_byte v1, v13, s[8:9]
	s_or_b64 exec, exec, s[0:1]
	v_cmp_gt_i32_e32 vcc, s12, v0
	s_and_saveexec_b64 s[0:1], vcc
	s_cbranch_execz .LBB120_516
.LBB120_532:
	v_add_u32_e32 v1, s2, v0
	v_add_u32_e32 v0, 0x100, v0
	global_store_byte v1, v11, s[8:9]
	s_or_b64 exec, exec, s[0:1]
	v_cmp_gt_i32_e32 vcc, s12, v0
	s_and_saveexec_b64 s[0:1], vcc
	s_cbranch_execz .LBB120_517
.LBB120_533:
	v_add_u32_e32 v1, s2, v0
	v_add_u32_e32 v0, 0x100, v0
	global_store_byte v1, v8, s[8:9]
	s_or_b64 exec, exec, s[0:1]
	v_cmp_gt_i32_e32 vcc, s12, v0
	s_and_saveexec_b64 s[0:1], vcc
	s_cbranch_execnz .LBB120_518
	s_branch .LBB120_519
.LBB120_534:
	s_waitcnt vmcnt(0)
	v_cmp_lt_f16_e32 vcc, v2, v3
	s_andn2_b64 s[10:11], s[10:11], exec
	s_and_b64 s[14:15], vcc, exec
	s_or_b64 s[10:11], s[10:11], s[14:15]
	s_cbranch_execz .LBB120_499
	s_branch .LBB120_500
.LBB120_535:
	s_mov_b64 s[14:15], -1
                                        ; implicit-def: $sgpr10_sgpr11
	s_branch .LBB120_285
.LBB120_536:
	s_mov_b64 s[14:15], -1
                                        ; implicit-def: $sgpr10_sgpr11
	s_branch .LBB120_300
.LBB120_537:
	s_mov_b64 s[14:15], -1
                                        ; implicit-def: $sgpr10_sgpr11
	s_branch .LBB120_315
.LBB120_538:
	s_mov_b64 s[14:15], -1
                                        ; implicit-def: $sgpr10_sgpr11
	s_branch .LBB120_330
.LBB120_539:
	s_mov_b64 s[14:15], -1
                                        ; implicit-def: $sgpr10_sgpr11
	s_branch .LBB120_345
.LBB120_540:
	s_mov_b64 s[14:15], -1
                                        ; implicit-def: $sgpr10_sgpr11
	s_branch .LBB120_360
.LBB120_541:
	s_mov_b64 s[14:15], -1
                                        ; implicit-def: $sgpr10_sgpr11
	s_branch .LBB120_375
.LBB120_542:
	s_mov_b64 s[14:15], -1
                                        ; implicit-def: $sgpr10_sgpr11
	s_branch .LBB120_390
.LBB120_543:
	s_mov_b64 s[14:15], -1
                                        ; implicit-def: $sgpr10_sgpr11
	s_branch .LBB120_405
.LBB120_544:
	s_mov_b64 s[14:15], -1
                                        ; implicit-def: $sgpr10_sgpr11
	s_branch .LBB120_420
.LBB120_545:
	s_mov_b64 s[14:15], -1
                                        ; implicit-def: $sgpr10_sgpr11
	s_branch .LBB120_435
.LBB120_546:
	s_mov_b64 s[14:15], -1
                                        ; implicit-def: $sgpr10_sgpr11
	s_branch .LBB120_450
.LBB120_547:
	s_mov_b64 s[14:15], -1
                                        ; implicit-def: $sgpr10_sgpr11
	s_branch .LBB120_465
.LBB120_548:
	s_mov_b64 s[14:15], -1
                                        ; implicit-def: $sgpr10_sgpr11
	s_branch .LBB120_480
.LBB120_549:
	s_mov_b64 s[14:15], -1
                                        ; implicit-def: $sgpr10_sgpr11
	s_branch .LBB120_495
	.section	.rodata,"a",@progbits
	.p2align	6, 0x0
	.amdhsa_kernel _ZN2at6native29vectorized_elementwise_kernelILi16ENS0_12_GLOBAL__N_114CompareFunctorIN3c104HalfEEESt5arrayIPcLm3EEEEviT0_T1_
		.amdhsa_group_segment_fixed_size 0
		.amdhsa_private_segment_fixed_size 0
		.amdhsa_kernarg_size 32
		.amdhsa_user_sgpr_count 6
		.amdhsa_user_sgpr_private_segment_buffer 1
		.amdhsa_user_sgpr_dispatch_ptr 0
		.amdhsa_user_sgpr_queue_ptr 0
		.amdhsa_user_sgpr_kernarg_segment_ptr 1
		.amdhsa_user_sgpr_dispatch_id 0
		.amdhsa_user_sgpr_flat_scratch_init 0
		.amdhsa_user_sgpr_private_segment_size 0
		.amdhsa_uses_dynamic_stack 0
		.amdhsa_system_sgpr_private_segment_wavefront_offset 0
		.amdhsa_system_sgpr_workgroup_id_x 1
		.amdhsa_system_sgpr_workgroup_id_y 0
		.amdhsa_system_sgpr_workgroup_id_z 0
		.amdhsa_system_sgpr_workgroup_info 0
		.amdhsa_system_vgpr_workitem_id 0
		.amdhsa_next_free_vgpr 39
		.amdhsa_next_free_sgpr 50
		.amdhsa_reserve_vcc 1
		.amdhsa_reserve_flat_scratch 0
		.amdhsa_float_round_mode_32 0
		.amdhsa_float_round_mode_16_64 0
		.amdhsa_float_denorm_mode_32 3
		.amdhsa_float_denorm_mode_16_64 3
		.amdhsa_dx10_clamp 1
		.amdhsa_ieee_mode 1
		.amdhsa_fp16_overflow 0
		.amdhsa_exception_fp_ieee_invalid_op 0
		.amdhsa_exception_fp_denorm_src 0
		.amdhsa_exception_fp_ieee_div_zero 0
		.amdhsa_exception_fp_ieee_overflow 0
		.amdhsa_exception_fp_ieee_underflow 0
		.amdhsa_exception_fp_ieee_inexact 0
		.amdhsa_exception_int_div_zero 0
	.end_amdhsa_kernel
	.section	.text._ZN2at6native29vectorized_elementwise_kernelILi16ENS0_12_GLOBAL__N_114CompareFunctorIN3c104HalfEEESt5arrayIPcLm3EEEEviT0_T1_,"axG",@progbits,_ZN2at6native29vectorized_elementwise_kernelILi16ENS0_12_GLOBAL__N_114CompareFunctorIN3c104HalfEEESt5arrayIPcLm3EEEEviT0_T1_,comdat
.Lfunc_end120:
	.size	_ZN2at6native29vectorized_elementwise_kernelILi16ENS0_12_GLOBAL__N_114CompareFunctorIN3c104HalfEEESt5arrayIPcLm3EEEEviT0_T1_, .Lfunc_end120-_ZN2at6native29vectorized_elementwise_kernelILi16ENS0_12_GLOBAL__N_114CompareFunctorIN3c104HalfEEESt5arrayIPcLm3EEEEviT0_T1_
                                        ; -- End function
	.set _ZN2at6native29vectorized_elementwise_kernelILi16ENS0_12_GLOBAL__N_114CompareFunctorIN3c104HalfEEESt5arrayIPcLm3EEEEviT0_T1_.num_vgpr, 39
	.set _ZN2at6native29vectorized_elementwise_kernelILi16ENS0_12_GLOBAL__N_114CompareFunctorIN3c104HalfEEESt5arrayIPcLm3EEEEviT0_T1_.num_agpr, 0
	.set _ZN2at6native29vectorized_elementwise_kernelILi16ENS0_12_GLOBAL__N_114CompareFunctorIN3c104HalfEEESt5arrayIPcLm3EEEEviT0_T1_.numbered_sgpr, 50
	.set _ZN2at6native29vectorized_elementwise_kernelILi16ENS0_12_GLOBAL__N_114CompareFunctorIN3c104HalfEEESt5arrayIPcLm3EEEEviT0_T1_.num_named_barrier, 0
	.set _ZN2at6native29vectorized_elementwise_kernelILi16ENS0_12_GLOBAL__N_114CompareFunctorIN3c104HalfEEESt5arrayIPcLm3EEEEviT0_T1_.private_seg_size, 0
	.set _ZN2at6native29vectorized_elementwise_kernelILi16ENS0_12_GLOBAL__N_114CompareFunctorIN3c104HalfEEESt5arrayIPcLm3EEEEviT0_T1_.uses_vcc, 1
	.set _ZN2at6native29vectorized_elementwise_kernelILi16ENS0_12_GLOBAL__N_114CompareFunctorIN3c104HalfEEESt5arrayIPcLm3EEEEviT0_T1_.uses_flat_scratch, 0
	.set _ZN2at6native29vectorized_elementwise_kernelILi16ENS0_12_GLOBAL__N_114CompareFunctorIN3c104HalfEEESt5arrayIPcLm3EEEEviT0_T1_.has_dyn_sized_stack, 0
	.set _ZN2at6native29vectorized_elementwise_kernelILi16ENS0_12_GLOBAL__N_114CompareFunctorIN3c104HalfEEESt5arrayIPcLm3EEEEviT0_T1_.has_recursion, 0
	.set _ZN2at6native29vectorized_elementwise_kernelILi16ENS0_12_GLOBAL__N_114CompareFunctorIN3c104HalfEEESt5arrayIPcLm3EEEEviT0_T1_.has_indirect_call, 0
	.section	.AMDGPU.csdata,"",@progbits
; Kernel info:
; codeLenInByte = 8952
; TotalNumSgprs: 54
; NumVgprs: 39
; ScratchSize: 0
; MemoryBound: 0
; FloatMode: 240
; IeeeMode: 1
; LDSByteSize: 0 bytes/workgroup (compile time only)
; SGPRBlocks: 6
; VGPRBlocks: 9
; NumSGPRsForWavesPerEU: 54
; NumVGPRsForWavesPerEU: 39
; Occupancy: 6
; WaveLimiterHint : 0
; COMPUTE_PGM_RSRC2:SCRATCH_EN: 0
; COMPUTE_PGM_RSRC2:USER_SGPR: 6
; COMPUTE_PGM_RSRC2:TRAP_HANDLER: 0
; COMPUTE_PGM_RSRC2:TGID_X_EN: 1
; COMPUTE_PGM_RSRC2:TGID_Y_EN: 0
; COMPUTE_PGM_RSRC2:TGID_Z_EN: 0
; COMPUTE_PGM_RSRC2:TIDIG_COMP_CNT: 0
	.section	.text._ZN2at6native29vectorized_elementwise_kernelILi8ENS0_12_GLOBAL__N_114CompareFunctorIN3c104HalfEEESt5arrayIPcLm3EEEEviT0_T1_,"axG",@progbits,_ZN2at6native29vectorized_elementwise_kernelILi8ENS0_12_GLOBAL__N_114CompareFunctorIN3c104HalfEEESt5arrayIPcLm3EEEEviT0_T1_,comdat
	.globl	_ZN2at6native29vectorized_elementwise_kernelILi8ENS0_12_GLOBAL__N_114CompareFunctorIN3c104HalfEEESt5arrayIPcLm3EEEEviT0_T1_ ; -- Begin function _ZN2at6native29vectorized_elementwise_kernelILi8ENS0_12_GLOBAL__N_114CompareFunctorIN3c104HalfEEESt5arrayIPcLm3EEEEviT0_T1_
	.p2align	8
	.type	_ZN2at6native29vectorized_elementwise_kernelILi8ENS0_12_GLOBAL__N_114CompareFunctorIN3c104HalfEEESt5arrayIPcLm3EEEEviT0_T1_,@function
_ZN2at6native29vectorized_elementwise_kernelILi8ENS0_12_GLOBAL__N_114CompareFunctorIN3c104HalfEEESt5arrayIPcLm3EEEEviT0_T1_: ; @_ZN2at6native29vectorized_elementwise_kernelILi8ENS0_12_GLOBAL__N_114CompareFunctorIN3c104HalfEEESt5arrayIPcLm3EEEEviT0_T1_
; %bb.0:
	s_load_dwordx2 s[12:13], s[4:5], 0x0
	s_load_dwordx4 s[8:11], s[4:5], 0x8
	s_load_dwordx2 s[14:15], s[4:5], 0x18
	s_lshl_b32 s2, s6, 12
	s_mov_b64 s[0:1], -1
	s_waitcnt lgkmcnt(0)
	s_sub_i32 s12, s12, s2
	s_cmpk_gt_i32 s12, 0xfff
	s_cbranch_scc0 .LBB121_211
; %bb.1:
	s_ashr_i32 s3, s2, 31
	s_lshl_b64 s[0:1], s[2:3], 1
	s_add_u32 s4, s10, s0
	s_addc_u32 s5, s11, s1
	v_lshlrev_b32_e32 v5, 4, v0
	v_mov_b32_e32 v1, s5
	v_add_co_u32_e32 v2, vcc, s4, v5
	v_addc_co_u32_e32 v3, vcc, 0, v1, vcc
	v_add_co_u32_e32 v1, vcc, 0x1000, v2
	s_add_u32 s0, s14, s0
	v_addc_co_u32_e32 v2, vcc, 0, v3, vcc
	s_addc_u32 s1, s15, s1
	v_mov_b32_e32 v6, s1
	v_add_co_u32_e32 v7, vcc, s0, v5
	v_addc_co_u32_e32 v6, vcc, 0, v6, vcc
	global_load_dwordx4 v[1:4], v[1:2], off
	s_nop 0
	global_load_dwordx4 v[9:12], v5, s[4:5]
	global_load_dwordx4 v[13:16], v5, s[0:1]
	v_add_co_u32_e32 v5, vcc, 0x1000, v7
	v_addc_co_u32_e32 v6, vcc, 0, v6, vcc
	global_load_dwordx4 v[5:8], v[5:6], off
	s_cmp_lt_i32 s13, 1
	s_mov_b64 s[4:5], 0
	s_cbranch_scc1 .LBB121_5
; %bb.2:
	s_cmp_gt_i32 s13, 1
	s_cbranch_scc0 .LBB121_6
; %bb.3:
	s_cmp_eq_u32 s13, 2
	s_cbranch_scc0 .LBB121_7
; %bb.4:
	s_waitcnt vmcnt(1)
	v_cmp_le_f16_e64 s[0:1], v9, v13
	s_mov_b64 s[6:7], 0
	s_branch .LBB121_8
.LBB121_5:
                                        ; implicit-def: $sgpr0_sgpr1
	s_mov_b64 s[6:7], 0
	s_cbranch_execnz .LBB121_11
	s_branch .LBB121_12
.LBB121_6:
	s_mov_b64 s[6:7], 0
                                        ; implicit-def: $sgpr0_sgpr1
	s_cbranch_execnz .LBB121_9
	s_branch .LBB121_10
.LBB121_7:
	s_mov_b64 s[6:7], -1
                                        ; implicit-def: $sgpr0_sgpr1
.LBB121_8:
	s_branch .LBB121_10
.LBB121_9:
	s_waitcnt vmcnt(1)
	v_cmp_gt_f16_e32 vcc, v9, v13
	s_andn2_b64 s[0:1], s[0:1], exec
	s_and_b64 s[16:17], vcc, exec
	s_or_b64 s[0:1], s[0:1], s[16:17]
.LBB121_10:
	s_branch .LBB121_12
.LBB121_11:
	s_cmp_lg_u32 s13, 0
	s_mov_b64 s[4:5], -1
	s_cselect_b64 s[6:7], -1, 0
.LBB121_12:
	s_andn2_b64 vcc, exec, s[6:7]
	s_cbranch_vccz .LBB121_18
; %bb.13:
	s_andn2_b64 vcc, exec, s[4:5]
	s_cbranch_vccz .LBB121_19
.LBB121_14:
	s_cmp_lt_i32 s13, 1
	s_mov_b64 s[6:7], 0
	s_cbranch_scc1 .LBB121_20
.LBB121_15:
	s_cmp_gt_i32 s13, 1
	s_cbranch_scc0 .LBB121_21
; %bb.16:
	s_cmp_eq_u32 s13, 2
	s_cbranch_scc0 .LBB121_251
; %bb.17:
	s_waitcnt vmcnt(1)
	v_cmp_le_f16_sdwa s[4:5], v9, v13 src0_sel:WORD_1 src1_sel:WORD_1
	s_mov_b64 s[16:17], 0
	s_branch .LBB121_23
.LBB121_18:
	s_waitcnt vmcnt(1)
	v_cmp_lt_f16_e32 vcc, v9, v13
	s_andn2_b64 s[0:1], s[0:1], exec
	s_and_b64 s[6:7], vcc, exec
	s_or_b64 s[0:1], s[0:1], s[6:7]
	s_cbranch_execnz .LBB121_14
.LBB121_19:
	s_waitcnt vmcnt(1)
	v_cmp_ge_f16_e32 vcc, v9, v13
	s_andn2_b64 s[0:1], s[0:1], exec
	s_and_b64 s[4:5], vcc, exec
	s_or_b64 s[0:1], s[0:1], s[4:5]
	s_cmp_lt_i32 s13, 1
	s_mov_b64 s[6:7], 0
	s_cbranch_scc0 .LBB121_15
.LBB121_20:
                                        ; implicit-def: $sgpr4_sgpr5
	s_mov_b64 s[16:17], 0
	s_cbranch_execnz .LBB121_24
	s_branch .LBB121_25
.LBB121_21:
	s_mov_b64 s[16:17], 0
                                        ; implicit-def: $sgpr4_sgpr5
	s_cbranch_execz .LBB121_23
; %bb.22:
	s_waitcnt vmcnt(1)
	v_cmp_gt_f16_sdwa s[18:19], v9, v13 src0_sel:WORD_1 src1_sel:WORD_1
	s_andn2_b64 s[4:5], s[4:5], exec
	s_and_b64 s[18:19], s[18:19], exec
	s_or_b64 s[4:5], s[4:5], s[18:19]
.LBB121_23:
	s_branch .LBB121_25
.LBB121_24:
	s_cmp_lg_u32 s13, 0
	s_mov_b64 s[6:7], -1
	s_cselect_b64 s[16:17], -1, 0
.LBB121_25:
	s_andn2_b64 vcc, exec, s[16:17]
	s_cbranch_vccz .LBB121_31
; %bb.26:
	s_andn2_b64 vcc, exec, s[6:7]
	s_cbranch_vccz .LBB121_32
.LBB121_27:
	s_cmp_lt_i32 s13, 1
	s_mov_b64 s[16:17], 0
	s_cbranch_scc1 .LBB121_33
.LBB121_28:
	s_cmp_gt_i32 s13, 1
	s_cbranch_scc0 .LBB121_34
; %bb.29:
	s_cmp_eq_u32 s13, 2
	s_cbranch_scc0 .LBB121_252
; %bb.30:
	s_waitcnt vmcnt(1)
	v_cmp_le_f16_e64 s[6:7], v10, v14
	s_mov_b64 s[18:19], 0
	s_branch .LBB121_36
.LBB121_31:
	s_waitcnt vmcnt(1)
	v_cmp_lt_f16_sdwa s[16:17], v9, v13 src0_sel:WORD_1 src1_sel:WORD_1
	s_andn2_b64 s[4:5], s[4:5], exec
	s_and_b64 s[16:17], s[16:17], exec
	s_or_b64 s[4:5], s[4:5], s[16:17]
	s_cbranch_execnz .LBB121_27
.LBB121_32:
	s_waitcnt vmcnt(1)
	v_cmp_ge_f16_sdwa s[6:7], v9, v13 src0_sel:WORD_1 src1_sel:WORD_1
	s_andn2_b64 s[4:5], s[4:5], exec
	s_and_b64 s[6:7], s[6:7], exec
	s_or_b64 s[4:5], s[4:5], s[6:7]
	s_cmp_lt_i32 s13, 1
	s_mov_b64 s[16:17], 0
	s_cbranch_scc0 .LBB121_28
.LBB121_33:
                                        ; implicit-def: $sgpr6_sgpr7
	s_mov_b64 s[18:19], 0
	s_cbranch_execnz .LBB121_37
	s_branch .LBB121_38
.LBB121_34:
	s_mov_b64 s[18:19], 0
                                        ; implicit-def: $sgpr6_sgpr7
	s_cbranch_execz .LBB121_36
; %bb.35:
	s_waitcnt vmcnt(1)
	v_cmp_gt_f16_e32 vcc, v10, v14
	s_andn2_b64 s[6:7], s[6:7], exec
	s_and_b64 s[20:21], vcc, exec
	s_or_b64 s[6:7], s[6:7], s[20:21]
.LBB121_36:
	s_branch .LBB121_38
.LBB121_37:
	s_cmp_lg_u32 s13, 0
	s_mov_b64 s[16:17], -1
	s_cselect_b64 s[18:19], -1, 0
.LBB121_38:
	s_andn2_b64 vcc, exec, s[18:19]
	s_cbranch_vccz .LBB121_44
; %bb.39:
	s_andn2_b64 vcc, exec, s[16:17]
	s_cbranch_vccz .LBB121_45
.LBB121_40:
	s_cmp_lt_i32 s13, 1
	s_mov_b64 s[18:19], 0
	s_cbranch_scc1 .LBB121_46
.LBB121_41:
	s_cmp_gt_i32 s13, 1
	s_cbranch_scc0 .LBB121_47
; %bb.42:
	s_cmp_eq_u32 s13, 2
	s_cbranch_scc0 .LBB121_253
; %bb.43:
	s_waitcnt vmcnt(1)
	v_cmp_le_f16_sdwa s[16:17], v10, v14 src0_sel:WORD_1 src1_sel:WORD_1
	s_mov_b64 s[20:21], 0
	s_branch .LBB121_49
.LBB121_44:
	s_waitcnt vmcnt(1)
	v_cmp_lt_f16_e32 vcc, v10, v14
	s_andn2_b64 s[6:7], s[6:7], exec
	s_and_b64 s[18:19], vcc, exec
	s_or_b64 s[6:7], s[6:7], s[18:19]
	s_cbranch_execnz .LBB121_40
.LBB121_45:
	s_waitcnt vmcnt(1)
	v_cmp_ge_f16_e32 vcc, v10, v14
	s_andn2_b64 s[6:7], s[6:7], exec
	s_and_b64 s[16:17], vcc, exec
	s_or_b64 s[6:7], s[6:7], s[16:17]
	s_cmp_lt_i32 s13, 1
	s_mov_b64 s[18:19], 0
	s_cbranch_scc0 .LBB121_41
.LBB121_46:
                                        ; implicit-def: $sgpr16_sgpr17
	s_mov_b64 s[20:21], 0
	s_cbranch_execnz .LBB121_50
	s_branch .LBB121_51
.LBB121_47:
	s_mov_b64 s[20:21], 0
                                        ; implicit-def: $sgpr16_sgpr17
	s_cbranch_execz .LBB121_49
; %bb.48:
	s_waitcnt vmcnt(1)
	v_cmp_gt_f16_sdwa s[22:23], v10, v14 src0_sel:WORD_1 src1_sel:WORD_1
	s_andn2_b64 s[16:17], s[16:17], exec
	s_and_b64 s[22:23], s[22:23], exec
	s_or_b64 s[16:17], s[16:17], s[22:23]
.LBB121_49:
	s_branch .LBB121_51
.LBB121_50:
	s_cmp_lg_u32 s13, 0
	s_mov_b64 s[18:19], -1
	s_cselect_b64 s[20:21], -1, 0
.LBB121_51:
	s_andn2_b64 vcc, exec, s[20:21]
	s_cbranch_vccz .LBB121_57
; %bb.52:
	s_andn2_b64 vcc, exec, s[18:19]
	s_cbranch_vccz .LBB121_58
.LBB121_53:
	s_cmp_lt_i32 s13, 1
	s_mov_b64 s[20:21], 0
	s_cbranch_scc1 .LBB121_59
.LBB121_54:
	s_cmp_gt_i32 s13, 1
	s_cbranch_scc0 .LBB121_60
; %bb.55:
	s_cmp_eq_u32 s13, 2
	s_cbranch_scc0 .LBB121_254
; %bb.56:
	s_waitcnt vmcnt(1)
	v_cmp_le_f16_e64 s[18:19], v11, v15
	s_mov_b64 s[22:23], 0
	s_branch .LBB121_62
.LBB121_57:
	s_waitcnt vmcnt(1)
	v_cmp_lt_f16_sdwa s[20:21], v10, v14 src0_sel:WORD_1 src1_sel:WORD_1
	s_andn2_b64 s[16:17], s[16:17], exec
	s_and_b64 s[20:21], s[20:21], exec
	s_or_b64 s[16:17], s[16:17], s[20:21]
	s_cbranch_execnz .LBB121_53
.LBB121_58:
	s_waitcnt vmcnt(1)
	v_cmp_ge_f16_sdwa s[18:19], v10, v14 src0_sel:WORD_1 src1_sel:WORD_1
	s_andn2_b64 s[16:17], s[16:17], exec
	s_and_b64 s[18:19], s[18:19], exec
	s_or_b64 s[16:17], s[16:17], s[18:19]
	s_cmp_lt_i32 s13, 1
	s_mov_b64 s[20:21], 0
	s_cbranch_scc0 .LBB121_54
.LBB121_59:
                                        ; implicit-def: $sgpr18_sgpr19
	s_mov_b64 s[22:23], 0
	s_cbranch_execnz .LBB121_63
	s_branch .LBB121_64
.LBB121_60:
	s_mov_b64 s[22:23], 0
                                        ; implicit-def: $sgpr18_sgpr19
	s_cbranch_execz .LBB121_62
; %bb.61:
	s_waitcnt vmcnt(1)
	v_cmp_gt_f16_e32 vcc, v11, v15
	s_andn2_b64 s[18:19], s[18:19], exec
	s_and_b64 s[24:25], vcc, exec
	s_or_b64 s[18:19], s[18:19], s[24:25]
.LBB121_62:
	s_branch .LBB121_64
.LBB121_63:
	s_cmp_lg_u32 s13, 0
	s_mov_b64 s[20:21], -1
	s_cselect_b64 s[22:23], -1, 0
.LBB121_64:
	s_andn2_b64 vcc, exec, s[22:23]
	s_cbranch_vccz .LBB121_70
; %bb.65:
	s_andn2_b64 vcc, exec, s[20:21]
	s_cbranch_vccz .LBB121_71
.LBB121_66:
	s_cmp_lt_i32 s13, 1
	s_mov_b64 s[22:23], 0
	s_cbranch_scc1 .LBB121_72
.LBB121_67:
	s_cmp_gt_i32 s13, 1
	s_cbranch_scc0 .LBB121_73
; %bb.68:
	s_cmp_eq_u32 s13, 2
	s_cbranch_scc0 .LBB121_255
; %bb.69:
	s_waitcnt vmcnt(1)
	v_cmp_le_f16_sdwa s[20:21], v11, v15 src0_sel:WORD_1 src1_sel:WORD_1
	s_mov_b64 s[24:25], 0
	s_branch .LBB121_75
.LBB121_70:
	s_waitcnt vmcnt(1)
	v_cmp_lt_f16_e32 vcc, v11, v15
	s_andn2_b64 s[18:19], s[18:19], exec
	s_and_b64 s[22:23], vcc, exec
	s_or_b64 s[18:19], s[18:19], s[22:23]
	s_cbranch_execnz .LBB121_66
.LBB121_71:
	s_waitcnt vmcnt(1)
	v_cmp_ge_f16_e32 vcc, v11, v15
	s_andn2_b64 s[18:19], s[18:19], exec
	s_and_b64 s[20:21], vcc, exec
	s_or_b64 s[18:19], s[18:19], s[20:21]
	s_cmp_lt_i32 s13, 1
	s_mov_b64 s[22:23], 0
	s_cbranch_scc0 .LBB121_67
.LBB121_72:
                                        ; implicit-def: $sgpr20_sgpr21
	s_mov_b64 s[24:25], 0
	s_cbranch_execnz .LBB121_76
	s_branch .LBB121_77
.LBB121_73:
	s_mov_b64 s[24:25], 0
                                        ; implicit-def: $sgpr20_sgpr21
	s_cbranch_execz .LBB121_75
; %bb.74:
	s_waitcnt vmcnt(1)
	v_cmp_gt_f16_sdwa s[26:27], v11, v15 src0_sel:WORD_1 src1_sel:WORD_1
	s_andn2_b64 s[20:21], s[20:21], exec
	s_and_b64 s[26:27], s[26:27], exec
	s_or_b64 s[20:21], s[20:21], s[26:27]
.LBB121_75:
	s_branch .LBB121_77
.LBB121_76:
	s_cmp_lg_u32 s13, 0
	s_mov_b64 s[22:23], -1
	s_cselect_b64 s[24:25], -1, 0
.LBB121_77:
	s_andn2_b64 vcc, exec, s[24:25]
	s_cbranch_vccz .LBB121_83
; %bb.78:
	s_andn2_b64 vcc, exec, s[22:23]
	s_cbranch_vccz .LBB121_84
.LBB121_79:
	s_cmp_lt_i32 s13, 1
	s_mov_b64 s[24:25], 0
	s_cbranch_scc1 .LBB121_85
.LBB121_80:
	s_cmp_gt_i32 s13, 1
	s_cbranch_scc0 .LBB121_86
; %bb.81:
	s_cmp_eq_u32 s13, 2
	s_cbranch_scc0 .LBB121_256
; %bb.82:
	s_waitcnt vmcnt(1)
	v_cmp_le_f16_e64 s[22:23], v12, v16
	s_mov_b64 s[26:27], 0
	s_branch .LBB121_88
.LBB121_83:
	s_waitcnt vmcnt(1)
	v_cmp_lt_f16_sdwa s[24:25], v11, v15 src0_sel:WORD_1 src1_sel:WORD_1
	s_andn2_b64 s[20:21], s[20:21], exec
	s_and_b64 s[24:25], s[24:25], exec
	s_or_b64 s[20:21], s[20:21], s[24:25]
	s_cbranch_execnz .LBB121_79
.LBB121_84:
	s_waitcnt vmcnt(1)
	v_cmp_ge_f16_sdwa s[22:23], v11, v15 src0_sel:WORD_1 src1_sel:WORD_1
	s_andn2_b64 s[20:21], s[20:21], exec
	s_and_b64 s[22:23], s[22:23], exec
	s_or_b64 s[20:21], s[20:21], s[22:23]
	s_cmp_lt_i32 s13, 1
	s_mov_b64 s[24:25], 0
	s_cbranch_scc0 .LBB121_80
.LBB121_85:
                                        ; implicit-def: $sgpr22_sgpr23
	s_mov_b64 s[26:27], 0
	s_cbranch_execnz .LBB121_89
	s_branch .LBB121_90
.LBB121_86:
	s_mov_b64 s[26:27], 0
                                        ; implicit-def: $sgpr22_sgpr23
	s_cbranch_execz .LBB121_88
; %bb.87:
	s_waitcnt vmcnt(1)
	v_cmp_gt_f16_e32 vcc, v12, v16
	s_andn2_b64 s[22:23], s[22:23], exec
	s_and_b64 s[28:29], vcc, exec
	s_or_b64 s[22:23], s[22:23], s[28:29]
.LBB121_88:
	s_branch .LBB121_90
.LBB121_89:
	s_cmp_lg_u32 s13, 0
	s_mov_b64 s[24:25], -1
	s_cselect_b64 s[26:27], -1, 0
.LBB121_90:
	s_andn2_b64 vcc, exec, s[26:27]
	s_cbranch_vccz .LBB121_96
; %bb.91:
	s_andn2_b64 vcc, exec, s[24:25]
	s_cbranch_vccz .LBB121_97
.LBB121_92:
	s_cmp_lt_i32 s13, 1
	s_mov_b64 s[26:27], 0
	s_cbranch_scc1 .LBB121_98
.LBB121_93:
	s_cmp_gt_i32 s13, 1
	s_cbranch_scc0 .LBB121_99
; %bb.94:
	s_cmp_eq_u32 s13, 2
	s_cbranch_scc0 .LBB121_257
; %bb.95:
	s_waitcnt vmcnt(1)
	v_cmp_le_f16_sdwa s[24:25], v12, v16 src0_sel:WORD_1 src1_sel:WORD_1
	s_mov_b64 s[28:29], 0
	s_branch .LBB121_101
.LBB121_96:
	s_waitcnt vmcnt(1)
	v_cmp_lt_f16_e32 vcc, v12, v16
	s_andn2_b64 s[22:23], s[22:23], exec
	s_and_b64 s[26:27], vcc, exec
	s_or_b64 s[22:23], s[22:23], s[26:27]
	s_cbranch_execnz .LBB121_92
.LBB121_97:
	s_waitcnt vmcnt(1)
	v_cmp_ge_f16_e32 vcc, v12, v16
	s_andn2_b64 s[22:23], s[22:23], exec
	s_and_b64 s[24:25], vcc, exec
	s_or_b64 s[22:23], s[22:23], s[24:25]
	s_cmp_lt_i32 s13, 1
	s_mov_b64 s[26:27], 0
	s_cbranch_scc0 .LBB121_93
.LBB121_98:
                                        ; implicit-def: $sgpr24_sgpr25
	s_mov_b64 s[28:29], 0
	s_cbranch_execnz .LBB121_102
	s_branch .LBB121_103
.LBB121_99:
	s_mov_b64 s[28:29], 0
                                        ; implicit-def: $sgpr24_sgpr25
	s_cbranch_execz .LBB121_101
; %bb.100:
	s_waitcnt vmcnt(1)
	v_cmp_gt_f16_sdwa s[30:31], v12, v16 src0_sel:WORD_1 src1_sel:WORD_1
	s_andn2_b64 s[24:25], s[24:25], exec
	s_and_b64 s[30:31], s[30:31], exec
	s_or_b64 s[24:25], s[24:25], s[30:31]
.LBB121_101:
	s_branch .LBB121_103
.LBB121_102:
	s_cmp_lg_u32 s13, 0
	s_mov_b64 s[26:27], -1
	s_cselect_b64 s[28:29], -1, 0
.LBB121_103:
	s_andn2_b64 vcc, exec, s[28:29]
	s_cbranch_vccz .LBB121_109
; %bb.104:
	s_andn2_b64 vcc, exec, s[26:27]
	s_cbranch_vccz .LBB121_110
.LBB121_105:
	s_cmp_lt_i32 s13, 1
	s_mov_b64 s[28:29], 0
	s_cbranch_scc1 .LBB121_111
.LBB121_106:
	s_cmp_gt_i32 s13, 1
	s_cbranch_scc0 .LBB121_112
; %bb.107:
	s_cmp_eq_u32 s13, 2
	s_cbranch_scc0 .LBB121_258
; %bb.108:
	s_waitcnt vmcnt(0)
	v_cmp_le_f16_e64 s[26:27], v1, v5
	s_mov_b64 s[30:31], 0
	s_branch .LBB121_114
.LBB121_109:
	s_waitcnt vmcnt(1)
	v_cmp_lt_f16_sdwa s[28:29], v12, v16 src0_sel:WORD_1 src1_sel:WORD_1
	s_andn2_b64 s[24:25], s[24:25], exec
	s_and_b64 s[28:29], s[28:29], exec
	s_or_b64 s[24:25], s[24:25], s[28:29]
	s_cbranch_execnz .LBB121_105
.LBB121_110:
	s_waitcnt vmcnt(1)
	v_cmp_ge_f16_sdwa s[26:27], v12, v16 src0_sel:WORD_1 src1_sel:WORD_1
	s_andn2_b64 s[24:25], s[24:25], exec
	s_and_b64 s[26:27], s[26:27], exec
	s_or_b64 s[24:25], s[24:25], s[26:27]
	s_cmp_lt_i32 s13, 1
	s_mov_b64 s[28:29], 0
	s_cbranch_scc0 .LBB121_106
.LBB121_111:
                                        ; implicit-def: $sgpr26_sgpr27
	s_mov_b64 s[30:31], 0
	s_cbranch_execnz .LBB121_115
	s_branch .LBB121_116
.LBB121_112:
	s_mov_b64 s[30:31], 0
                                        ; implicit-def: $sgpr26_sgpr27
	s_cbranch_execz .LBB121_114
; %bb.113:
	s_waitcnt vmcnt(0)
	v_cmp_gt_f16_e32 vcc, v1, v5
	s_andn2_b64 s[26:27], s[26:27], exec
	s_and_b64 s[34:35], vcc, exec
	s_or_b64 s[26:27], s[26:27], s[34:35]
.LBB121_114:
	s_branch .LBB121_116
.LBB121_115:
	s_cmp_lg_u32 s13, 0
	s_mov_b64 s[28:29], -1
	s_cselect_b64 s[30:31], -1, 0
.LBB121_116:
	s_andn2_b64 vcc, exec, s[30:31]
	s_cbranch_vccz .LBB121_122
; %bb.117:
	s_andn2_b64 vcc, exec, s[28:29]
	s_cbranch_vccz .LBB121_123
.LBB121_118:
	s_cmp_lt_i32 s13, 1
	s_mov_b64 s[30:31], 0
	s_cbranch_scc1 .LBB121_124
.LBB121_119:
	s_cmp_gt_i32 s13, 1
	s_cbranch_scc0 .LBB121_125
; %bb.120:
	s_cmp_eq_u32 s13, 2
	s_cbranch_scc0 .LBB121_259
; %bb.121:
	s_waitcnt vmcnt(0)
	v_cmp_le_f16_sdwa s[28:29], v1, v5 src0_sel:WORD_1 src1_sel:WORD_1
	s_mov_b64 s[34:35], 0
	s_branch .LBB121_127
.LBB121_122:
	s_waitcnt vmcnt(0)
	v_cmp_lt_f16_e32 vcc, v1, v5
	s_andn2_b64 s[26:27], s[26:27], exec
	s_and_b64 s[30:31], vcc, exec
	s_or_b64 s[26:27], s[26:27], s[30:31]
	s_cbranch_execnz .LBB121_118
.LBB121_123:
	s_waitcnt vmcnt(0)
	v_cmp_ge_f16_e32 vcc, v1, v5
	s_andn2_b64 s[26:27], s[26:27], exec
	s_and_b64 s[28:29], vcc, exec
	s_or_b64 s[26:27], s[26:27], s[28:29]
	s_cmp_lt_i32 s13, 1
	s_mov_b64 s[30:31], 0
	s_cbranch_scc0 .LBB121_119
.LBB121_124:
                                        ; implicit-def: $sgpr28_sgpr29
	s_mov_b64 s[34:35], 0
	s_cbranch_execnz .LBB121_128
	s_branch .LBB121_129
.LBB121_125:
	s_mov_b64 s[34:35], 0
                                        ; implicit-def: $sgpr28_sgpr29
	s_cbranch_execz .LBB121_127
; %bb.126:
	s_waitcnt vmcnt(0)
	v_cmp_gt_f16_sdwa s[36:37], v1, v5 src0_sel:WORD_1 src1_sel:WORD_1
	s_andn2_b64 s[28:29], s[28:29], exec
	s_and_b64 s[36:37], s[36:37], exec
	s_or_b64 s[28:29], s[28:29], s[36:37]
.LBB121_127:
	s_branch .LBB121_129
.LBB121_128:
	s_cmp_lg_u32 s13, 0
	s_mov_b64 s[30:31], -1
	s_cselect_b64 s[34:35], -1, 0
.LBB121_129:
	s_andn2_b64 vcc, exec, s[34:35]
	s_cbranch_vccz .LBB121_135
; %bb.130:
	s_andn2_b64 vcc, exec, s[30:31]
	s_cbranch_vccz .LBB121_136
.LBB121_131:
	s_cmp_lt_i32 s13, 1
	s_mov_b64 s[34:35], 0
	s_cbranch_scc1 .LBB121_137
.LBB121_132:
	s_cmp_gt_i32 s13, 1
	s_cbranch_scc0 .LBB121_138
; %bb.133:
	s_cmp_eq_u32 s13, 2
	s_cbranch_scc0 .LBB121_260
; %bb.134:
	s_waitcnt vmcnt(0)
	v_cmp_le_f16_e64 s[30:31], v2, v6
	s_mov_b64 s[36:37], 0
	s_branch .LBB121_140
.LBB121_135:
	s_waitcnt vmcnt(0)
	v_cmp_lt_f16_sdwa s[34:35], v1, v5 src0_sel:WORD_1 src1_sel:WORD_1
	s_andn2_b64 s[28:29], s[28:29], exec
	s_and_b64 s[34:35], s[34:35], exec
	s_or_b64 s[28:29], s[28:29], s[34:35]
	s_cbranch_execnz .LBB121_131
.LBB121_136:
	s_waitcnt vmcnt(0)
	v_cmp_ge_f16_sdwa s[30:31], v1, v5 src0_sel:WORD_1 src1_sel:WORD_1
	s_andn2_b64 s[28:29], s[28:29], exec
	s_and_b64 s[30:31], s[30:31], exec
	s_or_b64 s[28:29], s[28:29], s[30:31]
	s_cmp_lt_i32 s13, 1
	s_mov_b64 s[34:35], 0
	s_cbranch_scc0 .LBB121_132
.LBB121_137:
                                        ; implicit-def: $sgpr30_sgpr31
	s_mov_b64 s[36:37], 0
	s_cbranch_execnz .LBB121_141
	s_branch .LBB121_142
.LBB121_138:
	s_mov_b64 s[36:37], 0
                                        ; implicit-def: $sgpr30_sgpr31
	s_cbranch_execz .LBB121_140
; %bb.139:
	s_waitcnt vmcnt(0)
	v_cmp_gt_f16_e32 vcc, v2, v6
	s_andn2_b64 s[30:31], s[30:31], exec
	s_and_b64 s[38:39], vcc, exec
	s_or_b64 s[30:31], s[30:31], s[38:39]
.LBB121_140:
	s_branch .LBB121_142
.LBB121_141:
	s_cmp_lg_u32 s13, 0
	s_mov_b64 s[34:35], -1
	s_cselect_b64 s[36:37], -1, 0
.LBB121_142:
	s_andn2_b64 vcc, exec, s[36:37]
	s_cbranch_vccz .LBB121_148
; %bb.143:
	s_andn2_b64 vcc, exec, s[34:35]
	s_cbranch_vccz .LBB121_149
.LBB121_144:
	s_cmp_lt_i32 s13, 1
	s_mov_b64 s[36:37], 0
	s_cbranch_scc1 .LBB121_150
.LBB121_145:
	s_cmp_gt_i32 s13, 1
	s_cbranch_scc0 .LBB121_151
; %bb.146:
	s_cmp_eq_u32 s13, 2
	s_cbranch_scc0 .LBB121_261
; %bb.147:
	s_waitcnt vmcnt(0)
	v_cmp_le_f16_sdwa s[34:35], v2, v6 src0_sel:WORD_1 src1_sel:WORD_1
	s_mov_b64 s[38:39], 0
	s_branch .LBB121_153
.LBB121_148:
	s_waitcnt vmcnt(0)
	v_cmp_lt_f16_e32 vcc, v2, v6
	s_andn2_b64 s[30:31], s[30:31], exec
	s_and_b64 s[36:37], vcc, exec
	s_or_b64 s[30:31], s[30:31], s[36:37]
	s_cbranch_execnz .LBB121_144
.LBB121_149:
	s_waitcnt vmcnt(0)
	v_cmp_ge_f16_e32 vcc, v2, v6
	s_andn2_b64 s[30:31], s[30:31], exec
	s_and_b64 s[34:35], vcc, exec
	s_or_b64 s[30:31], s[30:31], s[34:35]
	s_cmp_lt_i32 s13, 1
	s_mov_b64 s[36:37], 0
	s_cbranch_scc0 .LBB121_145
.LBB121_150:
                                        ; implicit-def: $sgpr34_sgpr35
	s_mov_b64 s[38:39], 0
	s_cbranch_execnz .LBB121_154
	s_branch .LBB121_155
.LBB121_151:
	s_mov_b64 s[38:39], 0
                                        ; implicit-def: $sgpr34_sgpr35
	s_cbranch_execz .LBB121_153
; %bb.152:
	s_waitcnt vmcnt(0)
	v_cmp_gt_f16_sdwa s[40:41], v2, v6 src0_sel:WORD_1 src1_sel:WORD_1
	s_andn2_b64 s[34:35], s[34:35], exec
	s_and_b64 s[40:41], s[40:41], exec
	s_or_b64 s[34:35], s[34:35], s[40:41]
.LBB121_153:
	s_branch .LBB121_155
.LBB121_154:
	s_cmp_lg_u32 s13, 0
	s_mov_b64 s[36:37], -1
	s_cselect_b64 s[38:39], -1, 0
.LBB121_155:
	s_andn2_b64 vcc, exec, s[38:39]
	s_cbranch_vccz .LBB121_161
; %bb.156:
	s_andn2_b64 vcc, exec, s[36:37]
	s_cbranch_vccz .LBB121_162
.LBB121_157:
	s_cmp_lt_i32 s13, 1
	s_mov_b64 s[38:39], 0
	s_cbranch_scc1 .LBB121_163
.LBB121_158:
	s_cmp_gt_i32 s13, 1
	s_cbranch_scc0 .LBB121_164
; %bb.159:
	s_cmp_eq_u32 s13, 2
	s_cbranch_scc0 .LBB121_262
; %bb.160:
	s_waitcnt vmcnt(0)
	v_cmp_le_f16_e64 s[36:37], v3, v7
	s_mov_b64 s[40:41], 0
	s_branch .LBB121_166
.LBB121_161:
	s_waitcnt vmcnt(0)
	v_cmp_lt_f16_sdwa s[38:39], v2, v6 src0_sel:WORD_1 src1_sel:WORD_1
	s_andn2_b64 s[34:35], s[34:35], exec
	s_and_b64 s[38:39], s[38:39], exec
	s_or_b64 s[34:35], s[34:35], s[38:39]
	s_cbranch_execnz .LBB121_157
.LBB121_162:
	s_waitcnt vmcnt(0)
	v_cmp_ge_f16_sdwa s[36:37], v2, v6 src0_sel:WORD_1 src1_sel:WORD_1
	s_andn2_b64 s[34:35], s[34:35], exec
	s_and_b64 s[36:37], s[36:37], exec
	s_or_b64 s[34:35], s[34:35], s[36:37]
	s_cmp_lt_i32 s13, 1
	s_mov_b64 s[38:39], 0
	s_cbranch_scc0 .LBB121_158
.LBB121_163:
                                        ; implicit-def: $sgpr36_sgpr37
	s_mov_b64 s[40:41], 0
	s_cbranch_execnz .LBB121_167
	s_branch .LBB121_168
.LBB121_164:
	s_mov_b64 s[40:41], 0
                                        ; implicit-def: $sgpr36_sgpr37
	s_cbranch_execz .LBB121_166
; %bb.165:
	s_waitcnt vmcnt(0)
	v_cmp_gt_f16_e32 vcc, v3, v7
	s_andn2_b64 s[36:37], s[36:37], exec
	s_and_b64 s[42:43], vcc, exec
	s_or_b64 s[36:37], s[36:37], s[42:43]
.LBB121_166:
	s_branch .LBB121_168
.LBB121_167:
	s_cmp_lg_u32 s13, 0
	s_mov_b64 s[38:39], -1
	s_cselect_b64 s[40:41], -1, 0
.LBB121_168:
	s_andn2_b64 vcc, exec, s[40:41]
	s_cbranch_vccz .LBB121_174
; %bb.169:
	s_andn2_b64 vcc, exec, s[38:39]
	s_cbranch_vccz .LBB121_175
.LBB121_170:
	s_cmp_lt_i32 s13, 1
	s_mov_b64 s[40:41], 0
	s_cbranch_scc1 .LBB121_176
.LBB121_171:
	s_cmp_gt_i32 s13, 1
	s_cbranch_scc0 .LBB121_177
; %bb.172:
	s_cmp_eq_u32 s13, 2
	s_cbranch_scc0 .LBB121_263
; %bb.173:
	s_waitcnt vmcnt(0)
	v_cmp_le_f16_sdwa s[38:39], v3, v7 src0_sel:WORD_1 src1_sel:WORD_1
	s_mov_b64 s[42:43], 0
	s_branch .LBB121_179
.LBB121_174:
	s_waitcnt vmcnt(0)
	v_cmp_lt_f16_e32 vcc, v3, v7
	s_andn2_b64 s[36:37], s[36:37], exec
	s_and_b64 s[40:41], vcc, exec
	s_or_b64 s[36:37], s[36:37], s[40:41]
	s_cbranch_execnz .LBB121_170
.LBB121_175:
	s_waitcnt vmcnt(0)
	v_cmp_ge_f16_e32 vcc, v3, v7
	s_andn2_b64 s[36:37], s[36:37], exec
	s_and_b64 s[38:39], vcc, exec
	s_or_b64 s[36:37], s[36:37], s[38:39]
	s_cmp_lt_i32 s13, 1
	s_mov_b64 s[40:41], 0
	s_cbranch_scc0 .LBB121_171
.LBB121_176:
                                        ; implicit-def: $sgpr38_sgpr39
	s_mov_b64 s[42:43], 0
	s_cbranch_execnz .LBB121_180
	s_branch .LBB121_181
.LBB121_177:
	s_mov_b64 s[42:43], 0
                                        ; implicit-def: $sgpr38_sgpr39
	s_cbranch_execz .LBB121_179
; %bb.178:
	s_waitcnt vmcnt(0)
	v_cmp_gt_f16_sdwa s[44:45], v3, v7 src0_sel:WORD_1 src1_sel:WORD_1
	s_andn2_b64 s[38:39], s[38:39], exec
	s_and_b64 s[44:45], s[44:45], exec
	s_or_b64 s[38:39], s[38:39], s[44:45]
.LBB121_179:
	s_branch .LBB121_181
.LBB121_180:
	s_cmp_lg_u32 s13, 0
	s_mov_b64 s[40:41], -1
	s_cselect_b64 s[42:43], -1, 0
.LBB121_181:
	s_andn2_b64 vcc, exec, s[42:43]
	s_cbranch_vccz .LBB121_187
; %bb.182:
	s_andn2_b64 vcc, exec, s[40:41]
	s_cbranch_vccz .LBB121_188
.LBB121_183:
	s_cmp_lt_i32 s13, 1
	s_mov_b64 s[42:43], 0
	s_cbranch_scc1 .LBB121_189
.LBB121_184:
	s_cmp_gt_i32 s13, 1
	s_cbranch_scc0 .LBB121_190
; %bb.185:
	s_cmp_eq_u32 s13, 2
	s_cbranch_scc0 .LBB121_264
; %bb.186:
	s_waitcnt vmcnt(0)
	v_cmp_le_f16_e64 s[40:41], v4, v8
	s_mov_b64 s[44:45], 0
	s_branch .LBB121_192
.LBB121_187:
	s_waitcnt vmcnt(0)
	v_cmp_lt_f16_sdwa s[42:43], v3, v7 src0_sel:WORD_1 src1_sel:WORD_1
	s_andn2_b64 s[38:39], s[38:39], exec
	s_and_b64 s[42:43], s[42:43], exec
	s_or_b64 s[38:39], s[38:39], s[42:43]
	s_cbranch_execnz .LBB121_183
.LBB121_188:
	s_waitcnt vmcnt(0)
	v_cmp_ge_f16_sdwa s[40:41], v3, v7 src0_sel:WORD_1 src1_sel:WORD_1
	s_andn2_b64 s[38:39], s[38:39], exec
	s_and_b64 s[40:41], s[40:41], exec
	s_or_b64 s[38:39], s[38:39], s[40:41]
	s_cmp_lt_i32 s13, 1
	s_mov_b64 s[42:43], 0
	s_cbranch_scc0 .LBB121_184
.LBB121_189:
                                        ; implicit-def: $sgpr40_sgpr41
	s_mov_b64 s[44:45], 0
	s_cbranch_execnz .LBB121_193
	s_branch .LBB121_194
.LBB121_190:
	s_mov_b64 s[44:45], 0
                                        ; implicit-def: $sgpr40_sgpr41
	s_cbranch_execz .LBB121_192
; %bb.191:
	s_waitcnt vmcnt(0)
	v_cmp_gt_f16_e32 vcc, v4, v8
	s_andn2_b64 s[40:41], s[40:41], exec
	s_and_b64 s[46:47], vcc, exec
	s_or_b64 s[40:41], s[40:41], s[46:47]
.LBB121_192:
	s_branch .LBB121_194
.LBB121_193:
	s_cmp_lg_u32 s13, 0
	s_mov_b64 s[42:43], -1
	s_cselect_b64 s[44:45], -1, 0
.LBB121_194:
	s_andn2_b64 vcc, exec, s[44:45]
	s_cbranch_vccz .LBB121_200
; %bb.195:
	s_andn2_b64 vcc, exec, s[42:43]
	s_cbranch_vccz .LBB121_201
.LBB121_196:
	s_cmp_lt_i32 s13, 1
	s_mov_b64 s[44:45], 0
	s_cbranch_scc1 .LBB121_202
.LBB121_197:
	s_cmp_gt_i32 s13, 1
	s_cbranch_scc0 .LBB121_203
; %bb.198:
	s_cmp_eq_u32 s13, 2
	s_cbranch_scc0 .LBB121_265
; %bb.199:
	s_waitcnt vmcnt(0)
	v_cmp_le_f16_sdwa s[42:43], v4, v8 src0_sel:WORD_1 src1_sel:WORD_1
	s_mov_b64 s[46:47], 0
	s_branch .LBB121_205
.LBB121_200:
	s_waitcnt vmcnt(0)
	v_cmp_lt_f16_e32 vcc, v4, v8
	s_andn2_b64 s[40:41], s[40:41], exec
	s_and_b64 s[44:45], vcc, exec
	s_or_b64 s[40:41], s[40:41], s[44:45]
	s_cbranch_execnz .LBB121_196
.LBB121_201:
	s_waitcnt vmcnt(0)
	v_cmp_ge_f16_e32 vcc, v4, v8
	s_andn2_b64 s[40:41], s[40:41], exec
	s_and_b64 s[42:43], vcc, exec
	s_or_b64 s[40:41], s[40:41], s[42:43]
	s_cmp_lt_i32 s13, 1
	s_mov_b64 s[44:45], 0
	s_cbranch_scc0 .LBB121_197
.LBB121_202:
                                        ; implicit-def: $sgpr42_sgpr43
	s_mov_b64 s[46:47], 0
	s_cbranch_execnz .LBB121_206
	s_branch .LBB121_207
.LBB121_203:
	s_mov_b64 s[46:47], 0
                                        ; implicit-def: $sgpr42_sgpr43
	s_cbranch_execz .LBB121_205
; %bb.204:
	s_waitcnt vmcnt(0)
	v_cmp_gt_f16_sdwa s[48:49], v4, v8 src0_sel:WORD_1 src1_sel:WORD_1
	s_andn2_b64 s[42:43], s[42:43], exec
	s_and_b64 s[48:49], s[48:49], exec
	s_or_b64 s[42:43], s[42:43], s[48:49]
.LBB121_205:
	s_branch .LBB121_207
.LBB121_206:
	s_cmp_lg_u32 s13, 0
	s_mov_b64 s[44:45], -1
	s_cselect_b64 s[46:47], -1, 0
.LBB121_207:
	s_andn2_b64 vcc, exec, s[46:47]
	s_cbranch_vccz .LBB121_249
; %bb.208:
	s_andn2_b64 vcc, exec, s[44:45]
	s_cbranch_vccnz .LBB121_210
.LBB121_209:
	s_waitcnt vmcnt(0)
	v_cmp_ge_f16_sdwa s[44:45], v4, v8 src0_sel:WORD_1 src1_sel:WORD_1
	s_andn2_b64 s[42:43], s[42:43], exec
	s_and_b64 s[44:45], s[44:45], exec
	s_or_b64 s[42:43], s[42:43], s[44:45]
.LBB121_210:
	s_waitcnt vmcnt(3)
	v_mov_b32_e32 v1, 0x100
	v_cndmask_b32_e64 v2, 0, v1, s[28:29]
	v_cndmask_b32_e64 v3, 0, 1, s[26:27]
	v_or_b32_e32 v2, v2, v3
	v_mov_b32_e32 v3, 0x10000
	s_waitcnt vmcnt(0)
	v_mov_b32_e32 v5, 0x1000000
	v_cndmask_b32_e64 v4, 0, v3, s[30:31]
	v_cndmask_b32_e64 v6, 0, v5, s[34:35]
	v_or3_b32 v7, 0, 0, 0
	v_or3_b32 v2, v2, v4, v6
	v_cndmask_b32_e64 v4, 0, 1, s[36:37]
	v_cndmask_b32_e64 v6, 0, v1, s[38:39]
	v_or3_b32 v4, v7, v4, v6
	v_or3_b32 v6, v2, 0, 0
	v_cndmask_b32_e64 v2, 0, v1, s[4:5]
	v_cndmask_b32_e64 v9, 0, 1, s[0:1]
	v_or_b32_e32 v2, v2, v9
	v_cndmask_b32_e64 v9, 0, v3, s[6:7]
	v_cndmask_b32_e64 v10, 0, v5, s[16:17]
	v_or3_b32 v2, v2, v9, v10
	v_cndmask_b32_e64 v9, 0, 1, s[18:19]
	v_cndmask_b32_e64 v1, 0, v1, s[20:21]
	;; [unrolled: 1-line block ×3, first 2 shown]
	v_or3_b32 v1, v7, v9, v1
	v_or3_b32 v7, v2, 0, 0
	v_cndmask_b32_e64 v2, 0, v3, s[22:23]
	v_cndmask_b32_e64 v3, 0, v5, s[24:25]
	s_add_u32 s0, s8, s2
	v_or3_b32 v2, v1, v2, v3
	v_or3_b32 v1, v7, 0, 0
	v_cndmask_b32_e64 v3, 0, v5, s[42:43]
	s_addc_u32 s1, s9, s3
	v_lshlrev_b32_e32 v5, 3, v0
	v_or3_b32 v4, v4, v8, v3
	v_or3_b32 v3, v6, 0, 0
	global_store_dwordx2 v5, v[1:2], s[0:1]
	global_store_dwordx2 v5, v[3:4], s[0:1] offset:2048
	s_mov_b64 s[0:1], 0
.LBB121_211:
	s_and_b64 vcc, exec, s[0:1]
	s_cbranch_vccz .LBB121_519
; %bb.212:
	v_cmp_gt_i32_e64 s[0:1], s12, v0
	v_mov_b32_e32 v14, 0
	v_or_b32_e32 v1, s2, v0
	v_mov_b32_e32 v7, 0
	v_mov_b32_e32 v10, 0
	;; [unrolled: 1-line block ×3, first 2 shown]
	s_and_saveexec_b64 s[4:5], s[0:1]
	s_cbranch_execz .LBB121_214
; %bb.213:
	v_mov_b32_e32 v2, 0
	v_lshlrev_b64 v[2:3], 1, v[1:2]
	v_mov_b32_e32 v5, s15
	v_add_co_u32_e32 v4, vcc, s14, v2
	v_addc_co_u32_e32 v5, vcc, v5, v3, vcc
	v_mov_b32_e32 v6, s11
	v_add_co_u32_e32 v2, vcc, s10, v2
	v_addc_co_u32_e32 v3, vcc, v6, v3, vcc
	global_load_ushort v7, v[2:3], off
	global_load_ushort v10, v[4:5], off
	v_or_b32_e32 v6, 0x100, v0
.LBB121_214:
	s_or_b64 exec, exec, s[4:5]
	v_cmp_gt_i32_e32 vcc, s12, v6
	v_mov_b32_e32 v34, 0
	s_and_saveexec_b64 s[4:5], vcc
	s_cbranch_execz .LBB121_216
; %bb.215:
	v_add_u32_e32 v2, s2, v6
	v_mov_b32_e32 v3, 0
	v_lshlrev_b64 v[2:3], 1, v[2:3]
	v_mov_b32_e32 v5, s15
	v_add_co_u32_e32 v4, vcc, s14, v2
	v_addc_co_u32_e32 v5, vcc, v5, v3, vcc
	v_mov_b32_e32 v8, s11
	v_add_co_u32_e32 v2, vcc, s10, v2
	v_addc_co_u32_e32 v3, vcc, v8, v3, vcc
	global_load_ushort v14, v[2:3], off
	global_load_ushort v34, v[4:5], off
	v_add_u32_e32 v6, 0x100, v6
.LBB121_216:
	s_or_b64 exec, exec, s[4:5]
	v_cmp_gt_i32_e32 vcc, s12, v6
	v_mov_b32_e32 v21, 0
	v_mov_b32_e32 v16, 0
	v_mov_b32_e32 v33, 0
	s_and_saveexec_b64 s[4:5], vcc
	s_cbranch_execz .LBB121_218
; %bb.217:
	v_add_u32_e32 v2, s2, v6
	v_mov_b32_e32 v3, 0
	v_lshlrev_b64 v[2:3], 1, v[2:3]
	v_mov_b32_e32 v5, s15
	v_add_co_u32_e32 v4, vcc, s14, v2
	v_addc_co_u32_e32 v5, vcc, v5, v3, vcc
	v_mov_b32_e32 v8, s11
	v_add_co_u32_e32 v2, vcc, s10, v2
	v_addc_co_u32_e32 v3, vcc, v8, v3, vcc
	global_load_ushort v16, v[2:3], off
	global_load_ushort v33, v[4:5], off
	v_add_u32_e32 v6, 0x100, v6
.LBB121_218:
	s_or_b64 exec, exec, s[4:5]
	v_cmp_gt_i32_e32 vcc, s12, v6
	v_mov_b32_e32 v32, 0
	s_and_saveexec_b64 s[4:5], vcc
	s_cbranch_execz .LBB121_220
; %bb.219:
	v_add_u32_e32 v2, s2, v6
	v_mov_b32_e32 v3, 0
	v_lshlrev_b64 v[2:3], 1, v[2:3]
	v_mov_b32_e32 v5, s15
	v_add_co_u32_e32 v4, vcc, s14, v2
	v_addc_co_u32_e32 v5, vcc, v5, v3, vcc
	v_mov_b32_e32 v8, s11
	v_add_co_u32_e32 v2, vcc, s10, v2
	v_addc_co_u32_e32 v3, vcc, v8, v3, vcc
	global_load_ushort v21, v[2:3], off
	global_load_ushort v32, v[4:5], off
	v_add_u32_e32 v6, 0x100, v6
.LBB121_220:
	s_or_b64 exec, exec, s[4:5]
	v_cmp_gt_i32_e32 vcc, s12, v6
	v_mov_b32_e32 v27, 0
	v_mov_b32_e32 v24, 0
	v_mov_b32_e32 v31, 0
	s_and_saveexec_b64 s[4:5], vcc
	s_cbranch_execz .LBB121_222
; %bb.221:
	v_add_u32_e32 v2, s2, v6
	v_mov_b32_e32 v3, 0
	v_lshlrev_b64 v[2:3], 1, v[2:3]
	v_mov_b32_e32 v5, s15
	v_add_co_u32_e32 v4, vcc, s14, v2
	v_addc_co_u32_e32 v5, vcc, v5, v3, vcc
	v_mov_b32_e32 v8, s11
	v_add_co_u32_e32 v2, vcc, s10, v2
	v_addc_co_u32_e32 v3, vcc, v8, v3, vcc
	global_load_ushort v24, v[2:3], off
	global_load_ushort v31, v[4:5], off
	v_add_u32_e32 v6, 0x100, v6
.LBB121_222:
	;; [unrolled: 40-line block ×7, first 2 shown]
	s_or_b64 exec, exec, s[4:5]
	v_cmp_gt_i32_e32 vcc, s12, v6
	v_mov_b32_e32 v3, 0
	s_and_saveexec_b64 s[4:5], vcc
	s_cbranch_execz .LBB121_244
; %bb.243:
	v_add_u32_e32 v2, s2, v6
	v_mov_b32_e32 v3, 0
	v_lshlrev_b64 v[2:3], 1, v[2:3]
	v_mov_b32_e32 v6, s15
	v_add_co_u32_e32 v35, vcc, s14, v2
	v_addc_co_u32_e32 v36, vcc, v6, v3, vcc
	v_mov_b32_e32 v6, s11
	v_add_co_u32_e32 v37, vcc, s10, v2
	v_addc_co_u32_e32 v38, vcc, v6, v3, vcc
	global_load_ushort v2, v[37:38], off
	global_load_ushort v3, v[35:36], off
.LBB121_244:
	s_or_b64 exec, exec, s[4:5]
                                        ; implicit-def: $vgpr6
	s_and_saveexec_b64 s[4:5], s[0:1]
	s_cbranch_execz .LBB121_276
; %bb.245:
	s_cmp_lt_i32 s13, 1
	s_mov_b64 s[6:7], 0
	s_cbranch_scc1 .LBB121_250
; %bb.246:
	s_cmp_gt_i32 s13, 1
	s_cbranch_scc0 .LBB121_266
; %bb.247:
	s_cmp_eq_u32 s13, 2
	s_cbranch_scc0 .LBB121_267
; %bb.248:
	s_waitcnt vmcnt(0)
	v_cmp_le_f16_e64 s[10:11], v7, v10
	s_mov_b64 s[14:15], 0
	s_branch .LBB121_268
.LBB121_249:
	s_waitcnt vmcnt(0)
	v_cmp_lt_f16_sdwa s[46:47], v4, v8 src0_sel:WORD_1 src1_sel:WORD_1
	s_andn2_b64 s[42:43], s[42:43], exec
	s_and_b64 s[46:47], s[46:47], exec
	s_or_b64 s[42:43], s[42:43], s[46:47]
	s_cbranch_execz .LBB121_209
	s_branch .LBB121_210
.LBB121_250:
                                        ; implicit-def: $sgpr10_sgpr11
	s_mov_b64 s[14:15], 0
	s_cbranch_execnz .LBB121_271
	s_branch .LBB121_272
.LBB121_251:
	s_mov_b64 s[16:17], -1
                                        ; implicit-def: $sgpr4_sgpr5
	s_branch .LBB121_23
.LBB121_252:
	s_mov_b64 s[18:19], -1
                                        ; implicit-def: $sgpr6_sgpr7
	s_branch .LBB121_36
.LBB121_253:
	s_mov_b64 s[20:21], -1
                                        ; implicit-def: $sgpr16_sgpr17
	s_branch .LBB121_49
.LBB121_254:
	s_mov_b64 s[22:23], -1
                                        ; implicit-def: $sgpr18_sgpr19
	s_branch .LBB121_62
.LBB121_255:
	s_mov_b64 s[24:25], -1
                                        ; implicit-def: $sgpr20_sgpr21
	s_branch .LBB121_75
.LBB121_256:
	s_mov_b64 s[26:27], -1
                                        ; implicit-def: $sgpr22_sgpr23
	s_branch .LBB121_88
.LBB121_257:
	s_mov_b64 s[28:29], -1
                                        ; implicit-def: $sgpr24_sgpr25
	s_branch .LBB121_101
.LBB121_258:
	s_mov_b64 s[30:31], -1
                                        ; implicit-def: $sgpr26_sgpr27
	s_branch .LBB121_114
.LBB121_259:
	s_mov_b64 s[34:35], -1
                                        ; implicit-def: $sgpr28_sgpr29
	s_branch .LBB121_127
.LBB121_260:
	s_mov_b64 s[36:37], -1
                                        ; implicit-def: $sgpr30_sgpr31
	s_branch .LBB121_140
.LBB121_261:
	s_mov_b64 s[38:39], -1
                                        ; implicit-def: $sgpr34_sgpr35
	s_branch .LBB121_153
.LBB121_262:
	s_mov_b64 s[40:41], -1
                                        ; implicit-def: $sgpr36_sgpr37
	s_branch .LBB121_166
.LBB121_263:
	s_mov_b64 s[42:43], -1
                                        ; implicit-def: $sgpr38_sgpr39
	s_branch .LBB121_179
.LBB121_264:
	s_mov_b64 s[44:45], -1
                                        ; implicit-def: $sgpr40_sgpr41
	s_branch .LBB121_192
.LBB121_265:
	s_mov_b64 s[46:47], -1
                                        ; implicit-def: $sgpr42_sgpr43
	s_branch .LBB121_205
.LBB121_266:
	s_mov_b64 s[14:15], 0
                                        ; implicit-def: $sgpr10_sgpr11
	s_cbranch_execnz .LBB121_269
	s_branch .LBB121_270
.LBB121_267:
	s_mov_b64 s[14:15], -1
                                        ; implicit-def: $sgpr10_sgpr11
.LBB121_268:
	s_branch .LBB121_270
.LBB121_269:
	s_waitcnt vmcnt(0)
	v_cmp_gt_f16_e32 vcc, v7, v10
	s_andn2_b64 s[10:11], s[10:11], exec
	s_and_b64 s[16:17], vcc, exec
	s_or_b64 s[10:11], s[10:11], s[16:17]
.LBB121_270:
	s_branch .LBB121_272
.LBB121_271:
	s_cmp_lg_u32 s13, 0
	s_mov_b64 s[6:7], -1
	s_cselect_b64 s[14:15], -1, 0
.LBB121_272:
	s_andn2_b64 vcc, exec, s[14:15]
	s_cbranch_vccz .LBB121_281
; %bb.273:
	s_andn2_b64 vcc, exec, s[6:7]
	s_cbranch_vccnz .LBB121_275
.LBB121_274:
	s_waitcnt vmcnt(0)
	v_cmp_ge_f16_e32 vcc, v7, v10
	s_andn2_b64 s[6:7], s[10:11], exec
	s_and_b64 s[10:11], vcc, exec
	s_or_b64 s[10:11], s[6:7], s[10:11]
.LBB121_275:
	v_cndmask_b32_e64 v6, 0, 1, s[10:11]
.LBB121_276:
	s_or_b64 exec, exec, s[4:5]
	s_waitcnt vmcnt(1)
	v_or_b32_e32 v7, 0x100, v0
	v_cmp_gt_i32_e32 vcc, s12, v7
                                        ; implicit-def: $vgpr10
	s_and_saveexec_b64 s[4:5], vcc
	s_cbranch_execz .LBB121_291
; %bb.277:
	s_cmp_lt_i32 s13, 1
	s_mov_b64 s[6:7], 0
	s_cbranch_scc1 .LBB121_282
; %bb.278:
	s_cmp_gt_i32 s13, 1
	s_cbranch_scc0 .LBB121_283
; %bb.279:
	s_cmp_eq_u32 s13, 2
	s_cbranch_scc0 .LBB121_535
; %bb.280:
	s_waitcnt vmcnt(0)
	v_cmp_le_f16_e64 s[10:11], v14, v34
	s_mov_b64 s[14:15], 0
	s_branch .LBB121_285
.LBB121_281:
	s_waitcnt vmcnt(0)
	v_cmp_lt_f16_e32 vcc, v7, v10
	s_andn2_b64 s[10:11], s[10:11], exec
	s_and_b64 s[14:15], vcc, exec
	s_or_b64 s[10:11], s[10:11], s[14:15]
	s_cbranch_execz .LBB121_274
	s_branch .LBB121_275
.LBB121_282:
                                        ; implicit-def: $sgpr10_sgpr11
	s_mov_b64 s[14:15], 0
	s_cbranch_execnz .LBB121_286
	s_branch .LBB121_287
.LBB121_283:
	s_mov_b64 s[14:15], 0
                                        ; implicit-def: $sgpr10_sgpr11
	s_cbranch_execz .LBB121_285
; %bb.284:
	s_waitcnt vmcnt(0)
	v_cmp_gt_f16_e32 vcc, v14, v34
	s_andn2_b64 s[10:11], s[10:11], exec
	s_and_b64 s[16:17], vcc, exec
	s_or_b64 s[10:11], s[10:11], s[16:17]
.LBB121_285:
	s_branch .LBB121_287
.LBB121_286:
	s_cmp_lg_u32 s13, 0
	s_mov_b64 s[6:7], -1
	s_cselect_b64 s[14:15], -1, 0
.LBB121_287:
	s_andn2_b64 vcc, exec, s[14:15]
	s_cbranch_vccz .LBB121_296
; %bb.288:
	s_andn2_b64 vcc, exec, s[6:7]
	s_cbranch_vccnz .LBB121_290
.LBB121_289:
	s_waitcnt vmcnt(0)
	v_cmp_ge_f16_e32 vcc, v14, v34
	s_andn2_b64 s[6:7], s[10:11], exec
	s_and_b64 s[10:11], vcc, exec
	s_or_b64 s[10:11], s[6:7], s[10:11]
.LBB121_290:
	s_waitcnt vmcnt(0)
	v_cndmask_b32_e64 v10, 0, 1, s[10:11]
.LBB121_291:
	s_or_b64 exec, exec, s[4:5]
	v_or_b32_e32 v14, 0x200, v0
	v_cmp_gt_i32_e32 vcc, s12, v14
                                        ; implicit-def: $vgpr14
	s_and_saveexec_b64 s[4:5], vcc
	s_cbranch_execz .LBB121_306
; %bb.292:
	s_cmp_lt_i32 s13, 1
	s_mov_b64 s[6:7], 0
	s_cbranch_scc1 .LBB121_297
; %bb.293:
	s_cmp_gt_i32 s13, 1
	s_cbranch_scc0 .LBB121_298
; %bb.294:
	s_cmp_eq_u32 s13, 2
	s_cbranch_scc0 .LBB121_536
; %bb.295:
	s_waitcnt vmcnt(0)
	v_cmp_le_f16_e64 s[10:11], v16, v33
	s_mov_b64 s[14:15], 0
	s_branch .LBB121_300
.LBB121_296:
	s_waitcnt vmcnt(0)
	v_cmp_lt_f16_e32 vcc, v14, v34
	s_andn2_b64 s[10:11], s[10:11], exec
	s_and_b64 s[14:15], vcc, exec
	s_or_b64 s[10:11], s[10:11], s[14:15]
	s_cbranch_execz .LBB121_289
	s_branch .LBB121_290
.LBB121_297:
                                        ; implicit-def: $sgpr10_sgpr11
	s_mov_b64 s[14:15], 0
	s_cbranch_execnz .LBB121_301
	s_branch .LBB121_302
.LBB121_298:
	s_mov_b64 s[14:15], 0
                                        ; implicit-def: $sgpr10_sgpr11
	s_cbranch_execz .LBB121_300
; %bb.299:
	s_waitcnt vmcnt(0)
	v_cmp_gt_f16_e32 vcc, v16, v33
	s_andn2_b64 s[10:11], s[10:11], exec
	s_and_b64 s[16:17], vcc, exec
	s_or_b64 s[10:11], s[10:11], s[16:17]
.LBB121_300:
	s_branch .LBB121_302
.LBB121_301:
	s_cmp_lg_u32 s13, 0
	s_mov_b64 s[6:7], -1
	s_cselect_b64 s[14:15], -1, 0
.LBB121_302:
	s_andn2_b64 vcc, exec, s[14:15]
	s_cbranch_vccz .LBB121_311
; %bb.303:
	s_andn2_b64 vcc, exec, s[6:7]
	s_cbranch_vccnz .LBB121_305
.LBB121_304:
	s_waitcnt vmcnt(0)
	v_cmp_ge_f16_e32 vcc, v16, v33
	s_andn2_b64 s[6:7], s[10:11], exec
	s_and_b64 s[10:11], vcc, exec
	s_or_b64 s[10:11], s[6:7], s[10:11]
.LBB121_305:
	v_cndmask_b32_e64 v14, 0, 1, s[10:11]
.LBB121_306:
	s_or_b64 exec, exec, s[4:5]
	v_or_b32_e32 v16, 0x300, v0
	v_cmp_gt_i32_e32 vcc, s12, v16
                                        ; implicit-def: $vgpr16
	s_and_saveexec_b64 s[4:5], vcc
	s_cbranch_execz .LBB121_321
; %bb.307:
	s_cmp_lt_i32 s13, 1
	s_mov_b64 s[6:7], 0
	s_cbranch_scc1 .LBB121_312
; %bb.308:
	s_cmp_gt_i32 s13, 1
	s_cbranch_scc0 .LBB121_313
; %bb.309:
	s_cmp_eq_u32 s13, 2
	s_cbranch_scc0 .LBB121_537
; %bb.310:
	s_waitcnt vmcnt(0)
	v_cmp_le_f16_e64 s[10:11], v21, v32
	s_mov_b64 s[14:15], 0
	s_branch .LBB121_315
.LBB121_311:
	s_waitcnt vmcnt(0)
	v_cmp_lt_f16_e32 vcc, v16, v33
	s_andn2_b64 s[10:11], s[10:11], exec
	s_and_b64 s[14:15], vcc, exec
	s_or_b64 s[10:11], s[10:11], s[14:15]
	s_cbranch_execz .LBB121_304
	s_branch .LBB121_305
.LBB121_312:
                                        ; implicit-def: $sgpr10_sgpr11
	s_mov_b64 s[14:15], 0
	s_cbranch_execnz .LBB121_316
	s_branch .LBB121_317
.LBB121_313:
	s_mov_b64 s[14:15], 0
                                        ; implicit-def: $sgpr10_sgpr11
	s_cbranch_execz .LBB121_315
; %bb.314:
	s_waitcnt vmcnt(0)
	v_cmp_gt_f16_e32 vcc, v21, v32
	s_andn2_b64 s[10:11], s[10:11], exec
	s_and_b64 s[16:17], vcc, exec
	s_or_b64 s[10:11], s[10:11], s[16:17]
.LBB121_315:
	s_branch .LBB121_317
.LBB121_316:
	s_cmp_lg_u32 s13, 0
	s_mov_b64 s[6:7], -1
	s_cselect_b64 s[14:15], -1, 0
.LBB121_317:
	s_andn2_b64 vcc, exec, s[14:15]
	s_cbranch_vccz .LBB121_326
; %bb.318:
	s_andn2_b64 vcc, exec, s[6:7]
	s_cbranch_vccnz .LBB121_320
.LBB121_319:
	s_waitcnt vmcnt(0)
	v_cmp_ge_f16_e32 vcc, v21, v32
	s_andn2_b64 s[6:7], s[10:11], exec
	s_and_b64 s[10:11], vcc, exec
	s_or_b64 s[10:11], s[6:7], s[10:11]
.LBB121_320:
	v_cndmask_b32_e64 v16, 0, 1, s[10:11]
.LBB121_321:
	s_or_b64 exec, exec, s[4:5]
	v_or_b32_e32 v21, 0x400, v0
	v_cmp_gt_i32_e32 vcc, s12, v21
                                        ; implicit-def: $vgpr21
	s_and_saveexec_b64 s[4:5], vcc
	s_cbranch_execz .LBB121_336
; %bb.322:
	s_cmp_lt_i32 s13, 1
	s_mov_b64 s[6:7], 0
	s_cbranch_scc1 .LBB121_327
; %bb.323:
	s_cmp_gt_i32 s13, 1
	s_cbranch_scc0 .LBB121_328
; %bb.324:
	s_cmp_eq_u32 s13, 2
	s_cbranch_scc0 .LBB121_538
; %bb.325:
	s_waitcnt vmcnt(0)
	v_cmp_le_f16_e64 s[10:11], v24, v31
	s_mov_b64 s[14:15], 0
	s_branch .LBB121_330
.LBB121_326:
	s_waitcnt vmcnt(0)
	v_cmp_lt_f16_e32 vcc, v21, v32
	s_andn2_b64 s[10:11], s[10:11], exec
	s_and_b64 s[14:15], vcc, exec
	s_or_b64 s[10:11], s[10:11], s[14:15]
	s_cbranch_execz .LBB121_319
	s_branch .LBB121_320
.LBB121_327:
                                        ; implicit-def: $sgpr10_sgpr11
	s_mov_b64 s[14:15], 0
	s_cbranch_execnz .LBB121_331
	s_branch .LBB121_332
.LBB121_328:
	s_mov_b64 s[14:15], 0
                                        ; implicit-def: $sgpr10_sgpr11
	s_cbranch_execz .LBB121_330
; %bb.329:
	s_waitcnt vmcnt(0)
	v_cmp_gt_f16_e32 vcc, v24, v31
	s_andn2_b64 s[10:11], s[10:11], exec
	s_and_b64 s[16:17], vcc, exec
	s_or_b64 s[10:11], s[10:11], s[16:17]
.LBB121_330:
	s_branch .LBB121_332
.LBB121_331:
	s_cmp_lg_u32 s13, 0
	s_mov_b64 s[6:7], -1
	s_cselect_b64 s[14:15], -1, 0
.LBB121_332:
	s_andn2_b64 vcc, exec, s[14:15]
	s_cbranch_vccz .LBB121_341
; %bb.333:
	s_andn2_b64 vcc, exec, s[6:7]
	s_cbranch_vccnz .LBB121_335
.LBB121_334:
	s_waitcnt vmcnt(0)
	v_cmp_ge_f16_e32 vcc, v24, v31
	s_andn2_b64 s[6:7], s[10:11], exec
	s_and_b64 s[10:11], vcc, exec
	s_or_b64 s[10:11], s[6:7], s[10:11]
.LBB121_335:
	v_cndmask_b32_e64 v21, 0, 1, s[10:11]
.LBB121_336:
	s_or_b64 exec, exec, s[4:5]
	v_or_b32_e32 v24, 0x500, v0
	v_cmp_gt_i32_e32 vcc, s12, v24
                                        ; implicit-def: $vgpr24
	s_and_saveexec_b64 s[4:5], vcc
	s_cbranch_execz .LBB121_351
; %bb.337:
	s_cmp_lt_i32 s13, 1
	s_mov_b64 s[6:7], 0
	s_cbranch_scc1 .LBB121_342
; %bb.338:
	s_cmp_gt_i32 s13, 1
	s_cbranch_scc0 .LBB121_343
; %bb.339:
	s_cmp_eq_u32 s13, 2
	s_cbranch_scc0 .LBB121_539
; %bb.340:
	s_waitcnt vmcnt(0)
	v_cmp_le_f16_e64 s[10:11], v27, v30
	s_mov_b64 s[14:15], 0
	s_branch .LBB121_345
.LBB121_341:
	s_waitcnt vmcnt(0)
	v_cmp_lt_f16_e32 vcc, v24, v31
	s_andn2_b64 s[10:11], s[10:11], exec
	s_and_b64 s[14:15], vcc, exec
	s_or_b64 s[10:11], s[10:11], s[14:15]
	s_cbranch_execz .LBB121_334
	s_branch .LBB121_335
.LBB121_342:
                                        ; implicit-def: $sgpr10_sgpr11
	s_mov_b64 s[14:15], 0
	s_cbranch_execnz .LBB121_346
	s_branch .LBB121_347
.LBB121_343:
	s_mov_b64 s[14:15], 0
                                        ; implicit-def: $sgpr10_sgpr11
	s_cbranch_execz .LBB121_345
; %bb.344:
	s_waitcnt vmcnt(0)
	v_cmp_gt_f16_e32 vcc, v27, v30
	s_andn2_b64 s[10:11], s[10:11], exec
	s_and_b64 s[16:17], vcc, exec
	s_or_b64 s[10:11], s[10:11], s[16:17]
.LBB121_345:
	s_branch .LBB121_347
.LBB121_346:
	s_cmp_lg_u32 s13, 0
	s_mov_b64 s[6:7], -1
	s_cselect_b64 s[14:15], -1, 0
.LBB121_347:
	s_andn2_b64 vcc, exec, s[14:15]
	s_cbranch_vccz .LBB121_356
; %bb.348:
	s_andn2_b64 vcc, exec, s[6:7]
	s_cbranch_vccnz .LBB121_350
.LBB121_349:
	s_waitcnt vmcnt(0)
	v_cmp_ge_f16_e32 vcc, v27, v30
	s_andn2_b64 s[6:7], s[10:11], exec
	s_and_b64 s[10:11], vcc, exec
	s_or_b64 s[10:11], s[6:7], s[10:11]
.LBB121_350:
	v_cndmask_b32_e64 v24, 0, 1, s[10:11]
.LBB121_351:
	s_or_b64 exec, exec, s[4:5]
	v_or_b32_e32 v27, 0x600, v0
	v_cmp_gt_i32_e32 vcc, s12, v27
                                        ; implicit-def: $vgpr27
	s_and_saveexec_b64 s[4:5], vcc
	s_cbranch_execz .LBB121_366
; %bb.352:
	s_cmp_lt_i32 s13, 1
	s_mov_b64 s[6:7], 0
	s_cbranch_scc1 .LBB121_357
; %bb.353:
	s_cmp_gt_i32 s13, 1
	s_cbranch_scc0 .LBB121_358
; %bb.354:
	s_cmp_eq_u32 s13, 2
	s_cbranch_scc0 .LBB121_540
; %bb.355:
	s_waitcnt vmcnt(0)
	v_cmp_le_f16_e64 s[10:11], v28, v29
	s_mov_b64 s[14:15], 0
	s_branch .LBB121_360
.LBB121_356:
	s_waitcnt vmcnt(0)
	v_cmp_lt_f16_e32 vcc, v27, v30
	s_andn2_b64 s[10:11], s[10:11], exec
	s_and_b64 s[14:15], vcc, exec
	s_or_b64 s[10:11], s[10:11], s[14:15]
	s_cbranch_execz .LBB121_349
	s_branch .LBB121_350
.LBB121_357:
                                        ; implicit-def: $sgpr10_sgpr11
	s_mov_b64 s[14:15], 0
	s_cbranch_execnz .LBB121_361
	s_branch .LBB121_362
.LBB121_358:
	s_mov_b64 s[14:15], 0
                                        ; implicit-def: $sgpr10_sgpr11
	s_cbranch_execz .LBB121_360
; %bb.359:
	s_waitcnt vmcnt(0)
	v_cmp_gt_f16_e32 vcc, v28, v29
	s_andn2_b64 s[10:11], s[10:11], exec
	s_and_b64 s[16:17], vcc, exec
	s_or_b64 s[10:11], s[10:11], s[16:17]
.LBB121_360:
	s_branch .LBB121_362
.LBB121_361:
	s_cmp_lg_u32 s13, 0
	s_mov_b64 s[6:7], -1
	s_cselect_b64 s[14:15], -1, 0
.LBB121_362:
	s_andn2_b64 vcc, exec, s[14:15]
	s_cbranch_vccz .LBB121_371
; %bb.363:
	s_andn2_b64 vcc, exec, s[6:7]
	s_cbranch_vccnz .LBB121_365
.LBB121_364:
	s_waitcnt vmcnt(0)
	v_cmp_ge_f16_e32 vcc, v28, v29
	s_andn2_b64 s[6:7], s[10:11], exec
	s_and_b64 s[10:11], vcc, exec
	s_or_b64 s[10:11], s[6:7], s[10:11]
.LBB121_365:
	v_cndmask_b32_e64 v27, 0, 1, s[10:11]
.LBB121_366:
	s_or_b64 exec, exec, s[4:5]
	v_or_b32_e32 v28, 0x700, v0
	v_cmp_gt_i32_e32 vcc, s12, v28
                                        ; implicit-def: $vgpr28
	s_and_saveexec_b64 s[4:5], vcc
	s_cbranch_execz .LBB121_381
; %bb.367:
	s_cmp_lt_i32 s13, 1
	s_mov_b64 s[6:7], 0
	s_cbranch_scc1 .LBB121_372
; %bb.368:
	s_cmp_gt_i32 s13, 1
	s_cbranch_scc0 .LBB121_373
; %bb.369:
	s_cmp_eq_u32 s13, 2
	s_cbranch_scc0 .LBB121_541
; %bb.370:
	s_waitcnt vmcnt(0)
	v_cmp_le_f16_e64 s[10:11], v25, v26
	s_mov_b64 s[14:15], 0
	s_branch .LBB121_375
.LBB121_371:
	s_waitcnt vmcnt(0)
	v_cmp_lt_f16_e32 vcc, v28, v29
	s_andn2_b64 s[10:11], s[10:11], exec
	s_and_b64 s[14:15], vcc, exec
	s_or_b64 s[10:11], s[10:11], s[14:15]
	s_cbranch_execz .LBB121_364
	s_branch .LBB121_365
.LBB121_372:
                                        ; implicit-def: $sgpr10_sgpr11
	s_mov_b64 s[14:15], 0
	s_cbranch_execnz .LBB121_376
	s_branch .LBB121_377
.LBB121_373:
	s_mov_b64 s[14:15], 0
                                        ; implicit-def: $sgpr10_sgpr11
	s_cbranch_execz .LBB121_375
; %bb.374:
	s_waitcnt vmcnt(0)
	v_cmp_gt_f16_e32 vcc, v25, v26
	s_andn2_b64 s[10:11], s[10:11], exec
	s_and_b64 s[16:17], vcc, exec
	s_or_b64 s[10:11], s[10:11], s[16:17]
.LBB121_375:
	s_branch .LBB121_377
.LBB121_376:
	s_cmp_lg_u32 s13, 0
	s_mov_b64 s[6:7], -1
	s_cselect_b64 s[14:15], -1, 0
.LBB121_377:
	s_andn2_b64 vcc, exec, s[14:15]
	s_cbranch_vccz .LBB121_386
; %bb.378:
	s_andn2_b64 vcc, exec, s[6:7]
	s_cbranch_vccnz .LBB121_380
.LBB121_379:
	s_waitcnt vmcnt(0)
	v_cmp_ge_f16_e32 vcc, v25, v26
	s_andn2_b64 s[6:7], s[10:11], exec
	s_and_b64 s[10:11], vcc, exec
	s_or_b64 s[10:11], s[6:7], s[10:11]
.LBB121_380:
	v_cndmask_b32_e64 v28, 0, 1, s[10:11]
.LBB121_381:
	s_or_b64 exec, exec, s[4:5]
	v_or_b32_e32 v25, 0x800, v0
	v_cmp_gt_i32_e32 vcc, s12, v25
                                        ; implicit-def: $vgpr25
	s_and_saveexec_b64 s[4:5], vcc
	s_cbranch_execz .LBB121_396
; %bb.382:
	s_cmp_lt_i32 s13, 1
	s_mov_b64 s[6:7], 0
	s_cbranch_scc1 .LBB121_387
; %bb.383:
	s_cmp_gt_i32 s13, 1
	s_cbranch_scc0 .LBB121_388
; %bb.384:
	s_cmp_eq_u32 s13, 2
	s_cbranch_scc0 .LBB121_542
; %bb.385:
	s_waitcnt vmcnt(0)
	v_cmp_le_f16_e64 s[10:11], v22, v23
	s_mov_b64 s[14:15], 0
	s_branch .LBB121_390
.LBB121_386:
	s_waitcnt vmcnt(0)
	v_cmp_lt_f16_e32 vcc, v25, v26
	s_andn2_b64 s[10:11], s[10:11], exec
	s_and_b64 s[14:15], vcc, exec
	s_or_b64 s[10:11], s[10:11], s[14:15]
	s_cbranch_execz .LBB121_379
	s_branch .LBB121_380
.LBB121_387:
                                        ; implicit-def: $sgpr10_sgpr11
	s_mov_b64 s[14:15], 0
	s_cbranch_execnz .LBB121_391
	s_branch .LBB121_392
.LBB121_388:
	s_mov_b64 s[14:15], 0
                                        ; implicit-def: $sgpr10_sgpr11
	s_cbranch_execz .LBB121_390
; %bb.389:
	s_waitcnt vmcnt(0)
	v_cmp_gt_f16_e32 vcc, v22, v23
	s_andn2_b64 s[10:11], s[10:11], exec
	s_and_b64 s[16:17], vcc, exec
	s_or_b64 s[10:11], s[10:11], s[16:17]
.LBB121_390:
	s_branch .LBB121_392
.LBB121_391:
	s_cmp_lg_u32 s13, 0
	s_mov_b64 s[6:7], -1
	s_cselect_b64 s[14:15], -1, 0
.LBB121_392:
	s_andn2_b64 vcc, exec, s[14:15]
	s_cbranch_vccz .LBB121_401
; %bb.393:
	s_andn2_b64 vcc, exec, s[6:7]
	s_cbranch_vccnz .LBB121_395
.LBB121_394:
	s_waitcnt vmcnt(0)
	v_cmp_ge_f16_e32 vcc, v22, v23
	s_andn2_b64 s[6:7], s[10:11], exec
	s_and_b64 s[10:11], vcc, exec
	s_or_b64 s[10:11], s[6:7], s[10:11]
.LBB121_395:
	v_cndmask_b32_e64 v25, 0, 1, s[10:11]
.LBB121_396:
	s_or_b64 exec, exec, s[4:5]
	v_or_b32_e32 v22, 0x900, v0
	v_cmp_gt_i32_e32 vcc, s12, v22
                                        ; implicit-def: $vgpr22
	s_and_saveexec_b64 s[4:5], vcc
	s_cbranch_execz .LBB121_411
; %bb.397:
	s_cmp_lt_i32 s13, 1
	s_mov_b64 s[6:7], 0
	s_cbranch_scc1 .LBB121_402
; %bb.398:
	s_cmp_gt_i32 s13, 1
	s_cbranch_scc0 .LBB121_403
; %bb.399:
	s_cmp_eq_u32 s13, 2
	s_cbranch_scc0 .LBB121_543
; %bb.400:
	s_waitcnt vmcnt(0)
	v_cmp_le_f16_e64 s[10:11], v19, v20
	s_mov_b64 s[14:15], 0
	s_branch .LBB121_405
.LBB121_401:
	s_waitcnt vmcnt(0)
	v_cmp_lt_f16_e32 vcc, v22, v23
	s_andn2_b64 s[10:11], s[10:11], exec
	s_and_b64 s[14:15], vcc, exec
	s_or_b64 s[10:11], s[10:11], s[14:15]
	s_cbranch_execz .LBB121_394
	s_branch .LBB121_395
.LBB121_402:
                                        ; implicit-def: $sgpr10_sgpr11
	s_mov_b64 s[14:15], 0
	s_cbranch_execnz .LBB121_406
	s_branch .LBB121_407
.LBB121_403:
	s_mov_b64 s[14:15], 0
                                        ; implicit-def: $sgpr10_sgpr11
	s_cbranch_execz .LBB121_405
; %bb.404:
	s_waitcnt vmcnt(0)
	v_cmp_gt_f16_e32 vcc, v19, v20
	s_andn2_b64 s[10:11], s[10:11], exec
	s_and_b64 s[16:17], vcc, exec
	s_or_b64 s[10:11], s[10:11], s[16:17]
.LBB121_405:
	s_branch .LBB121_407
.LBB121_406:
	s_cmp_lg_u32 s13, 0
	s_mov_b64 s[6:7], -1
	s_cselect_b64 s[14:15], -1, 0
.LBB121_407:
	s_andn2_b64 vcc, exec, s[14:15]
	s_cbranch_vccz .LBB121_416
; %bb.408:
	s_andn2_b64 vcc, exec, s[6:7]
	s_cbranch_vccnz .LBB121_410
.LBB121_409:
	s_waitcnt vmcnt(0)
	v_cmp_ge_f16_e32 vcc, v19, v20
	s_andn2_b64 s[6:7], s[10:11], exec
	s_and_b64 s[10:11], vcc, exec
	s_or_b64 s[10:11], s[6:7], s[10:11]
.LBB121_410:
	v_cndmask_b32_e64 v22, 0, 1, s[10:11]
.LBB121_411:
	s_or_b64 exec, exec, s[4:5]
	v_or_b32_e32 v19, 0xa00, v0
	v_cmp_gt_i32_e32 vcc, s12, v19
                                        ; implicit-def: $vgpr19
	s_and_saveexec_b64 s[4:5], vcc
	s_cbranch_execz .LBB121_426
; %bb.412:
	s_cmp_lt_i32 s13, 1
	s_mov_b64 s[6:7], 0
	s_cbranch_scc1 .LBB121_417
; %bb.413:
	s_cmp_gt_i32 s13, 1
	s_cbranch_scc0 .LBB121_418
; %bb.414:
	s_cmp_eq_u32 s13, 2
	s_cbranch_scc0 .LBB121_544
; %bb.415:
	s_waitcnt vmcnt(0)
	v_cmp_le_f16_e64 s[10:11], v17, v18
	s_mov_b64 s[14:15], 0
	s_branch .LBB121_420
.LBB121_416:
	s_waitcnt vmcnt(0)
	v_cmp_lt_f16_e32 vcc, v19, v20
	s_andn2_b64 s[10:11], s[10:11], exec
	s_and_b64 s[14:15], vcc, exec
	s_or_b64 s[10:11], s[10:11], s[14:15]
	s_cbranch_execz .LBB121_409
	s_branch .LBB121_410
.LBB121_417:
                                        ; implicit-def: $sgpr10_sgpr11
	s_mov_b64 s[14:15], 0
	s_cbranch_execnz .LBB121_421
	s_branch .LBB121_422
.LBB121_418:
	s_mov_b64 s[14:15], 0
                                        ; implicit-def: $sgpr10_sgpr11
	s_cbranch_execz .LBB121_420
; %bb.419:
	s_waitcnt vmcnt(0)
	v_cmp_gt_f16_e32 vcc, v17, v18
	s_andn2_b64 s[10:11], s[10:11], exec
	s_and_b64 s[16:17], vcc, exec
	s_or_b64 s[10:11], s[10:11], s[16:17]
.LBB121_420:
	s_branch .LBB121_422
.LBB121_421:
	s_cmp_lg_u32 s13, 0
	s_mov_b64 s[6:7], -1
	s_cselect_b64 s[14:15], -1, 0
.LBB121_422:
	s_andn2_b64 vcc, exec, s[14:15]
	s_cbranch_vccz .LBB121_431
; %bb.423:
	s_andn2_b64 vcc, exec, s[6:7]
	s_cbranch_vccnz .LBB121_425
.LBB121_424:
	s_waitcnt vmcnt(0)
	v_cmp_ge_f16_e32 vcc, v17, v18
	s_andn2_b64 s[6:7], s[10:11], exec
	s_and_b64 s[10:11], vcc, exec
	s_or_b64 s[10:11], s[6:7], s[10:11]
.LBB121_425:
	v_cndmask_b32_e64 v19, 0, 1, s[10:11]
.LBB121_426:
	s_or_b64 exec, exec, s[4:5]
	v_or_b32_e32 v17, 0xb00, v0
	v_cmp_gt_i32_e32 vcc, s12, v17
                                        ; implicit-def: $vgpr17
	s_and_saveexec_b64 s[4:5], vcc
	s_cbranch_execz .LBB121_441
; %bb.427:
	s_cmp_lt_i32 s13, 1
	s_mov_b64 s[6:7], 0
	s_cbranch_scc1 .LBB121_432
; %bb.428:
	s_cmp_gt_i32 s13, 1
	s_cbranch_scc0 .LBB121_433
; %bb.429:
	s_cmp_eq_u32 s13, 2
	s_cbranch_scc0 .LBB121_545
; %bb.430:
	s_waitcnt vmcnt(0)
	v_cmp_le_f16_e64 s[10:11], v13, v15
	s_mov_b64 s[14:15], 0
	s_branch .LBB121_435
.LBB121_431:
	s_waitcnt vmcnt(0)
	v_cmp_lt_f16_e32 vcc, v17, v18
	s_andn2_b64 s[10:11], s[10:11], exec
	s_and_b64 s[14:15], vcc, exec
	s_or_b64 s[10:11], s[10:11], s[14:15]
	s_cbranch_execz .LBB121_424
	s_branch .LBB121_425
.LBB121_432:
                                        ; implicit-def: $sgpr10_sgpr11
	s_mov_b64 s[14:15], 0
	s_cbranch_execnz .LBB121_436
	s_branch .LBB121_437
.LBB121_433:
	s_mov_b64 s[14:15], 0
                                        ; implicit-def: $sgpr10_sgpr11
	s_cbranch_execz .LBB121_435
; %bb.434:
	s_waitcnt vmcnt(0)
	v_cmp_gt_f16_e32 vcc, v13, v15
	s_andn2_b64 s[10:11], s[10:11], exec
	s_and_b64 s[16:17], vcc, exec
	s_or_b64 s[10:11], s[10:11], s[16:17]
.LBB121_435:
	s_branch .LBB121_437
.LBB121_436:
	s_cmp_lg_u32 s13, 0
	s_mov_b64 s[6:7], -1
	s_cselect_b64 s[14:15], -1, 0
.LBB121_437:
	s_andn2_b64 vcc, exec, s[14:15]
	s_cbranch_vccz .LBB121_446
; %bb.438:
	s_andn2_b64 vcc, exec, s[6:7]
	s_cbranch_vccnz .LBB121_440
.LBB121_439:
	s_waitcnt vmcnt(0)
	v_cmp_ge_f16_e32 vcc, v13, v15
	s_andn2_b64 s[6:7], s[10:11], exec
	s_and_b64 s[10:11], vcc, exec
	s_or_b64 s[10:11], s[6:7], s[10:11]
.LBB121_440:
	v_cndmask_b32_e64 v17, 0, 1, s[10:11]
.LBB121_441:
	s_or_b64 exec, exec, s[4:5]
	v_or_b32_e32 v13, 0xc00, v0
	v_cmp_gt_i32_e32 vcc, s12, v13
                                        ; implicit-def: $vgpr13
	s_and_saveexec_b64 s[4:5], vcc
	s_cbranch_execz .LBB121_456
; %bb.442:
	s_cmp_lt_i32 s13, 1
	s_mov_b64 s[6:7], 0
	s_cbranch_scc1 .LBB121_447
; %bb.443:
	s_cmp_gt_i32 s13, 1
	s_cbranch_scc0 .LBB121_448
; %bb.444:
	s_cmp_eq_u32 s13, 2
	s_cbranch_scc0 .LBB121_546
; %bb.445:
	s_waitcnt vmcnt(0)
	v_cmp_le_f16_e64 s[10:11], v11, v12
	s_mov_b64 s[14:15], 0
	s_branch .LBB121_450
.LBB121_446:
	s_waitcnt vmcnt(0)
	v_cmp_lt_f16_e32 vcc, v13, v15
	s_andn2_b64 s[10:11], s[10:11], exec
	s_and_b64 s[14:15], vcc, exec
	s_or_b64 s[10:11], s[10:11], s[14:15]
	s_cbranch_execz .LBB121_439
	s_branch .LBB121_440
.LBB121_447:
                                        ; implicit-def: $sgpr10_sgpr11
	s_mov_b64 s[14:15], 0
	s_cbranch_execnz .LBB121_451
	s_branch .LBB121_452
.LBB121_448:
	s_mov_b64 s[14:15], 0
                                        ; implicit-def: $sgpr10_sgpr11
	s_cbranch_execz .LBB121_450
; %bb.449:
	s_waitcnt vmcnt(0)
	v_cmp_gt_f16_e32 vcc, v11, v12
	s_andn2_b64 s[10:11], s[10:11], exec
	s_and_b64 s[16:17], vcc, exec
	s_or_b64 s[10:11], s[10:11], s[16:17]
.LBB121_450:
	s_branch .LBB121_452
.LBB121_451:
	s_cmp_lg_u32 s13, 0
	s_mov_b64 s[6:7], -1
	s_cselect_b64 s[14:15], -1, 0
.LBB121_452:
	s_andn2_b64 vcc, exec, s[14:15]
	s_cbranch_vccz .LBB121_461
; %bb.453:
	s_andn2_b64 vcc, exec, s[6:7]
	s_cbranch_vccnz .LBB121_455
.LBB121_454:
	s_waitcnt vmcnt(0)
	v_cmp_ge_f16_e32 vcc, v11, v12
	s_andn2_b64 s[6:7], s[10:11], exec
	s_and_b64 s[10:11], vcc, exec
	s_or_b64 s[10:11], s[6:7], s[10:11]
.LBB121_455:
	v_cndmask_b32_e64 v13, 0, 1, s[10:11]
.LBB121_456:
	s_or_b64 exec, exec, s[4:5]
	v_or_b32_e32 v11, 0xd00, v0
	v_cmp_gt_i32_e32 vcc, s12, v11
                                        ; implicit-def: $vgpr11
	s_and_saveexec_b64 s[4:5], vcc
	s_cbranch_execz .LBB121_471
; %bb.457:
	s_cmp_lt_i32 s13, 1
	s_mov_b64 s[6:7], 0
	s_cbranch_scc1 .LBB121_462
; %bb.458:
	s_cmp_gt_i32 s13, 1
	s_cbranch_scc0 .LBB121_463
; %bb.459:
	s_cmp_eq_u32 s13, 2
	s_cbranch_scc0 .LBB121_547
; %bb.460:
	s_waitcnt vmcnt(0)
	v_cmp_le_f16_e64 s[10:11], v8, v9
	s_mov_b64 s[14:15], 0
	s_branch .LBB121_465
.LBB121_461:
	s_waitcnt vmcnt(0)
	v_cmp_lt_f16_e32 vcc, v11, v12
	s_andn2_b64 s[10:11], s[10:11], exec
	s_and_b64 s[14:15], vcc, exec
	s_or_b64 s[10:11], s[10:11], s[14:15]
	s_cbranch_execz .LBB121_454
	s_branch .LBB121_455
.LBB121_462:
                                        ; implicit-def: $sgpr10_sgpr11
	s_mov_b64 s[14:15], 0
	s_cbranch_execnz .LBB121_466
	s_branch .LBB121_467
.LBB121_463:
	s_mov_b64 s[14:15], 0
                                        ; implicit-def: $sgpr10_sgpr11
	s_cbranch_execz .LBB121_465
; %bb.464:
	s_waitcnt vmcnt(0)
	v_cmp_gt_f16_e32 vcc, v8, v9
	s_andn2_b64 s[10:11], s[10:11], exec
	s_and_b64 s[16:17], vcc, exec
	s_or_b64 s[10:11], s[10:11], s[16:17]
.LBB121_465:
	s_branch .LBB121_467
.LBB121_466:
	s_cmp_lg_u32 s13, 0
	s_mov_b64 s[6:7], -1
	s_cselect_b64 s[14:15], -1, 0
.LBB121_467:
	s_andn2_b64 vcc, exec, s[14:15]
	s_cbranch_vccz .LBB121_476
; %bb.468:
	s_andn2_b64 vcc, exec, s[6:7]
	s_cbranch_vccnz .LBB121_470
.LBB121_469:
	s_waitcnt vmcnt(0)
	v_cmp_ge_f16_e32 vcc, v8, v9
	s_andn2_b64 s[6:7], s[10:11], exec
	s_and_b64 s[10:11], vcc, exec
	s_or_b64 s[10:11], s[6:7], s[10:11]
.LBB121_470:
	v_cndmask_b32_e64 v11, 0, 1, s[10:11]
.LBB121_471:
	s_or_b64 exec, exec, s[4:5]
	v_or_b32_e32 v8, 0xe00, v0
	v_cmp_gt_i32_e32 vcc, s12, v8
                                        ; implicit-def: $vgpr8
	s_and_saveexec_b64 s[4:5], vcc
	s_cbranch_execz .LBB121_486
; %bb.472:
	s_cmp_lt_i32 s13, 1
	s_mov_b64 s[6:7], 0
	s_cbranch_scc1 .LBB121_477
; %bb.473:
	s_cmp_gt_i32 s13, 1
	s_cbranch_scc0 .LBB121_478
; %bb.474:
	s_cmp_eq_u32 s13, 2
	s_cbranch_scc0 .LBB121_548
; %bb.475:
	s_waitcnt vmcnt(0)
	v_cmp_le_f16_e64 s[10:11], v4, v5
	s_mov_b64 s[14:15], 0
	s_branch .LBB121_480
.LBB121_476:
	s_waitcnt vmcnt(0)
	v_cmp_lt_f16_e32 vcc, v8, v9
	s_andn2_b64 s[10:11], s[10:11], exec
	s_and_b64 s[14:15], vcc, exec
	s_or_b64 s[10:11], s[10:11], s[14:15]
	s_cbranch_execz .LBB121_469
	s_branch .LBB121_470
.LBB121_477:
                                        ; implicit-def: $sgpr10_sgpr11
	s_mov_b64 s[14:15], 0
	s_cbranch_execnz .LBB121_481
	s_branch .LBB121_482
.LBB121_478:
	s_mov_b64 s[14:15], 0
                                        ; implicit-def: $sgpr10_sgpr11
	s_cbranch_execz .LBB121_480
; %bb.479:
	s_waitcnt vmcnt(0)
	v_cmp_gt_f16_e32 vcc, v4, v5
	s_andn2_b64 s[10:11], s[10:11], exec
	s_and_b64 s[16:17], vcc, exec
	s_or_b64 s[10:11], s[10:11], s[16:17]
.LBB121_480:
	s_branch .LBB121_482
.LBB121_481:
	s_cmp_lg_u32 s13, 0
	s_mov_b64 s[6:7], -1
	s_cselect_b64 s[14:15], -1, 0
.LBB121_482:
	s_andn2_b64 vcc, exec, s[14:15]
	s_cbranch_vccz .LBB121_491
; %bb.483:
	s_andn2_b64 vcc, exec, s[6:7]
	s_cbranch_vccnz .LBB121_485
.LBB121_484:
	s_waitcnt vmcnt(0)
	v_cmp_ge_f16_e32 vcc, v4, v5
	s_andn2_b64 s[6:7], s[10:11], exec
	s_and_b64 s[10:11], vcc, exec
	s_or_b64 s[10:11], s[6:7], s[10:11]
.LBB121_485:
	v_cndmask_b32_e64 v8, 0, 1, s[10:11]
.LBB121_486:
	s_or_b64 exec, exec, s[4:5]
	v_or_b32_e32 v4, 0xf00, v0
	v_cmp_gt_i32_e32 vcc, s12, v4
                                        ; implicit-def: $vgpr4
	s_and_saveexec_b64 s[4:5], vcc
	s_cbranch_execz .LBB121_501
; %bb.487:
	s_cmp_lt_i32 s13, 1
	s_mov_b64 s[6:7], 0
	s_cbranch_scc1 .LBB121_492
; %bb.488:
	s_cmp_gt_i32 s13, 1
	s_cbranch_scc0 .LBB121_493
; %bb.489:
	s_cmp_eq_u32 s13, 2
	s_cbranch_scc0 .LBB121_549
; %bb.490:
	s_waitcnt vmcnt(0)
	v_cmp_le_f16_e64 s[10:11], v2, v3
	s_mov_b64 s[14:15], 0
	s_branch .LBB121_495
.LBB121_491:
	s_waitcnt vmcnt(0)
	v_cmp_lt_f16_e32 vcc, v4, v5
	s_andn2_b64 s[10:11], s[10:11], exec
	s_and_b64 s[14:15], vcc, exec
	s_or_b64 s[10:11], s[10:11], s[14:15]
	s_cbranch_execz .LBB121_484
	s_branch .LBB121_485
.LBB121_492:
                                        ; implicit-def: $sgpr10_sgpr11
	s_mov_b64 s[14:15], 0
	s_cbranch_execnz .LBB121_496
	s_branch .LBB121_497
.LBB121_493:
	s_mov_b64 s[14:15], 0
                                        ; implicit-def: $sgpr10_sgpr11
	s_cbranch_execz .LBB121_495
; %bb.494:
	s_waitcnt vmcnt(0)
	v_cmp_gt_f16_e32 vcc, v2, v3
	s_andn2_b64 s[10:11], s[10:11], exec
	s_and_b64 s[16:17], vcc, exec
	s_or_b64 s[10:11], s[10:11], s[16:17]
.LBB121_495:
	s_branch .LBB121_497
.LBB121_496:
	s_cmp_lg_u32 s13, 0
	s_mov_b64 s[6:7], -1
	s_cselect_b64 s[14:15], -1, 0
.LBB121_497:
	s_andn2_b64 vcc, exec, s[14:15]
	s_cbranch_vccz .LBB121_534
; %bb.498:
	s_andn2_b64 vcc, exec, s[6:7]
	s_cbranch_vccnz .LBB121_500
.LBB121_499:
	s_waitcnt vmcnt(0)
	v_cmp_ge_f16_e32 vcc, v2, v3
	s_andn2_b64 s[6:7], s[10:11], exec
	s_and_b64 s[10:11], vcc, exec
	s_or_b64 s[10:11], s[6:7], s[10:11]
.LBB121_500:
	v_cndmask_b32_e64 v4, 0, 1, s[10:11]
.LBB121_501:
	s_or_b64 exec, exec, s[4:5]
	s_and_saveexec_b64 s[4:5], s[0:1]
	s_xor_b64 s[0:1], exec, s[4:5]
	s_cbranch_execz .LBB121_503
; %bb.502:
	v_mov_b32_e32 v0, v7
	global_store_byte v1, v6, s[8:9]
.LBB121_503:
	s_or_b64 exec, exec, s[0:1]
	v_cmp_gt_i32_e32 vcc, s12, v0
	s_and_saveexec_b64 s[0:1], vcc
	s_cbranch_execnz .LBB121_520
; %bb.504:
	s_or_b64 exec, exec, s[0:1]
	v_cmp_gt_i32_e32 vcc, s12, v0
	s_and_saveexec_b64 s[0:1], vcc
	s_cbranch_execnz .LBB121_521
.LBB121_505:
	s_or_b64 exec, exec, s[0:1]
	v_cmp_gt_i32_e32 vcc, s12, v0
	s_and_saveexec_b64 s[0:1], vcc
	s_cbranch_execnz .LBB121_522
.LBB121_506:
	s_or_b64 exec, exec, s[0:1]
	v_cmp_gt_i32_e32 vcc, s12, v0
	s_and_saveexec_b64 s[0:1], vcc
	s_cbranch_execnz .LBB121_523
.LBB121_507:
	s_or_b64 exec, exec, s[0:1]
	v_cmp_gt_i32_e32 vcc, s12, v0
	s_and_saveexec_b64 s[0:1], vcc
	s_cbranch_execnz .LBB121_524
.LBB121_508:
	s_or_b64 exec, exec, s[0:1]
	v_cmp_gt_i32_e32 vcc, s12, v0
	s_and_saveexec_b64 s[0:1], vcc
	s_cbranch_execnz .LBB121_525
.LBB121_509:
	s_or_b64 exec, exec, s[0:1]
	v_cmp_gt_i32_e32 vcc, s12, v0
	s_and_saveexec_b64 s[0:1], vcc
	s_cbranch_execnz .LBB121_526
.LBB121_510:
	s_or_b64 exec, exec, s[0:1]
	v_cmp_gt_i32_e32 vcc, s12, v0
	s_and_saveexec_b64 s[0:1], vcc
	s_cbranch_execnz .LBB121_527
.LBB121_511:
	s_or_b64 exec, exec, s[0:1]
	v_cmp_gt_i32_e32 vcc, s12, v0
	s_and_saveexec_b64 s[0:1], vcc
	s_cbranch_execnz .LBB121_528
.LBB121_512:
	s_or_b64 exec, exec, s[0:1]
	v_cmp_gt_i32_e32 vcc, s12, v0
	s_and_saveexec_b64 s[0:1], vcc
	s_cbranch_execnz .LBB121_529
.LBB121_513:
	s_or_b64 exec, exec, s[0:1]
	v_cmp_gt_i32_e32 vcc, s12, v0
	s_and_saveexec_b64 s[0:1], vcc
	s_cbranch_execnz .LBB121_530
.LBB121_514:
	s_or_b64 exec, exec, s[0:1]
	v_cmp_gt_i32_e32 vcc, s12, v0
	s_and_saveexec_b64 s[0:1], vcc
	s_cbranch_execnz .LBB121_531
.LBB121_515:
	s_or_b64 exec, exec, s[0:1]
	v_cmp_gt_i32_e32 vcc, s12, v0
	s_and_saveexec_b64 s[0:1], vcc
	s_cbranch_execnz .LBB121_532
.LBB121_516:
	s_or_b64 exec, exec, s[0:1]
	v_cmp_gt_i32_e32 vcc, s12, v0
	s_and_saveexec_b64 s[0:1], vcc
	s_cbranch_execnz .LBB121_533
.LBB121_517:
	s_or_b64 exec, exec, s[0:1]
	v_cmp_gt_i32_e32 vcc, s12, v0
	s_and_saveexec_b64 s[0:1], vcc
	s_cbranch_execz .LBB121_519
.LBB121_518:
	v_add_u32_e32 v0, s2, v0
	global_store_byte v0, v4, s[8:9]
.LBB121_519:
	s_endpgm
.LBB121_520:
	v_add_u32_e32 v1, s2, v0
	v_add_u32_e32 v0, 0x100, v0
	s_waitcnt vmcnt(0)
	global_store_byte v1, v10, s[8:9]
	s_or_b64 exec, exec, s[0:1]
	v_cmp_gt_i32_e32 vcc, s12, v0
	s_and_saveexec_b64 s[0:1], vcc
	s_cbranch_execz .LBB121_505
.LBB121_521:
	v_add_u32_e32 v1, s2, v0
	v_add_u32_e32 v0, 0x100, v0
	global_store_byte v1, v14, s[8:9]
	s_or_b64 exec, exec, s[0:1]
	v_cmp_gt_i32_e32 vcc, s12, v0
	s_and_saveexec_b64 s[0:1], vcc
	s_cbranch_execz .LBB121_506
.LBB121_522:
	v_add_u32_e32 v1, s2, v0
	v_add_u32_e32 v0, 0x100, v0
	global_store_byte v1, v16, s[8:9]
	s_or_b64 exec, exec, s[0:1]
	v_cmp_gt_i32_e32 vcc, s12, v0
	s_and_saveexec_b64 s[0:1], vcc
	s_cbranch_execz .LBB121_507
.LBB121_523:
	v_add_u32_e32 v1, s2, v0
	v_add_u32_e32 v0, 0x100, v0
	global_store_byte v1, v21, s[8:9]
	s_or_b64 exec, exec, s[0:1]
	v_cmp_gt_i32_e32 vcc, s12, v0
	s_and_saveexec_b64 s[0:1], vcc
	s_cbranch_execz .LBB121_508
.LBB121_524:
	v_add_u32_e32 v1, s2, v0
	v_add_u32_e32 v0, 0x100, v0
	global_store_byte v1, v24, s[8:9]
	s_or_b64 exec, exec, s[0:1]
	v_cmp_gt_i32_e32 vcc, s12, v0
	s_and_saveexec_b64 s[0:1], vcc
	s_cbranch_execz .LBB121_509
.LBB121_525:
	v_add_u32_e32 v1, s2, v0
	v_add_u32_e32 v0, 0x100, v0
	global_store_byte v1, v27, s[8:9]
	s_or_b64 exec, exec, s[0:1]
	v_cmp_gt_i32_e32 vcc, s12, v0
	s_and_saveexec_b64 s[0:1], vcc
	s_cbranch_execz .LBB121_510
.LBB121_526:
	v_add_u32_e32 v1, s2, v0
	v_add_u32_e32 v0, 0x100, v0
	global_store_byte v1, v28, s[8:9]
	s_or_b64 exec, exec, s[0:1]
	v_cmp_gt_i32_e32 vcc, s12, v0
	s_and_saveexec_b64 s[0:1], vcc
	s_cbranch_execz .LBB121_511
.LBB121_527:
	v_add_u32_e32 v1, s2, v0
	v_add_u32_e32 v0, 0x100, v0
	global_store_byte v1, v25, s[8:9]
	s_or_b64 exec, exec, s[0:1]
	v_cmp_gt_i32_e32 vcc, s12, v0
	s_and_saveexec_b64 s[0:1], vcc
	s_cbranch_execz .LBB121_512
.LBB121_528:
	v_add_u32_e32 v1, s2, v0
	v_add_u32_e32 v0, 0x100, v0
	global_store_byte v1, v22, s[8:9]
	s_or_b64 exec, exec, s[0:1]
	v_cmp_gt_i32_e32 vcc, s12, v0
	s_and_saveexec_b64 s[0:1], vcc
	s_cbranch_execz .LBB121_513
.LBB121_529:
	v_add_u32_e32 v1, s2, v0
	v_add_u32_e32 v0, 0x100, v0
	global_store_byte v1, v19, s[8:9]
	s_or_b64 exec, exec, s[0:1]
	v_cmp_gt_i32_e32 vcc, s12, v0
	s_and_saveexec_b64 s[0:1], vcc
	s_cbranch_execz .LBB121_514
.LBB121_530:
	v_add_u32_e32 v1, s2, v0
	v_add_u32_e32 v0, 0x100, v0
	global_store_byte v1, v17, s[8:9]
	s_or_b64 exec, exec, s[0:1]
	v_cmp_gt_i32_e32 vcc, s12, v0
	s_and_saveexec_b64 s[0:1], vcc
	s_cbranch_execz .LBB121_515
.LBB121_531:
	v_add_u32_e32 v1, s2, v0
	v_add_u32_e32 v0, 0x100, v0
	global_store_byte v1, v13, s[8:9]
	s_or_b64 exec, exec, s[0:1]
	v_cmp_gt_i32_e32 vcc, s12, v0
	s_and_saveexec_b64 s[0:1], vcc
	s_cbranch_execz .LBB121_516
.LBB121_532:
	v_add_u32_e32 v1, s2, v0
	v_add_u32_e32 v0, 0x100, v0
	global_store_byte v1, v11, s[8:9]
	s_or_b64 exec, exec, s[0:1]
	v_cmp_gt_i32_e32 vcc, s12, v0
	s_and_saveexec_b64 s[0:1], vcc
	s_cbranch_execz .LBB121_517
.LBB121_533:
	v_add_u32_e32 v1, s2, v0
	v_add_u32_e32 v0, 0x100, v0
	global_store_byte v1, v8, s[8:9]
	s_or_b64 exec, exec, s[0:1]
	v_cmp_gt_i32_e32 vcc, s12, v0
	s_and_saveexec_b64 s[0:1], vcc
	s_cbranch_execnz .LBB121_518
	s_branch .LBB121_519
.LBB121_534:
	s_waitcnt vmcnt(0)
	v_cmp_lt_f16_e32 vcc, v2, v3
	s_andn2_b64 s[10:11], s[10:11], exec
	s_and_b64 s[14:15], vcc, exec
	s_or_b64 s[10:11], s[10:11], s[14:15]
	s_cbranch_execz .LBB121_499
	s_branch .LBB121_500
.LBB121_535:
	s_mov_b64 s[14:15], -1
                                        ; implicit-def: $sgpr10_sgpr11
	s_branch .LBB121_285
.LBB121_536:
	s_mov_b64 s[14:15], -1
                                        ; implicit-def: $sgpr10_sgpr11
	s_branch .LBB121_300
.LBB121_537:
	s_mov_b64 s[14:15], -1
                                        ; implicit-def: $sgpr10_sgpr11
	s_branch .LBB121_315
.LBB121_538:
	s_mov_b64 s[14:15], -1
                                        ; implicit-def: $sgpr10_sgpr11
	s_branch .LBB121_330
.LBB121_539:
	s_mov_b64 s[14:15], -1
                                        ; implicit-def: $sgpr10_sgpr11
	s_branch .LBB121_345
.LBB121_540:
	s_mov_b64 s[14:15], -1
                                        ; implicit-def: $sgpr10_sgpr11
	s_branch .LBB121_360
.LBB121_541:
	s_mov_b64 s[14:15], -1
                                        ; implicit-def: $sgpr10_sgpr11
	s_branch .LBB121_375
.LBB121_542:
	s_mov_b64 s[14:15], -1
                                        ; implicit-def: $sgpr10_sgpr11
	s_branch .LBB121_390
.LBB121_543:
	s_mov_b64 s[14:15], -1
                                        ; implicit-def: $sgpr10_sgpr11
	s_branch .LBB121_405
.LBB121_544:
	s_mov_b64 s[14:15], -1
                                        ; implicit-def: $sgpr10_sgpr11
	s_branch .LBB121_420
.LBB121_545:
	s_mov_b64 s[14:15], -1
                                        ; implicit-def: $sgpr10_sgpr11
	s_branch .LBB121_435
.LBB121_546:
	s_mov_b64 s[14:15], -1
                                        ; implicit-def: $sgpr10_sgpr11
	s_branch .LBB121_450
.LBB121_547:
	s_mov_b64 s[14:15], -1
                                        ; implicit-def: $sgpr10_sgpr11
	s_branch .LBB121_465
.LBB121_548:
	s_mov_b64 s[14:15], -1
                                        ; implicit-def: $sgpr10_sgpr11
	s_branch .LBB121_480
.LBB121_549:
	s_mov_b64 s[14:15], -1
                                        ; implicit-def: $sgpr10_sgpr11
	s_branch .LBB121_495
	.section	.rodata,"a",@progbits
	.p2align	6, 0x0
	.amdhsa_kernel _ZN2at6native29vectorized_elementwise_kernelILi8ENS0_12_GLOBAL__N_114CompareFunctorIN3c104HalfEEESt5arrayIPcLm3EEEEviT0_T1_
		.amdhsa_group_segment_fixed_size 0
		.amdhsa_private_segment_fixed_size 0
		.amdhsa_kernarg_size 32
		.amdhsa_user_sgpr_count 6
		.amdhsa_user_sgpr_private_segment_buffer 1
		.amdhsa_user_sgpr_dispatch_ptr 0
		.amdhsa_user_sgpr_queue_ptr 0
		.amdhsa_user_sgpr_kernarg_segment_ptr 1
		.amdhsa_user_sgpr_dispatch_id 0
		.amdhsa_user_sgpr_flat_scratch_init 0
		.amdhsa_user_sgpr_private_segment_size 0
		.amdhsa_uses_dynamic_stack 0
		.amdhsa_system_sgpr_private_segment_wavefront_offset 0
		.amdhsa_system_sgpr_workgroup_id_x 1
		.amdhsa_system_sgpr_workgroup_id_y 0
		.amdhsa_system_sgpr_workgroup_id_z 0
		.amdhsa_system_sgpr_workgroup_info 0
		.amdhsa_system_vgpr_workitem_id 0
		.amdhsa_next_free_vgpr 39
		.amdhsa_next_free_sgpr 50
		.amdhsa_reserve_vcc 1
		.amdhsa_reserve_flat_scratch 0
		.amdhsa_float_round_mode_32 0
		.amdhsa_float_round_mode_16_64 0
		.amdhsa_float_denorm_mode_32 3
		.amdhsa_float_denorm_mode_16_64 3
		.amdhsa_dx10_clamp 1
		.amdhsa_ieee_mode 1
		.amdhsa_fp16_overflow 0
		.amdhsa_exception_fp_ieee_invalid_op 0
		.amdhsa_exception_fp_denorm_src 0
		.amdhsa_exception_fp_ieee_div_zero 0
		.amdhsa_exception_fp_ieee_overflow 0
		.amdhsa_exception_fp_ieee_underflow 0
		.amdhsa_exception_fp_ieee_inexact 0
		.amdhsa_exception_int_div_zero 0
	.end_amdhsa_kernel
	.section	.text._ZN2at6native29vectorized_elementwise_kernelILi8ENS0_12_GLOBAL__N_114CompareFunctorIN3c104HalfEEESt5arrayIPcLm3EEEEviT0_T1_,"axG",@progbits,_ZN2at6native29vectorized_elementwise_kernelILi8ENS0_12_GLOBAL__N_114CompareFunctorIN3c104HalfEEESt5arrayIPcLm3EEEEviT0_T1_,comdat
.Lfunc_end121:
	.size	_ZN2at6native29vectorized_elementwise_kernelILi8ENS0_12_GLOBAL__N_114CompareFunctorIN3c104HalfEEESt5arrayIPcLm3EEEEviT0_T1_, .Lfunc_end121-_ZN2at6native29vectorized_elementwise_kernelILi8ENS0_12_GLOBAL__N_114CompareFunctorIN3c104HalfEEESt5arrayIPcLm3EEEEviT0_T1_
                                        ; -- End function
	.set _ZN2at6native29vectorized_elementwise_kernelILi8ENS0_12_GLOBAL__N_114CompareFunctorIN3c104HalfEEESt5arrayIPcLm3EEEEviT0_T1_.num_vgpr, 39
	.set _ZN2at6native29vectorized_elementwise_kernelILi8ENS0_12_GLOBAL__N_114CompareFunctorIN3c104HalfEEESt5arrayIPcLm3EEEEviT0_T1_.num_agpr, 0
	.set _ZN2at6native29vectorized_elementwise_kernelILi8ENS0_12_GLOBAL__N_114CompareFunctorIN3c104HalfEEESt5arrayIPcLm3EEEEviT0_T1_.numbered_sgpr, 50
	.set _ZN2at6native29vectorized_elementwise_kernelILi8ENS0_12_GLOBAL__N_114CompareFunctorIN3c104HalfEEESt5arrayIPcLm3EEEEviT0_T1_.num_named_barrier, 0
	.set _ZN2at6native29vectorized_elementwise_kernelILi8ENS0_12_GLOBAL__N_114CompareFunctorIN3c104HalfEEESt5arrayIPcLm3EEEEviT0_T1_.private_seg_size, 0
	.set _ZN2at6native29vectorized_elementwise_kernelILi8ENS0_12_GLOBAL__N_114CompareFunctorIN3c104HalfEEESt5arrayIPcLm3EEEEviT0_T1_.uses_vcc, 1
	.set _ZN2at6native29vectorized_elementwise_kernelILi8ENS0_12_GLOBAL__N_114CompareFunctorIN3c104HalfEEESt5arrayIPcLm3EEEEviT0_T1_.uses_flat_scratch, 0
	.set _ZN2at6native29vectorized_elementwise_kernelILi8ENS0_12_GLOBAL__N_114CompareFunctorIN3c104HalfEEESt5arrayIPcLm3EEEEviT0_T1_.has_dyn_sized_stack, 0
	.set _ZN2at6native29vectorized_elementwise_kernelILi8ENS0_12_GLOBAL__N_114CompareFunctorIN3c104HalfEEESt5arrayIPcLm3EEEEviT0_T1_.has_recursion, 0
	.set _ZN2at6native29vectorized_elementwise_kernelILi8ENS0_12_GLOBAL__N_114CompareFunctorIN3c104HalfEEESt5arrayIPcLm3EEEEviT0_T1_.has_indirect_call, 0
	.section	.AMDGPU.csdata,"",@progbits
; Kernel info:
; codeLenInByte = 9020
; TotalNumSgprs: 54
; NumVgprs: 39
; ScratchSize: 0
; MemoryBound: 0
; FloatMode: 240
; IeeeMode: 1
; LDSByteSize: 0 bytes/workgroup (compile time only)
; SGPRBlocks: 6
; VGPRBlocks: 9
; NumSGPRsForWavesPerEU: 54
; NumVGPRsForWavesPerEU: 39
; Occupancy: 6
; WaveLimiterHint : 1
; COMPUTE_PGM_RSRC2:SCRATCH_EN: 0
; COMPUTE_PGM_RSRC2:USER_SGPR: 6
; COMPUTE_PGM_RSRC2:TRAP_HANDLER: 0
; COMPUTE_PGM_RSRC2:TGID_X_EN: 1
; COMPUTE_PGM_RSRC2:TGID_Y_EN: 0
; COMPUTE_PGM_RSRC2:TGID_Z_EN: 0
; COMPUTE_PGM_RSRC2:TIDIG_COMP_CNT: 0
	.section	.text._ZN2at6native29vectorized_elementwise_kernelILi4ENS0_12_GLOBAL__N_114CompareFunctorIN3c104HalfEEESt5arrayIPcLm3EEEEviT0_T1_,"axG",@progbits,_ZN2at6native29vectorized_elementwise_kernelILi4ENS0_12_GLOBAL__N_114CompareFunctorIN3c104HalfEEESt5arrayIPcLm3EEEEviT0_T1_,comdat
	.globl	_ZN2at6native29vectorized_elementwise_kernelILi4ENS0_12_GLOBAL__N_114CompareFunctorIN3c104HalfEEESt5arrayIPcLm3EEEEviT0_T1_ ; -- Begin function _ZN2at6native29vectorized_elementwise_kernelILi4ENS0_12_GLOBAL__N_114CompareFunctorIN3c104HalfEEESt5arrayIPcLm3EEEEviT0_T1_
	.p2align	8
	.type	_ZN2at6native29vectorized_elementwise_kernelILi4ENS0_12_GLOBAL__N_114CompareFunctorIN3c104HalfEEESt5arrayIPcLm3EEEEviT0_T1_,@function
_ZN2at6native29vectorized_elementwise_kernelILi4ENS0_12_GLOBAL__N_114CompareFunctorIN3c104HalfEEESt5arrayIPcLm3EEEEviT0_T1_: ; @_ZN2at6native29vectorized_elementwise_kernelILi4ENS0_12_GLOBAL__N_114CompareFunctorIN3c104HalfEEESt5arrayIPcLm3EEEEviT0_T1_
; %bb.0:
	s_load_dwordx2 s[12:13], s[4:5], 0x0
	s_load_dwordx4 s[8:11], s[4:5], 0x8
	s_load_dwordx2 s[14:15], s[4:5], 0x18
	s_lshl_b32 s2, s6, 12
	s_mov_b64 s[0:1], -1
	s_waitcnt lgkmcnt(0)
	s_sub_i32 s12, s12, s2
	s_cmpk_gt_i32 s12, 0xfff
	s_cbranch_scc0 .LBB122_211
; %bb.1:
	s_ashr_i32 s3, s2, 31
	s_lshl_b64 s[0:1], s[2:3], 1
	s_add_u32 s4, s10, s0
	s_addc_u32 s5, s11, s1
	v_lshlrev_b32_e32 v7, 3, v0
	v_mov_b32_e32 v1, s5
	v_add_co_u32_e32 v2, vcc, s4, v7
	v_addc_co_u32_e32 v1, vcc, 0, v1, vcc
	v_add_co_u32_e32 v3, vcc, 0x1000, v2
	s_add_u32 s0, s14, s0
	v_addc_co_u32_e32 v4, vcc, 0, v1, vcc
	s_addc_u32 s1, s15, s1
	global_load_dwordx2 v[5:6], v[3:4], off
	global_load_dwordx2 v[1:2], v[3:4], off offset:2048
	v_mov_b32_e32 v3, s1
	v_add_co_u32_e32 v4, vcc, s0, v7
	v_addc_co_u32_e32 v3, vcc, 0, v3, vcc
	global_load_dwordx2 v[13:14], v7, s[4:5]
	global_load_dwordx2 v[9:10], v7, s[4:5] offset:2048
	global_load_dwordx2 v[15:16], v7, s[0:1]
	global_load_dwordx2 v[11:12], v7, s[0:1] offset:2048
	v_add_co_u32_e32 v17, vcc, 0x1000, v4
	v_addc_co_u32_e32 v18, vcc, 0, v3, vcc
	global_load_dwordx2 v[7:8], v[17:18], off
	global_load_dwordx2 v[3:4], v[17:18], off offset:2048
	s_cmp_lt_i32 s13, 1
	s_mov_b64 s[4:5], 0
	s_cbranch_scc1 .LBB122_5
; %bb.2:
	s_cmp_gt_i32 s13, 1
	s_cbranch_scc0 .LBB122_6
; %bb.3:
	s_cmp_eq_u32 s13, 2
	s_cbranch_scc0 .LBB122_7
; %bb.4:
	s_waitcnt vmcnt(3)
	v_cmp_le_f16_e64 s[0:1], v13, v15
	s_mov_b64 s[6:7], 0
	s_branch .LBB122_8
.LBB122_5:
                                        ; implicit-def: $sgpr0_sgpr1
	s_mov_b64 s[6:7], 0
	s_cbranch_execnz .LBB122_11
	s_branch .LBB122_12
.LBB122_6:
	s_mov_b64 s[6:7], 0
                                        ; implicit-def: $sgpr0_sgpr1
	s_cbranch_execnz .LBB122_9
	s_branch .LBB122_10
.LBB122_7:
	s_mov_b64 s[6:7], -1
                                        ; implicit-def: $sgpr0_sgpr1
.LBB122_8:
	s_branch .LBB122_10
.LBB122_9:
	s_waitcnt vmcnt(3)
	v_cmp_gt_f16_e32 vcc, v13, v15
	s_andn2_b64 s[0:1], s[0:1], exec
	s_and_b64 s[16:17], vcc, exec
	s_or_b64 s[0:1], s[0:1], s[16:17]
.LBB122_10:
	s_branch .LBB122_12
.LBB122_11:
	s_cmp_lg_u32 s13, 0
	s_mov_b64 s[4:5], -1
	s_cselect_b64 s[6:7], -1, 0
.LBB122_12:
	s_andn2_b64 vcc, exec, s[6:7]
	s_cbranch_vccz .LBB122_18
; %bb.13:
	s_andn2_b64 vcc, exec, s[4:5]
	s_cbranch_vccz .LBB122_19
.LBB122_14:
	s_cmp_lt_i32 s13, 1
	s_mov_b64 s[6:7], 0
	s_cbranch_scc1 .LBB122_20
.LBB122_15:
	s_cmp_gt_i32 s13, 1
	s_cbranch_scc0 .LBB122_21
; %bb.16:
	s_cmp_eq_u32 s13, 2
	s_cbranch_scc0 .LBB122_251
; %bb.17:
	s_waitcnt vmcnt(3)
	v_cmp_le_f16_sdwa s[4:5], v13, v15 src0_sel:WORD_1 src1_sel:WORD_1
	s_mov_b64 s[16:17], 0
	s_branch .LBB122_23
.LBB122_18:
	s_waitcnt vmcnt(3)
	v_cmp_lt_f16_e32 vcc, v13, v15
	s_andn2_b64 s[0:1], s[0:1], exec
	s_and_b64 s[6:7], vcc, exec
	s_or_b64 s[0:1], s[0:1], s[6:7]
	s_cbranch_execnz .LBB122_14
.LBB122_19:
	s_waitcnt vmcnt(3)
	v_cmp_ge_f16_e32 vcc, v13, v15
	s_andn2_b64 s[0:1], s[0:1], exec
	s_and_b64 s[4:5], vcc, exec
	s_or_b64 s[0:1], s[0:1], s[4:5]
	s_cmp_lt_i32 s13, 1
	s_mov_b64 s[6:7], 0
	s_cbranch_scc0 .LBB122_15
.LBB122_20:
                                        ; implicit-def: $sgpr4_sgpr5
	s_mov_b64 s[16:17], 0
	s_cbranch_execnz .LBB122_24
	s_branch .LBB122_25
.LBB122_21:
	s_mov_b64 s[16:17], 0
                                        ; implicit-def: $sgpr4_sgpr5
	s_cbranch_execz .LBB122_23
; %bb.22:
	s_waitcnt vmcnt(3)
	v_cmp_gt_f16_sdwa s[18:19], v13, v15 src0_sel:WORD_1 src1_sel:WORD_1
	s_andn2_b64 s[4:5], s[4:5], exec
	s_and_b64 s[18:19], s[18:19], exec
	s_or_b64 s[4:5], s[4:5], s[18:19]
.LBB122_23:
	s_branch .LBB122_25
.LBB122_24:
	s_cmp_lg_u32 s13, 0
	s_mov_b64 s[6:7], -1
	s_cselect_b64 s[16:17], -1, 0
.LBB122_25:
	s_andn2_b64 vcc, exec, s[16:17]
	s_cbranch_vccz .LBB122_31
; %bb.26:
	s_andn2_b64 vcc, exec, s[6:7]
	s_cbranch_vccz .LBB122_32
.LBB122_27:
	s_cmp_lt_i32 s13, 1
	s_mov_b64 s[16:17], 0
	s_cbranch_scc1 .LBB122_33
.LBB122_28:
	s_cmp_gt_i32 s13, 1
	s_cbranch_scc0 .LBB122_34
; %bb.29:
	s_cmp_eq_u32 s13, 2
	s_cbranch_scc0 .LBB122_252
; %bb.30:
	s_waitcnt vmcnt(3)
	v_cmp_le_f16_e64 s[6:7], v14, v16
	s_mov_b64 s[18:19], 0
	s_branch .LBB122_36
.LBB122_31:
	s_waitcnt vmcnt(3)
	v_cmp_lt_f16_sdwa s[16:17], v13, v15 src0_sel:WORD_1 src1_sel:WORD_1
	s_andn2_b64 s[4:5], s[4:5], exec
	s_and_b64 s[16:17], s[16:17], exec
	s_or_b64 s[4:5], s[4:5], s[16:17]
	s_cbranch_execnz .LBB122_27
.LBB122_32:
	s_waitcnt vmcnt(3)
	v_cmp_ge_f16_sdwa s[6:7], v13, v15 src0_sel:WORD_1 src1_sel:WORD_1
	s_andn2_b64 s[4:5], s[4:5], exec
	s_and_b64 s[6:7], s[6:7], exec
	s_or_b64 s[4:5], s[4:5], s[6:7]
	s_cmp_lt_i32 s13, 1
	s_mov_b64 s[16:17], 0
	s_cbranch_scc0 .LBB122_28
.LBB122_33:
                                        ; implicit-def: $sgpr6_sgpr7
	s_mov_b64 s[18:19], 0
	s_cbranch_execnz .LBB122_37
	s_branch .LBB122_38
.LBB122_34:
	s_mov_b64 s[18:19], 0
                                        ; implicit-def: $sgpr6_sgpr7
	s_cbranch_execz .LBB122_36
; %bb.35:
	s_waitcnt vmcnt(3)
	v_cmp_gt_f16_e32 vcc, v14, v16
	s_andn2_b64 s[6:7], s[6:7], exec
	s_and_b64 s[20:21], vcc, exec
	s_or_b64 s[6:7], s[6:7], s[20:21]
.LBB122_36:
	s_branch .LBB122_38
.LBB122_37:
	s_cmp_lg_u32 s13, 0
	s_mov_b64 s[16:17], -1
	s_cselect_b64 s[18:19], -1, 0
.LBB122_38:
	s_andn2_b64 vcc, exec, s[18:19]
	s_cbranch_vccz .LBB122_44
; %bb.39:
	s_andn2_b64 vcc, exec, s[16:17]
	s_cbranch_vccz .LBB122_45
.LBB122_40:
	s_cmp_lt_i32 s13, 1
	s_mov_b64 s[18:19], 0
	s_cbranch_scc1 .LBB122_46
.LBB122_41:
	s_cmp_gt_i32 s13, 1
	s_cbranch_scc0 .LBB122_47
; %bb.42:
	s_cmp_eq_u32 s13, 2
	s_cbranch_scc0 .LBB122_253
; %bb.43:
	s_waitcnt vmcnt(3)
	v_cmp_le_f16_sdwa s[16:17], v14, v16 src0_sel:WORD_1 src1_sel:WORD_1
	s_mov_b64 s[20:21], 0
	s_branch .LBB122_49
.LBB122_44:
	s_waitcnt vmcnt(3)
	v_cmp_lt_f16_e32 vcc, v14, v16
	s_andn2_b64 s[6:7], s[6:7], exec
	s_and_b64 s[18:19], vcc, exec
	s_or_b64 s[6:7], s[6:7], s[18:19]
	s_cbranch_execnz .LBB122_40
.LBB122_45:
	s_waitcnt vmcnt(3)
	v_cmp_ge_f16_e32 vcc, v14, v16
	s_andn2_b64 s[6:7], s[6:7], exec
	s_and_b64 s[16:17], vcc, exec
	s_or_b64 s[6:7], s[6:7], s[16:17]
	s_cmp_lt_i32 s13, 1
	s_mov_b64 s[18:19], 0
	s_cbranch_scc0 .LBB122_41
.LBB122_46:
                                        ; implicit-def: $sgpr16_sgpr17
	s_mov_b64 s[20:21], 0
	s_cbranch_execnz .LBB122_50
	s_branch .LBB122_51
.LBB122_47:
	s_mov_b64 s[20:21], 0
                                        ; implicit-def: $sgpr16_sgpr17
	s_cbranch_execz .LBB122_49
; %bb.48:
	s_waitcnt vmcnt(3)
	v_cmp_gt_f16_sdwa s[22:23], v14, v16 src0_sel:WORD_1 src1_sel:WORD_1
	s_andn2_b64 s[16:17], s[16:17], exec
	s_and_b64 s[22:23], s[22:23], exec
	s_or_b64 s[16:17], s[16:17], s[22:23]
.LBB122_49:
	s_branch .LBB122_51
.LBB122_50:
	s_cmp_lg_u32 s13, 0
	s_mov_b64 s[18:19], -1
	s_cselect_b64 s[20:21], -1, 0
.LBB122_51:
	s_andn2_b64 vcc, exec, s[20:21]
	s_cbranch_vccz .LBB122_57
; %bb.52:
	s_andn2_b64 vcc, exec, s[18:19]
	s_cbranch_vccz .LBB122_58
.LBB122_53:
	s_cmp_lt_i32 s13, 1
	s_mov_b64 s[20:21], 0
	s_cbranch_scc1 .LBB122_59
.LBB122_54:
	s_cmp_gt_i32 s13, 1
	s_cbranch_scc0 .LBB122_60
; %bb.55:
	s_cmp_eq_u32 s13, 2
	s_cbranch_scc0 .LBB122_254
; %bb.56:
	s_waitcnt vmcnt(2)
	v_cmp_le_f16_e64 s[18:19], v9, v11
	s_mov_b64 s[22:23], 0
	s_branch .LBB122_62
.LBB122_57:
	s_waitcnt vmcnt(3)
	v_cmp_lt_f16_sdwa s[20:21], v14, v16 src0_sel:WORD_1 src1_sel:WORD_1
	s_andn2_b64 s[16:17], s[16:17], exec
	s_and_b64 s[20:21], s[20:21], exec
	s_or_b64 s[16:17], s[16:17], s[20:21]
	s_cbranch_execnz .LBB122_53
.LBB122_58:
	s_waitcnt vmcnt(3)
	v_cmp_ge_f16_sdwa s[18:19], v14, v16 src0_sel:WORD_1 src1_sel:WORD_1
	s_andn2_b64 s[16:17], s[16:17], exec
	s_and_b64 s[18:19], s[18:19], exec
	s_or_b64 s[16:17], s[16:17], s[18:19]
	s_cmp_lt_i32 s13, 1
	s_mov_b64 s[20:21], 0
	s_cbranch_scc0 .LBB122_54
.LBB122_59:
                                        ; implicit-def: $sgpr18_sgpr19
	s_mov_b64 s[22:23], 0
	s_cbranch_execnz .LBB122_63
	s_branch .LBB122_64
.LBB122_60:
	s_mov_b64 s[22:23], 0
                                        ; implicit-def: $sgpr18_sgpr19
	s_cbranch_execz .LBB122_62
; %bb.61:
	s_waitcnt vmcnt(2)
	v_cmp_gt_f16_e32 vcc, v9, v11
	s_andn2_b64 s[18:19], s[18:19], exec
	s_and_b64 s[24:25], vcc, exec
	s_or_b64 s[18:19], s[18:19], s[24:25]
.LBB122_62:
	s_branch .LBB122_64
.LBB122_63:
	s_cmp_lg_u32 s13, 0
	s_mov_b64 s[20:21], -1
	s_cselect_b64 s[22:23], -1, 0
.LBB122_64:
	s_andn2_b64 vcc, exec, s[22:23]
	s_cbranch_vccz .LBB122_70
; %bb.65:
	s_andn2_b64 vcc, exec, s[20:21]
	s_cbranch_vccz .LBB122_71
.LBB122_66:
	s_cmp_lt_i32 s13, 1
	s_mov_b64 s[22:23], 0
	s_cbranch_scc1 .LBB122_72
.LBB122_67:
	s_cmp_gt_i32 s13, 1
	s_cbranch_scc0 .LBB122_73
; %bb.68:
	s_cmp_eq_u32 s13, 2
	s_cbranch_scc0 .LBB122_255
; %bb.69:
	s_waitcnt vmcnt(2)
	v_cmp_le_f16_sdwa s[20:21], v9, v11 src0_sel:WORD_1 src1_sel:WORD_1
	s_mov_b64 s[24:25], 0
	s_branch .LBB122_75
.LBB122_70:
	s_waitcnt vmcnt(2)
	v_cmp_lt_f16_e32 vcc, v9, v11
	s_andn2_b64 s[18:19], s[18:19], exec
	s_and_b64 s[22:23], vcc, exec
	s_or_b64 s[18:19], s[18:19], s[22:23]
	s_cbranch_execnz .LBB122_66
.LBB122_71:
	s_waitcnt vmcnt(2)
	v_cmp_ge_f16_e32 vcc, v9, v11
	s_andn2_b64 s[18:19], s[18:19], exec
	s_and_b64 s[20:21], vcc, exec
	s_or_b64 s[18:19], s[18:19], s[20:21]
	s_cmp_lt_i32 s13, 1
	s_mov_b64 s[22:23], 0
	s_cbranch_scc0 .LBB122_67
.LBB122_72:
                                        ; implicit-def: $sgpr20_sgpr21
	s_mov_b64 s[24:25], 0
	s_cbranch_execnz .LBB122_76
	s_branch .LBB122_77
.LBB122_73:
	s_mov_b64 s[24:25], 0
                                        ; implicit-def: $sgpr20_sgpr21
	s_cbranch_execz .LBB122_75
; %bb.74:
	s_waitcnt vmcnt(2)
	v_cmp_gt_f16_sdwa s[26:27], v9, v11 src0_sel:WORD_1 src1_sel:WORD_1
	s_andn2_b64 s[20:21], s[20:21], exec
	s_and_b64 s[26:27], s[26:27], exec
	s_or_b64 s[20:21], s[20:21], s[26:27]
.LBB122_75:
	s_branch .LBB122_77
.LBB122_76:
	s_cmp_lg_u32 s13, 0
	s_mov_b64 s[22:23], -1
	s_cselect_b64 s[24:25], -1, 0
.LBB122_77:
	s_andn2_b64 vcc, exec, s[24:25]
	s_cbranch_vccz .LBB122_83
; %bb.78:
	s_andn2_b64 vcc, exec, s[22:23]
	s_cbranch_vccz .LBB122_84
.LBB122_79:
	s_cmp_lt_i32 s13, 1
	s_mov_b64 s[24:25], 0
	s_cbranch_scc1 .LBB122_85
.LBB122_80:
	s_cmp_gt_i32 s13, 1
	s_cbranch_scc0 .LBB122_86
; %bb.81:
	s_cmp_eq_u32 s13, 2
	s_cbranch_scc0 .LBB122_256
; %bb.82:
	s_waitcnt vmcnt(2)
	v_cmp_le_f16_e64 s[22:23], v10, v12
	s_mov_b64 s[26:27], 0
	s_branch .LBB122_88
.LBB122_83:
	s_waitcnt vmcnt(2)
	v_cmp_lt_f16_sdwa s[24:25], v9, v11 src0_sel:WORD_1 src1_sel:WORD_1
	s_andn2_b64 s[20:21], s[20:21], exec
	s_and_b64 s[24:25], s[24:25], exec
	s_or_b64 s[20:21], s[20:21], s[24:25]
	s_cbranch_execnz .LBB122_79
.LBB122_84:
	s_waitcnt vmcnt(2)
	v_cmp_ge_f16_sdwa s[22:23], v9, v11 src0_sel:WORD_1 src1_sel:WORD_1
	s_andn2_b64 s[20:21], s[20:21], exec
	s_and_b64 s[22:23], s[22:23], exec
	s_or_b64 s[20:21], s[20:21], s[22:23]
	s_cmp_lt_i32 s13, 1
	s_mov_b64 s[24:25], 0
	s_cbranch_scc0 .LBB122_80
.LBB122_85:
                                        ; implicit-def: $sgpr22_sgpr23
	s_mov_b64 s[26:27], 0
	s_cbranch_execnz .LBB122_89
	s_branch .LBB122_90
.LBB122_86:
	s_mov_b64 s[26:27], 0
                                        ; implicit-def: $sgpr22_sgpr23
	s_cbranch_execz .LBB122_88
; %bb.87:
	s_waitcnt vmcnt(2)
	v_cmp_gt_f16_e32 vcc, v10, v12
	s_andn2_b64 s[22:23], s[22:23], exec
	s_and_b64 s[28:29], vcc, exec
	s_or_b64 s[22:23], s[22:23], s[28:29]
.LBB122_88:
	s_branch .LBB122_90
.LBB122_89:
	s_cmp_lg_u32 s13, 0
	s_mov_b64 s[24:25], -1
	s_cselect_b64 s[26:27], -1, 0
.LBB122_90:
	s_andn2_b64 vcc, exec, s[26:27]
	s_cbranch_vccz .LBB122_96
; %bb.91:
	s_andn2_b64 vcc, exec, s[24:25]
	s_cbranch_vccz .LBB122_97
.LBB122_92:
	s_cmp_lt_i32 s13, 1
	s_mov_b64 s[26:27], 0
	s_cbranch_scc1 .LBB122_98
.LBB122_93:
	s_cmp_gt_i32 s13, 1
	s_cbranch_scc0 .LBB122_99
; %bb.94:
	s_cmp_eq_u32 s13, 2
	s_cbranch_scc0 .LBB122_257
; %bb.95:
	s_waitcnt vmcnt(2)
	v_cmp_le_f16_sdwa s[24:25], v10, v12 src0_sel:WORD_1 src1_sel:WORD_1
	s_mov_b64 s[28:29], 0
	s_branch .LBB122_101
.LBB122_96:
	s_waitcnt vmcnt(2)
	v_cmp_lt_f16_e32 vcc, v10, v12
	s_andn2_b64 s[22:23], s[22:23], exec
	s_and_b64 s[26:27], vcc, exec
	s_or_b64 s[22:23], s[22:23], s[26:27]
	s_cbranch_execnz .LBB122_92
.LBB122_97:
	s_waitcnt vmcnt(2)
	v_cmp_ge_f16_e32 vcc, v10, v12
	s_andn2_b64 s[22:23], s[22:23], exec
	s_and_b64 s[24:25], vcc, exec
	s_or_b64 s[22:23], s[22:23], s[24:25]
	s_cmp_lt_i32 s13, 1
	s_mov_b64 s[26:27], 0
	s_cbranch_scc0 .LBB122_93
.LBB122_98:
                                        ; implicit-def: $sgpr24_sgpr25
	s_mov_b64 s[28:29], 0
	s_cbranch_execnz .LBB122_102
	s_branch .LBB122_103
.LBB122_99:
	s_mov_b64 s[28:29], 0
                                        ; implicit-def: $sgpr24_sgpr25
	s_cbranch_execz .LBB122_101
; %bb.100:
	s_waitcnt vmcnt(2)
	v_cmp_gt_f16_sdwa s[30:31], v10, v12 src0_sel:WORD_1 src1_sel:WORD_1
	s_andn2_b64 s[24:25], s[24:25], exec
	s_and_b64 s[30:31], s[30:31], exec
	s_or_b64 s[24:25], s[24:25], s[30:31]
.LBB122_101:
	s_branch .LBB122_103
.LBB122_102:
	s_cmp_lg_u32 s13, 0
	s_mov_b64 s[26:27], -1
	s_cselect_b64 s[28:29], -1, 0
.LBB122_103:
	s_andn2_b64 vcc, exec, s[28:29]
	s_cbranch_vccz .LBB122_109
; %bb.104:
	s_andn2_b64 vcc, exec, s[26:27]
	s_cbranch_vccz .LBB122_110
.LBB122_105:
	s_cmp_lt_i32 s13, 1
	s_mov_b64 s[28:29], 0
	s_cbranch_scc1 .LBB122_111
.LBB122_106:
	s_cmp_gt_i32 s13, 1
	s_cbranch_scc0 .LBB122_112
; %bb.107:
	s_cmp_eq_u32 s13, 2
	s_cbranch_scc0 .LBB122_258
; %bb.108:
	s_waitcnt vmcnt(1)
	v_cmp_le_f16_e64 s[26:27], v5, v7
	s_mov_b64 s[30:31], 0
	s_branch .LBB122_114
.LBB122_109:
	s_waitcnt vmcnt(2)
	v_cmp_lt_f16_sdwa s[28:29], v10, v12 src0_sel:WORD_1 src1_sel:WORD_1
	s_andn2_b64 s[24:25], s[24:25], exec
	s_and_b64 s[28:29], s[28:29], exec
	s_or_b64 s[24:25], s[24:25], s[28:29]
	s_cbranch_execnz .LBB122_105
.LBB122_110:
	s_waitcnt vmcnt(2)
	v_cmp_ge_f16_sdwa s[26:27], v10, v12 src0_sel:WORD_1 src1_sel:WORD_1
	s_andn2_b64 s[24:25], s[24:25], exec
	s_and_b64 s[26:27], s[26:27], exec
	s_or_b64 s[24:25], s[24:25], s[26:27]
	s_cmp_lt_i32 s13, 1
	s_mov_b64 s[28:29], 0
	s_cbranch_scc0 .LBB122_106
.LBB122_111:
                                        ; implicit-def: $sgpr26_sgpr27
	s_mov_b64 s[30:31], 0
	s_cbranch_execnz .LBB122_115
	s_branch .LBB122_116
.LBB122_112:
	s_mov_b64 s[30:31], 0
                                        ; implicit-def: $sgpr26_sgpr27
	s_cbranch_execz .LBB122_114
; %bb.113:
	s_waitcnt vmcnt(1)
	v_cmp_gt_f16_e32 vcc, v5, v7
	s_andn2_b64 s[26:27], s[26:27], exec
	s_and_b64 s[34:35], vcc, exec
	s_or_b64 s[26:27], s[26:27], s[34:35]
.LBB122_114:
	s_branch .LBB122_116
.LBB122_115:
	s_cmp_lg_u32 s13, 0
	s_mov_b64 s[28:29], -1
	s_cselect_b64 s[30:31], -1, 0
.LBB122_116:
	s_andn2_b64 vcc, exec, s[30:31]
	s_cbranch_vccz .LBB122_122
; %bb.117:
	s_andn2_b64 vcc, exec, s[28:29]
	s_cbranch_vccz .LBB122_123
.LBB122_118:
	s_cmp_lt_i32 s13, 1
	s_mov_b64 s[30:31], 0
	s_cbranch_scc1 .LBB122_124
.LBB122_119:
	s_cmp_gt_i32 s13, 1
	s_cbranch_scc0 .LBB122_125
; %bb.120:
	s_cmp_eq_u32 s13, 2
	s_cbranch_scc0 .LBB122_259
; %bb.121:
	s_waitcnt vmcnt(1)
	v_cmp_le_f16_sdwa s[28:29], v5, v7 src0_sel:WORD_1 src1_sel:WORD_1
	s_mov_b64 s[34:35], 0
	s_branch .LBB122_127
.LBB122_122:
	s_waitcnt vmcnt(1)
	v_cmp_lt_f16_e32 vcc, v5, v7
	s_andn2_b64 s[26:27], s[26:27], exec
	s_and_b64 s[30:31], vcc, exec
	s_or_b64 s[26:27], s[26:27], s[30:31]
	s_cbranch_execnz .LBB122_118
.LBB122_123:
	s_waitcnt vmcnt(1)
	v_cmp_ge_f16_e32 vcc, v5, v7
	s_andn2_b64 s[26:27], s[26:27], exec
	s_and_b64 s[28:29], vcc, exec
	s_or_b64 s[26:27], s[26:27], s[28:29]
	s_cmp_lt_i32 s13, 1
	s_mov_b64 s[30:31], 0
	s_cbranch_scc0 .LBB122_119
.LBB122_124:
                                        ; implicit-def: $sgpr28_sgpr29
	s_mov_b64 s[34:35], 0
	s_cbranch_execnz .LBB122_128
	s_branch .LBB122_129
.LBB122_125:
	s_mov_b64 s[34:35], 0
                                        ; implicit-def: $sgpr28_sgpr29
	s_cbranch_execz .LBB122_127
; %bb.126:
	s_waitcnt vmcnt(1)
	v_cmp_gt_f16_sdwa s[36:37], v5, v7 src0_sel:WORD_1 src1_sel:WORD_1
	s_andn2_b64 s[28:29], s[28:29], exec
	s_and_b64 s[36:37], s[36:37], exec
	s_or_b64 s[28:29], s[28:29], s[36:37]
.LBB122_127:
	s_branch .LBB122_129
.LBB122_128:
	s_cmp_lg_u32 s13, 0
	s_mov_b64 s[30:31], -1
	s_cselect_b64 s[34:35], -1, 0
.LBB122_129:
	s_andn2_b64 vcc, exec, s[34:35]
	s_cbranch_vccz .LBB122_135
; %bb.130:
	s_andn2_b64 vcc, exec, s[30:31]
	s_cbranch_vccz .LBB122_136
.LBB122_131:
	s_cmp_lt_i32 s13, 1
	s_mov_b64 s[34:35], 0
	s_cbranch_scc1 .LBB122_137
.LBB122_132:
	s_cmp_gt_i32 s13, 1
	s_cbranch_scc0 .LBB122_138
; %bb.133:
	s_cmp_eq_u32 s13, 2
	s_cbranch_scc0 .LBB122_260
; %bb.134:
	s_waitcnt vmcnt(1)
	v_cmp_le_f16_e64 s[30:31], v6, v8
	s_mov_b64 s[36:37], 0
	s_branch .LBB122_140
.LBB122_135:
	s_waitcnt vmcnt(1)
	v_cmp_lt_f16_sdwa s[34:35], v5, v7 src0_sel:WORD_1 src1_sel:WORD_1
	s_andn2_b64 s[28:29], s[28:29], exec
	s_and_b64 s[34:35], s[34:35], exec
	s_or_b64 s[28:29], s[28:29], s[34:35]
	s_cbranch_execnz .LBB122_131
.LBB122_136:
	s_waitcnt vmcnt(1)
	v_cmp_ge_f16_sdwa s[30:31], v5, v7 src0_sel:WORD_1 src1_sel:WORD_1
	s_andn2_b64 s[28:29], s[28:29], exec
	s_and_b64 s[30:31], s[30:31], exec
	s_or_b64 s[28:29], s[28:29], s[30:31]
	s_cmp_lt_i32 s13, 1
	s_mov_b64 s[34:35], 0
	s_cbranch_scc0 .LBB122_132
.LBB122_137:
                                        ; implicit-def: $sgpr30_sgpr31
	s_mov_b64 s[36:37], 0
	s_cbranch_execnz .LBB122_141
	s_branch .LBB122_142
.LBB122_138:
	s_mov_b64 s[36:37], 0
                                        ; implicit-def: $sgpr30_sgpr31
	s_cbranch_execz .LBB122_140
; %bb.139:
	s_waitcnt vmcnt(1)
	v_cmp_gt_f16_e32 vcc, v6, v8
	s_andn2_b64 s[30:31], s[30:31], exec
	s_and_b64 s[38:39], vcc, exec
	s_or_b64 s[30:31], s[30:31], s[38:39]
.LBB122_140:
	s_branch .LBB122_142
.LBB122_141:
	s_cmp_lg_u32 s13, 0
	s_mov_b64 s[34:35], -1
	s_cselect_b64 s[36:37], -1, 0
.LBB122_142:
	s_andn2_b64 vcc, exec, s[36:37]
	s_cbranch_vccz .LBB122_148
; %bb.143:
	s_andn2_b64 vcc, exec, s[34:35]
	s_cbranch_vccz .LBB122_149
.LBB122_144:
	s_cmp_lt_i32 s13, 1
	s_mov_b64 s[36:37], 0
	s_cbranch_scc1 .LBB122_150
.LBB122_145:
	s_cmp_gt_i32 s13, 1
	s_cbranch_scc0 .LBB122_151
; %bb.146:
	s_cmp_eq_u32 s13, 2
	s_cbranch_scc0 .LBB122_261
; %bb.147:
	s_waitcnt vmcnt(1)
	v_cmp_le_f16_sdwa s[34:35], v6, v8 src0_sel:WORD_1 src1_sel:WORD_1
	s_mov_b64 s[38:39], 0
	s_branch .LBB122_153
.LBB122_148:
	s_waitcnt vmcnt(1)
	v_cmp_lt_f16_e32 vcc, v6, v8
	s_andn2_b64 s[30:31], s[30:31], exec
	s_and_b64 s[36:37], vcc, exec
	s_or_b64 s[30:31], s[30:31], s[36:37]
	s_cbranch_execnz .LBB122_144
.LBB122_149:
	s_waitcnt vmcnt(1)
	v_cmp_ge_f16_e32 vcc, v6, v8
	s_andn2_b64 s[30:31], s[30:31], exec
	s_and_b64 s[34:35], vcc, exec
	s_or_b64 s[30:31], s[30:31], s[34:35]
	s_cmp_lt_i32 s13, 1
	s_mov_b64 s[36:37], 0
	s_cbranch_scc0 .LBB122_145
.LBB122_150:
                                        ; implicit-def: $sgpr34_sgpr35
	s_mov_b64 s[38:39], 0
	s_cbranch_execnz .LBB122_154
	s_branch .LBB122_155
.LBB122_151:
	s_mov_b64 s[38:39], 0
                                        ; implicit-def: $sgpr34_sgpr35
	s_cbranch_execz .LBB122_153
; %bb.152:
	s_waitcnt vmcnt(1)
	v_cmp_gt_f16_sdwa s[40:41], v6, v8 src0_sel:WORD_1 src1_sel:WORD_1
	s_andn2_b64 s[34:35], s[34:35], exec
	s_and_b64 s[40:41], s[40:41], exec
	s_or_b64 s[34:35], s[34:35], s[40:41]
.LBB122_153:
	s_branch .LBB122_155
.LBB122_154:
	s_cmp_lg_u32 s13, 0
	s_mov_b64 s[36:37], -1
	s_cselect_b64 s[38:39], -1, 0
.LBB122_155:
	s_andn2_b64 vcc, exec, s[38:39]
	s_cbranch_vccz .LBB122_161
; %bb.156:
	s_andn2_b64 vcc, exec, s[36:37]
	s_cbranch_vccz .LBB122_162
.LBB122_157:
	s_cmp_lt_i32 s13, 1
	s_mov_b64 s[38:39], 0
	s_cbranch_scc1 .LBB122_163
.LBB122_158:
	s_cmp_gt_i32 s13, 1
	s_cbranch_scc0 .LBB122_164
; %bb.159:
	s_cmp_eq_u32 s13, 2
	s_cbranch_scc0 .LBB122_262
; %bb.160:
	s_waitcnt vmcnt(0)
	v_cmp_le_f16_e64 s[36:37], v1, v3
	s_mov_b64 s[40:41], 0
	s_branch .LBB122_166
.LBB122_161:
	s_waitcnt vmcnt(1)
	v_cmp_lt_f16_sdwa s[38:39], v6, v8 src0_sel:WORD_1 src1_sel:WORD_1
	s_andn2_b64 s[34:35], s[34:35], exec
	s_and_b64 s[38:39], s[38:39], exec
	s_or_b64 s[34:35], s[34:35], s[38:39]
	s_cbranch_execnz .LBB122_157
.LBB122_162:
	s_waitcnt vmcnt(1)
	v_cmp_ge_f16_sdwa s[36:37], v6, v8 src0_sel:WORD_1 src1_sel:WORD_1
	s_andn2_b64 s[34:35], s[34:35], exec
	s_and_b64 s[36:37], s[36:37], exec
	s_or_b64 s[34:35], s[34:35], s[36:37]
	s_cmp_lt_i32 s13, 1
	s_mov_b64 s[38:39], 0
	s_cbranch_scc0 .LBB122_158
.LBB122_163:
                                        ; implicit-def: $sgpr36_sgpr37
	s_mov_b64 s[40:41], 0
	s_cbranch_execnz .LBB122_167
	s_branch .LBB122_168
.LBB122_164:
	s_mov_b64 s[40:41], 0
                                        ; implicit-def: $sgpr36_sgpr37
	s_cbranch_execz .LBB122_166
; %bb.165:
	s_waitcnt vmcnt(0)
	v_cmp_gt_f16_e32 vcc, v1, v3
	s_andn2_b64 s[36:37], s[36:37], exec
	s_and_b64 s[42:43], vcc, exec
	s_or_b64 s[36:37], s[36:37], s[42:43]
.LBB122_166:
	s_branch .LBB122_168
.LBB122_167:
	s_cmp_lg_u32 s13, 0
	s_mov_b64 s[38:39], -1
	s_cselect_b64 s[40:41], -1, 0
.LBB122_168:
	s_andn2_b64 vcc, exec, s[40:41]
	s_cbranch_vccz .LBB122_174
; %bb.169:
	s_andn2_b64 vcc, exec, s[38:39]
	s_cbranch_vccz .LBB122_175
.LBB122_170:
	s_cmp_lt_i32 s13, 1
	s_mov_b64 s[40:41], 0
	s_cbranch_scc1 .LBB122_176
.LBB122_171:
	s_cmp_gt_i32 s13, 1
	s_cbranch_scc0 .LBB122_177
; %bb.172:
	s_cmp_eq_u32 s13, 2
	s_cbranch_scc0 .LBB122_263
; %bb.173:
	s_waitcnt vmcnt(0)
	v_cmp_le_f16_sdwa s[38:39], v1, v3 src0_sel:WORD_1 src1_sel:WORD_1
	s_mov_b64 s[42:43], 0
	s_branch .LBB122_179
.LBB122_174:
	s_waitcnt vmcnt(0)
	v_cmp_lt_f16_e32 vcc, v1, v3
	s_andn2_b64 s[36:37], s[36:37], exec
	s_and_b64 s[40:41], vcc, exec
	s_or_b64 s[36:37], s[36:37], s[40:41]
	s_cbranch_execnz .LBB122_170
.LBB122_175:
	s_waitcnt vmcnt(0)
	v_cmp_ge_f16_e32 vcc, v1, v3
	s_andn2_b64 s[36:37], s[36:37], exec
	s_and_b64 s[38:39], vcc, exec
	s_or_b64 s[36:37], s[36:37], s[38:39]
	s_cmp_lt_i32 s13, 1
	s_mov_b64 s[40:41], 0
	s_cbranch_scc0 .LBB122_171
.LBB122_176:
                                        ; implicit-def: $sgpr38_sgpr39
	s_mov_b64 s[42:43], 0
	s_cbranch_execnz .LBB122_180
	s_branch .LBB122_181
.LBB122_177:
	s_mov_b64 s[42:43], 0
                                        ; implicit-def: $sgpr38_sgpr39
	s_cbranch_execz .LBB122_179
; %bb.178:
	s_waitcnt vmcnt(0)
	v_cmp_gt_f16_sdwa s[44:45], v1, v3 src0_sel:WORD_1 src1_sel:WORD_1
	s_andn2_b64 s[38:39], s[38:39], exec
	s_and_b64 s[44:45], s[44:45], exec
	s_or_b64 s[38:39], s[38:39], s[44:45]
.LBB122_179:
	s_branch .LBB122_181
.LBB122_180:
	s_cmp_lg_u32 s13, 0
	s_mov_b64 s[40:41], -1
	s_cselect_b64 s[42:43], -1, 0
.LBB122_181:
	s_andn2_b64 vcc, exec, s[42:43]
	s_cbranch_vccz .LBB122_187
; %bb.182:
	s_andn2_b64 vcc, exec, s[40:41]
	s_cbranch_vccz .LBB122_188
.LBB122_183:
	s_cmp_lt_i32 s13, 1
	s_mov_b64 s[42:43], 0
	s_cbranch_scc1 .LBB122_189
.LBB122_184:
	s_cmp_gt_i32 s13, 1
	s_cbranch_scc0 .LBB122_190
; %bb.185:
	s_cmp_eq_u32 s13, 2
	s_cbranch_scc0 .LBB122_264
; %bb.186:
	s_waitcnt vmcnt(0)
	v_cmp_le_f16_e64 s[40:41], v2, v4
	s_mov_b64 s[44:45], 0
	s_branch .LBB122_192
.LBB122_187:
	s_waitcnt vmcnt(0)
	v_cmp_lt_f16_sdwa s[42:43], v1, v3 src0_sel:WORD_1 src1_sel:WORD_1
	s_andn2_b64 s[38:39], s[38:39], exec
	s_and_b64 s[42:43], s[42:43], exec
	s_or_b64 s[38:39], s[38:39], s[42:43]
	s_cbranch_execnz .LBB122_183
.LBB122_188:
	s_waitcnt vmcnt(0)
	v_cmp_ge_f16_sdwa s[40:41], v1, v3 src0_sel:WORD_1 src1_sel:WORD_1
	s_andn2_b64 s[38:39], s[38:39], exec
	s_and_b64 s[40:41], s[40:41], exec
	s_or_b64 s[38:39], s[38:39], s[40:41]
	s_cmp_lt_i32 s13, 1
	s_mov_b64 s[42:43], 0
	s_cbranch_scc0 .LBB122_184
.LBB122_189:
                                        ; implicit-def: $sgpr40_sgpr41
	s_mov_b64 s[44:45], 0
	s_cbranch_execnz .LBB122_193
	s_branch .LBB122_194
.LBB122_190:
	s_mov_b64 s[44:45], 0
                                        ; implicit-def: $sgpr40_sgpr41
	s_cbranch_execz .LBB122_192
; %bb.191:
	s_waitcnt vmcnt(0)
	v_cmp_gt_f16_e32 vcc, v2, v4
	s_andn2_b64 s[40:41], s[40:41], exec
	s_and_b64 s[46:47], vcc, exec
	s_or_b64 s[40:41], s[40:41], s[46:47]
.LBB122_192:
	s_branch .LBB122_194
.LBB122_193:
	s_cmp_lg_u32 s13, 0
	s_mov_b64 s[42:43], -1
	s_cselect_b64 s[44:45], -1, 0
.LBB122_194:
	s_andn2_b64 vcc, exec, s[44:45]
	s_cbranch_vccz .LBB122_200
; %bb.195:
	s_andn2_b64 vcc, exec, s[42:43]
	s_cbranch_vccz .LBB122_201
.LBB122_196:
	s_cmp_lt_i32 s13, 1
	s_mov_b64 s[44:45], 0
	s_cbranch_scc1 .LBB122_202
.LBB122_197:
	s_cmp_gt_i32 s13, 1
	s_cbranch_scc0 .LBB122_203
; %bb.198:
	s_cmp_eq_u32 s13, 2
	s_cbranch_scc0 .LBB122_265
; %bb.199:
	s_waitcnt vmcnt(0)
	v_cmp_le_f16_sdwa s[42:43], v2, v4 src0_sel:WORD_1 src1_sel:WORD_1
	s_mov_b64 s[46:47], 0
	s_branch .LBB122_205
.LBB122_200:
	s_waitcnt vmcnt(0)
	v_cmp_lt_f16_e32 vcc, v2, v4
	s_andn2_b64 s[40:41], s[40:41], exec
	s_and_b64 s[44:45], vcc, exec
	s_or_b64 s[40:41], s[40:41], s[44:45]
	s_cbranch_execnz .LBB122_196
.LBB122_201:
	s_waitcnt vmcnt(0)
	v_cmp_ge_f16_e32 vcc, v2, v4
	s_andn2_b64 s[40:41], s[40:41], exec
	s_and_b64 s[42:43], vcc, exec
	s_or_b64 s[40:41], s[40:41], s[42:43]
	s_cmp_lt_i32 s13, 1
	s_mov_b64 s[44:45], 0
	s_cbranch_scc0 .LBB122_197
.LBB122_202:
                                        ; implicit-def: $sgpr42_sgpr43
	s_mov_b64 s[46:47], 0
	s_cbranch_execnz .LBB122_206
	s_branch .LBB122_207
.LBB122_203:
	s_mov_b64 s[46:47], 0
                                        ; implicit-def: $sgpr42_sgpr43
	s_cbranch_execz .LBB122_205
; %bb.204:
	s_waitcnt vmcnt(0)
	v_cmp_gt_f16_sdwa s[48:49], v2, v4 src0_sel:WORD_1 src1_sel:WORD_1
	s_andn2_b64 s[42:43], s[42:43], exec
	s_and_b64 s[48:49], s[48:49], exec
	s_or_b64 s[42:43], s[42:43], s[48:49]
.LBB122_205:
	s_branch .LBB122_207
.LBB122_206:
	s_cmp_lg_u32 s13, 0
	s_mov_b64 s[44:45], -1
	s_cselect_b64 s[46:47], -1, 0
.LBB122_207:
	s_andn2_b64 vcc, exec, s[46:47]
	s_cbranch_vccz .LBB122_249
; %bb.208:
	s_andn2_b64 vcc, exec, s[44:45]
	s_cbranch_vccnz .LBB122_210
.LBB122_209:
	s_waitcnt vmcnt(0)
	v_cmp_ge_f16_sdwa s[44:45], v2, v4 src0_sel:WORD_1 src1_sel:WORD_1
	s_andn2_b64 s[42:43], s[42:43], exec
	s_and_b64 s[44:45], s[44:45], exec
	s_or_b64 s[42:43], s[42:43], s[44:45]
.LBB122_210:
	s_waitcnt vmcnt(6)
	v_mov_b32_e32 v1, 0x100
	v_cndmask_b32_e64 v2, 0, v1, s[38:39]
	s_waitcnt vmcnt(0)
	v_cndmask_b32_e64 v3, 0, 1, s[36:37]
	v_or_b32_e32 v2, v2, v3
	v_mov_b32_e32 v3, 0x10000
	v_cndmask_b32_e64 v5, 0, v1, s[28:29]
	v_cndmask_b32_e64 v6, 0, 1, s[26:27]
	v_mov_b32_e32 v7, 0x1000000
	v_or_b32_e32 v5, v5, v6
	v_cndmask_b32_e64 v6, 0, v3, s[30:31]
	v_cndmask_b32_e64 v8, 0, v7, s[34:35]
	v_or3_b32 v5, v5, v6, v8
	v_cndmask_b32_e64 v6, 0, v1, s[20:21]
	v_cndmask_b32_e64 v8, 0, 1, s[18:19]
	v_or_b32_e32 v6, v6, v8
	v_cndmask_b32_e64 v8, 0, v3, s[22:23]
	v_cndmask_b32_e64 v9, 0, v7, s[24:25]
	v_or3_b32 v6, v6, v8, v9
	v_cndmask_b32_e64 v1, 0, v1, s[4:5]
	v_cndmask_b32_e64 v8, 0, 1, s[0:1]
	;; [unrolled: 1-line block ×3, first 2 shown]
	v_or_b32_e32 v1, v1, v8
	v_cndmask_b32_e64 v3, 0, v3, s[6:7]
	v_cndmask_b32_e64 v8, 0, v7, s[16:17]
	v_or3_b32 v1, v1, v3, v8
	v_cndmask_b32_e64 v3, 0, v7, s[42:43]
	s_add_u32 s0, s8, s2
	v_or3_b32 v2, v2, v4, v3
	s_addc_u32 s1, s9, s3
	v_lshlrev_b32_e32 v3, 2, v0
	global_store_dword v3, v1, s[0:1]
	global_store_dword v3, v6, s[0:1] offset:1024
	global_store_dword v3, v5, s[0:1] offset:2048
	;; [unrolled: 1-line block ×3, first 2 shown]
	s_mov_b64 s[0:1], 0
.LBB122_211:
	s_and_b64 vcc, exec, s[0:1]
	s_cbranch_vccz .LBB122_519
; %bb.212:
	v_cmp_gt_i32_e64 s[0:1], s12, v0
	v_mov_b32_e32 v14, 0
	v_or_b32_e32 v1, s2, v0
	v_mov_b32_e32 v7, 0
	v_mov_b32_e32 v10, 0
	v_mov_b32_e32 v6, v0
	s_and_saveexec_b64 s[4:5], s[0:1]
	s_cbranch_execz .LBB122_214
; %bb.213:
	v_mov_b32_e32 v2, 0
	v_lshlrev_b64 v[2:3], 1, v[1:2]
	v_mov_b32_e32 v5, s15
	v_add_co_u32_e32 v4, vcc, s14, v2
	v_addc_co_u32_e32 v5, vcc, v5, v3, vcc
	v_mov_b32_e32 v6, s11
	v_add_co_u32_e32 v2, vcc, s10, v2
	v_addc_co_u32_e32 v3, vcc, v6, v3, vcc
	global_load_ushort v7, v[2:3], off
	global_load_ushort v10, v[4:5], off
	v_or_b32_e32 v6, 0x100, v0
.LBB122_214:
	s_or_b64 exec, exec, s[4:5]
	v_cmp_gt_i32_e32 vcc, s12, v6
	v_mov_b32_e32 v34, 0
	s_and_saveexec_b64 s[4:5], vcc
	s_cbranch_execz .LBB122_216
; %bb.215:
	v_add_u32_e32 v2, s2, v6
	v_mov_b32_e32 v3, 0
	v_lshlrev_b64 v[2:3], 1, v[2:3]
	v_mov_b32_e32 v5, s15
	v_add_co_u32_e32 v4, vcc, s14, v2
	v_addc_co_u32_e32 v5, vcc, v5, v3, vcc
	v_mov_b32_e32 v8, s11
	v_add_co_u32_e32 v2, vcc, s10, v2
	v_addc_co_u32_e32 v3, vcc, v8, v3, vcc
	global_load_ushort v14, v[2:3], off
	global_load_ushort v34, v[4:5], off
	v_add_u32_e32 v6, 0x100, v6
.LBB122_216:
	s_or_b64 exec, exec, s[4:5]
	v_cmp_gt_i32_e32 vcc, s12, v6
	v_mov_b32_e32 v21, 0
	v_mov_b32_e32 v16, 0
	v_mov_b32_e32 v33, 0
	s_and_saveexec_b64 s[4:5], vcc
	s_cbranch_execz .LBB122_218
; %bb.217:
	v_add_u32_e32 v2, s2, v6
	v_mov_b32_e32 v3, 0
	v_lshlrev_b64 v[2:3], 1, v[2:3]
	v_mov_b32_e32 v5, s15
	v_add_co_u32_e32 v4, vcc, s14, v2
	v_addc_co_u32_e32 v5, vcc, v5, v3, vcc
	v_mov_b32_e32 v8, s11
	v_add_co_u32_e32 v2, vcc, s10, v2
	v_addc_co_u32_e32 v3, vcc, v8, v3, vcc
	global_load_ushort v16, v[2:3], off
	global_load_ushort v33, v[4:5], off
	v_add_u32_e32 v6, 0x100, v6
.LBB122_218:
	s_or_b64 exec, exec, s[4:5]
	v_cmp_gt_i32_e32 vcc, s12, v6
	v_mov_b32_e32 v32, 0
	s_and_saveexec_b64 s[4:5], vcc
	s_cbranch_execz .LBB122_220
; %bb.219:
	v_add_u32_e32 v2, s2, v6
	v_mov_b32_e32 v3, 0
	v_lshlrev_b64 v[2:3], 1, v[2:3]
	v_mov_b32_e32 v5, s15
	v_add_co_u32_e32 v4, vcc, s14, v2
	v_addc_co_u32_e32 v5, vcc, v5, v3, vcc
	v_mov_b32_e32 v8, s11
	v_add_co_u32_e32 v2, vcc, s10, v2
	v_addc_co_u32_e32 v3, vcc, v8, v3, vcc
	global_load_ushort v21, v[2:3], off
	global_load_ushort v32, v[4:5], off
	v_add_u32_e32 v6, 0x100, v6
.LBB122_220:
	s_or_b64 exec, exec, s[4:5]
	v_cmp_gt_i32_e32 vcc, s12, v6
	v_mov_b32_e32 v27, 0
	v_mov_b32_e32 v24, 0
	v_mov_b32_e32 v31, 0
	s_and_saveexec_b64 s[4:5], vcc
	s_cbranch_execz .LBB122_222
; %bb.221:
	v_add_u32_e32 v2, s2, v6
	v_mov_b32_e32 v3, 0
	v_lshlrev_b64 v[2:3], 1, v[2:3]
	v_mov_b32_e32 v5, s15
	v_add_co_u32_e32 v4, vcc, s14, v2
	v_addc_co_u32_e32 v5, vcc, v5, v3, vcc
	v_mov_b32_e32 v8, s11
	v_add_co_u32_e32 v2, vcc, s10, v2
	v_addc_co_u32_e32 v3, vcc, v8, v3, vcc
	global_load_ushort v24, v[2:3], off
	global_load_ushort v31, v[4:5], off
	v_add_u32_e32 v6, 0x100, v6
.LBB122_222:
	;; [unrolled: 40-line block ×7, first 2 shown]
	s_or_b64 exec, exec, s[4:5]
	v_cmp_gt_i32_e32 vcc, s12, v6
	v_mov_b32_e32 v3, 0
	s_and_saveexec_b64 s[4:5], vcc
	s_cbranch_execz .LBB122_244
; %bb.243:
	v_add_u32_e32 v2, s2, v6
	v_mov_b32_e32 v3, 0
	v_lshlrev_b64 v[2:3], 1, v[2:3]
	v_mov_b32_e32 v6, s15
	v_add_co_u32_e32 v35, vcc, s14, v2
	v_addc_co_u32_e32 v36, vcc, v6, v3, vcc
	v_mov_b32_e32 v6, s11
	v_add_co_u32_e32 v37, vcc, s10, v2
	v_addc_co_u32_e32 v38, vcc, v6, v3, vcc
	global_load_ushort v2, v[37:38], off
	global_load_ushort v3, v[35:36], off
.LBB122_244:
	s_or_b64 exec, exec, s[4:5]
                                        ; implicit-def: $vgpr6
	s_and_saveexec_b64 s[4:5], s[0:1]
	s_cbranch_execz .LBB122_276
; %bb.245:
	s_cmp_lt_i32 s13, 1
	s_mov_b64 s[6:7], 0
	s_cbranch_scc1 .LBB122_250
; %bb.246:
	s_cmp_gt_i32 s13, 1
	s_cbranch_scc0 .LBB122_266
; %bb.247:
	s_cmp_eq_u32 s13, 2
	s_cbranch_scc0 .LBB122_267
; %bb.248:
	s_waitcnt vmcnt(0)
	v_cmp_le_f16_e64 s[10:11], v7, v10
	s_mov_b64 s[14:15], 0
	s_branch .LBB122_268
.LBB122_249:
	s_waitcnt vmcnt(0)
	v_cmp_lt_f16_sdwa s[46:47], v2, v4 src0_sel:WORD_1 src1_sel:WORD_1
	s_andn2_b64 s[42:43], s[42:43], exec
	s_and_b64 s[46:47], s[46:47], exec
	s_or_b64 s[42:43], s[42:43], s[46:47]
	s_cbranch_execz .LBB122_209
	s_branch .LBB122_210
.LBB122_250:
                                        ; implicit-def: $sgpr10_sgpr11
	s_mov_b64 s[14:15], 0
	s_cbranch_execnz .LBB122_271
	s_branch .LBB122_272
.LBB122_251:
	s_mov_b64 s[16:17], -1
                                        ; implicit-def: $sgpr4_sgpr5
	s_branch .LBB122_23
.LBB122_252:
	s_mov_b64 s[18:19], -1
                                        ; implicit-def: $sgpr6_sgpr7
	s_branch .LBB122_36
.LBB122_253:
	s_mov_b64 s[20:21], -1
                                        ; implicit-def: $sgpr16_sgpr17
	s_branch .LBB122_49
.LBB122_254:
	s_mov_b64 s[22:23], -1
                                        ; implicit-def: $sgpr18_sgpr19
	s_branch .LBB122_62
.LBB122_255:
	s_mov_b64 s[24:25], -1
                                        ; implicit-def: $sgpr20_sgpr21
	s_branch .LBB122_75
.LBB122_256:
	s_mov_b64 s[26:27], -1
                                        ; implicit-def: $sgpr22_sgpr23
	s_branch .LBB122_88
.LBB122_257:
	s_mov_b64 s[28:29], -1
                                        ; implicit-def: $sgpr24_sgpr25
	s_branch .LBB122_101
.LBB122_258:
	s_mov_b64 s[30:31], -1
                                        ; implicit-def: $sgpr26_sgpr27
	s_branch .LBB122_114
.LBB122_259:
	s_mov_b64 s[34:35], -1
                                        ; implicit-def: $sgpr28_sgpr29
	s_branch .LBB122_127
.LBB122_260:
	s_mov_b64 s[36:37], -1
                                        ; implicit-def: $sgpr30_sgpr31
	s_branch .LBB122_140
.LBB122_261:
	s_mov_b64 s[38:39], -1
                                        ; implicit-def: $sgpr34_sgpr35
	s_branch .LBB122_153
.LBB122_262:
	s_mov_b64 s[40:41], -1
                                        ; implicit-def: $sgpr36_sgpr37
	s_branch .LBB122_166
.LBB122_263:
	s_mov_b64 s[42:43], -1
                                        ; implicit-def: $sgpr38_sgpr39
	s_branch .LBB122_179
.LBB122_264:
	s_mov_b64 s[44:45], -1
                                        ; implicit-def: $sgpr40_sgpr41
	s_branch .LBB122_192
.LBB122_265:
	s_mov_b64 s[46:47], -1
                                        ; implicit-def: $sgpr42_sgpr43
	s_branch .LBB122_205
.LBB122_266:
	s_mov_b64 s[14:15], 0
                                        ; implicit-def: $sgpr10_sgpr11
	s_cbranch_execnz .LBB122_269
	s_branch .LBB122_270
.LBB122_267:
	s_mov_b64 s[14:15], -1
                                        ; implicit-def: $sgpr10_sgpr11
.LBB122_268:
	s_branch .LBB122_270
.LBB122_269:
	s_waitcnt vmcnt(0)
	v_cmp_gt_f16_e32 vcc, v7, v10
	s_andn2_b64 s[10:11], s[10:11], exec
	s_and_b64 s[16:17], vcc, exec
	s_or_b64 s[10:11], s[10:11], s[16:17]
.LBB122_270:
	s_branch .LBB122_272
.LBB122_271:
	s_cmp_lg_u32 s13, 0
	s_mov_b64 s[6:7], -1
	s_cselect_b64 s[14:15], -1, 0
.LBB122_272:
	s_andn2_b64 vcc, exec, s[14:15]
	s_cbranch_vccz .LBB122_281
; %bb.273:
	s_andn2_b64 vcc, exec, s[6:7]
	s_cbranch_vccnz .LBB122_275
.LBB122_274:
	s_waitcnt vmcnt(0)
	v_cmp_ge_f16_e32 vcc, v7, v10
	s_andn2_b64 s[6:7], s[10:11], exec
	s_and_b64 s[10:11], vcc, exec
	s_or_b64 s[10:11], s[6:7], s[10:11]
.LBB122_275:
	v_cndmask_b32_e64 v6, 0, 1, s[10:11]
.LBB122_276:
	s_or_b64 exec, exec, s[4:5]
	s_waitcnt vmcnt(1)
	v_or_b32_e32 v7, 0x100, v0
	v_cmp_gt_i32_e32 vcc, s12, v7
                                        ; implicit-def: $vgpr10
	s_and_saveexec_b64 s[4:5], vcc
	s_cbranch_execz .LBB122_291
; %bb.277:
	s_cmp_lt_i32 s13, 1
	s_mov_b64 s[6:7], 0
	s_cbranch_scc1 .LBB122_282
; %bb.278:
	s_cmp_gt_i32 s13, 1
	s_cbranch_scc0 .LBB122_283
; %bb.279:
	s_cmp_eq_u32 s13, 2
	s_cbranch_scc0 .LBB122_535
; %bb.280:
	s_waitcnt vmcnt(0)
	v_cmp_le_f16_e64 s[10:11], v14, v34
	s_mov_b64 s[14:15], 0
	s_branch .LBB122_285
.LBB122_281:
	s_waitcnt vmcnt(0)
	v_cmp_lt_f16_e32 vcc, v7, v10
	s_andn2_b64 s[10:11], s[10:11], exec
	s_and_b64 s[14:15], vcc, exec
	s_or_b64 s[10:11], s[10:11], s[14:15]
	s_cbranch_execz .LBB122_274
	s_branch .LBB122_275
.LBB122_282:
                                        ; implicit-def: $sgpr10_sgpr11
	s_mov_b64 s[14:15], 0
	s_cbranch_execnz .LBB122_286
	s_branch .LBB122_287
.LBB122_283:
	s_mov_b64 s[14:15], 0
                                        ; implicit-def: $sgpr10_sgpr11
	s_cbranch_execz .LBB122_285
; %bb.284:
	s_waitcnt vmcnt(0)
	v_cmp_gt_f16_e32 vcc, v14, v34
	s_andn2_b64 s[10:11], s[10:11], exec
	s_and_b64 s[16:17], vcc, exec
	s_or_b64 s[10:11], s[10:11], s[16:17]
.LBB122_285:
	s_branch .LBB122_287
.LBB122_286:
	s_cmp_lg_u32 s13, 0
	s_mov_b64 s[6:7], -1
	s_cselect_b64 s[14:15], -1, 0
.LBB122_287:
	s_andn2_b64 vcc, exec, s[14:15]
	s_cbranch_vccz .LBB122_296
; %bb.288:
	s_andn2_b64 vcc, exec, s[6:7]
	s_cbranch_vccnz .LBB122_290
.LBB122_289:
	s_waitcnt vmcnt(0)
	v_cmp_ge_f16_e32 vcc, v14, v34
	s_andn2_b64 s[6:7], s[10:11], exec
	s_and_b64 s[10:11], vcc, exec
	s_or_b64 s[10:11], s[6:7], s[10:11]
.LBB122_290:
	s_waitcnt vmcnt(0)
	v_cndmask_b32_e64 v10, 0, 1, s[10:11]
.LBB122_291:
	s_or_b64 exec, exec, s[4:5]
	v_or_b32_e32 v14, 0x200, v0
	v_cmp_gt_i32_e32 vcc, s12, v14
                                        ; implicit-def: $vgpr14
	s_and_saveexec_b64 s[4:5], vcc
	s_cbranch_execz .LBB122_306
; %bb.292:
	s_cmp_lt_i32 s13, 1
	s_mov_b64 s[6:7], 0
	s_cbranch_scc1 .LBB122_297
; %bb.293:
	s_cmp_gt_i32 s13, 1
	s_cbranch_scc0 .LBB122_298
; %bb.294:
	s_cmp_eq_u32 s13, 2
	s_cbranch_scc0 .LBB122_536
; %bb.295:
	s_waitcnt vmcnt(0)
	v_cmp_le_f16_e64 s[10:11], v16, v33
	s_mov_b64 s[14:15], 0
	s_branch .LBB122_300
.LBB122_296:
	s_waitcnt vmcnt(0)
	v_cmp_lt_f16_e32 vcc, v14, v34
	s_andn2_b64 s[10:11], s[10:11], exec
	s_and_b64 s[14:15], vcc, exec
	s_or_b64 s[10:11], s[10:11], s[14:15]
	s_cbranch_execz .LBB122_289
	s_branch .LBB122_290
.LBB122_297:
                                        ; implicit-def: $sgpr10_sgpr11
	s_mov_b64 s[14:15], 0
	s_cbranch_execnz .LBB122_301
	s_branch .LBB122_302
.LBB122_298:
	s_mov_b64 s[14:15], 0
                                        ; implicit-def: $sgpr10_sgpr11
	s_cbranch_execz .LBB122_300
; %bb.299:
	s_waitcnt vmcnt(0)
	v_cmp_gt_f16_e32 vcc, v16, v33
	s_andn2_b64 s[10:11], s[10:11], exec
	s_and_b64 s[16:17], vcc, exec
	s_or_b64 s[10:11], s[10:11], s[16:17]
.LBB122_300:
	s_branch .LBB122_302
.LBB122_301:
	s_cmp_lg_u32 s13, 0
	s_mov_b64 s[6:7], -1
	s_cselect_b64 s[14:15], -1, 0
.LBB122_302:
	s_andn2_b64 vcc, exec, s[14:15]
	s_cbranch_vccz .LBB122_311
; %bb.303:
	s_andn2_b64 vcc, exec, s[6:7]
	s_cbranch_vccnz .LBB122_305
.LBB122_304:
	s_waitcnt vmcnt(0)
	v_cmp_ge_f16_e32 vcc, v16, v33
	s_andn2_b64 s[6:7], s[10:11], exec
	s_and_b64 s[10:11], vcc, exec
	s_or_b64 s[10:11], s[6:7], s[10:11]
.LBB122_305:
	v_cndmask_b32_e64 v14, 0, 1, s[10:11]
.LBB122_306:
	s_or_b64 exec, exec, s[4:5]
	v_or_b32_e32 v16, 0x300, v0
	v_cmp_gt_i32_e32 vcc, s12, v16
                                        ; implicit-def: $vgpr16
	s_and_saveexec_b64 s[4:5], vcc
	s_cbranch_execz .LBB122_321
; %bb.307:
	s_cmp_lt_i32 s13, 1
	s_mov_b64 s[6:7], 0
	s_cbranch_scc1 .LBB122_312
; %bb.308:
	s_cmp_gt_i32 s13, 1
	s_cbranch_scc0 .LBB122_313
; %bb.309:
	s_cmp_eq_u32 s13, 2
	s_cbranch_scc0 .LBB122_537
; %bb.310:
	s_waitcnt vmcnt(0)
	v_cmp_le_f16_e64 s[10:11], v21, v32
	s_mov_b64 s[14:15], 0
	s_branch .LBB122_315
.LBB122_311:
	s_waitcnt vmcnt(0)
	v_cmp_lt_f16_e32 vcc, v16, v33
	s_andn2_b64 s[10:11], s[10:11], exec
	s_and_b64 s[14:15], vcc, exec
	s_or_b64 s[10:11], s[10:11], s[14:15]
	s_cbranch_execz .LBB122_304
	s_branch .LBB122_305
.LBB122_312:
                                        ; implicit-def: $sgpr10_sgpr11
	s_mov_b64 s[14:15], 0
	s_cbranch_execnz .LBB122_316
	s_branch .LBB122_317
.LBB122_313:
	s_mov_b64 s[14:15], 0
                                        ; implicit-def: $sgpr10_sgpr11
	s_cbranch_execz .LBB122_315
; %bb.314:
	s_waitcnt vmcnt(0)
	v_cmp_gt_f16_e32 vcc, v21, v32
	s_andn2_b64 s[10:11], s[10:11], exec
	s_and_b64 s[16:17], vcc, exec
	s_or_b64 s[10:11], s[10:11], s[16:17]
.LBB122_315:
	s_branch .LBB122_317
.LBB122_316:
	s_cmp_lg_u32 s13, 0
	s_mov_b64 s[6:7], -1
	s_cselect_b64 s[14:15], -1, 0
.LBB122_317:
	s_andn2_b64 vcc, exec, s[14:15]
	s_cbranch_vccz .LBB122_326
; %bb.318:
	s_andn2_b64 vcc, exec, s[6:7]
	s_cbranch_vccnz .LBB122_320
.LBB122_319:
	s_waitcnt vmcnt(0)
	v_cmp_ge_f16_e32 vcc, v21, v32
	s_andn2_b64 s[6:7], s[10:11], exec
	s_and_b64 s[10:11], vcc, exec
	s_or_b64 s[10:11], s[6:7], s[10:11]
.LBB122_320:
	v_cndmask_b32_e64 v16, 0, 1, s[10:11]
.LBB122_321:
	s_or_b64 exec, exec, s[4:5]
	v_or_b32_e32 v21, 0x400, v0
	v_cmp_gt_i32_e32 vcc, s12, v21
                                        ; implicit-def: $vgpr21
	s_and_saveexec_b64 s[4:5], vcc
	s_cbranch_execz .LBB122_336
; %bb.322:
	s_cmp_lt_i32 s13, 1
	s_mov_b64 s[6:7], 0
	s_cbranch_scc1 .LBB122_327
; %bb.323:
	s_cmp_gt_i32 s13, 1
	s_cbranch_scc0 .LBB122_328
; %bb.324:
	s_cmp_eq_u32 s13, 2
	s_cbranch_scc0 .LBB122_538
; %bb.325:
	s_waitcnt vmcnt(0)
	v_cmp_le_f16_e64 s[10:11], v24, v31
	s_mov_b64 s[14:15], 0
	s_branch .LBB122_330
.LBB122_326:
	s_waitcnt vmcnt(0)
	v_cmp_lt_f16_e32 vcc, v21, v32
	s_andn2_b64 s[10:11], s[10:11], exec
	s_and_b64 s[14:15], vcc, exec
	s_or_b64 s[10:11], s[10:11], s[14:15]
	s_cbranch_execz .LBB122_319
	s_branch .LBB122_320
.LBB122_327:
                                        ; implicit-def: $sgpr10_sgpr11
	s_mov_b64 s[14:15], 0
	s_cbranch_execnz .LBB122_331
	s_branch .LBB122_332
.LBB122_328:
	s_mov_b64 s[14:15], 0
                                        ; implicit-def: $sgpr10_sgpr11
	s_cbranch_execz .LBB122_330
; %bb.329:
	s_waitcnt vmcnt(0)
	v_cmp_gt_f16_e32 vcc, v24, v31
	s_andn2_b64 s[10:11], s[10:11], exec
	s_and_b64 s[16:17], vcc, exec
	s_or_b64 s[10:11], s[10:11], s[16:17]
.LBB122_330:
	s_branch .LBB122_332
.LBB122_331:
	s_cmp_lg_u32 s13, 0
	s_mov_b64 s[6:7], -1
	s_cselect_b64 s[14:15], -1, 0
.LBB122_332:
	s_andn2_b64 vcc, exec, s[14:15]
	s_cbranch_vccz .LBB122_341
; %bb.333:
	s_andn2_b64 vcc, exec, s[6:7]
	s_cbranch_vccnz .LBB122_335
.LBB122_334:
	s_waitcnt vmcnt(0)
	v_cmp_ge_f16_e32 vcc, v24, v31
	s_andn2_b64 s[6:7], s[10:11], exec
	s_and_b64 s[10:11], vcc, exec
	s_or_b64 s[10:11], s[6:7], s[10:11]
.LBB122_335:
	v_cndmask_b32_e64 v21, 0, 1, s[10:11]
.LBB122_336:
	s_or_b64 exec, exec, s[4:5]
	v_or_b32_e32 v24, 0x500, v0
	v_cmp_gt_i32_e32 vcc, s12, v24
                                        ; implicit-def: $vgpr24
	s_and_saveexec_b64 s[4:5], vcc
	s_cbranch_execz .LBB122_351
; %bb.337:
	s_cmp_lt_i32 s13, 1
	s_mov_b64 s[6:7], 0
	s_cbranch_scc1 .LBB122_342
; %bb.338:
	s_cmp_gt_i32 s13, 1
	s_cbranch_scc0 .LBB122_343
; %bb.339:
	s_cmp_eq_u32 s13, 2
	s_cbranch_scc0 .LBB122_539
; %bb.340:
	s_waitcnt vmcnt(0)
	v_cmp_le_f16_e64 s[10:11], v27, v30
	s_mov_b64 s[14:15], 0
	s_branch .LBB122_345
.LBB122_341:
	s_waitcnt vmcnt(0)
	v_cmp_lt_f16_e32 vcc, v24, v31
	s_andn2_b64 s[10:11], s[10:11], exec
	s_and_b64 s[14:15], vcc, exec
	s_or_b64 s[10:11], s[10:11], s[14:15]
	s_cbranch_execz .LBB122_334
	s_branch .LBB122_335
.LBB122_342:
                                        ; implicit-def: $sgpr10_sgpr11
	s_mov_b64 s[14:15], 0
	s_cbranch_execnz .LBB122_346
	s_branch .LBB122_347
.LBB122_343:
	s_mov_b64 s[14:15], 0
                                        ; implicit-def: $sgpr10_sgpr11
	s_cbranch_execz .LBB122_345
; %bb.344:
	s_waitcnt vmcnt(0)
	v_cmp_gt_f16_e32 vcc, v27, v30
	s_andn2_b64 s[10:11], s[10:11], exec
	s_and_b64 s[16:17], vcc, exec
	s_or_b64 s[10:11], s[10:11], s[16:17]
.LBB122_345:
	s_branch .LBB122_347
.LBB122_346:
	s_cmp_lg_u32 s13, 0
	s_mov_b64 s[6:7], -1
	s_cselect_b64 s[14:15], -1, 0
.LBB122_347:
	s_andn2_b64 vcc, exec, s[14:15]
	s_cbranch_vccz .LBB122_356
; %bb.348:
	s_andn2_b64 vcc, exec, s[6:7]
	s_cbranch_vccnz .LBB122_350
.LBB122_349:
	s_waitcnt vmcnt(0)
	v_cmp_ge_f16_e32 vcc, v27, v30
	s_andn2_b64 s[6:7], s[10:11], exec
	s_and_b64 s[10:11], vcc, exec
	s_or_b64 s[10:11], s[6:7], s[10:11]
.LBB122_350:
	v_cndmask_b32_e64 v24, 0, 1, s[10:11]
.LBB122_351:
	s_or_b64 exec, exec, s[4:5]
	v_or_b32_e32 v27, 0x600, v0
	v_cmp_gt_i32_e32 vcc, s12, v27
                                        ; implicit-def: $vgpr27
	s_and_saveexec_b64 s[4:5], vcc
	s_cbranch_execz .LBB122_366
; %bb.352:
	s_cmp_lt_i32 s13, 1
	s_mov_b64 s[6:7], 0
	s_cbranch_scc1 .LBB122_357
; %bb.353:
	s_cmp_gt_i32 s13, 1
	s_cbranch_scc0 .LBB122_358
; %bb.354:
	s_cmp_eq_u32 s13, 2
	s_cbranch_scc0 .LBB122_540
; %bb.355:
	s_waitcnt vmcnt(0)
	v_cmp_le_f16_e64 s[10:11], v28, v29
	s_mov_b64 s[14:15], 0
	s_branch .LBB122_360
.LBB122_356:
	s_waitcnt vmcnt(0)
	v_cmp_lt_f16_e32 vcc, v27, v30
	s_andn2_b64 s[10:11], s[10:11], exec
	s_and_b64 s[14:15], vcc, exec
	s_or_b64 s[10:11], s[10:11], s[14:15]
	s_cbranch_execz .LBB122_349
	s_branch .LBB122_350
.LBB122_357:
                                        ; implicit-def: $sgpr10_sgpr11
	s_mov_b64 s[14:15], 0
	s_cbranch_execnz .LBB122_361
	s_branch .LBB122_362
.LBB122_358:
	s_mov_b64 s[14:15], 0
                                        ; implicit-def: $sgpr10_sgpr11
	s_cbranch_execz .LBB122_360
; %bb.359:
	s_waitcnt vmcnt(0)
	v_cmp_gt_f16_e32 vcc, v28, v29
	s_andn2_b64 s[10:11], s[10:11], exec
	s_and_b64 s[16:17], vcc, exec
	s_or_b64 s[10:11], s[10:11], s[16:17]
.LBB122_360:
	s_branch .LBB122_362
.LBB122_361:
	s_cmp_lg_u32 s13, 0
	s_mov_b64 s[6:7], -1
	s_cselect_b64 s[14:15], -1, 0
.LBB122_362:
	s_andn2_b64 vcc, exec, s[14:15]
	s_cbranch_vccz .LBB122_371
; %bb.363:
	s_andn2_b64 vcc, exec, s[6:7]
	s_cbranch_vccnz .LBB122_365
.LBB122_364:
	s_waitcnt vmcnt(0)
	v_cmp_ge_f16_e32 vcc, v28, v29
	s_andn2_b64 s[6:7], s[10:11], exec
	s_and_b64 s[10:11], vcc, exec
	s_or_b64 s[10:11], s[6:7], s[10:11]
.LBB122_365:
	v_cndmask_b32_e64 v27, 0, 1, s[10:11]
.LBB122_366:
	s_or_b64 exec, exec, s[4:5]
	v_or_b32_e32 v28, 0x700, v0
	v_cmp_gt_i32_e32 vcc, s12, v28
                                        ; implicit-def: $vgpr28
	s_and_saveexec_b64 s[4:5], vcc
	s_cbranch_execz .LBB122_381
; %bb.367:
	s_cmp_lt_i32 s13, 1
	s_mov_b64 s[6:7], 0
	s_cbranch_scc1 .LBB122_372
; %bb.368:
	s_cmp_gt_i32 s13, 1
	s_cbranch_scc0 .LBB122_373
; %bb.369:
	s_cmp_eq_u32 s13, 2
	s_cbranch_scc0 .LBB122_541
; %bb.370:
	s_waitcnt vmcnt(0)
	v_cmp_le_f16_e64 s[10:11], v25, v26
	s_mov_b64 s[14:15], 0
	s_branch .LBB122_375
.LBB122_371:
	s_waitcnt vmcnt(0)
	v_cmp_lt_f16_e32 vcc, v28, v29
	s_andn2_b64 s[10:11], s[10:11], exec
	s_and_b64 s[14:15], vcc, exec
	s_or_b64 s[10:11], s[10:11], s[14:15]
	s_cbranch_execz .LBB122_364
	s_branch .LBB122_365
.LBB122_372:
                                        ; implicit-def: $sgpr10_sgpr11
	s_mov_b64 s[14:15], 0
	s_cbranch_execnz .LBB122_376
	s_branch .LBB122_377
.LBB122_373:
	s_mov_b64 s[14:15], 0
                                        ; implicit-def: $sgpr10_sgpr11
	s_cbranch_execz .LBB122_375
; %bb.374:
	s_waitcnt vmcnt(0)
	v_cmp_gt_f16_e32 vcc, v25, v26
	s_andn2_b64 s[10:11], s[10:11], exec
	s_and_b64 s[16:17], vcc, exec
	s_or_b64 s[10:11], s[10:11], s[16:17]
.LBB122_375:
	s_branch .LBB122_377
.LBB122_376:
	s_cmp_lg_u32 s13, 0
	s_mov_b64 s[6:7], -1
	s_cselect_b64 s[14:15], -1, 0
.LBB122_377:
	s_andn2_b64 vcc, exec, s[14:15]
	s_cbranch_vccz .LBB122_386
; %bb.378:
	s_andn2_b64 vcc, exec, s[6:7]
	s_cbranch_vccnz .LBB122_380
.LBB122_379:
	s_waitcnt vmcnt(0)
	v_cmp_ge_f16_e32 vcc, v25, v26
	s_andn2_b64 s[6:7], s[10:11], exec
	s_and_b64 s[10:11], vcc, exec
	s_or_b64 s[10:11], s[6:7], s[10:11]
.LBB122_380:
	v_cndmask_b32_e64 v28, 0, 1, s[10:11]
.LBB122_381:
	s_or_b64 exec, exec, s[4:5]
	v_or_b32_e32 v25, 0x800, v0
	v_cmp_gt_i32_e32 vcc, s12, v25
                                        ; implicit-def: $vgpr25
	s_and_saveexec_b64 s[4:5], vcc
	s_cbranch_execz .LBB122_396
; %bb.382:
	s_cmp_lt_i32 s13, 1
	s_mov_b64 s[6:7], 0
	s_cbranch_scc1 .LBB122_387
; %bb.383:
	s_cmp_gt_i32 s13, 1
	s_cbranch_scc0 .LBB122_388
; %bb.384:
	s_cmp_eq_u32 s13, 2
	s_cbranch_scc0 .LBB122_542
; %bb.385:
	s_waitcnt vmcnt(0)
	v_cmp_le_f16_e64 s[10:11], v22, v23
	s_mov_b64 s[14:15], 0
	s_branch .LBB122_390
.LBB122_386:
	s_waitcnt vmcnt(0)
	v_cmp_lt_f16_e32 vcc, v25, v26
	s_andn2_b64 s[10:11], s[10:11], exec
	s_and_b64 s[14:15], vcc, exec
	s_or_b64 s[10:11], s[10:11], s[14:15]
	s_cbranch_execz .LBB122_379
	s_branch .LBB122_380
.LBB122_387:
                                        ; implicit-def: $sgpr10_sgpr11
	s_mov_b64 s[14:15], 0
	s_cbranch_execnz .LBB122_391
	s_branch .LBB122_392
.LBB122_388:
	s_mov_b64 s[14:15], 0
                                        ; implicit-def: $sgpr10_sgpr11
	s_cbranch_execz .LBB122_390
; %bb.389:
	s_waitcnt vmcnt(0)
	v_cmp_gt_f16_e32 vcc, v22, v23
	s_andn2_b64 s[10:11], s[10:11], exec
	s_and_b64 s[16:17], vcc, exec
	s_or_b64 s[10:11], s[10:11], s[16:17]
.LBB122_390:
	s_branch .LBB122_392
.LBB122_391:
	s_cmp_lg_u32 s13, 0
	s_mov_b64 s[6:7], -1
	s_cselect_b64 s[14:15], -1, 0
.LBB122_392:
	s_andn2_b64 vcc, exec, s[14:15]
	s_cbranch_vccz .LBB122_401
; %bb.393:
	s_andn2_b64 vcc, exec, s[6:7]
	s_cbranch_vccnz .LBB122_395
.LBB122_394:
	s_waitcnt vmcnt(0)
	v_cmp_ge_f16_e32 vcc, v22, v23
	s_andn2_b64 s[6:7], s[10:11], exec
	s_and_b64 s[10:11], vcc, exec
	s_or_b64 s[10:11], s[6:7], s[10:11]
.LBB122_395:
	v_cndmask_b32_e64 v25, 0, 1, s[10:11]
.LBB122_396:
	s_or_b64 exec, exec, s[4:5]
	v_or_b32_e32 v22, 0x900, v0
	v_cmp_gt_i32_e32 vcc, s12, v22
                                        ; implicit-def: $vgpr22
	s_and_saveexec_b64 s[4:5], vcc
	s_cbranch_execz .LBB122_411
; %bb.397:
	s_cmp_lt_i32 s13, 1
	s_mov_b64 s[6:7], 0
	s_cbranch_scc1 .LBB122_402
; %bb.398:
	s_cmp_gt_i32 s13, 1
	s_cbranch_scc0 .LBB122_403
; %bb.399:
	s_cmp_eq_u32 s13, 2
	s_cbranch_scc0 .LBB122_543
; %bb.400:
	s_waitcnt vmcnt(0)
	v_cmp_le_f16_e64 s[10:11], v19, v20
	s_mov_b64 s[14:15], 0
	s_branch .LBB122_405
.LBB122_401:
	s_waitcnt vmcnt(0)
	v_cmp_lt_f16_e32 vcc, v22, v23
	s_andn2_b64 s[10:11], s[10:11], exec
	s_and_b64 s[14:15], vcc, exec
	s_or_b64 s[10:11], s[10:11], s[14:15]
	s_cbranch_execz .LBB122_394
	s_branch .LBB122_395
.LBB122_402:
                                        ; implicit-def: $sgpr10_sgpr11
	s_mov_b64 s[14:15], 0
	s_cbranch_execnz .LBB122_406
	s_branch .LBB122_407
.LBB122_403:
	s_mov_b64 s[14:15], 0
                                        ; implicit-def: $sgpr10_sgpr11
	s_cbranch_execz .LBB122_405
; %bb.404:
	s_waitcnt vmcnt(0)
	v_cmp_gt_f16_e32 vcc, v19, v20
	s_andn2_b64 s[10:11], s[10:11], exec
	s_and_b64 s[16:17], vcc, exec
	s_or_b64 s[10:11], s[10:11], s[16:17]
.LBB122_405:
	s_branch .LBB122_407
.LBB122_406:
	s_cmp_lg_u32 s13, 0
	s_mov_b64 s[6:7], -1
	s_cselect_b64 s[14:15], -1, 0
.LBB122_407:
	s_andn2_b64 vcc, exec, s[14:15]
	s_cbranch_vccz .LBB122_416
; %bb.408:
	s_andn2_b64 vcc, exec, s[6:7]
	s_cbranch_vccnz .LBB122_410
.LBB122_409:
	s_waitcnt vmcnt(0)
	v_cmp_ge_f16_e32 vcc, v19, v20
	s_andn2_b64 s[6:7], s[10:11], exec
	s_and_b64 s[10:11], vcc, exec
	s_or_b64 s[10:11], s[6:7], s[10:11]
.LBB122_410:
	v_cndmask_b32_e64 v22, 0, 1, s[10:11]
.LBB122_411:
	s_or_b64 exec, exec, s[4:5]
	v_or_b32_e32 v19, 0xa00, v0
	v_cmp_gt_i32_e32 vcc, s12, v19
                                        ; implicit-def: $vgpr19
	s_and_saveexec_b64 s[4:5], vcc
	s_cbranch_execz .LBB122_426
; %bb.412:
	s_cmp_lt_i32 s13, 1
	s_mov_b64 s[6:7], 0
	s_cbranch_scc1 .LBB122_417
; %bb.413:
	s_cmp_gt_i32 s13, 1
	s_cbranch_scc0 .LBB122_418
; %bb.414:
	s_cmp_eq_u32 s13, 2
	s_cbranch_scc0 .LBB122_544
; %bb.415:
	s_waitcnt vmcnt(0)
	v_cmp_le_f16_e64 s[10:11], v17, v18
	s_mov_b64 s[14:15], 0
	s_branch .LBB122_420
.LBB122_416:
	s_waitcnt vmcnt(0)
	v_cmp_lt_f16_e32 vcc, v19, v20
	s_andn2_b64 s[10:11], s[10:11], exec
	s_and_b64 s[14:15], vcc, exec
	s_or_b64 s[10:11], s[10:11], s[14:15]
	s_cbranch_execz .LBB122_409
	s_branch .LBB122_410
.LBB122_417:
                                        ; implicit-def: $sgpr10_sgpr11
	s_mov_b64 s[14:15], 0
	s_cbranch_execnz .LBB122_421
	s_branch .LBB122_422
.LBB122_418:
	s_mov_b64 s[14:15], 0
                                        ; implicit-def: $sgpr10_sgpr11
	s_cbranch_execz .LBB122_420
; %bb.419:
	s_waitcnt vmcnt(0)
	v_cmp_gt_f16_e32 vcc, v17, v18
	s_andn2_b64 s[10:11], s[10:11], exec
	s_and_b64 s[16:17], vcc, exec
	s_or_b64 s[10:11], s[10:11], s[16:17]
.LBB122_420:
	s_branch .LBB122_422
.LBB122_421:
	s_cmp_lg_u32 s13, 0
	s_mov_b64 s[6:7], -1
	s_cselect_b64 s[14:15], -1, 0
.LBB122_422:
	s_andn2_b64 vcc, exec, s[14:15]
	s_cbranch_vccz .LBB122_431
; %bb.423:
	s_andn2_b64 vcc, exec, s[6:7]
	s_cbranch_vccnz .LBB122_425
.LBB122_424:
	s_waitcnt vmcnt(0)
	v_cmp_ge_f16_e32 vcc, v17, v18
	s_andn2_b64 s[6:7], s[10:11], exec
	s_and_b64 s[10:11], vcc, exec
	s_or_b64 s[10:11], s[6:7], s[10:11]
.LBB122_425:
	v_cndmask_b32_e64 v19, 0, 1, s[10:11]
.LBB122_426:
	s_or_b64 exec, exec, s[4:5]
	v_or_b32_e32 v17, 0xb00, v0
	v_cmp_gt_i32_e32 vcc, s12, v17
                                        ; implicit-def: $vgpr17
	s_and_saveexec_b64 s[4:5], vcc
	s_cbranch_execz .LBB122_441
; %bb.427:
	s_cmp_lt_i32 s13, 1
	s_mov_b64 s[6:7], 0
	s_cbranch_scc1 .LBB122_432
; %bb.428:
	s_cmp_gt_i32 s13, 1
	s_cbranch_scc0 .LBB122_433
; %bb.429:
	s_cmp_eq_u32 s13, 2
	s_cbranch_scc0 .LBB122_545
; %bb.430:
	s_waitcnt vmcnt(0)
	v_cmp_le_f16_e64 s[10:11], v13, v15
	s_mov_b64 s[14:15], 0
	s_branch .LBB122_435
.LBB122_431:
	s_waitcnt vmcnt(0)
	v_cmp_lt_f16_e32 vcc, v17, v18
	s_andn2_b64 s[10:11], s[10:11], exec
	s_and_b64 s[14:15], vcc, exec
	s_or_b64 s[10:11], s[10:11], s[14:15]
	s_cbranch_execz .LBB122_424
	s_branch .LBB122_425
.LBB122_432:
                                        ; implicit-def: $sgpr10_sgpr11
	s_mov_b64 s[14:15], 0
	s_cbranch_execnz .LBB122_436
	s_branch .LBB122_437
.LBB122_433:
	s_mov_b64 s[14:15], 0
                                        ; implicit-def: $sgpr10_sgpr11
	s_cbranch_execz .LBB122_435
; %bb.434:
	s_waitcnt vmcnt(0)
	v_cmp_gt_f16_e32 vcc, v13, v15
	s_andn2_b64 s[10:11], s[10:11], exec
	s_and_b64 s[16:17], vcc, exec
	s_or_b64 s[10:11], s[10:11], s[16:17]
.LBB122_435:
	s_branch .LBB122_437
.LBB122_436:
	s_cmp_lg_u32 s13, 0
	s_mov_b64 s[6:7], -1
	s_cselect_b64 s[14:15], -1, 0
.LBB122_437:
	s_andn2_b64 vcc, exec, s[14:15]
	s_cbranch_vccz .LBB122_446
; %bb.438:
	s_andn2_b64 vcc, exec, s[6:7]
	s_cbranch_vccnz .LBB122_440
.LBB122_439:
	s_waitcnt vmcnt(0)
	v_cmp_ge_f16_e32 vcc, v13, v15
	s_andn2_b64 s[6:7], s[10:11], exec
	s_and_b64 s[10:11], vcc, exec
	s_or_b64 s[10:11], s[6:7], s[10:11]
.LBB122_440:
	v_cndmask_b32_e64 v17, 0, 1, s[10:11]
.LBB122_441:
	s_or_b64 exec, exec, s[4:5]
	v_or_b32_e32 v13, 0xc00, v0
	v_cmp_gt_i32_e32 vcc, s12, v13
                                        ; implicit-def: $vgpr13
	s_and_saveexec_b64 s[4:5], vcc
	s_cbranch_execz .LBB122_456
; %bb.442:
	s_cmp_lt_i32 s13, 1
	s_mov_b64 s[6:7], 0
	s_cbranch_scc1 .LBB122_447
; %bb.443:
	s_cmp_gt_i32 s13, 1
	s_cbranch_scc0 .LBB122_448
; %bb.444:
	s_cmp_eq_u32 s13, 2
	s_cbranch_scc0 .LBB122_546
; %bb.445:
	s_waitcnt vmcnt(0)
	v_cmp_le_f16_e64 s[10:11], v11, v12
	s_mov_b64 s[14:15], 0
	s_branch .LBB122_450
.LBB122_446:
	s_waitcnt vmcnt(0)
	v_cmp_lt_f16_e32 vcc, v13, v15
	s_andn2_b64 s[10:11], s[10:11], exec
	s_and_b64 s[14:15], vcc, exec
	s_or_b64 s[10:11], s[10:11], s[14:15]
	s_cbranch_execz .LBB122_439
	s_branch .LBB122_440
.LBB122_447:
                                        ; implicit-def: $sgpr10_sgpr11
	s_mov_b64 s[14:15], 0
	s_cbranch_execnz .LBB122_451
	s_branch .LBB122_452
.LBB122_448:
	s_mov_b64 s[14:15], 0
                                        ; implicit-def: $sgpr10_sgpr11
	s_cbranch_execz .LBB122_450
; %bb.449:
	s_waitcnt vmcnt(0)
	v_cmp_gt_f16_e32 vcc, v11, v12
	s_andn2_b64 s[10:11], s[10:11], exec
	s_and_b64 s[16:17], vcc, exec
	s_or_b64 s[10:11], s[10:11], s[16:17]
.LBB122_450:
	s_branch .LBB122_452
.LBB122_451:
	s_cmp_lg_u32 s13, 0
	s_mov_b64 s[6:7], -1
	s_cselect_b64 s[14:15], -1, 0
.LBB122_452:
	s_andn2_b64 vcc, exec, s[14:15]
	s_cbranch_vccz .LBB122_461
; %bb.453:
	s_andn2_b64 vcc, exec, s[6:7]
	s_cbranch_vccnz .LBB122_455
.LBB122_454:
	s_waitcnt vmcnt(0)
	v_cmp_ge_f16_e32 vcc, v11, v12
	s_andn2_b64 s[6:7], s[10:11], exec
	s_and_b64 s[10:11], vcc, exec
	s_or_b64 s[10:11], s[6:7], s[10:11]
.LBB122_455:
	v_cndmask_b32_e64 v13, 0, 1, s[10:11]
.LBB122_456:
	s_or_b64 exec, exec, s[4:5]
	v_or_b32_e32 v11, 0xd00, v0
	v_cmp_gt_i32_e32 vcc, s12, v11
                                        ; implicit-def: $vgpr11
	s_and_saveexec_b64 s[4:5], vcc
	s_cbranch_execz .LBB122_471
; %bb.457:
	s_cmp_lt_i32 s13, 1
	s_mov_b64 s[6:7], 0
	s_cbranch_scc1 .LBB122_462
; %bb.458:
	s_cmp_gt_i32 s13, 1
	s_cbranch_scc0 .LBB122_463
; %bb.459:
	s_cmp_eq_u32 s13, 2
	s_cbranch_scc0 .LBB122_547
; %bb.460:
	s_waitcnt vmcnt(0)
	v_cmp_le_f16_e64 s[10:11], v8, v9
	s_mov_b64 s[14:15], 0
	s_branch .LBB122_465
.LBB122_461:
	s_waitcnt vmcnt(0)
	v_cmp_lt_f16_e32 vcc, v11, v12
	s_andn2_b64 s[10:11], s[10:11], exec
	s_and_b64 s[14:15], vcc, exec
	s_or_b64 s[10:11], s[10:11], s[14:15]
	s_cbranch_execz .LBB122_454
	s_branch .LBB122_455
.LBB122_462:
                                        ; implicit-def: $sgpr10_sgpr11
	s_mov_b64 s[14:15], 0
	s_cbranch_execnz .LBB122_466
	s_branch .LBB122_467
.LBB122_463:
	s_mov_b64 s[14:15], 0
                                        ; implicit-def: $sgpr10_sgpr11
	s_cbranch_execz .LBB122_465
; %bb.464:
	s_waitcnt vmcnt(0)
	v_cmp_gt_f16_e32 vcc, v8, v9
	s_andn2_b64 s[10:11], s[10:11], exec
	s_and_b64 s[16:17], vcc, exec
	s_or_b64 s[10:11], s[10:11], s[16:17]
.LBB122_465:
	s_branch .LBB122_467
.LBB122_466:
	s_cmp_lg_u32 s13, 0
	s_mov_b64 s[6:7], -1
	s_cselect_b64 s[14:15], -1, 0
.LBB122_467:
	s_andn2_b64 vcc, exec, s[14:15]
	s_cbranch_vccz .LBB122_476
; %bb.468:
	s_andn2_b64 vcc, exec, s[6:7]
	s_cbranch_vccnz .LBB122_470
.LBB122_469:
	s_waitcnt vmcnt(0)
	v_cmp_ge_f16_e32 vcc, v8, v9
	s_andn2_b64 s[6:7], s[10:11], exec
	s_and_b64 s[10:11], vcc, exec
	s_or_b64 s[10:11], s[6:7], s[10:11]
.LBB122_470:
	v_cndmask_b32_e64 v11, 0, 1, s[10:11]
.LBB122_471:
	s_or_b64 exec, exec, s[4:5]
	v_or_b32_e32 v8, 0xe00, v0
	v_cmp_gt_i32_e32 vcc, s12, v8
                                        ; implicit-def: $vgpr8
	s_and_saveexec_b64 s[4:5], vcc
	s_cbranch_execz .LBB122_486
; %bb.472:
	s_cmp_lt_i32 s13, 1
	s_mov_b64 s[6:7], 0
	s_cbranch_scc1 .LBB122_477
; %bb.473:
	s_cmp_gt_i32 s13, 1
	s_cbranch_scc0 .LBB122_478
; %bb.474:
	s_cmp_eq_u32 s13, 2
	s_cbranch_scc0 .LBB122_548
; %bb.475:
	s_waitcnt vmcnt(0)
	v_cmp_le_f16_e64 s[10:11], v4, v5
	s_mov_b64 s[14:15], 0
	s_branch .LBB122_480
.LBB122_476:
	s_waitcnt vmcnt(0)
	v_cmp_lt_f16_e32 vcc, v8, v9
	s_andn2_b64 s[10:11], s[10:11], exec
	s_and_b64 s[14:15], vcc, exec
	s_or_b64 s[10:11], s[10:11], s[14:15]
	s_cbranch_execz .LBB122_469
	s_branch .LBB122_470
.LBB122_477:
                                        ; implicit-def: $sgpr10_sgpr11
	s_mov_b64 s[14:15], 0
	s_cbranch_execnz .LBB122_481
	s_branch .LBB122_482
.LBB122_478:
	s_mov_b64 s[14:15], 0
                                        ; implicit-def: $sgpr10_sgpr11
	s_cbranch_execz .LBB122_480
; %bb.479:
	s_waitcnt vmcnt(0)
	v_cmp_gt_f16_e32 vcc, v4, v5
	s_andn2_b64 s[10:11], s[10:11], exec
	s_and_b64 s[16:17], vcc, exec
	s_or_b64 s[10:11], s[10:11], s[16:17]
.LBB122_480:
	s_branch .LBB122_482
.LBB122_481:
	s_cmp_lg_u32 s13, 0
	s_mov_b64 s[6:7], -1
	s_cselect_b64 s[14:15], -1, 0
.LBB122_482:
	s_andn2_b64 vcc, exec, s[14:15]
	s_cbranch_vccz .LBB122_491
; %bb.483:
	s_andn2_b64 vcc, exec, s[6:7]
	s_cbranch_vccnz .LBB122_485
.LBB122_484:
	s_waitcnt vmcnt(0)
	v_cmp_ge_f16_e32 vcc, v4, v5
	s_andn2_b64 s[6:7], s[10:11], exec
	s_and_b64 s[10:11], vcc, exec
	s_or_b64 s[10:11], s[6:7], s[10:11]
.LBB122_485:
	v_cndmask_b32_e64 v8, 0, 1, s[10:11]
.LBB122_486:
	s_or_b64 exec, exec, s[4:5]
	v_or_b32_e32 v4, 0xf00, v0
	v_cmp_gt_i32_e32 vcc, s12, v4
                                        ; implicit-def: $vgpr4
	s_and_saveexec_b64 s[4:5], vcc
	s_cbranch_execz .LBB122_501
; %bb.487:
	s_cmp_lt_i32 s13, 1
	s_mov_b64 s[6:7], 0
	s_cbranch_scc1 .LBB122_492
; %bb.488:
	s_cmp_gt_i32 s13, 1
	s_cbranch_scc0 .LBB122_493
; %bb.489:
	s_cmp_eq_u32 s13, 2
	s_cbranch_scc0 .LBB122_549
; %bb.490:
	s_waitcnt vmcnt(0)
	v_cmp_le_f16_e64 s[10:11], v2, v3
	s_mov_b64 s[14:15], 0
	s_branch .LBB122_495
.LBB122_491:
	s_waitcnt vmcnt(0)
	v_cmp_lt_f16_e32 vcc, v4, v5
	s_andn2_b64 s[10:11], s[10:11], exec
	s_and_b64 s[14:15], vcc, exec
	s_or_b64 s[10:11], s[10:11], s[14:15]
	s_cbranch_execz .LBB122_484
	s_branch .LBB122_485
.LBB122_492:
                                        ; implicit-def: $sgpr10_sgpr11
	s_mov_b64 s[14:15], 0
	s_cbranch_execnz .LBB122_496
	s_branch .LBB122_497
.LBB122_493:
	s_mov_b64 s[14:15], 0
                                        ; implicit-def: $sgpr10_sgpr11
	s_cbranch_execz .LBB122_495
; %bb.494:
	s_waitcnt vmcnt(0)
	v_cmp_gt_f16_e32 vcc, v2, v3
	s_andn2_b64 s[10:11], s[10:11], exec
	s_and_b64 s[16:17], vcc, exec
	s_or_b64 s[10:11], s[10:11], s[16:17]
.LBB122_495:
	s_branch .LBB122_497
.LBB122_496:
	s_cmp_lg_u32 s13, 0
	s_mov_b64 s[6:7], -1
	s_cselect_b64 s[14:15], -1, 0
.LBB122_497:
	s_andn2_b64 vcc, exec, s[14:15]
	s_cbranch_vccz .LBB122_534
; %bb.498:
	s_andn2_b64 vcc, exec, s[6:7]
	s_cbranch_vccnz .LBB122_500
.LBB122_499:
	s_waitcnt vmcnt(0)
	v_cmp_ge_f16_e32 vcc, v2, v3
	s_andn2_b64 s[6:7], s[10:11], exec
	s_and_b64 s[10:11], vcc, exec
	s_or_b64 s[10:11], s[6:7], s[10:11]
.LBB122_500:
	v_cndmask_b32_e64 v4, 0, 1, s[10:11]
.LBB122_501:
	s_or_b64 exec, exec, s[4:5]
	s_and_saveexec_b64 s[4:5], s[0:1]
	s_xor_b64 s[0:1], exec, s[4:5]
	s_cbranch_execz .LBB122_503
; %bb.502:
	v_mov_b32_e32 v0, v7
	global_store_byte v1, v6, s[8:9]
.LBB122_503:
	s_or_b64 exec, exec, s[0:1]
	v_cmp_gt_i32_e32 vcc, s12, v0
	s_and_saveexec_b64 s[0:1], vcc
	s_cbranch_execnz .LBB122_520
; %bb.504:
	s_or_b64 exec, exec, s[0:1]
	v_cmp_gt_i32_e32 vcc, s12, v0
	s_and_saveexec_b64 s[0:1], vcc
	s_cbranch_execnz .LBB122_521
.LBB122_505:
	s_or_b64 exec, exec, s[0:1]
	v_cmp_gt_i32_e32 vcc, s12, v0
	s_and_saveexec_b64 s[0:1], vcc
	s_cbranch_execnz .LBB122_522
.LBB122_506:
	s_or_b64 exec, exec, s[0:1]
	v_cmp_gt_i32_e32 vcc, s12, v0
	s_and_saveexec_b64 s[0:1], vcc
	s_cbranch_execnz .LBB122_523
.LBB122_507:
	s_or_b64 exec, exec, s[0:1]
	v_cmp_gt_i32_e32 vcc, s12, v0
	s_and_saveexec_b64 s[0:1], vcc
	s_cbranch_execnz .LBB122_524
.LBB122_508:
	s_or_b64 exec, exec, s[0:1]
	v_cmp_gt_i32_e32 vcc, s12, v0
	s_and_saveexec_b64 s[0:1], vcc
	s_cbranch_execnz .LBB122_525
.LBB122_509:
	s_or_b64 exec, exec, s[0:1]
	v_cmp_gt_i32_e32 vcc, s12, v0
	s_and_saveexec_b64 s[0:1], vcc
	s_cbranch_execnz .LBB122_526
.LBB122_510:
	s_or_b64 exec, exec, s[0:1]
	v_cmp_gt_i32_e32 vcc, s12, v0
	s_and_saveexec_b64 s[0:1], vcc
	s_cbranch_execnz .LBB122_527
.LBB122_511:
	s_or_b64 exec, exec, s[0:1]
	v_cmp_gt_i32_e32 vcc, s12, v0
	s_and_saveexec_b64 s[0:1], vcc
	s_cbranch_execnz .LBB122_528
.LBB122_512:
	s_or_b64 exec, exec, s[0:1]
	v_cmp_gt_i32_e32 vcc, s12, v0
	s_and_saveexec_b64 s[0:1], vcc
	s_cbranch_execnz .LBB122_529
.LBB122_513:
	s_or_b64 exec, exec, s[0:1]
	v_cmp_gt_i32_e32 vcc, s12, v0
	s_and_saveexec_b64 s[0:1], vcc
	s_cbranch_execnz .LBB122_530
.LBB122_514:
	s_or_b64 exec, exec, s[0:1]
	v_cmp_gt_i32_e32 vcc, s12, v0
	s_and_saveexec_b64 s[0:1], vcc
	s_cbranch_execnz .LBB122_531
.LBB122_515:
	s_or_b64 exec, exec, s[0:1]
	v_cmp_gt_i32_e32 vcc, s12, v0
	s_and_saveexec_b64 s[0:1], vcc
	s_cbranch_execnz .LBB122_532
.LBB122_516:
	s_or_b64 exec, exec, s[0:1]
	v_cmp_gt_i32_e32 vcc, s12, v0
	s_and_saveexec_b64 s[0:1], vcc
	s_cbranch_execnz .LBB122_533
.LBB122_517:
	s_or_b64 exec, exec, s[0:1]
	v_cmp_gt_i32_e32 vcc, s12, v0
	s_and_saveexec_b64 s[0:1], vcc
	s_cbranch_execz .LBB122_519
.LBB122_518:
	v_add_u32_e32 v0, s2, v0
	global_store_byte v0, v4, s[8:9]
.LBB122_519:
	s_endpgm
.LBB122_520:
	v_add_u32_e32 v1, s2, v0
	v_add_u32_e32 v0, 0x100, v0
	s_waitcnt vmcnt(0)
	global_store_byte v1, v10, s[8:9]
	s_or_b64 exec, exec, s[0:1]
	v_cmp_gt_i32_e32 vcc, s12, v0
	s_and_saveexec_b64 s[0:1], vcc
	s_cbranch_execz .LBB122_505
.LBB122_521:
	v_add_u32_e32 v1, s2, v0
	v_add_u32_e32 v0, 0x100, v0
	global_store_byte v1, v14, s[8:9]
	s_or_b64 exec, exec, s[0:1]
	v_cmp_gt_i32_e32 vcc, s12, v0
	s_and_saveexec_b64 s[0:1], vcc
	s_cbranch_execz .LBB122_506
.LBB122_522:
	v_add_u32_e32 v1, s2, v0
	v_add_u32_e32 v0, 0x100, v0
	global_store_byte v1, v16, s[8:9]
	s_or_b64 exec, exec, s[0:1]
	v_cmp_gt_i32_e32 vcc, s12, v0
	s_and_saveexec_b64 s[0:1], vcc
	s_cbranch_execz .LBB122_507
.LBB122_523:
	v_add_u32_e32 v1, s2, v0
	v_add_u32_e32 v0, 0x100, v0
	global_store_byte v1, v21, s[8:9]
	s_or_b64 exec, exec, s[0:1]
	v_cmp_gt_i32_e32 vcc, s12, v0
	s_and_saveexec_b64 s[0:1], vcc
	s_cbranch_execz .LBB122_508
.LBB122_524:
	v_add_u32_e32 v1, s2, v0
	v_add_u32_e32 v0, 0x100, v0
	global_store_byte v1, v24, s[8:9]
	s_or_b64 exec, exec, s[0:1]
	v_cmp_gt_i32_e32 vcc, s12, v0
	s_and_saveexec_b64 s[0:1], vcc
	s_cbranch_execz .LBB122_509
.LBB122_525:
	v_add_u32_e32 v1, s2, v0
	v_add_u32_e32 v0, 0x100, v0
	global_store_byte v1, v27, s[8:9]
	s_or_b64 exec, exec, s[0:1]
	v_cmp_gt_i32_e32 vcc, s12, v0
	s_and_saveexec_b64 s[0:1], vcc
	s_cbranch_execz .LBB122_510
.LBB122_526:
	v_add_u32_e32 v1, s2, v0
	v_add_u32_e32 v0, 0x100, v0
	global_store_byte v1, v28, s[8:9]
	s_or_b64 exec, exec, s[0:1]
	v_cmp_gt_i32_e32 vcc, s12, v0
	s_and_saveexec_b64 s[0:1], vcc
	s_cbranch_execz .LBB122_511
.LBB122_527:
	v_add_u32_e32 v1, s2, v0
	v_add_u32_e32 v0, 0x100, v0
	global_store_byte v1, v25, s[8:9]
	s_or_b64 exec, exec, s[0:1]
	v_cmp_gt_i32_e32 vcc, s12, v0
	s_and_saveexec_b64 s[0:1], vcc
	s_cbranch_execz .LBB122_512
.LBB122_528:
	v_add_u32_e32 v1, s2, v0
	v_add_u32_e32 v0, 0x100, v0
	global_store_byte v1, v22, s[8:9]
	s_or_b64 exec, exec, s[0:1]
	v_cmp_gt_i32_e32 vcc, s12, v0
	s_and_saveexec_b64 s[0:1], vcc
	s_cbranch_execz .LBB122_513
.LBB122_529:
	v_add_u32_e32 v1, s2, v0
	v_add_u32_e32 v0, 0x100, v0
	global_store_byte v1, v19, s[8:9]
	s_or_b64 exec, exec, s[0:1]
	v_cmp_gt_i32_e32 vcc, s12, v0
	s_and_saveexec_b64 s[0:1], vcc
	s_cbranch_execz .LBB122_514
.LBB122_530:
	v_add_u32_e32 v1, s2, v0
	v_add_u32_e32 v0, 0x100, v0
	global_store_byte v1, v17, s[8:9]
	s_or_b64 exec, exec, s[0:1]
	v_cmp_gt_i32_e32 vcc, s12, v0
	s_and_saveexec_b64 s[0:1], vcc
	s_cbranch_execz .LBB122_515
.LBB122_531:
	v_add_u32_e32 v1, s2, v0
	v_add_u32_e32 v0, 0x100, v0
	global_store_byte v1, v13, s[8:9]
	s_or_b64 exec, exec, s[0:1]
	v_cmp_gt_i32_e32 vcc, s12, v0
	s_and_saveexec_b64 s[0:1], vcc
	s_cbranch_execz .LBB122_516
.LBB122_532:
	v_add_u32_e32 v1, s2, v0
	v_add_u32_e32 v0, 0x100, v0
	global_store_byte v1, v11, s[8:9]
	s_or_b64 exec, exec, s[0:1]
	v_cmp_gt_i32_e32 vcc, s12, v0
	s_and_saveexec_b64 s[0:1], vcc
	s_cbranch_execz .LBB122_517
.LBB122_533:
	v_add_u32_e32 v1, s2, v0
	v_add_u32_e32 v0, 0x100, v0
	global_store_byte v1, v8, s[8:9]
	s_or_b64 exec, exec, s[0:1]
	v_cmp_gt_i32_e32 vcc, s12, v0
	s_and_saveexec_b64 s[0:1], vcc
	s_cbranch_execnz .LBB122_518
	s_branch .LBB122_519
.LBB122_534:
	s_waitcnt vmcnt(0)
	v_cmp_lt_f16_e32 vcc, v2, v3
	s_andn2_b64 s[10:11], s[10:11], exec
	s_and_b64 s[14:15], vcc, exec
	s_or_b64 s[10:11], s[10:11], s[14:15]
	s_cbranch_execz .LBB122_499
	s_branch .LBB122_500
.LBB122_535:
	s_mov_b64 s[14:15], -1
                                        ; implicit-def: $sgpr10_sgpr11
	s_branch .LBB122_285
.LBB122_536:
	s_mov_b64 s[14:15], -1
                                        ; implicit-def: $sgpr10_sgpr11
	s_branch .LBB122_300
.LBB122_537:
	s_mov_b64 s[14:15], -1
                                        ; implicit-def: $sgpr10_sgpr11
	s_branch .LBB122_315
.LBB122_538:
	s_mov_b64 s[14:15], -1
                                        ; implicit-def: $sgpr10_sgpr11
	s_branch .LBB122_330
.LBB122_539:
	s_mov_b64 s[14:15], -1
                                        ; implicit-def: $sgpr10_sgpr11
	s_branch .LBB122_345
.LBB122_540:
	s_mov_b64 s[14:15], -1
                                        ; implicit-def: $sgpr10_sgpr11
	s_branch .LBB122_360
.LBB122_541:
	s_mov_b64 s[14:15], -1
                                        ; implicit-def: $sgpr10_sgpr11
	s_branch .LBB122_375
.LBB122_542:
	s_mov_b64 s[14:15], -1
                                        ; implicit-def: $sgpr10_sgpr11
	s_branch .LBB122_390
.LBB122_543:
	s_mov_b64 s[14:15], -1
                                        ; implicit-def: $sgpr10_sgpr11
	s_branch .LBB122_405
.LBB122_544:
	s_mov_b64 s[14:15], -1
                                        ; implicit-def: $sgpr10_sgpr11
	s_branch .LBB122_420
.LBB122_545:
	s_mov_b64 s[14:15], -1
                                        ; implicit-def: $sgpr10_sgpr11
	s_branch .LBB122_435
.LBB122_546:
	s_mov_b64 s[14:15], -1
                                        ; implicit-def: $sgpr10_sgpr11
	s_branch .LBB122_450
.LBB122_547:
	s_mov_b64 s[14:15], -1
                                        ; implicit-def: $sgpr10_sgpr11
	s_branch .LBB122_465
.LBB122_548:
	s_mov_b64 s[14:15], -1
                                        ; implicit-def: $sgpr10_sgpr11
	s_branch .LBB122_480
.LBB122_549:
	s_mov_b64 s[14:15], -1
                                        ; implicit-def: $sgpr10_sgpr11
	s_branch .LBB122_495
	.section	.rodata,"a",@progbits
	.p2align	6, 0x0
	.amdhsa_kernel _ZN2at6native29vectorized_elementwise_kernelILi4ENS0_12_GLOBAL__N_114CompareFunctorIN3c104HalfEEESt5arrayIPcLm3EEEEviT0_T1_
		.amdhsa_group_segment_fixed_size 0
		.amdhsa_private_segment_fixed_size 0
		.amdhsa_kernarg_size 32
		.amdhsa_user_sgpr_count 6
		.amdhsa_user_sgpr_private_segment_buffer 1
		.amdhsa_user_sgpr_dispatch_ptr 0
		.amdhsa_user_sgpr_queue_ptr 0
		.amdhsa_user_sgpr_kernarg_segment_ptr 1
		.amdhsa_user_sgpr_dispatch_id 0
		.amdhsa_user_sgpr_flat_scratch_init 0
		.amdhsa_user_sgpr_private_segment_size 0
		.amdhsa_uses_dynamic_stack 0
		.amdhsa_system_sgpr_private_segment_wavefront_offset 0
		.amdhsa_system_sgpr_workgroup_id_x 1
		.amdhsa_system_sgpr_workgroup_id_y 0
		.amdhsa_system_sgpr_workgroup_id_z 0
		.amdhsa_system_sgpr_workgroup_info 0
		.amdhsa_system_vgpr_workitem_id 0
		.amdhsa_next_free_vgpr 39
		.amdhsa_next_free_sgpr 50
		.amdhsa_reserve_vcc 1
		.amdhsa_reserve_flat_scratch 0
		.amdhsa_float_round_mode_32 0
		.amdhsa_float_round_mode_16_64 0
		.amdhsa_float_denorm_mode_32 3
		.amdhsa_float_denorm_mode_16_64 3
		.amdhsa_dx10_clamp 1
		.amdhsa_ieee_mode 1
		.amdhsa_fp16_overflow 0
		.amdhsa_exception_fp_ieee_invalid_op 0
		.amdhsa_exception_fp_denorm_src 0
		.amdhsa_exception_fp_ieee_div_zero 0
		.amdhsa_exception_fp_ieee_overflow 0
		.amdhsa_exception_fp_ieee_underflow 0
		.amdhsa_exception_fp_ieee_inexact 0
		.amdhsa_exception_int_div_zero 0
	.end_amdhsa_kernel
	.section	.text._ZN2at6native29vectorized_elementwise_kernelILi4ENS0_12_GLOBAL__N_114CompareFunctorIN3c104HalfEEESt5arrayIPcLm3EEEEviT0_T1_,"axG",@progbits,_ZN2at6native29vectorized_elementwise_kernelILi4ENS0_12_GLOBAL__N_114CompareFunctorIN3c104HalfEEESt5arrayIPcLm3EEEEviT0_T1_,comdat
.Lfunc_end122:
	.size	_ZN2at6native29vectorized_elementwise_kernelILi4ENS0_12_GLOBAL__N_114CompareFunctorIN3c104HalfEEESt5arrayIPcLm3EEEEviT0_T1_, .Lfunc_end122-_ZN2at6native29vectorized_elementwise_kernelILi4ENS0_12_GLOBAL__N_114CompareFunctorIN3c104HalfEEESt5arrayIPcLm3EEEEviT0_T1_
                                        ; -- End function
	.set _ZN2at6native29vectorized_elementwise_kernelILi4ENS0_12_GLOBAL__N_114CompareFunctorIN3c104HalfEEESt5arrayIPcLm3EEEEviT0_T1_.num_vgpr, 39
	.set _ZN2at6native29vectorized_elementwise_kernelILi4ENS0_12_GLOBAL__N_114CompareFunctorIN3c104HalfEEESt5arrayIPcLm3EEEEviT0_T1_.num_agpr, 0
	.set _ZN2at6native29vectorized_elementwise_kernelILi4ENS0_12_GLOBAL__N_114CompareFunctorIN3c104HalfEEESt5arrayIPcLm3EEEEviT0_T1_.numbered_sgpr, 50
	.set _ZN2at6native29vectorized_elementwise_kernelILi4ENS0_12_GLOBAL__N_114CompareFunctorIN3c104HalfEEESt5arrayIPcLm3EEEEviT0_T1_.num_named_barrier, 0
	.set _ZN2at6native29vectorized_elementwise_kernelILi4ENS0_12_GLOBAL__N_114CompareFunctorIN3c104HalfEEESt5arrayIPcLm3EEEEviT0_T1_.private_seg_size, 0
	.set _ZN2at6native29vectorized_elementwise_kernelILi4ENS0_12_GLOBAL__N_114CompareFunctorIN3c104HalfEEESt5arrayIPcLm3EEEEviT0_T1_.uses_vcc, 1
	.set _ZN2at6native29vectorized_elementwise_kernelILi4ENS0_12_GLOBAL__N_114CompareFunctorIN3c104HalfEEESt5arrayIPcLm3EEEEviT0_T1_.uses_flat_scratch, 0
	.set _ZN2at6native29vectorized_elementwise_kernelILi4ENS0_12_GLOBAL__N_114CompareFunctorIN3c104HalfEEESt5arrayIPcLm3EEEEviT0_T1_.has_dyn_sized_stack, 0
	.set _ZN2at6native29vectorized_elementwise_kernelILi4ENS0_12_GLOBAL__N_114CompareFunctorIN3c104HalfEEESt5arrayIPcLm3EEEEviT0_T1_.has_recursion, 0
	.set _ZN2at6native29vectorized_elementwise_kernelILi4ENS0_12_GLOBAL__N_114CompareFunctorIN3c104HalfEEESt5arrayIPcLm3EEEEviT0_T1_.has_indirect_call, 0
	.section	.AMDGPU.csdata,"",@progbits
; Kernel info:
; codeLenInByte = 9016
; TotalNumSgprs: 54
; NumVgprs: 39
; ScratchSize: 0
; MemoryBound: 0
; FloatMode: 240
; IeeeMode: 1
; LDSByteSize: 0 bytes/workgroup (compile time only)
; SGPRBlocks: 6
; VGPRBlocks: 9
; NumSGPRsForWavesPerEU: 54
; NumVGPRsForWavesPerEU: 39
; Occupancy: 6
; WaveLimiterHint : 1
; COMPUTE_PGM_RSRC2:SCRATCH_EN: 0
; COMPUTE_PGM_RSRC2:USER_SGPR: 6
; COMPUTE_PGM_RSRC2:TRAP_HANDLER: 0
; COMPUTE_PGM_RSRC2:TGID_X_EN: 1
; COMPUTE_PGM_RSRC2:TGID_Y_EN: 0
; COMPUTE_PGM_RSRC2:TGID_Z_EN: 0
; COMPUTE_PGM_RSRC2:TIDIG_COMP_CNT: 0
	.section	.text._ZN2at6native29vectorized_elementwise_kernelILi2ENS0_12_GLOBAL__N_114CompareFunctorIN3c104HalfEEESt5arrayIPcLm3EEEEviT0_T1_,"axG",@progbits,_ZN2at6native29vectorized_elementwise_kernelILi2ENS0_12_GLOBAL__N_114CompareFunctorIN3c104HalfEEESt5arrayIPcLm3EEEEviT0_T1_,comdat
	.globl	_ZN2at6native29vectorized_elementwise_kernelILi2ENS0_12_GLOBAL__N_114CompareFunctorIN3c104HalfEEESt5arrayIPcLm3EEEEviT0_T1_ ; -- Begin function _ZN2at6native29vectorized_elementwise_kernelILi2ENS0_12_GLOBAL__N_114CompareFunctorIN3c104HalfEEESt5arrayIPcLm3EEEEviT0_T1_
	.p2align	8
	.type	_ZN2at6native29vectorized_elementwise_kernelILi2ENS0_12_GLOBAL__N_114CompareFunctorIN3c104HalfEEESt5arrayIPcLm3EEEEviT0_T1_,@function
_ZN2at6native29vectorized_elementwise_kernelILi2ENS0_12_GLOBAL__N_114CompareFunctorIN3c104HalfEEESt5arrayIPcLm3EEEEviT0_T1_: ; @_ZN2at6native29vectorized_elementwise_kernelILi2ENS0_12_GLOBAL__N_114CompareFunctorIN3c104HalfEEESt5arrayIPcLm3EEEEviT0_T1_
; %bb.0:
	s_load_dwordx2 s[12:13], s[4:5], 0x0
	s_load_dwordx4 s[8:11], s[4:5], 0x8
	s_load_dwordx2 s[14:15], s[4:5], 0x18
	s_lshl_b32 s2, s6, 12
	s_mov_b64 s[0:1], -1
	s_waitcnt lgkmcnt(0)
	s_sub_i32 s12, s12, s2
	s_cmpk_gt_i32 s12, 0xfff
	s_cbranch_scc0 .LBB123_211
; %bb.1:
	s_ashr_i32 s3, s2, 31
	s_lshl_b64 s[0:1], s[2:3], 1
	s_add_u32 s4, s10, s0
	s_addc_u32 s5, s11, s1
	v_lshlrev_b32_e32 v2, 2, v0
	v_mov_b32_e32 v1, s5
	v_add_co_u32_e32 v3, vcc, s4, v2
	v_addc_co_u32_e32 v1, vcc, 0, v1, vcc
	v_add_co_u32_e32 v8, vcc, 0x1000, v3
	s_add_u32 s0, s14, s0
	v_addc_co_u32_e32 v9, vcc, 0, v1, vcc
	s_addc_u32 s1, s15, s1
	global_load_dword v7, v[8:9], off
	global_load_dword v5, v[8:9], off offset:1024
	global_load_dword v3, v[8:9], off offset:2048
	;; [unrolled: 1-line block ×3, first 2 shown]
	v_mov_b32_e32 v4, s1
	v_add_co_u32_e32 v6, vcc, s0, v2
	global_load_dword v15, v2, s[4:5]
	global_load_dword v13, v2, s[4:5] offset:1024
	global_load_dword v11, v2, s[4:5] offset:2048
	;; [unrolled: 1-line block ×3, first 2 shown]
	global_load_dword v16, v2, s[0:1]
	global_load_dword v14, v2, s[0:1] offset:1024
	global_load_dword v12, v2, s[0:1] offset:2048
	;; [unrolled: 1-line block ×3, first 2 shown]
	v_addc_co_u32_e32 v4, vcc, 0, v4, vcc
	v_add_co_u32_e32 v17, vcc, 0x1000, v6
	v_addc_co_u32_e32 v18, vcc, 0, v4, vcc
	global_load_dword v8, v[17:18], off
	global_load_dword v6, v[17:18], off offset:1024
	global_load_dword v4, v[17:18], off offset:2048
	;; [unrolled: 1-line block ×3, first 2 shown]
	s_cmp_lt_i32 s13, 1
	s_mov_b64 s[4:5], 0
	s_cbranch_scc1 .LBB123_5
; %bb.2:
	s_cmp_gt_i32 s13, 1
	s_cbranch_scc0 .LBB123_6
; %bb.3:
	s_cmp_eq_u32 s13, 2
	s_cbranch_scc0 .LBB123_7
; %bb.4:
	s_waitcnt vmcnt(7)
	v_cmp_le_f16_e64 s[0:1], v15, v16
	s_mov_b64 s[6:7], 0
	s_branch .LBB123_8
.LBB123_5:
                                        ; implicit-def: $sgpr0_sgpr1
	s_mov_b64 s[6:7], 0
	s_cbranch_execnz .LBB123_11
	s_branch .LBB123_12
.LBB123_6:
	s_mov_b64 s[6:7], 0
                                        ; implicit-def: $sgpr0_sgpr1
	s_cbranch_execnz .LBB123_9
	s_branch .LBB123_10
.LBB123_7:
	s_mov_b64 s[6:7], -1
                                        ; implicit-def: $sgpr0_sgpr1
.LBB123_8:
	s_branch .LBB123_10
.LBB123_9:
	s_waitcnt vmcnt(7)
	v_cmp_gt_f16_e32 vcc, v15, v16
	s_andn2_b64 s[0:1], s[0:1], exec
	s_and_b64 s[16:17], vcc, exec
	s_or_b64 s[0:1], s[0:1], s[16:17]
.LBB123_10:
	s_branch .LBB123_12
.LBB123_11:
	s_cmp_lg_u32 s13, 0
	s_mov_b64 s[4:5], -1
	s_cselect_b64 s[6:7], -1, 0
.LBB123_12:
	s_andn2_b64 vcc, exec, s[6:7]
	s_cbranch_vccz .LBB123_18
; %bb.13:
	s_andn2_b64 vcc, exec, s[4:5]
	s_cbranch_vccz .LBB123_19
.LBB123_14:
	s_cmp_lt_i32 s13, 1
	s_mov_b64 s[6:7], 0
	s_cbranch_scc1 .LBB123_20
.LBB123_15:
	s_cmp_gt_i32 s13, 1
	s_cbranch_scc0 .LBB123_21
; %bb.16:
	s_cmp_eq_u32 s13, 2
	s_cbranch_scc0 .LBB123_251
; %bb.17:
	s_waitcnt vmcnt(7)
	v_cmp_le_f16_sdwa s[4:5], v15, v16 src0_sel:WORD_1 src1_sel:WORD_1
	s_mov_b64 s[16:17], 0
	s_branch .LBB123_23
.LBB123_18:
	s_waitcnt vmcnt(7)
	v_cmp_lt_f16_e32 vcc, v15, v16
	s_andn2_b64 s[0:1], s[0:1], exec
	s_and_b64 s[6:7], vcc, exec
	s_or_b64 s[0:1], s[0:1], s[6:7]
	s_cbranch_execnz .LBB123_14
.LBB123_19:
	s_waitcnt vmcnt(7)
	v_cmp_ge_f16_e32 vcc, v15, v16
	s_andn2_b64 s[0:1], s[0:1], exec
	s_and_b64 s[4:5], vcc, exec
	s_or_b64 s[0:1], s[0:1], s[4:5]
	s_cmp_lt_i32 s13, 1
	s_mov_b64 s[6:7], 0
	s_cbranch_scc0 .LBB123_15
.LBB123_20:
                                        ; implicit-def: $sgpr4_sgpr5
	s_mov_b64 s[16:17], 0
	s_cbranch_execnz .LBB123_24
	s_branch .LBB123_25
.LBB123_21:
	s_mov_b64 s[16:17], 0
                                        ; implicit-def: $sgpr4_sgpr5
	s_cbranch_execz .LBB123_23
; %bb.22:
	s_waitcnt vmcnt(7)
	v_cmp_gt_f16_sdwa s[18:19], v15, v16 src0_sel:WORD_1 src1_sel:WORD_1
	s_andn2_b64 s[4:5], s[4:5], exec
	s_and_b64 s[18:19], s[18:19], exec
	s_or_b64 s[4:5], s[4:5], s[18:19]
.LBB123_23:
	s_branch .LBB123_25
.LBB123_24:
	s_cmp_lg_u32 s13, 0
	s_mov_b64 s[6:7], -1
	s_cselect_b64 s[16:17], -1, 0
.LBB123_25:
	s_andn2_b64 vcc, exec, s[16:17]
	s_cbranch_vccz .LBB123_31
; %bb.26:
	s_andn2_b64 vcc, exec, s[6:7]
	s_cbranch_vccz .LBB123_32
.LBB123_27:
	s_cmp_lt_i32 s13, 1
	s_mov_b64 s[16:17], 0
	s_cbranch_scc1 .LBB123_33
.LBB123_28:
	s_cmp_gt_i32 s13, 1
	s_cbranch_scc0 .LBB123_34
; %bb.29:
	s_cmp_eq_u32 s13, 2
	s_cbranch_scc0 .LBB123_252
; %bb.30:
	s_waitcnt vmcnt(6)
	v_cmp_le_f16_e64 s[6:7], v13, v14
	s_mov_b64 s[18:19], 0
	s_branch .LBB123_36
.LBB123_31:
	s_waitcnt vmcnt(7)
	v_cmp_lt_f16_sdwa s[16:17], v15, v16 src0_sel:WORD_1 src1_sel:WORD_1
	s_andn2_b64 s[4:5], s[4:5], exec
	s_and_b64 s[16:17], s[16:17], exec
	s_or_b64 s[4:5], s[4:5], s[16:17]
	s_cbranch_execnz .LBB123_27
.LBB123_32:
	s_waitcnt vmcnt(7)
	v_cmp_ge_f16_sdwa s[6:7], v15, v16 src0_sel:WORD_1 src1_sel:WORD_1
	s_andn2_b64 s[4:5], s[4:5], exec
	s_and_b64 s[6:7], s[6:7], exec
	s_or_b64 s[4:5], s[4:5], s[6:7]
	s_cmp_lt_i32 s13, 1
	s_mov_b64 s[16:17], 0
	s_cbranch_scc0 .LBB123_28
.LBB123_33:
                                        ; implicit-def: $sgpr6_sgpr7
	s_mov_b64 s[18:19], 0
	s_cbranch_execnz .LBB123_37
	s_branch .LBB123_38
.LBB123_34:
	s_mov_b64 s[18:19], 0
                                        ; implicit-def: $sgpr6_sgpr7
	s_cbranch_execz .LBB123_36
; %bb.35:
	s_waitcnt vmcnt(6)
	v_cmp_gt_f16_e32 vcc, v13, v14
	s_andn2_b64 s[6:7], s[6:7], exec
	s_and_b64 s[20:21], vcc, exec
	s_or_b64 s[6:7], s[6:7], s[20:21]
.LBB123_36:
	s_branch .LBB123_38
.LBB123_37:
	s_cmp_lg_u32 s13, 0
	s_mov_b64 s[16:17], -1
	s_cselect_b64 s[18:19], -1, 0
.LBB123_38:
	s_andn2_b64 vcc, exec, s[18:19]
	s_cbranch_vccz .LBB123_44
; %bb.39:
	s_andn2_b64 vcc, exec, s[16:17]
	s_cbranch_vccz .LBB123_45
.LBB123_40:
	s_cmp_lt_i32 s13, 1
	s_mov_b64 s[18:19], 0
	s_cbranch_scc1 .LBB123_46
.LBB123_41:
	s_cmp_gt_i32 s13, 1
	s_cbranch_scc0 .LBB123_47
; %bb.42:
	s_cmp_eq_u32 s13, 2
	s_cbranch_scc0 .LBB123_253
; %bb.43:
	s_waitcnt vmcnt(6)
	v_cmp_le_f16_sdwa s[16:17], v13, v14 src0_sel:WORD_1 src1_sel:WORD_1
	s_mov_b64 s[20:21], 0
	s_branch .LBB123_49
.LBB123_44:
	s_waitcnt vmcnt(6)
	v_cmp_lt_f16_e32 vcc, v13, v14
	s_andn2_b64 s[6:7], s[6:7], exec
	s_and_b64 s[18:19], vcc, exec
	s_or_b64 s[6:7], s[6:7], s[18:19]
	s_cbranch_execnz .LBB123_40
.LBB123_45:
	s_waitcnt vmcnt(6)
	v_cmp_ge_f16_e32 vcc, v13, v14
	s_andn2_b64 s[6:7], s[6:7], exec
	s_and_b64 s[16:17], vcc, exec
	s_or_b64 s[6:7], s[6:7], s[16:17]
	s_cmp_lt_i32 s13, 1
	s_mov_b64 s[18:19], 0
	s_cbranch_scc0 .LBB123_41
.LBB123_46:
                                        ; implicit-def: $sgpr16_sgpr17
	s_mov_b64 s[20:21], 0
	s_cbranch_execnz .LBB123_50
	s_branch .LBB123_51
.LBB123_47:
	s_mov_b64 s[20:21], 0
                                        ; implicit-def: $sgpr16_sgpr17
	s_cbranch_execz .LBB123_49
; %bb.48:
	s_waitcnt vmcnt(6)
	v_cmp_gt_f16_sdwa s[22:23], v13, v14 src0_sel:WORD_1 src1_sel:WORD_1
	s_andn2_b64 s[16:17], s[16:17], exec
	s_and_b64 s[22:23], s[22:23], exec
	s_or_b64 s[16:17], s[16:17], s[22:23]
.LBB123_49:
	s_branch .LBB123_51
.LBB123_50:
	s_cmp_lg_u32 s13, 0
	s_mov_b64 s[18:19], -1
	s_cselect_b64 s[20:21], -1, 0
.LBB123_51:
	s_andn2_b64 vcc, exec, s[20:21]
	s_cbranch_vccz .LBB123_57
; %bb.52:
	s_andn2_b64 vcc, exec, s[18:19]
	s_cbranch_vccz .LBB123_58
.LBB123_53:
	s_cmp_lt_i32 s13, 1
	s_mov_b64 s[20:21], 0
	s_cbranch_scc1 .LBB123_59
.LBB123_54:
	s_cmp_gt_i32 s13, 1
	s_cbranch_scc0 .LBB123_60
; %bb.55:
	s_cmp_eq_u32 s13, 2
	s_cbranch_scc0 .LBB123_254
; %bb.56:
	s_waitcnt vmcnt(5)
	v_cmp_le_f16_e64 s[18:19], v11, v12
	s_mov_b64 s[22:23], 0
	s_branch .LBB123_62
.LBB123_57:
	s_waitcnt vmcnt(6)
	v_cmp_lt_f16_sdwa s[20:21], v13, v14 src0_sel:WORD_1 src1_sel:WORD_1
	s_andn2_b64 s[16:17], s[16:17], exec
	s_and_b64 s[20:21], s[20:21], exec
	s_or_b64 s[16:17], s[16:17], s[20:21]
	s_cbranch_execnz .LBB123_53
.LBB123_58:
	s_waitcnt vmcnt(6)
	v_cmp_ge_f16_sdwa s[18:19], v13, v14 src0_sel:WORD_1 src1_sel:WORD_1
	s_andn2_b64 s[16:17], s[16:17], exec
	s_and_b64 s[18:19], s[18:19], exec
	s_or_b64 s[16:17], s[16:17], s[18:19]
	s_cmp_lt_i32 s13, 1
	s_mov_b64 s[20:21], 0
	s_cbranch_scc0 .LBB123_54
.LBB123_59:
                                        ; implicit-def: $sgpr18_sgpr19
	s_mov_b64 s[22:23], 0
	s_cbranch_execnz .LBB123_63
	s_branch .LBB123_64
.LBB123_60:
	s_mov_b64 s[22:23], 0
                                        ; implicit-def: $sgpr18_sgpr19
	s_cbranch_execz .LBB123_62
; %bb.61:
	s_waitcnt vmcnt(5)
	v_cmp_gt_f16_e32 vcc, v11, v12
	s_andn2_b64 s[18:19], s[18:19], exec
	s_and_b64 s[24:25], vcc, exec
	s_or_b64 s[18:19], s[18:19], s[24:25]
.LBB123_62:
	s_branch .LBB123_64
.LBB123_63:
	s_cmp_lg_u32 s13, 0
	s_mov_b64 s[20:21], -1
	s_cselect_b64 s[22:23], -1, 0
.LBB123_64:
	s_andn2_b64 vcc, exec, s[22:23]
	s_cbranch_vccz .LBB123_70
; %bb.65:
	s_andn2_b64 vcc, exec, s[20:21]
	s_cbranch_vccz .LBB123_71
.LBB123_66:
	s_cmp_lt_i32 s13, 1
	s_mov_b64 s[22:23], 0
	s_cbranch_scc1 .LBB123_72
.LBB123_67:
	s_cmp_gt_i32 s13, 1
	s_cbranch_scc0 .LBB123_73
; %bb.68:
	s_cmp_eq_u32 s13, 2
	s_cbranch_scc0 .LBB123_255
; %bb.69:
	s_waitcnt vmcnt(5)
	v_cmp_le_f16_sdwa s[20:21], v11, v12 src0_sel:WORD_1 src1_sel:WORD_1
	s_mov_b64 s[24:25], 0
	s_branch .LBB123_75
.LBB123_70:
	s_waitcnt vmcnt(5)
	v_cmp_lt_f16_e32 vcc, v11, v12
	s_andn2_b64 s[18:19], s[18:19], exec
	s_and_b64 s[22:23], vcc, exec
	s_or_b64 s[18:19], s[18:19], s[22:23]
	s_cbranch_execnz .LBB123_66
.LBB123_71:
	s_waitcnt vmcnt(5)
	v_cmp_ge_f16_e32 vcc, v11, v12
	s_andn2_b64 s[18:19], s[18:19], exec
	s_and_b64 s[20:21], vcc, exec
	s_or_b64 s[18:19], s[18:19], s[20:21]
	s_cmp_lt_i32 s13, 1
	s_mov_b64 s[22:23], 0
	s_cbranch_scc0 .LBB123_67
.LBB123_72:
                                        ; implicit-def: $sgpr20_sgpr21
	s_mov_b64 s[24:25], 0
	s_cbranch_execnz .LBB123_76
	s_branch .LBB123_77
.LBB123_73:
	s_mov_b64 s[24:25], 0
                                        ; implicit-def: $sgpr20_sgpr21
	s_cbranch_execz .LBB123_75
; %bb.74:
	s_waitcnt vmcnt(5)
	v_cmp_gt_f16_sdwa s[26:27], v11, v12 src0_sel:WORD_1 src1_sel:WORD_1
	s_andn2_b64 s[20:21], s[20:21], exec
	s_and_b64 s[26:27], s[26:27], exec
	s_or_b64 s[20:21], s[20:21], s[26:27]
.LBB123_75:
	s_branch .LBB123_77
.LBB123_76:
	s_cmp_lg_u32 s13, 0
	s_mov_b64 s[22:23], -1
	s_cselect_b64 s[24:25], -1, 0
.LBB123_77:
	s_andn2_b64 vcc, exec, s[24:25]
	s_cbranch_vccz .LBB123_83
; %bb.78:
	s_andn2_b64 vcc, exec, s[22:23]
	s_cbranch_vccz .LBB123_84
.LBB123_79:
	s_cmp_lt_i32 s13, 1
	s_mov_b64 s[24:25], 0
	s_cbranch_scc1 .LBB123_85
.LBB123_80:
	s_cmp_gt_i32 s13, 1
	s_cbranch_scc0 .LBB123_86
; %bb.81:
	s_cmp_eq_u32 s13, 2
	s_cbranch_scc0 .LBB123_256
; %bb.82:
	s_waitcnt vmcnt(4)
	v_cmp_le_f16_e64 s[22:23], v9, v10
	s_mov_b64 s[26:27], 0
	s_branch .LBB123_88
.LBB123_83:
	s_waitcnt vmcnt(5)
	v_cmp_lt_f16_sdwa s[24:25], v11, v12 src0_sel:WORD_1 src1_sel:WORD_1
	s_andn2_b64 s[20:21], s[20:21], exec
	s_and_b64 s[24:25], s[24:25], exec
	s_or_b64 s[20:21], s[20:21], s[24:25]
	s_cbranch_execnz .LBB123_79
.LBB123_84:
	s_waitcnt vmcnt(5)
	v_cmp_ge_f16_sdwa s[22:23], v11, v12 src0_sel:WORD_1 src1_sel:WORD_1
	s_andn2_b64 s[20:21], s[20:21], exec
	s_and_b64 s[22:23], s[22:23], exec
	s_or_b64 s[20:21], s[20:21], s[22:23]
	s_cmp_lt_i32 s13, 1
	s_mov_b64 s[24:25], 0
	s_cbranch_scc0 .LBB123_80
.LBB123_85:
                                        ; implicit-def: $sgpr22_sgpr23
	s_mov_b64 s[26:27], 0
	s_cbranch_execnz .LBB123_89
	s_branch .LBB123_90
.LBB123_86:
	s_mov_b64 s[26:27], 0
                                        ; implicit-def: $sgpr22_sgpr23
	s_cbranch_execz .LBB123_88
; %bb.87:
	s_waitcnt vmcnt(4)
	v_cmp_gt_f16_e32 vcc, v9, v10
	s_andn2_b64 s[22:23], s[22:23], exec
	s_and_b64 s[28:29], vcc, exec
	s_or_b64 s[22:23], s[22:23], s[28:29]
.LBB123_88:
	s_branch .LBB123_90
.LBB123_89:
	s_cmp_lg_u32 s13, 0
	s_mov_b64 s[24:25], -1
	s_cselect_b64 s[26:27], -1, 0
.LBB123_90:
	s_andn2_b64 vcc, exec, s[26:27]
	s_cbranch_vccz .LBB123_96
; %bb.91:
	s_andn2_b64 vcc, exec, s[24:25]
	s_cbranch_vccz .LBB123_97
.LBB123_92:
	s_cmp_lt_i32 s13, 1
	s_mov_b64 s[26:27], 0
	s_cbranch_scc1 .LBB123_98
.LBB123_93:
	s_cmp_gt_i32 s13, 1
	s_cbranch_scc0 .LBB123_99
; %bb.94:
	s_cmp_eq_u32 s13, 2
	s_cbranch_scc0 .LBB123_257
; %bb.95:
	s_waitcnt vmcnt(4)
	v_cmp_le_f16_sdwa s[24:25], v9, v10 src0_sel:WORD_1 src1_sel:WORD_1
	s_mov_b64 s[28:29], 0
	s_branch .LBB123_101
.LBB123_96:
	s_waitcnt vmcnt(4)
	v_cmp_lt_f16_e32 vcc, v9, v10
	s_andn2_b64 s[22:23], s[22:23], exec
	s_and_b64 s[26:27], vcc, exec
	s_or_b64 s[22:23], s[22:23], s[26:27]
	s_cbranch_execnz .LBB123_92
.LBB123_97:
	s_waitcnt vmcnt(4)
	v_cmp_ge_f16_e32 vcc, v9, v10
	s_andn2_b64 s[22:23], s[22:23], exec
	s_and_b64 s[24:25], vcc, exec
	s_or_b64 s[22:23], s[22:23], s[24:25]
	s_cmp_lt_i32 s13, 1
	s_mov_b64 s[26:27], 0
	s_cbranch_scc0 .LBB123_93
.LBB123_98:
                                        ; implicit-def: $sgpr24_sgpr25
	s_mov_b64 s[28:29], 0
	s_cbranch_execnz .LBB123_102
	s_branch .LBB123_103
.LBB123_99:
	s_mov_b64 s[28:29], 0
                                        ; implicit-def: $sgpr24_sgpr25
	s_cbranch_execz .LBB123_101
; %bb.100:
	s_waitcnt vmcnt(4)
	v_cmp_gt_f16_sdwa s[30:31], v9, v10 src0_sel:WORD_1 src1_sel:WORD_1
	s_andn2_b64 s[24:25], s[24:25], exec
	s_and_b64 s[30:31], s[30:31], exec
	s_or_b64 s[24:25], s[24:25], s[30:31]
.LBB123_101:
	s_branch .LBB123_103
.LBB123_102:
	s_cmp_lg_u32 s13, 0
	s_mov_b64 s[26:27], -1
	s_cselect_b64 s[28:29], -1, 0
.LBB123_103:
	s_andn2_b64 vcc, exec, s[28:29]
	s_cbranch_vccz .LBB123_109
; %bb.104:
	s_andn2_b64 vcc, exec, s[26:27]
	s_cbranch_vccz .LBB123_110
.LBB123_105:
	s_cmp_lt_i32 s13, 1
	s_mov_b64 s[28:29], 0
	s_cbranch_scc1 .LBB123_111
.LBB123_106:
	s_cmp_gt_i32 s13, 1
	s_cbranch_scc0 .LBB123_112
; %bb.107:
	s_cmp_eq_u32 s13, 2
	s_cbranch_scc0 .LBB123_258
; %bb.108:
	s_waitcnt vmcnt(3)
	v_cmp_le_f16_e64 s[26:27], v7, v8
	s_mov_b64 s[30:31], 0
	s_branch .LBB123_114
.LBB123_109:
	s_waitcnt vmcnt(4)
	v_cmp_lt_f16_sdwa s[28:29], v9, v10 src0_sel:WORD_1 src1_sel:WORD_1
	s_andn2_b64 s[24:25], s[24:25], exec
	s_and_b64 s[28:29], s[28:29], exec
	s_or_b64 s[24:25], s[24:25], s[28:29]
	s_cbranch_execnz .LBB123_105
.LBB123_110:
	s_waitcnt vmcnt(4)
	v_cmp_ge_f16_sdwa s[26:27], v9, v10 src0_sel:WORD_1 src1_sel:WORD_1
	s_andn2_b64 s[24:25], s[24:25], exec
	s_and_b64 s[26:27], s[26:27], exec
	s_or_b64 s[24:25], s[24:25], s[26:27]
	s_cmp_lt_i32 s13, 1
	s_mov_b64 s[28:29], 0
	s_cbranch_scc0 .LBB123_106
.LBB123_111:
                                        ; implicit-def: $sgpr26_sgpr27
	s_mov_b64 s[30:31], 0
	s_cbranch_execnz .LBB123_115
	s_branch .LBB123_116
.LBB123_112:
	s_mov_b64 s[30:31], 0
                                        ; implicit-def: $sgpr26_sgpr27
	s_cbranch_execz .LBB123_114
; %bb.113:
	s_waitcnt vmcnt(3)
	v_cmp_gt_f16_e32 vcc, v7, v8
	s_andn2_b64 s[26:27], s[26:27], exec
	s_and_b64 s[34:35], vcc, exec
	s_or_b64 s[26:27], s[26:27], s[34:35]
.LBB123_114:
	s_branch .LBB123_116
.LBB123_115:
	s_cmp_lg_u32 s13, 0
	s_mov_b64 s[28:29], -1
	s_cselect_b64 s[30:31], -1, 0
.LBB123_116:
	s_andn2_b64 vcc, exec, s[30:31]
	s_cbranch_vccz .LBB123_122
; %bb.117:
	s_andn2_b64 vcc, exec, s[28:29]
	s_cbranch_vccz .LBB123_123
.LBB123_118:
	s_cmp_lt_i32 s13, 1
	s_mov_b64 s[30:31], 0
	s_cbranch_scc1 .LBB123_124
.LBB123_119:
	s_cmp_gt_i32 s13, 1
	s_cbranch_scc0 .LBB123_125
; %bb.120:
	s_cmp_eq_u32 s13, 2
	s_cbranch_scc0 .LBB123_259
; %bb.121:
	s_waitcnt vmcnt(3)
	v_cmp_le_f16_sdwa s[28:29], v7, v8 src0_sel:WORD_1 src1_sel:WORD_1
	s_mov_b64 s[34:35], 0
	s_branch .LBB123_127
.LBB123_122:
	s_waitcnt vmcnt(3)
	v_cmp_lt_f16_e32 vcc, v7, v8
	s_andn2_b64 s[26:27], s[26:27], exec
	s_and_b64 s[30:31], vcc, exec
	s_or_b64 s[26:27], s[26:27], s[30:31]
	s_cbranch_execnz .LBB123_118
.LBB123_123:
	s_waitcnt vmcnt(3)
	v_cmp_ge_f16_e32 vcc, v7, v8
	s_andn2_b64 s[26:27], s[26:27], exec
	s_and_b64 s[28:29], vcc, exec
	s_or_b64 s[26:27], s[26:27], s[28:29]
	s_cmp_lt_i32 s13, 1
	s_mov_b64 s[30:31], 0
	s_cbranch_scc0 .LBB123_119
.LBB123_124:
                                        ; implicit-def: $sgpr28_sgpr29
	s_mov_b64 s[34:35], 0
	s_cbranch_execnz .LBB123_128
	s_branch .LBB123_129
.LBB123_125:
	s_mov_b64 s[34:35], 0
                                        ; implicit-def: $sgpr28_sgpr29
	s_cbranch_execz .LBB123_127
; %bb.126:
	s_waitcnt vmcnt(3)
	v_cmp_gt_f16_sdwa s[36:37], v7, v8 src0_sel:WORD_1 src1_sel:WORD_1
	s_andn2_b64 s[28:29], s[28:29], exec
	s_and_b64 s[36:37], s[36:37], exec
	s_or_b64 s[28:29], s[28:29], s[36:37]
.LBB123_127:
	s_branch .LBB123_129
.LBB123_128:
	s_cmp_lg_u32 s13, 0
	s_mov_b64 s[30:31], -1
	s_cselect_b64 s[34:35], -1, 0
.LBB123_129:
	s_andn2_b64 vcc, exec, s[34:35]
	s_cbranch_vccz .LBB123_135
; %bb.130:
	s_andn2_b64 vcc, exec, s[30:31]
	s_cbranch_vccz .LBB123_136
.LBB123_131:
	s_cmp_lt_i32 s13, 1
	s_mov_b64 s[34:35], 0
	s_cbranch_scc1 .LBB123_137
.LBB123_132:
	s_cmp_gt_i32 s13, 1
	s_cbranch_scc0 .LBB123_138
; %bb.133:
	s_cmp_eq_u32 s13, 2
	s_cbranch_scc0 .LBB123_260
; %bb.134:
	s_waitcnt vmcnt(2)
	v_cmp_le_f16_e64 s[30:31], v5, v6
	s_mov_b64 s[36:37], 0
	s_branch .LBB123_140
.LBB123_135:
	s_waitcnt vmcnt(3)
	v_cmp_lt_f16_sdwa s[34:35], v7, v8 src0_sel:WORD_1 src1_sel:WORD_1
	s_andn2_b64 s[28:29], s[28:29], exec
	s_and_b64 s[34:35], s[34:35], exec
	s_or_b64 s[28:29], s[28:29], s[34:35]
	s_cbranch_execnz .LBB123_131
.LBB123_136:
	s_waitcnt vmcnt(3)
	v_cmp_ge_f16_sdwa s[30:31], v7, v8 src0_sel:WORD_1 src1_sel:WORD_1
	s_andn2_b64 s[28:29], s[28:29], exec
	s_and_b64 s[30:31], s[30:31], exec
	s_or_b64 s[28:29], s[28:29], s[30:31]
	s_cmp_lt_i32 s13, 1
	s_mov_b64 s[34:35], 0
	s_cbranch_scc0 .LBB123_132
.LBB123_137:
                                        ; implicit-def: $sgpr30_sgpr31
	s_mov_b64 s[36:37], 0
	s_cbranch_execnz .LBB123_141
	s_branch .LBB123_142
.LBB123_138:
	s_mov_b64 s[36:37], 0
                                        ; implicit-def: $sgpr30_sgpr31
	s_cbranch_execz .LBB123_140
; %bb.139:
	s_waitcnt vmcnt(2)
	v_cmp_gt_f16_e32 vcc, v5, v6
	s_andn2_b64 s[30:31], s[30:31], exec
	s_and_b64 s[38:39], vcc, exec
	s_or_b64 s[30:31], s[30:31], s[38:39]
.LBB123_140:
	s_branch .LBB123_142
.LBB123_141:
	s_cmp_lg_u32 s13, 0
	s_mov_b64 s[34:35], -1
	s_cselect_b64 s[36:37], -1, 0
.LBB123_142:
	s_andn2_b64 vcc, exec, s[36:37]
	s_cbranch_vccz .LBB123_148
; %bb.143:
	s_andn2_b64 vcc, exec, s[34:35]
	s_cbranch_vccz .LBB123_149
.LBB123_144:
	s_cmp_lt_i32 s13, 1
	s_mov_b64 s[36:37], 0
	s_cbranch_scc1 .LBB123_150
.LBB123_145:
	s_cmp_gt_i32 s13, 1
	s_cbranch_scc0 .LBB123_151
; %bb.146:
	s_cmp_eq_u32 s13, 2
	s_cbranch_scc0 .LBB123_261
; %bb.147:
	s_waitcnt vmcnt(2)
	v_cmp_le_f16_sdwa s[34:35], v5, v6 src0_sel:WORD_1 src1_sel:WORD_1
	s_mov_b64 s[38:39], 0
	s_branch .LBB123_153
.LBB123_148:
	s_waitcnt vmcnt(2)
	v_cmp_lt_f16_e32 vcc, v5, v6
	s_andn2_b64 s[30:31], s[30:31], exec
	s_and_b64 s[36:37], vcc, exec
	s_or_b64 s[30:31], s[30:31], s[36:37]
	s_cbranch_execnz .LBB123_144
.LBB123_149:
	s_waitcnt vmcnt(2)
	v_cmp_ge_f16_e32 vcc, v5, v6
	s_andn2_b64 s[30:31], s[30:31], exec
	s_and_b64 s[34:35], vcc, exec
	s_or_b64 s[30:31], s[30:31], s[34:35]
	s_cmp_lt_i32 s13, 1
	s_mov_b64 s[36:37], 0
	s_cbranch_scc0 .LBB123_145
.LBB123_150:
                                        ; implicit-def: $sgpr34_sgpr35
	s_mov_b64 s[38:39], 0
	s_cbranch_execnz .LBB123_154
	s_branch .LBB123_155
.LBB123_151:
	s_mov_b64 s[38:39], 0
                                        ; implicit-def: $sgpr34_sgpr35
	s_cbranch_execz .LBB123_153
; %bb.152:
	s_waitcnt vmcnt(2)
	v_cmp_gt_f16_sdwa s[40:41], v5, v6 src0_sel:WORD_1 src1_sel:WORD_1
	s_andn2_b64 s[34:35], s[34:35], exec
	s_and_b64 s[40:41], s[40:41], exec
	s_or_b64 s[34:35], s[34:35], s[40:41]
.LBB123_153:
	s_branch .LBB123_155
.LBB123_154:
	s_cmp_lg_u32 s13, 0
	s_mov_b64 s[36:37], -1
	s_cselect_b64 s[38:39], -1, 0
.LBB123_155:
	s_andn2_b64 vcc, exec, s[38:39]
	s_cbranch_vccz .LBB123_161
; %bb.156:
	s_andn2_b64 vcc, exec, s[36:37]
	s_cbranch_vccz .LBB123_162
.LBB123_157:
	s_cmp_lt_i32 s13, 1
	s_mov_b64 s[38:39], 0
	s_cbranch_scc1 .LBB123_163
.LBB123_158:
	s_cmp_gt_i32 s13, 1
	s_cbranch_scc0 .LBB123_164
; %bb.159:
	s_cmp_eq_u32 s13, 2
	s_cbranch_scc0 .LBB123_262
; %bb.160:
	s_waitcnt vmcnt(1)
	v_cmp_le_f16_e64 s[36:37], v3, v4
	s_mov_b64 s[40:41], 0
	s_branch .LBB123_166
.LBB123_161:
	s_waitcnt vmcnt(2)
	v_cmp_lt_f16_sdwa s[38:39], v5, v6 src0_sel:WORD_1 src1_sel:WORD_1
	s_andn2_b64 s[34:35], s[34:35], exec
	s_and_b64 s[38:39], s[38:39], exec
	s_or_b64 s[34:35], s[34:35], s[38:39]
	s_cbranch_execnz .LBB123_157
.LBB123_162:
	s_waitcnt vmcnt(2)
	v_cmp_ge_f16_sdwa s[36:37], v5, v6 src0_sel:WORD_1 src1_sel:WORD_1
	s_andn2_b64 s[34:35], s[34:35], exec
	s_and_b64 s[36:37], s[36:37], exec
	s_or_b64 s[34:35], s[34:35], s[36:37]
	s_cmp_lt_i32 s13, 1
	s_mov_b64 s[38:39], 0
	s_cbranch_scc0 .LBB123_158
.LBB123_163:
                                        ; implicit-def: $sgpr36_sgpr37
	s_mov_b64 s[40:41], 0
	s_cbranch_execnz .LBB123_167
	s_branch .LBB123_168
.LBB123_164:
	s_mov_b64 s[40:41], 0
                                        ; implicit-def: $sgpr36_sgpr37
	s_cbranch_execz .LBB123_166
; %bb.165:
	s_waitcnt vmcnt(1)
	v_cmp_gt_f16_e32 vcc, v3, v4
	s_andn2_b64 s[36:37], s[36:37], exec
	s_and_b64 s[42:43], vcc, exec
	s_or_b64 s[36:37], s[36:37], s[42:43]
.LBB123_166:
	s_branch .LBB123_168
.LBB123_167:
	s_cmp_lg_u32 s13, 0
	s_mov_b64 s[38:39], -1
	s_cselect_b64 s[40:41], -1, 0
.LBB123_168:
	s_andn2_b64 vcc, exec, s[40:41]
	s_cbranch_vccz .LBB123_174
; %bb.169:
	s_andn2_b64 vcc, exec, s[38:39]
	s_cbranch_vccz .LBB123_175
.LBB123_170:
	s_cmp_lt_i32 s13, 1
	s_mov_b64 s[40:41], 0
	s_cbranch_scc1 .LBB123_176
.LBB123_171:
	s_cmp_gt_i32 s13, 1
	s_cbranch_scc0 .LBB123_177
; %bb.172:
	s_cmp_eq_u32 s13, 2
	s_cbranch_scc0 .LBB123_263
; %bb.173:
	s_waitcnt vmcnt(1)
	v_cmp_le_f16_sdwa s[38:39], v3, v4 src0_sel:WORD_1 src1_sel:WORD_1
	s_mov_b64 s[42:43], 0
	s_branch .LBB123_179
.LBB123_174:
	s_waitcnt vmcnt(1)
	v_cmp_lt_f16_e32 vcc, v3, v4
	s_andn2_b64 s[36:37], s[36:37], exec
	s_and_b64 s[40:41], vcc, exec
	s_or_b64 s[36:37], s[36:37], s[40:41]
	s_cbranch_execnz .LBB123_170
.LBB123_175:
	s_waitcnt vmcnt(1)
	v_cmp_ge_f16_e32 vcc, v3, v4
	s_andn2_b64 s[36:37], s[36:37], exec
	s_and_b64 s[38:39], vcc, exec
	s_or_b64 s[36:37], s[36:37], s[38:39]
	s_cmp_lt_i32 s13, 1
	s_mov_b64 s[40:41], 0
	s_cbranch_scc0 .LBB123_171
.LBB123_176:
                                        ; implicit-def: $sgpr38_sgpr39
	s_mov_b64 s[42:43], 0
	s_cbranch_execnz .LBB123_180
	s_branch .LBB123_181
.LBB123_177:
	s_mov_b64 s[42:43], 0
                                        ; implicit-def: $sgpr38_sgpr39
	s_cbranch_execz .LBB123_179
; %bb.178:
	s_waitcnt vmcnt(1)
	v_cmp_gt_f16_sdwa s[44:45], v3, v4 src0_sel:WORD_1 src1_sel:WORD_1
	s_andn2_b64 s[38:39], s[38:39], exec
	s_and_b64 s[44:45], s[44:45], exec
	s_or_b64 s[38:39], s[38:39], s[44:45]
.LBB123_179:
	s_branch .LBB123_181
.LBB123_180:
	s_cmp_lg_u32 s13, 0
	s_mov_b64 s[40:41], -1
	s_cselect_b64 s[42:43], -1, 0
.LBB123_181:
	s_andn2_b64 vcc, exec, s[42:43]
	s_cbranch_vccz .LBB123_187
; %bb.182:
	s_andn2_b64 vcc, exec, s[40:41]
	s_cbranch_vccz .LBB123_188
.LBB123_183:
	s_cmp_lt_i32 s13, 1
	s_mov_b64 s[42:43], 0
	s_cbranch_scc1 .LBB123_189
.LBB123_184:
	s_cmp_gt_i32 s13, 1
	s_cbranch_scc0 .LBB123_190
; %bb.185:
	s_cmp_eq_u32 s13, 2
	s_cbranch_scc0 .LBB123_264
; %bb.186:
	s_waitcnt vmcnt(0)
	v_cmp_le_f16_e64 s[40:41], v1, v2
	s_mov_b64 s[44:45], 0
	s_branch .LBB123_192
.LBB123_187:
	s_waitcnt vmcnt(1)
	v_cmp_lt_f16_sdwa s[42:43], v3, v4 src0_sel:WORD_1 src1_sel:WORD_1
	s_andn2_b64 s[38:39], s[38:39], exec
	s_and_b64 s[42:43], s[42:43], exec
	s_or_b64 s[38:39], s[38:39], s[42:43]
	s_cbranch_execnz .LBB123_183
.LBB123_188:
	s_waitcnt vmcnt(1)
	v_cmp_ge_f16_sdwa s[40:41], v3, v4 src0_sel:WORD_1 src1_sel:WORD_1
	s_andn2_b64 s[38:39], s[38:39], exec
	s_and_b64 s[40:41], s[40:41], exec
	s_or_b64 s[38:39], s[38:39], s[40:41]
	s_cmp_lt_i32 s13, 1
	s_mov_b64 s[42:43], 0
	s_cbranch_scc0 .LBB123_184
.LBB123_189:
                                        ; implicit-def: $sgpr40_sgpr41
	s_mov_b64 s[44:45], 0
	s_cbranch_execnz .LBB123_193
	s_branch .LBB123_194
.LBB123_190:
	s_mov_b64 s[44:45], 0
                                        ; implicit-def: $sgpr40_sgpr41
	s_cbranch_execz .LBB123_192
; %bb.191:
	s_waitcnt vmcnt(0)
	v_cmp_gt_f16_e32 vcc, v1, v2
	s_andn2_b64 s[40:41], s[40:41], exec
	s_and_b64 s[46:47], vcc, exec
	s_or_b64 s[40:41], s[40:41], s[46:47]
.LBB123_192:
	s_branch .LBB123_194
.LBB123_193:
	s_cmp_lg_u32 s13, 0
	s_mov_b64 s[42:43], -1
	s_cselect_b64 s[44:45], -1, 0
.LBB123_194:
	s_andn2_b64 vcc, exec, s[44:45]
	s_cbranch_vccz .LBB123_200
; %bb.195:
	s_andn2_b64 vcc, exec, s[42:43]
	s_cbranch_vccz .LBB123_201
.LBB123_196:
	s_cmp_lt_i32 s13, 1
	s_mov_b64 s[44:45], 0
	s_cbranch_scc1 .LBB123_202
.LBB123_197:
	s_cmp_gt_i32 s13, 1
	s_cbranch_scc0 .LBB123_203
; %bb.198:
	s_cmp_eq_u32 s13, 2
	s_cbranch_scc0 .LBB123_265
; %bb.199:
	s_waitcnt vmcnt(0)
	v_cmp_le_f16_sdwa s[42:43], v1, v2 src0_sel:WORD_1 src1_sel:WORD_1
	s_mov_b64 s[46:47], 0
	s_branch .LBB123_205
.LBB123_200:
	s_waitcnt vmcnt(0)
	v_cmp_lt_f16_e32 vcc, v1, v2
	s_andn2_b64 s[40:41], s[40:41], exec
	s_and_b64 s[44:45], vcc, exec
	s_or_b64 s[40:41], s[40:41], s[44:45]
	s_cbranch_execnz .LBB123_196
.LBB123_201:
	s_waitcnt vmcnt(0)
	v_cmp_ge_f16_e32 vcc, v1, v2
	s_andn2_b64 s[40:41], s[40:41], exec
	s_and_b64 s[42:43], vcc, exec
	s_or_b64 s[40:41], s[40:41], s[42:43]
	s_cmp_lt_i32 s13, 1
	s_mov_b64 s[44:45], 0
	s_cbranch_scc0 .LBB123_197
.LBB123_202:
                                        ; implicit-def: $sgpr42_sgpr43
	s_mov_b64 s[46:47], 0
	s_cbranch_execnz .LBB123_206
	s_branch .LBB123_207
.LBB123_203:
	s_mov_b64 s[46:47], 0
                                        ; implicit-def: $sgpr42_sgpr43
	s_cbranch_execz .LBB123_205
; %bb.204:
	s_waitcnt vmcnt(0)
	v_cmp_gt_f16_sdwa s[48:49], v1, v2 src0_sel:WORD_1 src1_sel:WORD_1
	s_andn2_b64 s[42:43], s[42:43], exec
	s_and_b64 s[48:49], s[48:49], exec
	s_or_b64 s[42:43], s[42:43], s[48:49]
.LBB123_205:
	s_branch .LBB123_207
.LBB123_206:
	s_cmp_lg_u32 s13, 0
	s_mov_b64 s[44:45], -1
	s_cselect_b64 s[46:47], -1, 0
.LBB123_207:
	s_andn2_b64 vcc, exec, s[46:47]
	s_cbranch_vccz .LBB123_249
; %bb.208:
	s_andn2_b64 vcc, exec, s[44:45]
	s_cbranch_vccnz .LBB123_210
.LBB123_209:
	s_waitcnt vmcnt(0)
	v_cmp_ge_f16_sdwa s[44:45], v1, v2 src0_sel:WORD_1 src1_sel:WORD_1
	s_andn2_b64 s[42:43], s[42:43], exec
	s_and_b64 s[44:45], s[44:45], exec
	s_or_b64 s[42:43], s[42:43], s[44:45]
.LBB123_210:
	s_waitcnt vmcnt(13)
	v_mov_b32_e32 v3, 0x100
	s_waitcnt vmcnt(0)
	v_cndmask_b32_e64 v2, 0, 1, s[36:37]
	v_cndmask_b32_e64 v4, 0, v3, s[38:39]
	v_or_b32_e32 v2, v4, v2
	v_cndmask_b32_e64 v4, 0, 1, s[30:31]
	v_cndmask_b32_e64 v5, 0, v3, s[34:35]
	v_or_b32_e32 v4, v5, v4
	;; [unrolled: 3-line block ×5, first 2 shown]
	v_cndmask_b32_e64 v8, 0, 1, s[6:7]
	v_cndmask_b32_e64 v9, 0, v3, s[16:17]
	;; [unrolled: 1-line block ×3, first 2 shown]
	v_or_b32_e32 v8, v9, v8
	v_cndmask_b32_e64 v9, 0, 1, s[0:1]
	v_cndmask_b32_e64 v10, 0, v3, s[4:5]
	;; [unrolled: 1-line block ×3, first 2 shown]
	s_add_u32 s0, s8, s2
	v_or_b32_e32 v9, v10, v9
	v_or_b32_e32 v1, v3, v1
	s_addc_u32 s1, s9, s3
	v_lshlrev_b32_e32 v3, 1, v0
	global_store_short v3, v9, s[0:1]
	global_store_short v3, v8, s[0:1] offset:512
	global_store_short v3, v7, s[0:1] offset:1024
	;; [unrolled: 1-line block ×7, first 2 shown]
	s_mov_b64 s[0:1], 0
.LBB123_211:
	s_and_b64 vcc, exec, s[0:1]
	s_cbranch_vccz .LBB123_519
; %bb.212:
	v_cmp_gt_i32_e64 s[0:1], s12, v0
	v_mov_b32_e32 v14, 0
	v_or_b32_e32 v1, s2, v0
	v_mov_b32_e32 v7, 0
	v_mov_b32_e32 v10, 0
	;; [unrolled: 1-line block ×3, first 2 shown]
	s_and_saveexec_b64 s[4:5], s[0:1]
	s_cbranch_execz .LBB123_214
; %bb.213:
	v_mov_b32_e32 v2, 0
	v_lshlrev_b64 v[2:3], 1, v[1:2]
	v_mov_b32_e32 v5, s15
	v_add_co_u32_e32 v4, vcc, s14, v2
	v_addc_co_u32_e32 v5, vcc, v5, v3, vcc
	v_mov_b32_e32 v6, s11
	v_add_co_u32_e32 v2, vcc, s10, v2
	v_addc_co_u32_e32 v3, vcc, v6, v3, vcc
	global_load_ushort v7, v[2:3], off
	global_load_ushort v10, v[4:5], off
	v_or_b32_e32 v6, 0x100, v0
.LBB123_214:
	s_or_b64 exec, exec, s[4:5]
	v_cmp_gt_i32_e32 vcc, s12, v6
	v_mov_b32_e32 v34, 0
	s_and_saveexec_b64 s[4:5], vcc
	s_cbranch_execz .LBB123_216
; %bb.215:
	v_add_u32_e32 v2, s2, v6
	v_mov_b32_e32 v3, 0
	v_lshlrev_b64 v[2:3], 1, v[2:3]
	v_mov_b32_e32 v5, s15
	v_add_co_u32_e32 v4, vcc, s14, v2
	v_addc_co_u32_e32 v5, vcc, v5, v3, vcc
	v_mov_b32_e32 v8, s11
	v_add_co_u32_e32 v2, vcc, s10, v2
	v_addc_co_u32_e32 v3, vcc, v8, v3, vcc
	global_load_ushort v14, v[2:3], off
	global_load_ushort v34, v[4:5], off
	v_add_u32_e32 v6, 0x100, v6
.LBB123_216:
	s_or_b64 exec, exec, s[4:5]
	v_cmp_gt_i32_e32 vcc, s12, v6
	v_mov_b32_e32 v21, 0
	v_mov_b32_e32 v16, 0
	v_mov_b32_e32 v33, 0
	s_and_saveexec_b64 s[4:5], vcc
	s_cbranch_execz .LBB123_218
; %bb.217:
	v_add_u32_e32 v2, s2, v6
	v_mov_b32_e32 v3, 0
	v_lshlrev_b64 v[2:3], 1, v[2:3]
	v_mov_b32_e32 v5, s15
	v_add_co_u32_e32 v4, vcc, s14, v2
	v_addc_co_u32_e32 v5, vcc, v5, v3, vcc
	v_mov_b32_e32 v8, s11
	v_add_co_u32_e32 v2, vcc, s10, v2
	v_addc_co_u32_e32 v3, vcc, v8, v3, vcc
	global_load_ushort v16, v[2:3], off
	global_load_ushort v33, v[4:5], off
	v_add_u32_e32 v6, 0x100, v6
.LBB123_218:
	s_or_b64 exec, exec, s[4:5]
	v_cmp_gt_i32_e32 vcc, s12, v6
	v_mov_b32_e32 v32, 0
	s_and_saveexec_b64 s[4:5], vcc
	s_cbranch_execz .LBB123_220
; %bb.219:
	v_add_u32_e32 v2, s2, v6
	v_mov_b32_e32 v3, 0
	v_lshlrev_b64 v[2:3], 1, v[2:3]
	v_mov_b32_e32 v5, s15
	v_add_co_u32_e32 v4, vcc, s14, v2
	v_addc_co_u32_e32 v5, vcc, v5, v3, vcc
	v_mov_b32_e32 v8, s11
	v_add_co_u32_e32 v2, vcc, s10, v2
	v_addc_co_u32_e32 v3, vcc, v8, v3, vcc
	global_load_ushort v21, v[2:3], off
	global_load_ushort v32, v[4:5], off
	v_add_u32_e32 v6, 0x100, v6
.LBB123_220:
	s_or_b64 exec, exec, s[4:5]
	v_cmp_gt_i32_e32 vcc, s12, v6
	v_mov_b32_e32 v27, 0
	v_mov_b32_e32 v24, 0
	v_mov_b32_e32 v31, 0
	s_and_saveexec_b64 s[4:5], vcc
	s_cbranch_execz .LBB123_222
; %bb.221:
	v_add_u32_e32 v2, s2, v6
	v_mov_b32_e32 v3, 0
	v_lshlrev_b64 v[2:3], 1, v[2:3]
	v_mov_b32_e32 v5, s15
	v_add_co_u32_e32 v4, vcc, s14, v2
	v_addc_co_u32_e32 v5, vcc, v5, v3, vcc
	v_mov_b32_e32 v8, s11
	v_add_co_u32_e32 v2, vcc, s10, v2
	v_addc_co_u32_e32 v3, vcc, v8, v3, vcc
	global_load_ushort v24, v[2:3], off
	global_load_ushort v31, v[4:5], off
	v_add_u32_e32 v6, 0x100, v6
.LBB123_222:
	;; [unrolled: 40-line block ×7, first 2 shown]
	s_or_b64 exec, exec, s[4:5]
	v_cmp_gt_i32_e32 vcc, s12, v6
	v_mov_b32_e32 v3, 0
	s_and_saveexec_b64 s[4:5], vcc
	s_cbranch_execz .LBB123_244
; %bb.243:
	v_add_u32_e32 v2, s2, v6
	v_mov_b32_e32 v3, 0
	v_lshlrev_b64 v[2:3], 1, v[2:3]
	v_mov_b32_e32 v6, s15
	v_add_co_u32_e32 v35, vcc, s14, v2
	v_addc_co_u32_e32 v36, vcc, v6, v3, vcc
	v_mov_b32_e32 v6, s11
	v_add_co_u32_e32 v37, vcc, s10, v2
	v_addc_co_u32_e32 v38, vcc, v6, v3, vcc
	global_load_ushort v2, v[37:38], off
	global_load_ushort v3, v[35:36], off
.LBB123_244:
	s_or_b64 exec, exec, s[4:5]
                                        ; implicit-def: $vgpr6
	s_and_saveexec_b64 s[4:5], s[0:1]
	s_cbranch_execz .LBB123_276
; %bb.245:
	s_cmp_lt_i32 s13, 1
	s_mov_b64 s[6:7], 0
	s_cbranch_scc1 .LBB123_250
; %bb.246:
	s_cmp_gt_i32 s13, 1
	s_cbranch_scc0 .LBB123_266
; %bb.247:
	s_cmp_eq_u32 s13, 2
	s_cbranch_scc0 .LBB123_267
; %bb.248:
	s_waitcnt vmcnt(0)
	v_cmp_le_f16_e64 s[10:11], v7, v10
	s_mov_b64 s[14:15], 0
	s_branch .LBB123_268
.LBB123_249:
	s_waitcnt vmcnt(0)
	v_cmp_lt_f16_sdwa s[46:47], v1, v2 src0_sel:WORD_1 src1_sel:WORD_1
	s_andn2_b64 s[42:43], s[42:43], exec
	s_and_b64 s[46:47], s[46:47], exec
	s_or_b64 s[42:43], s[42:43], s[46:47]
	s_cbranch_execz .LBB123_209
	s_branch .LBB123_210
.LBB123_250:
                                        ; implicit-def: $sgpr10_sgpr11
	s_mov_b64 s[14:15], 0
	s_cbranch_execnz .LBB123_271
	s_branch .LBB123_272
.LBB123_251:
	s_mov_b64 s[16:17], -1
                                        ; implicit-def: $sgpr4_sgpr5
	s_branch .LBB123_23
.LBB123_252:
	s_mov_b64 s[18:19], -1
                                        ; implicit-def: $sgpr6_sgpr7
	s_branch .LBB123_36
.LBB123_253:
	s_mov_b64 s[20:21], -1
                                        ; implicit-def: $sgpr16_sgpr17
	s_branch .LBB123_49
.LBB123_254:
	s_mov_b64 s[22:23], -1
                                        ; implicit-def: $sgpr18_sgpr19
	s_branch .LBB123_62
.LBB123_255:
	s_mov_b64 s[24:25], -1
                                        ; implicit-def: $sgpr20_sgpr21
	s_branch .LBB123_75
.LBB123_256:
	s_mov_b64 s[26:27], -1
                                        ; implicit-def: $sgpr22_sgpr23
	s_branch .LBB123_88
.LBB123_257:
	s_mov_b64 s[28:29], -1
                                        ; implicit-def: $sgpr24_sgpr25
	s_branch .LBB123_101
.LBB123_258:
	s_mov_b64 s[30:31], -1
                                        ; implicit-def: $sgpr26_sgpr27
	s_branch .LBB123_114
.LBB123_259:
	s_mov_b64 s[34:35], -1
                                        ; implicit-def: $sgpr28_sgpr29
	s_branch .LBB123_127
.LBB123_260:
	s_mov_b64 s[36:37], -1
                                        ; implicit-def: $sgpr30_sgpr31
	s_branch .LBB123_140
.LBB123_261:
	s_mov_b64 s[38:39], -1
                                        ; implicit-def: $sgpr34_sgpr35
	s_branch .LBB123_153
.LBB123_262:
	s_mov_b64 s[40:41], -1
                                        ; implicit-def: $sgpr36_sgpr37
	s_branch .LBB123_166
.LBB123_263:
	s_mov_b64 s[42:43], -1
                                        ; implicit-def: $sgpr38_sgpr39
	s_branch .LBB123_179
.LBB123_264:
	s_mov_b64 s[44:45], -1
                                        ; implicit-def: $sgpr40_sgpr41
	s_branch .LBB123_192
.LBB123_265:
	s_mov_b64 s[46:47], -1
                                        ; implicit-def: $sgpr42_sgpr43
	s_branch .LBB123_205
.LBB123_266:
	s_mov_b64 s[14:15], 0
                                        ; implicit-def: $sgpr10_sgpr11
	s_cbranch_execnz .LBB123_269
	s_branch .LBB123_270
.LBB123_267:
	s_mov_b64 s[14:15], -1
                                        ; implicit-def: $sgpr10_sgpr11
.LBB123_268:
	s_branch .LBB123_270
.LBB123_269:
	s_waitcnt vmcnt(0)
	v_cmp_gt_f16_e32 vcc, v7, v10
	s_andn2_b64 s[10:11], s[10:11], exec
	s_and_b64 s[16:17], vcc, exec
	s_or_b64 s[10:11], s[10:11], s[16:17]
.LBB123_270:
	s_branch .LBB123_272
.LBB123_271:
	s_cmp_lg_u32 s13, 0
	s_mov_b64 s[6:7], -1
	s_cselect_b64 s[14:15], -1, 0
.LBB123_272:
	s_andn2_b64 vcc, exec, s[14:15]
	s_cbranch_vccz .LBB123_281
; %bb.273:
	s_andn2_b64 vcc, exec, s[6:7]
	s_cbranch_vccnz .LBB123_275
.LBB123_274:
	s_waitcnt vmcnt(0)
	v_cmp_ge_f16_e32 vcc, v7, v10
	s_andn2_b64 s[6:7], s[10:11], exec
	s_and_b64 s[10:11], vcc, exec
	s_or_b64 s[10:11], s[6:7], s[10:11]
.LBB123_275:
	v_cndmask_b32_e64 v6, 0, 1, s[10:11]
.LBB123_276:
	s_or_b64 exec, exec, s[4:5]
	s_waitcnt vmcnt(1)
	v_or_b32_e32 v7, 0x100, v0
	v_cmp_gt_i32_e32 vcc, s12, v7
                                        ; implicit-def: $vgpr10
	s_and_saveexec_b64 s[4:5], vcc
	s_cbranch_execz .LBB123_291
; %bb.277:
	s_cmp_lt_i32 s13, 1
	s_mov_b64 s[6:7], 0
	s_cbranch_scc1 .LBB123_282
; %bb.278:
	s_cmp_gt_i32 s13, 1
	s_cbranch_scc0 .LBB123_283
; %bb.279:
	s_cmp_eq_u32 s13, 2
	s_cbranch_scc0 .LBB123_535
; %bb.280:
	s_waitcnt vmcnt(0)
	v_cmp_le_f16_e64 s[10:11], v14, v34
	s_mov_b64 s[14:15], 0
	s_branch .LBB123_285
.LBB123_281:
	s_waitcnt vmcnt(0)
	v_cmp_lt_f16_e32 vcc, v7, v10
	s_andn2_b64 s[10:11], s[10:11], exec
	s_and_b64 s[14:15], vcc, exec
	s_or_b64 s[10:11], s[10:11], s[14:15]
	s_cbranch_execz .LBB123_274
	s_branch .LBB123_275
.LBB123_282:
                                        ; implicit-def: $sgpr10_sgpr11
	s_mov_b64 s[14:15], 0
	s_cbranch_execnz .LBB123_286
	s_branch .LBB123_287
.LBB123_283:
	s_mov_b64 s[14:15], 0
                                        ; implicit-def: $sgpr10_sgpr11
	s_cbranch_execz .LBB123_285
; %bb.284:
	s_waitcnt vmcnt(0)
	v_cmp_gt_f16_e32 vcc, v14, v34
	s_andn2_b64 s[10:11], s[10:11], exec
	s_and_b64 s[16:17], vcc, exec
	s_or_b64 s[10:11], s[10:11], s[16:17]
.LBB123_285:
	s_branch .LBB123_287
.LBB123_286:
	s_cmp_lg_u32 s13, 0
	s_mov_b64 s[6:7], -1
	s_cselect_b64 s[14:15], -1, 0
.LBB123_287:
	s_andn2_b64 vcc, exec, s[14:15]
	s_cbranch_vccz .LBB123_296
; %bb.288:
	s_andn2_b64 vcc, exec, s[6:7]
	s_cbranch_vccnz .LBB123_290
.LBB123_289:
	s_waitcnt vmcnt(0)
	v_cmp_ge_f16_e32 vcc, v14, v34
	s_andn2_b64 s[6:7], s[10:11], exec
	s_and_b64 s[10:11], vcc, exec
	s_or_b64 s[10:11], s[6:7], s[10:11]
.LBB123_290:
	s_waitcnt vmcnt(0)
	v_cndmask_b32_e64 v10, 0, 1, s[10:11]
.LBB123_291:
	s_or_b64 exec, exec, s[4:5]
	v_or_b32_e32 v14, 0x200, v0
	v_cmp_gt_i32_e32 vcc, s12, v14
                                        ; implicit-def: $vgpr14
	s_and_saveexec_b64 s[4:5], vcc
	s_cbranch_execz .LBB123_306
; %bb.292:
	s_cmp_lt_i32 s13, 1
	s_mov_b64 s[6:7], 0
	s_cbranch_scc1 .LBB123_297
; %bb.293:
	s_cmp_gt_i32 s13, 1
	s_cbranch_scc0 .LBB123_298
; %bb.294:
	s_cmp_eq_u32 s13, 2
	s_cbranch_scc0 .LBB123_536
; %bb.295:
	s_waitcnt vmcnt(0)
	v_cmp_le_f16_e64 s[10:11], v16, v33
	s_mov_b64 s[14:15], 0
	s_branch .LBB123_300
.LBB123_296:
	s_waitcnt vmcnt(0)
	v_cmp_lt_f16_e32 vcc, v14, v34
	s_andn2_b64 s[10:11], s[10:11], exec
	s_and_b64 s[14:15], vcc, exec
	s_or_b64 s[10:11], s[10:11], s[14:15]
	s_cbranch_execz .LBB123_289
	s_branch .LBB123_290
.LBB123_297:
                                        ; implicit-def: $sgpr10_sgpr11
	s_mov_b64 s[14:15], 0
	s_cbranch_execnz .LBB123_301
	s_branch .LBB123_302
.LBB123_298:
	s_mov_b64 s[14:15], 0
                                        ; implicit-def: $sgpr10_sgpr11
	s_cbranch_execz .LBB123_300
; %bb.299:
	s_waitcnt vmcnt(0)
	v_cmp_gt_f16_e32 vcc, v16, v33
	s_andn2_b64 s[10:11], s[10:11], exec
	s_and_b64 s[16:17], vcc, exec
	s_or_b64 s[10:11], s[10:11], s[16:17]
.LBB123_300:
	s_branch .LBB123_302
.LBB123_301:
	s_cmp_lg_u32 s13, 0
	s_mov_b64 s[6:7], -1
	s_cselect_b64 s[14:15], -1, 0
.LBB123_302:
	s_andn2_b64 vcc, exec, s[14:15]
	s_cbranch_vccz .LBB123_311
; %bb.303:
	s_andn2_b64 vcc, exec, s[6:7]
	s_cbranch_vccnz .LBB123_305
.LBB123_304:
	s_waitcnt vmcnt(0)
	v_cmp_ge_f16_e32 vcc, v16, v33
	s_andn2_b64 s[6:7], s[10:11], exec
	s_and_b64 s[10:11], vcc, exec
	s_or_b64 s[10:11], s[6:7], s[10:11]
.LBB123_305:
	v_cndmask_b32_e64 v14, 0, 1, s[10:11]
.LBB123_306:
	s_or_b64 exec, exec, s[4:5]
	v_or_b32_e32 v16, 0x300, v0
	v_cmp_gt_i32_e32 vcc, s12, v16
                                        ; implicit-def: $vgpr16
	s_and_saveexec_b64 s[4:5], vcc
	s_cbranch_execz .LBB123_321
; %bb.307:
	s_cmp_lt_i32 s13, 1
	s_mov_b64 s[6:7], 0
	s_cbranch_scc1 .LBB123_312
; %bb.308:
	s_cmp_gt_i32 s13, 1
	s_cbranch_scc0 .LBB123_313
; %bb.309:
	s_cmp_eq_u32 s13, 2
	s_cbranch_scc0 .LBB123_537
; %bb.310:
	s_waitcnt vmcnt(0)
	v_cmp_le_f16_e64 s[10:11], v21, v32
	s_mov_b64 s[14:15], 0
	s_branch .LBB123_315
.LBB123_311:
	s_waitcnt vmcnt(0)
	v_cmp_lt_f16_e32 vcc, v16, v33
	s_andn2_b64 s[10:11], s[10:11], exec
	s_and_b64 s[14:15], vcc, exec
	s_or_b64 s[10:11], s[10:11], s[14:15]
	s_cbranch_execz .LBB123_304
	s_branch .LBB123_305
.LBB123_312:
                                        ; implicit-def: $sgpr10_sgpr11
	s_mov_b64 s[14:15], 0
	s_cbranch_execnz .LBB123_316
	s_branch .LBB123_317
.LBB123_313:
	s_mov_b64 s[14:15], 0
                                        ; implicit-def: $sgpr10_sgpr11
	s_cbranch_execz .LBB123_315
; %bb.314:
	s_waitcnt vmcnt(0)
	v_cmp_gt_f16_e32 vcc, v21, v32
	s_andn2_b64 s[10:11], s[10:11], exec
	s_and_b64 s[16:17], vcc, exec
	s_or_b64 s[10:11], s[10:11], s[16:17]
.LBB123_315:
	s_branch .LBB123_317
.LBB123_316:
	s_cmp_lg_u32 s13, 0
	s_mov_b64 s[6:7], -1
	s_cselect_b64 s[14:15], -1, 0
.LBB123_317:
	s_andn2_b64 vcc, exec, s[14:15]
	s_cbranch_vccz .LBB123_326
; %bb.318:
	s_andn2_b64 vcc, exec, s[6:7]
	s_cbranch_vccnz .LBB123_320
.LBB123_319:
	s_waitcnt vmcnt(0)
	v_cmp_ge_f16_e32 vcc, v21, v32
	s_andn2_b64 s[6:7], s[10:11], exec
	s_and_b64 s[10:11], vcc, exec
	s_or_b64 s[10:11], s[6:7], s[10:11]
.LBB123_320:
	v_cndmask_b32_e64 v16, 0, 1, s[10:11]
.LBB123_321:
	s_or_b64 exec, exec, s[4:5]
	v_or_b32_e32 v21, 0x400, v0
	v_cmp_gt_i32_e32 vcc, s12, v21
                                        ; implicit-def: $vgpr21
	s_and_saveexec_b64 s[4:5], vcc
	s_cbranch_execz .LBB123_336
; %bb.322:
	s_cmp_lt_i32 s13, 1
	s_mov_b64 s[6:7], 0
	s_cbranch_scc1 .LBB123_327
; %bb.323:
	s_cmp_gt_i32 s13, 1
	s_cbranch_scc0 .LBB123_328
; %bb.324:
	s_cmp_eq_u32 s13, 2
	s_cbranch_scc0 .LBB123_538
; %bb.325:
	s_waitcnt vmcnt(0)
	v_cmp_le_f16_e64 s[10:11], v24, v31
	s_mov_b64 s[14:15], 0
	s_branch .LBB123_330
.LBB123_326:
	s_waitcnt vmcnt(0)
	v_cmp_lt_f16_e32 vcc, v21, v32
	s_andn2_b64 s[10:11], s[10:11], exec
	s_and_b64 s[14:15], vcc, exec
	s_or_b64 s[10:11], s[10:11], s[14:15]
	s_cbranch_execz .LBB123_319
	s_branch .LBB123_320
.LBB123_327:
                                        ; implicit-def: $sgpr10_sgpr11
	s_mov_b64 s[14:15], 0
	s_cbranch_execnz .LBB123_331
	s_branch .LBB123_332
.LBB123_328:
	s_mov_b64 s[14:15], 0
                                        ; implicit-def: $sgpr10_sgpr11
	s_cbranch_execz .LBB123_330
; %bb.329:
	s_waitcnt vmcnt(0)
	v_cmp_gt_f16_e32 vcc, v24, v31
	s_andn2_b64 s[10:11], s[10:11], exec
	s_and_b64 s[16:17], vcc, exec
	s_or_b64 s[10:11], s[10:11], s[16:17]
.LBB123_330:
	s_branch .LBB123_332
.LBB123_331:
	s_cmp_lg_u32 s13, 0
	s_mov_b64 s[6:7], -1
	s_cselect_b64 s[14:15], -1, 0
.LBB123_332:
	s_andn2_b64 vcc, exec, s[14:15]
	s_cbranch_vccz .LBB123_341
; %bb.333:
	s_andn2_b64 vcc, exec, s[6:7]
	s_cbranch_vccnz .LBB123_335
.LBB123_334:
	s_waitcnt vmcnt(0)
	v_cmp_ge_f16_e32 vcc, v24, v31
	s_andn2_b64 s[6:7], s[10:11], exec
	s_and_b64 s[10:11], vcc, exec
	s_or_b64 s[10:11], s[6:7], s[10:11]
.LBB123_335:
	v_cndmask_b32_e64 v21, 0, 1, s[10:11]
.LBB123_336:
	s_or_b64 exec, exec, s[4:5]
	v_or_b32_e32 v24, 0x500, v0
	v_cmp_gt_i32_e32 vcc, s12, v24
                                        ; implicit-def: $vgpr24
	s_and_saveexec_b64 s[4:5], vcc
	s_cbranch_execz .LBB123_351
; %bb.337:
	s_cmp_lt_i32 s13, 1
	s_mov_b64 s[6:7], 0
	s_cbranch_scc1 .LBB123_342
; %bb.338:
	s_cmp_gt_i32 s13, 1
	s_cbranch_scc0 .LBB123_343
; %bb.339:
	s_cmp_eq_u32 s13, 2
	s_cbranch_scc0 .LBB123_539
; %bb.340:
	s_waitcnt vmcnt(0)
	v_cmp_le_f16_e64 s[10:11], v27, v30
	s_mov_b64 s[14:15], 0
	s_branch .LBB123_345
.LBB123_341:
	s_waitcnt vmcnt(0)
	v_cmp_lt_f16_e32 vcc, v24, v31
	s_andn2_b64 s[10:11], s[10:11], exec
	s_and_b64 s[14:15], vcc, exec
	s_or_b64 s[10:11], s[10:11], s[14:15]
	s_cbranch_execz .LBB123_334
	s_branch .LBB123_335
.LBB123_342:
                                        ; implicit-def: $sgpr10_sgpr11
	s_mov_b64 s[14:15], 0
	s_cbranch_execnz .LBB123_346
	s_branch .LBB123_347
.LBB123_343:
	s_mov_b64 s[14:15], 0
                                        ; implicit-def: $sgpr10_sgpr11
	s_cbranch_execz .LBB123_345
; %bb.344:
	s_waitcnt vmcnt(0)
	v_cmp_gt_f16_e32 vcc, v27, v30
	s_andn2_b64 s[10:11], s[10:11], exec
	s_and_b64 s[16:17], vcc, exec
	s_or_b64 s[10:11], s[10:11], s[16:17]
.LBB123_345:
	s_branch .LBB123_347
.LBB123_346:
	s_cmp_lg_u32 s13, 0
	s_mov_b64 s[6:7], -1
	s_cselect_b64 s[14:15], -1, 0
.LBB123_347:
	s_andn2_b64 vcc, exec, s[14:15]
	s_cbranch_vccz .LBB123_356
; %bb.348:
	s_andn2_b64 vcc, exec, s[6:7]
	s_cbranch_vccnz .LBB123_350
.LBB123_349:
	s_waitcnt vmcnt(0)
	v_cmp_ge_f16_e32 vcc, v27, v30
	s_andn2_b64 s[6:7], s[10:11], exec
	s_and_b64 s[10:11], vcc, exec
	s_or_b64 s[10:11], s[6:7], s[10:11]
.LBB123_350:
	v_cndmask_b32_e64 v24, 0, 1, s[10:11]
.LBB123_351:
	s_or_b64 exec, exec, s[4:5]
	v_or_b32_e32 v27, 0x600, v0
	v_cmp_gt_i32_e32 vcc, s12, v27
                                        ; implicit-def: $vgpr27
	s_and_saveexec_b64 s[4:5], vcc
	s_cbranch_execz .LBB123_366
; %bb.352:
	s_cmp_lt_i32 s13, 1
	s_mov_b64 s[6:7], 0
	s_cbranch_scc1 .LBB123_357
; %bb.353:
	s_cmp_gt_i32 s13, 1
	s_cbranch_scc0 .LBB123_358
; %bb.354:
	s_cmp_eq_u32 s13, 2
	s_cbranch_scc0 .LBB123_540
; %bb.355:
	s_waitcnt vmcnt(0)
	v_cmp_le_f16_e64 s[10:11], v28, v29
	s_mov_b64 s[14:15], 0
	s_branch .LBB123_360
.LBB123_356:
	s_waitcnt vmcnt(0)
	v_cmp_lt_f16_e32 vcc, v27, v30
	s_andn2_b64 s[10:11], s[10:11], exec
	s_and_b64 s[14:15], vcc, exec
	s_or_b64 s[10:11], s[10:11], s[14:15]
	s_cbranch_execz .LBB123_349
	s_branch .LBB123_350
.LBB123_357:
                                        ; implicit-def: $sgpr10_sgpr11
	s_mov_b64 s[14:15], 0
	s_cbranch_execnz .LBB123_361
	s_branch .LBB123_362
.LBB123_358:
	s_mov_b64 s[14:15], 0
                                        ; implicit-def: $sgpr10_sgpr11
	s_cbranch_execz .LBB123_360
; %bb.359:
	s_waitcnt vmcnt(0)
	v_cmp_gt_f16_e32 vcc, v28, v29
	s_andn2_b64 s[10:11], s[10:11], exec
	s_and_b64 s[16:17], vcc, exec
	s_or_b64 s[10:11], s[10:11], s[16:17]
.LBB123_360:
	s_branch .LBB123_362
.LBB123_361:
	s_cmp_lg_u32 s13, 0
	s_mov_b64 s[6:7], -1
	s_cselect_b64 s[14:15], -1, 0
.LBB123_362:
	s_andn2_b64 vcc, exec, s[14:15]
	s_cbranch_vccz .LBB123_371
; %bb.363:
	s_andn2_b64 vcc, exec, s[6:7]
	s_cbranch_vccnz .LBB123_365
.LBB123_364:
	s_waitcnt vmcnt(0)
	v_cmp_ge_f16_e32 vcc, v28, v29
	s_andn2_b64 s[6:7], s[10:11], exec
	s_and_b64 s[10:11], vcc, exec
	s_or_b64 s[10:11], s[6:7], s[10:11]
.LBB123_365:
	v_cndmask_b32_e64 v27, 0, 1, s[10:11]
.LBB123_366:
	s_or_b64 exec, exec, s[4:5]
	v_or_b32_e32 v28, 0x700, v0
	v_cmp_gt_i32_e32 vcc, s12, v28
                                        ; implicit-def: $vgpr28
	s_and_saveexec_b64 s[4:5], vcc
	s_cbranch_execz .LBB123_381
; %bb.367:
	s_cmp_lt_i32 s13, 1
	s_mov_b64 s[6:7], 0
	s_cbranch_scc1 .LBB123_372
; %bb.368:
	s_cmp_gt_i32 s13, 1
	s_cbranch_scc0 .LBB123_373
; %bb.369:
	s_cmp_eq_u32 s13, 2
	s_cbranch_scc0 .LBB123_541
; %bb.370:
	s_waitcnt vmcnt(0)
	v_cmp_le_f16_e64 s[10:11], v25, v26
	s_mov_b64 s[14:15], 0
	s_branch .LBB123_375
.LBB123_371:
	s_waitcnt vmcnt(0)
	v_cmp_lt_f16_e32 vcc, v28, v29
	s_andn2_b64 s[10:11], s[10:11], exec
	s_and_b64 s[14:15], vcc, exec
	s_or_b64 s[10:11], s[10:11], s[14:15]
	s_cbranch_execz .LBB123_364
	s_branch .LBB123_365
.LBB123_372:
                                        ; implicit-def: $sgpr10_sgpr11
	s_mov_b64 s[14:15], 0
	s_cbranch_execnz .LBB123_376
	s_branch .LBB123_377
.LBB123_373:
	s_mov_b64 s[14:15], 0
                                        ; implicit-def: $sgpr10_sgpr11
	s_cbranch_execz .LBB123_375
; %bb.374:
	s_waitcnt vmcnt(0)
	v_cmp_gt_f16_e32 vcc, v25, v26
	s_andn2_b64 s[10:11], s[10:11], exec
	s_and_b64 s[16:17], vcc, exec
	s_or_b64 s[10:11], s[10:11], s[16:17]
.LBB123_375:
	s_branch .LBB123_377
.LBB123_376:
	s_cmp_lg_u32 s13, 0
	s_mov_b64 s[6:7], -1
	s_cselect_b64 s[14:15], -1, 0
.LBB123_377:
	s_andn2_b64 vcc, exec, s[14:15]
	s_cbranch_vccz .LBB123_386
; %bb.378:
	s_andn2_b64 vcc, exec, s[6:7]
	s_cbranch_vccnz .LBB123_380
.LBB123_379:
	s_waitcnt vmcnt(0)
	v_cmp_ge_f16_e32 vcc, v25, v26
	s_andn2_b64 s[6:7], s[10:11], exec
	s_and_b64 s[10:11], vcc, exec
	s_or_b64 s[10:11], s[6:7], s[10:11]
.LBB123_380:
	v_cndmask_b32_e64 v28, 0, 1, s[10:11]
.LBB123_381:
	s_or_b64 exec, exec, s[4:5]
	v_or_b32_e32 v25, 0x800, v0
	v_cmp_gt_i32_e32 vcc, s12, v25
                                        ; implicit-def: $vgpr25
	s_and_saveexec_b64 s[4:5], vcc
	s_cbranch_execz .LBB123_396
; %bb.382:
	s_cmp_lt_i32 s13, 1
	s_mov_b64 s[6:7], 0
	s_cbranch_scc1 .LBB123_387
; %bb.383:
	s_cmp_gt_i32 s13, 1
	s_cbranch_scc0 .LBB123_388
; %bb.384:
	s_cmp_eq_u32 s13, 2
	s_cbranch_scc0 .LBB123_542
; %bb.385:
	s_waitcnt vmcnt(0)
	v_cmp_le_f16_e64 s[10:11], v22, v23
	s_mov_b64 s[14:15], 0
	s_branch .LBB123_390
.LBB123_386:
	s_waitcnt vmcnt(0)
	v_cmp_lt_f16_e32 vcc, v25, v26
	s_andn2_b64 s[10:11], s[10:11], exec
	s_and_b64 s[14:15], vcc, exec
	s_or_b64 s[10:11], s[10:11], s[14:15]
	s_cbranch_execz .LBB123_379
	s_branch .LBB123_380
.LBB123_387:
                                        ; implicit-def: $sgpr10_sgpr11
	s_mov_b64 s[14:15], 0
	s_cbranch_execnz .LBB123_391
	s_branch .LBB123_392
.LBB123_388:
	s_mov_b64 s[14:15], 0
                                        ; implicit-def: $sgpr10_sgpr11
	s_cbranch_execz .LBB123_390
; %bb.389:
	s_waitcnt vmcnt(0)
	v_cmp_gt_f16_e32 vcc, v22, v23
	s_andn2_b64 s[10:11], s[10:11], exec
	s_and_b64 s[16:17], vcc, exec
	s_or_b64 s[10:11], s[10:11], s[16:17]
.LBB123_390:
	s_branch .LBB123_392
.LBB123_391:
	s_cmp_lg_u32 s13, 0
	s_mov_b64 s[6:7], -1
	s_cselect_b64 s[14:15], -1, 0
.LBB123_392:
	s_andn2_b64 vcc, exec, s[14:15]
	s_cbranch_vccz .LBB123_401
; %bb.393:
	s_andn2_b64 vcc, exec, s[6:7]
	s_cbranch_vccnz .LBB123_395
.LBB123_394:
	s_waitcnt vmcnt(0)
	v_cmp_ge_f16_e32 vcc, v22, v23
	s_andn2_b64 s[6:7], s[10:11], exec
	s_and_b64 s[10:11], vcc, exec
	s_or_b64 s[10:11], s[6:7], s[10:11]
.LBB123_395:
	v_cndmask_b32_e64 v25, 0, 1, s[10:11]
.LBB123_396:
	s_or_b64 exec, exec, s[4:5]
	v_or_b32_e32 v22, 0x900, v0
	v_cmp_gt_i32_e32 vcc, s12, v22
                                        ; implicit-def: $vgpr22
	s_and_saveexec_b64 s[4:5], vcc
	s_cbranch_execz .LBB123_411
; %bb.397:
	s_cmp_lt_i32 s13, 1
	s_mov_b64 s[6:7], 0
	s_cbranch_scc1 .LBB123_402
; %bb.398:
	s_cmp_gt_i32 s13, 1
	s_cbranch_scc0 .LBB123_403
; %bb.399:
	s_cmp_eq_u32 s13, 2
	s_cbranch_scc0 .LBB123_543
; %bb.400:
	s_waitcnt vmcnt(0)
	v_cmp_le_f16_e64 s[10:11], v19, v20
	s_mov_b64 s[14:15], 0
	s_branch .LBB123_405
.LBB123_401:
	s_waitcnt vmcnt(0)
	v_cmp_lt_f16_e32 vcc, v22, v23
	s_andn2_b64 s[10:11], s[10:11], exec
	s_and_b64 s[14:15], vcc, exec
	s_or_b64 s[10:11], s[10:11], s[14:15]
	s_cbranch_execz .LBB123_394
	s_branch .LBB123_395
.LBB123_402:
                                        ; implicit-def: $sgpr10_sgpr11
	s_mov_b64 s[14:15], 0
	s_cbranch_execnz .LBB123_406
	s_branch .LBB123_407
.LBB123_403:
	s_mov_b64 s[14:15], 0
                                        ; implicit-def: $sgpr10_sgpr11
	s_cbranch_execz .LBB123_405
; %bb.404:
	s_waitcnt vmcnt(0)
	v_cmp_gt_f16_e32 vcc, v19, v20
	s_andn2_b64 s[10:11], s[10:11], exec
	s_and_b64 s[16:17], vcc, exec
	s_or_b64 s[10:11], s[10:11], s[16:17]
.LBB123_405:
	s_branch .LBB123_407
.LBB123_406:
	s_cmp_lg_u32 s13, 0
	s_mov_b64 s[6:7], -1
	s_cselect_b64 s[14:15], -1, 0
.LBB123_407:
	s_andn2_b64 vcc, exec, s[14:15]
	s_cbranch_vccz .LBB123_416
; %bb.408:
	s_andn2_b64 vcc, exec, s[6:7]
	s_cbranch_vccnz .LBB123_410
.LBB123_409:
	s_waitcnt vmcnt(0)
	v_cmp_ge_f16_e32 vcc, v19, v20
	s_andn2_b64 s[6:7], s[10:11], exec
	s_and_b64 s[10:11], vcc, exec
	s_or_b64 s[10:11], s[6:7], s[10:11]
.LBB123_410:
	v_cndmask_b32_e64 v22, 0, 1, s[10:11]
.LBB123_411:
	s_or_b64 exec, exec, s[4:5]
	v_or_b32_e32 v19, 0xa00, v0
	v_cmp_gt_i32_e32 vcc, s12, v19
                                        ; implicit-def: $vgpr19
	s_and_saveexec_b64 s[4:5], vcc
	s_cbranch_execz .LBB123_426
; %bb.412:
	s_cmp_lt_i32 s13, 1
	s_mov_b64 s[6:7], 0
	s_cbranch_scc1 .LBB123_417
; %bb.413:
	s_cmp_gt_i32 s13, 1
	s_cbranch_scc0 .LBB123_418
; %bb.414:
	s_cmp_eq_u32 s13, 2
	s_cbranch_scc0 .LBB123_544
; %bb.415:
	s_waitcnt vmcnt(0)
	v_cmp_le_f16_e64 s[10:11], v17, v18
	s_mov_b64 s[14:15], 0
	s_branch .LBB123_420
.LBB123_416:
	s_waitcnt vmcnt(0)
	v_cmp_lt_f16_e32 vcc, v19, v20
	s_andn2_b64 s[10:11], s[10:11], exec
	s_and_b64 s[14:15], vcc, exec
	s_or_b64 s[10:11], s[10:11], s[14:15]
	s_cbranch_execz .LBB123_409
	s_branch .LBB123_410
.LBB123_417:
                                        ; implicit-def: $sgpr10_sgpr11
	s_mov_b64 s[14:15], 0
	s_cbranch_execnz .LBB123_421
	s_branch .LBB123_422
.LBB123_418:
	s_mov_b64 s[14:15], 0
                                        ; implicit-def: $sgpr10_sgpr11
	s_cbranch_execz .LBB123_420
; %bb.419:
	s_waitcnt vmcnt(0)
	v_cmp_gt_f16_e32 vcc, v17, v18
	s_andn2_b64 s[10:11], s[10:11], exec
	s_and_b64 s[16:17], vcc, exec
	s_or_b64 s[10:11], s[10:11], s[16:17]
.LBB123_420:
	s_branch .LBB123_422
.LBB123_421:
	s_cmp_lg_u32 s13, 0
	s_mov_b64 s[6:7], -1
	s_cselect_b64 s[14:15], -1, 0
.LBB123_422:
	s_andn2_b64 vcc, exec, s[14:15]
	s_cbranch_vccz .LBB123_431
; %bb.423:
	s_andn2_b64 vcc, exec, s[6:7]
	s_cbranch_vccnz .LBB123_425
.LBB123_424:
	s_waitcnt vmcnt(0)
	v_cmp_ge_f16_e32 vcc, v17, v18
	s_andn2_b64 s[6:7], s[10:11], exec
	s_and_b64 s[10:11], vcc, exec
	s_or_b64 s[10:11], s[6:7], s[10:11]
.LBB123_425:
	v_cndmask_b32_e64 v19, 0, 1, s[10:11]
.LBB123_426:
	s_or_b64 exec, exec, s[4:5]
	v_or_b32_e32 v17, 0xb00, v0
	v_cmp_gt_i32_e32 vcc, s12, v17
                                        ; implicit-def: $vgpr17
	s_and_saveexec_b64 s[4:5], vcc
	s_cbranch_execz .LBB123_441
; %bb.427:
	s_cmp_lt_i32 s13, 1
	s_mov_b64 s[6:7], 0
	s_cbranch_scc1 .LBB123_432
; %bb.428:
	s_cmp_gt_i32 s13, 1
	s_cbranch_scc0 .LBB123_433
; %bb.429:
	s_cmp_eq_u32 s13, 2
	s_cbranch_scc0 .LBB123_545
; %bb.430:
	s_waitcnt vmcnt(0)
	v_cmp_le_f16_e64 s[10:11], v13, v15
	s_mov_b64 s[14:15], 0
	s_branch .LBB123_435
.LBB123_431:
	s_waitcnt vmcnt(0)
	v_cmp_lt_f16_e32 vcc, v17, v18
	s_andn2_b64 s[10:11], s[10:11], exec
	s_and_b64 s[14:15], vcc, exec
	s_or_b64 s[10:11], s[10:11], s[14:15]
	s_cbranch_execz .LBB123_424
	s_branch .LBB123_425
.LBB123_432:
                                        ; implicit-def: $sgpr10_sgpr11
	s_mov_b64 s[14:15], 0
	s_cbranch_execnz .LBB123_436
	s_branch .LBB123_437
.LBB123_433:
	s_mov_b64 s[14:15], 0
                                        ; implicit-def: $sgpr10_sgpr11
	s_cbranch_execz .LBB123_435
; %bb.434:
	s_waitcnt vmcnt(0)
	v_cmp_gt_f16_e32 vcc, v13, v15
	s_andn2_b64 s[10:11], s[10:11], exec
	s_and_b64 s[16:17], vcc, exec
	s_or_b64 s[10:11], s[10:11], s[16:17]
.LBB123_435:
	s_branch .LBB123_437
.LBB123_436:
	s_cmp_lg_u32 s13, 0
	s_mov_b64 s[6:7], -1
	s_cselect_b64 s[14:15], -1, 0
.LBB123_437:
	s_andn2_b64 vcc, exec, s[14:15]
	s_cbranch_vccz .LBB123_446
; %bb.438:
	s_andn2_b64 vcc, exec, s[6:7]
	s_cbranch_vccnz .LBB123_440
.LBB123_439:
	s_waitcnt vmcnt(0)
	v_cmp_ge_f16_e32 vcc, v13, v15
	s_andn2_b64 s[6:7], s[10:11], exec
	s_and_b64 s[10:11], vcc, exec
	s_or_b64 s[10:11], s[6:7], s[10:11]
.LBB123_440:
	v_cndmask_b32_e64 v17, 0, 1, s[10:11]
.LBB123_441:
	s_or_b64 exec, exec, s[4:5]
	v_or_b32_e32 v13, 0xc00, v0
	v_cmp_gt_i32_e32 vcc, s12, v13
                                        ; implicit-def: $vgpr13
	s_and_saveexec_b64 s[4:5], vcc
	s_cbranch_execz .LBB123_456
; %bb.442:
	s_cmp_lt_i32 s13, 1
	s_mov_b64 s[6:7], 0
	s_cbranch_scc1 .LBB123_447
; %bb.443:
	s_cmp_gt_i32 s13, 1
	s_cbranch_scc0 .LBB123_448
; %bb.444:
	s_cmp_eq_u32 s13, 2
	s_cbranch_scc0 .LBB123_546
; %bb.445:
	s_waitcnt vmcnt(0)
	v_cmp_le_f16_e64 s[10:11], v11, v12
	s_mov_b64 s[14:15], 0
	s_branch .LBB123_450
.LBB123_446:
	s_waitcnt vmcnt(0)
	v_cmp_lt_f16_e32 vcc, v13, v15
	s_andn2_b64 s[10:11], s[10:11], exec
	s_and_b64 s[14:15], vcc, exec
	s_or_b64 s[10:11], s[10:11], s[14:15]
	s_cbranch_execz .LBB123_439
	s_branch .LBB123_440
.LBB123_447:
                                        ; implicit-def: $sgpr10_sgpr11
	s_mov_b64 s[14:15], 0
	s_cbranch_execnz .LBB123_451
	s_branch .LBB123_452
.LBB123_448:
	s_mov_b64 s[14:15], 0
                                        ; implicit-def: $sgpr10_sgpr11
	s_cbranch_execz .LBB123_450
; %bb.449:
	s_waitcnt vmcnt(0)
	v_cmp_gt_f16_e32 vcc, v11, v12
	s_andn2_b64 s[10:11], s[10:11], exec
	s_and_b64 s[16:17], vcc, exec
	s_or_b64 s[10:11], s[10:11], s[16:17]
.LBB123_450:
	s_branch .LBB123_452
.LBB123_451:
	s_cmp_lg_u32 s13, 0
	s_mov_b64 s[6:7], -1
	s_cselect_b64 s[14:15], -1, 0
.LBB123_452:
	s_andn2_b64 vcc, exec, s[14:15]
	s_cbranch_vccz .LBB123_461
; %bb.453:
	s_andn2_b64 vcc, exec, s[6:7]
	s_cbranch_vccnz .LBB123_455
.LBB123_454:
	s_waitcnt vmcnt(0)
	v_cmp_ge_f16_e32 vcc, v11, v12
	s_andn2_b64 s[6:7], s[10:11], exec
	s_and_b64 s[10:11], vcc, exec
	s_or_b64 s[10:11], s[6:7], s[10:11]
.LBB123_455:
	v_cndmask_b32_e64 v13, 0, 1, s[10:11]
.LBB123_456:
	s_or_b64 exec, exec, s[4:5]
	v_or_b32_e32 v11, 0xd00, v0
	v_cmp_gt_i32_e32 vcc, s12, v11
                                        ; implicit-def: $vgpr11
	s_and_saveexec_b64 s[4:5], vcc
	s_cbranch_execz .LBB123_471
; %bb.457:
	s_cmp_lt_i32 s13, 1
	s_mov_b64 s[6:7], 0
	s_cbranch_scc1 .LBB123_462
; %bb.458:
	s_cmp_gt_i32 s13, 1
	s_cbranch_scc0 .LBB123_463
; %bb.459:
	s_cmp_eq_u32 s13, 2
	s_cbranch_scc0 .LBB123_547
; %bb.460:
	s_waitcnt vmcnt(0)
	v_cmp_le_f16_e64 s[10:11], v8, v9
	s_mov_b64 s[14:15], 0
	s_branch .LBB123_465
.LBB123_461:
	s_waitcnt vmcnt(0)
	v_cmp_lt_f16_e32 vcc, v11, v12
	s_andn2_b64 s[10:11], s[10:11], exec
	s_and_b64 s[14:15], vcc, exec
	s_or_b64 s[10:11], s[10:11], s[14:15]
	s_cbranch_execz .LBB123_454
	s_branch .LBB123_455
.LBB123_462:
                                        ; implicit-def: $sgpr10_sgpr11
	s_mov_b64 s[14:15], 0
	s_cbranch_execnz .LBB123_466
	s_branch .LBB123_467
.LBB123_463:
	s_mov_b64 s[14:15], 0
                                        ; implicit-def: $sgpr10_sgpr11
	s_cbranch_execz .LBB123_465
; %bb.464:
	s_waitcnt vmcnt(0)
	v_cmp_gt_f16_e32 vcc, v8, v9
	s_andn2_b64 s[10:11], s[10:11], exec
	s_and_b64 s[16:17], vcc, exec
	s_or_b64 s[10:11], s[10:11], s[16:17]
.LBB123_465:
	s_branch .LBB123_467
.LBB123_466:
	s_cmp_lg_u32 s13, 0
	s_mov_b64 s[6:7], -1
	s_cselect_b64 s[14:15], -1, 0
.LBB123_467:
	s_andn2_b64 vcc, exec, s[14:15]
	s_cbranch_vccz .LBB123_476
; %bb.468:
	s_andn2_b64 vcc, exec, s[6:7]
	s_cbranch_vccnz .LBB123_470
.LBB123_469:
	s_waitcnt vmcnt(0)
	v_cmp_ge_f16_e32 vcc, v8, v9
	s_andn2_b64 s[6:7], s[10:11], exec
	s_and_b64 s[10:11], vcc, exec
	s_or_b64 s[10:11], s[6:7], s[10:11]
.LBB123_470:
	v_cndmask_b32_e64 v11, 0, 1, s[10:11]
.LBB123_471:
	s_or_b64 exec, exec, s[4:5]
	v_or_b32_e32 v8, 0xe00, v0
	v_cmp_gt_i32_e32 vcc, s12, v8
                                        ; implicit-def: $vgpr8
	s_and_saveexec_b64 s[4:5], vcc
	s_cbranch_execz .LBB123_486
; %bb.472:
	s_cmp_lt_i32 s13, 1
	s_mov_b64 s[6:7], 0
	s_cbranch_scc1 .LBB123_477
; %bb.473:
	s_cmp_gt_i32 s13, 1
	s_cbranch_scc0 .LBB123_478
; %bb.474:
	s_cmp_eq_u32 s13, 2
	s_cbranch_scc0 .LBB123_548
; %bb.475:
	s_waitcnt vmcnt(0)
	v_cmp_le_f16_e64 s[10:11], v4, v5
	s_mov_b64 s[14:15], 0
	s_branch .LBB123_480
.LBB123_476:
	s_waitcnt vmcnt(0)
	v_cmp_lt_f16_e32 vcc, v8, v9
	s_andn2_b64 s[10:11], s[10:11], exec
	s_and_b64 s[14:15], vcc, exec
	s_or_b64 s[10:11], s[10:11], s[14:15]
	s_cbranch_execz .LBB123_469
	s_branch .LBB123_470
.LBB123_477:
                                        ; implicit-def: $sgpr10_sgpr11
	s_mov_b64 s[14:15], 0
	s_cbranch_execnz .LBB123_481
	s_branch .LBB123_482
.LBB123_478:
	s_mov_b64 s[14:15], 0
                                        ; implicit-def: $sgpr10_sgpr11
	s_cbranch_execz .LBB123_480
; %bb.479:
	s_waitcnt vmcnt(0)
	v_cmp_gt_f16_e32 vcc, v4, v5
	s_andn2_b64 s[10:11], s[10:11], exec
	s_and_b64 s[16:17], vcc, exec
	s_or_b64 s[10:11], s[10:11], s[16:17]
.LBB123_480:
	s_branch .LBB123_482
.LBB123_481:
	s_cmp_lg_u32 s13, 0
	s_mov_b64 s[6:7], -1
	s_cselect_b64 s[14:15], -1, 0
.LBB123_482:
	s_andn2_b64 vcc, exec, s[14:15]
	s_cbranch_vccz .LBB123_491
; %bb.483:
	s_andn2_b64 vcc, exec, s[6:7]
	s_cbranch_vccnz .LBB123_485
.LBB123_484:
	s_waitcnt vmcnt(0)
	v_cmp_ge_f16_e32 vcc, v4, v5
	s_andn2_b64 s[6:7], s[10:11], exec
	s_and_b64 s[10:11], vcc, exec
	s_or_b64 s[10:11], s[6:7], s[10:11]
.LBB123_485:
	v_cndmask_b32_e64 v8, 0, 1, s[10:11]
.LBB123_486:
	s_or_b64 exec, exec, s[4:5]
	v_or_b32_e32 v4, 0xf00, v0
	v_cmp_gt_i32_e32 vcc, s12, v4
                                        ; implicit-def: $vgpr4
	s_and_saveexec_b64 s[4:5], vcc
	s_cbranch_execz .LBB123_501
; %bb.487:
	s_cmp_lt_i32 s13, 1
	s_mov_b64 s[6:7], 0
	s_cbranch_scc1 .LBB123_492
; %bb.488:
	s_cmp_gt_i32 s13, 1
	s_cbranch_scc0 .LBB123_493
; %bb.489:
	s_cmp_eq_u32 s13, 2
	s_cbranch_scc0 .LBB123_549
; %bb.490:
	s_waitcnt vmcnt(0)
	v_cmp_le_f16_e64 s[10:11], v2, v3
	s_mov_b64 s[14:15], 0
	s_branch .LBB123_495
.LBB123_491:
	s_waitcnt vmcnt(0)
	v_cmp_lt_f16_e32 vcc, v4, v5
	s_andn2_b64 s[10:11], s[10:11], exec
	s_and_b64 s[14:15], vcc, exec
	s_or_b64 s[10:11], s[10:11], s[14:15]
	s_cbranch_execz .LBB123_484
	s_branch .LBB123_485
.LBB123_492:
                                        ; implicit-def: $sgpr10_sgpr11
	s_mov_b64 s[14:15], 0
	s_cbranch_execnz .LBB123_496
	s_branch .LBB123_497
.LBB123_493:
	s_mov_b64 s[14:15], 0
                                        ; implicit-def: $sgpr10_sgpr11
	s_cbranch_execz .LBB123_495
; %bb.494:
	s_waitcnt vmcnt(0)
	v_cmp_gt_f16_e32 vcc, v2, v3
	s_andn2_b64 s[10:11], s[10:11], exec
	s_and_b64 s[16:17], vcc, exec
	s_or_b64 s[10:11], s[10:11], s[16:17]
.LBB123_495:
	s_branch .LBB123_497
.LBB123_496:
	s_cmp_lg_u32 s13, 0
	s_mov_b64 s[6:7], -1
	s_cselect_b64 s[14:15], -1, 0
.LBB123_497:
	s_andn2_b64 vcc, exec, s[14:15]
	s_cbranch_vccz .LBB123_534
; %bb.498:
	s_andn2_b64 vcc, exec, s[6:7]
	s_cbranch_vccnz .LBB123_500
.LBB123_499:
	s_waitcnt vmcnt(0)
	v_cmp_ge_f16_e32 vcc, v2, v3
	s_andn2_b64 s[6:7], s[10:11], exec
	s_and_b64 s[10:11], vcc, exec
	s_or_b64 s[10:11], s[6:7], s[10:11]
.LBB123_500:
	v_cndmask_b32_e64 v4, 0, 1, s[10:11]
.LBB123_501:
	s_or_b64 exec, exec, s[4:5]
	s_and_saveexec_b64 s[4:5], s[0:1]
	s_xor_b64 s[0:1], exec, s[4:5]
	s_cbranch_execz .LBB123_503
; %bb.502:
	v_mov_b32_e32 v0, v7
	global_store_byte v1, v6, s[8:9]
.LBB123_503:
	s_or_b64 exec, exec, s[0:1]
	v_cmp_gt_i32_e32 vcc, s12, v0
	s_and_saveexec_b64 s[0:1], vcc
	s_cbranch_execnz .LBB123_520
; %bb.504:
	s_or_b64 exec, exec, s[0:1]
	v_cmp_gt_i32_e32 vcc, s12, v0
	s_and_saveexec_b64 s[0:1], vcc
	s_cbranch_execnz .LBB123_521
.LBB123_505:
	s_or_b64 exec, exec, s[0:1]
	v_cmp_gt_i32_e32 vcc, s12, v0
	s_and_saveexec_b64 s[0:1], vcc
	s_cbranch_execnz .LBB123_522
.LBB123_506:
	s_or_b64 exec, exec, s[0:1]
	v_cmp_gt_i32_e32 vcc, s12, v0
	s_and_saveexec_b64 s[0:1], vcc
	s_cbranch_execnz .LBB123_523
.LBB123_507:
	s_or_b64 exec, exec, s[0:1]
	v_cmp_gt_i32_e32 vcc, s12, v0
	s_and_saveexec_b64 s[0:1], vcc
	s_cbranch_execnz .LBB123_524
.LBB123_508:
	s_or_b64 exec, exec, s[0:1]
	v_cmp_gt_i32_e32 vcc, s12, v0
	s_and_saveexec_b64 s[0:1], vcc
	s_cbranch_execnz .LBB123_525
.LBB123_509:
	s_or_b64 exec, exec, s[0:1]
	v_cmp_gt_i32_e32 vcc, s12, v0
	s_and_saveexec_b64 s[0:1], vcc
	s_cbranch_execnz .LBB123_526
.LBB123_510:
	s_or_b64 exec, exec, s[0:1]
	v_cmp_gt_i32_e32 vcc, s12, v0
	s_and_saveexec_b64 s[0:1], vcc
	s_cbranch_execnz .LBB123_527
.LBB123_511:
	s_or_b64 exec, exec, s[0:1]
	v_cmp_gt_i32_e32 vcc, s12, v0
	s_and_saveexec_b64 s[0:1], vcc
	s_cbranch_execnz .LBB123_528
.LBB123_512:
	s_or_b64 exec, exec, s[0:1]
	v_cmp_gt_i32_e32 vcc, s12, v0
	s_and_saveexec_b64 s[0:1], vcc
	s_cbranch_execnz .LBB123_529
.LBB123_513:
	s_or_b64 exec, exec, s[0:1]
	v_cmp_gt_i32_e32 vcc, s12, v0
	s_and_saveexec_b64 s[0:1], vcc
	s_cbranch_execnz .LBB123_530
.LBB123_514:
	s_or_b64 exec, exec, s[0:1]
	v_cmp_gt_i32_e32 vcc, s12, v0
	s_and_saveexec_b64 s[0:1], vcc
	s_cbranch_execnz .LBB123_531
.LBB123_515:
	s_or_b64 exec, exec, s[0:1]
	v_cmp_gt_i32_e32 vcc, s12, v0
	s_and_saveexec_b64 s[0:1], vcc
	s_cbranch_execnz .LBB123_532
.LBB123_516:
	s_or_b64 exec, exec, s[0:1]
	v_cmp_gt_i32_e32 vcc, s12, v0
	s_and_saveexec_b64 s[0:1], vcc
	s_cbranch_execnz .LBB123_533
.LBB123_517:
	s_or_b64 exec, exec, s[0:1]
	v_cmp_gt_i32_e32 vcc, s12, v0
	s_and_saveexec_b64 s[0:1], vcc
	s_cbranch_execz .LBB123_519
.LBB123_518:
	v_add_u32_e32 v0, s2, v0
	global_store_byte v0, v4, s[8:9]
.LBB123_519:
	s_endpgm
.LBB123_520:
	v_add_u32_e32 v1, s2, v0
	v_add_u32_e32 v0, 0x100, v0
	s_waitcnt vmcnt(0)
	global_store_byte v1, v10, s[8:9]
	s_or_b64 exec, exec, s[0:1]
	v_cmp_gt_i32_e32 vcc, s12, v0
	s_and_saveexec_b64 s[0:1], vcc
	s_cbranch_execz .LBB123_505
.LBB123_521:
	v_add_u32_e32 v1, s2, v0
	v_add_u32_e32 v0, 0x100, v0
	global_store_byte v1, v14, s[8:9]
	s_or_b64 exec, exec, s[0:1]
	v_cmp_gt_i32_e32 vcc, s12, v0
	s_and_saveexec_b64 s[0:1], vcc
	s_cbranch_execz .LBB123_506
.LBB123_522:
	v_add_u32_e32 v1, s2, v0
	v_add_u32_e32 v0, 0x100, v0
	global_store_byte v1, v16, s[8:9]
	s_or_b64 exec, exec, s[0:1]
	v_cmp_gt_i32_e32 vcc, s12, v0
	s_and_saveexec_b64 s[0:1], vcc
	s_cbranch_execz .LBB123_507
.LBB123_523:
	v_add_u32_e32 v1, s2, v0
	v_add_u32_e32 v0, 0x100, v0
	global_store_byte v1, v21, s[8:9]
	s_or_b64 exec, exec, s[0:1]
	v_cmp_gt_i32_e32 vcc, s12, v0
	s_and_saveexec_b64 s[0:1], vcc
	s_cbranch_execz .LBB123_508
.LBB123_524:
	v_add_u32_e32 v1, s2, v0
	v_add_u32_e32 v0, 0x100, v0
	global_store_byte v1, v24, s[8:9]
	s_or_b64 exec, exec, s[0:1]
	v_cmp_gt_i32_e32 vcc, s12, v0
	s_and_saveexec_b64 s[0:1], vcc
	s_cbranch_execz .LBB123_509
.LBB123_525:
	v_add_u32_e32 v1, s2, v0
	v_add_u32_e32 v0, 0x100, v0
	global_store_byte v1, v27, s[8:9]
	s_or_b64 exec, exec, s[0:1]
	v_cmp_gt_i32_e32 vcc, s12, v0
	s_and_saveexec_b64 s[0:1], vcc
	s_cbranch_execz .LBB123_510
.LBB123_526:
	v_add_u32_e32 v1, s2, v0
	v_add_u32_e32 v0, 0x100, v0
	global_store_byte v1, v28, s[8:9]
	s_or_b64 exec, exec, s[0:1]
	v_cmp_gt_i32_e32 vcc, s12, v0
	s_and_saveexec_b64 s[0:1], vcc
	s_cbranch_execz .LBB123_511
.LBB123_527:
	v_add_u32_e32 v1, s2, v0
	v_add_u32_e32 v0, 0x100, v0
	global_store_byte v1, v25, s[8:9]
	s_or_b64 exec, exec, s[0:1]
	v_cmp_gt_i32_e32 vcc, s12, v0
	s_and_saveexec_b64 s[0:1], vcc
	s_cbranch_execz .LBB123_512
.LBB123_528:
	v_add_u32_e32 v1, s2, v0
	v_add_u32_e32 v0, 0x100, v0
	global_store_byte v1, v22, s[8:9]
	s_or_b64 exec, exec, s[0:1]
	v_cmp_gt_i32_e32 vcc, s12, v0
	s_and_saveexec_b64 s[0:1], vcc
	s_cbranch_execz .LBB123_513
.LBB123_529:
	v_add_u32_e32 v1, s2, v0
	v_add_u32_e32 v0, 0x100, v0
	global_store_byte v1, v19, s[8:9]
	s_or_b64 exec, exec, s[0:1]
	v_cmp_gt_i32_e32 vcc, s12, v0
	s_and_saveexec_b64 s[0:1], vcc
	s_cbranch_execz .LBB123_514
.LBB123_530:
	v_add_u32_e32 v1, s2, v0
	v_add_u32_e32 v0, 0x100, v0
	global_store_byte v1, v17, s[8:9]
	s_or_b64 exec, exec, s[0:1]
	v_cmp_gt_i32_e32 vcc, s12, v0
	s_and_saveexec_b64 s[0:1], vcc
	s_cbranch_execz .LBB123_515
.LBB123_531:
	v_add_u32_e32 v1, s2, v0
	v_add_u32_e32 v0, 0x100, v0
	global_store_byte v1, v13, s[8:9]
	s_or_b64 exec, exec, s[0:1]
	v_cmp_gt_i32_e32 vcc, s12, v0
	s_and_saveexec_b64 s[0:1], vcc
	s_cbranch_execz .LBB123_516
.LBB123_532:
	v_add_u32_e32 v1, s2, v0
	v_add_u32_e32 v0, 0x100, v0
	global_store_byte v1, v11, s[8:9]
	s_or_b64 exec, exec, s[0:1]
	v_cmp_gt_i32_e32 vcc, s12, v0
	s_and_saveexec_b64 s[0:1], vcc
	s_cbranch_execz .LBB123_517
.LBB123_533:
	v_add_u32_e32 v1, s2, v0
	v_add_u32_e32 v0, 0x100, v0
	global_store_byte v1, v8, s[8:9]
	s_or_b64 exec, exec, s[0:1]
	v_cmp_gt_i32_e32 vcc, s12, v0
	s_and_saveexec_b64 s[0:1], vcc
	s_cbranch_execnz .LBB123_518
	s_branch .LBB123_519
.LBB123_534:
	s_waitcnt vmcnt(0)
	v_cmp_lt_f16_e32 vcc, v2, v3
	s_andn2_b64 s[10:11], s[10:11], exec
	s_and_b64 s[14:15], vcc, exec
	s_or_b64 s[10:11], s[10:11], s[14:15]
	s_cbranch_execz .LBB123_499
	s_branch .LBB123_500
.LBB123_535:
	s_mov_b64 s[14:15], -1
                                        ; implicit-def: $sgpr10_sgpr11
	s_branch .LBB123_285
.LBB123_536:
	s_mov_b64 s[14:15], -1
                                        ; implicit-def: $sgpr10_sgpr11
	s_branch .LBB123_300
.LBB123_537:
	s_mov_b64 s[14:15], -1
                                        ; implicit-def: $sgpr10_sgpr11
	s_branch .LBB123_315
.LBB123_538:
	s_mov_b64 s[14:15], -1
                                        ; implicit-def: $sgpr10_sgpr11
	s_branch .LBB123_330
.LBB123_539:
	s_mov_b64 s[14:15], -1
                                        ; implicit-def: $sgpr10_sgpr11
	s_branch .LBB123_345
.LBB123_540:
	s_mov_b64 s[14:15], -1
                                        ; implicit-def: $sgpr10_sgpr11
	s_branch .LBB123_360
.LBB123_541:
	s_mov_b64 s[14:15], -1
                                        ; implicit-def: $sgpr10_sgpr11
	s_branch .LBB123_375
.LBB123_542:
	s_mov_b64 s[14:15], -1
                                        ; implicit-def: $sgpr10_sgpr11
	s_branch .LBB123_390
.LBB123_543:
	s_mov_b64 s[14:15], -1
                                        ; implicit-def: $sgpr10_sgpr11
	s_branch .LBB123_405
.LBB123_544:
	s_mov_b64 s[14:15], -1
                                        ; implicit-def: $sgpr10_sgpr11
	s_branch .LBB123_420
.LBB123_545:
	s_mov_b64 s[14:15], -1
                                        ; implicit-def: $sgpr10_sgpr11
	s_branch .LBB123_435
.LBB123_546:
	s_mov_b64 s[14:15], -1
                                        ; implicit-def: $sgpr10_sgpr11
	s_branch .LBB123_450
.LBB123_547:
	s_mov_b64 s[14:15], -1
                                        ; implicit-def: $sgpr10_sgpr11
	s_branch .LBB123_465
.LBB123_548:
	s_mov_b64 s[14:15], -1
                                        ; implicit-def: $sgpr10_sgpr11
	s_branch .LBB123_480
.LBB123_549:
	s_mov_b64 s[14:15], -1
                                        ; implicit-def: $sgpr10_sgpr11
	s_branch .LBB123_495
	.section	.rodata,"a",@progbits
	.p2align	6, 0x0
	.amdhsa_kernel _ZN2at6native29vectorized_elementwise_kernelILi2ENS0_12_GLOBAL__N_114CompareFunctorIN3c104HalfEEESt5arrayIPcLm3EEEEviT0_T1_
		.amdhsa_group_segment_fixed_size 0
		.amdhsa_private_segment_fixed_size 0
		.amdhsa_kernarg_size 32
		.amdhsa_user_sgpr_count 6
		.amdhsa_user_sgpr_private_segment_buffer 1
		.amdhsa_user_sgpr_dispatch_ptr 0
		.amdhsa_user_sgpr_queue_ptr 0
		.amdhsa_user_sgpr_kernarg_segment_ptr 1
		.amdhsa_user_sgpr_dispatch_id 0
		.amdhsa_user_sgpr_flat_scratch_init 0
		.amdhsa_user_sgpr_private_segment_size 0
		.amdhsa_uses_dynamic_stack 0
		.amdhsa_system_sgpr_private_segment_wavefront_offset 0
		.amdhsa_system_sgpr_workgroup_id_x 1
		.amdhsa_system_sgpr_workgroup_id_y 0
		.amdhsa_system_sgpr_workgroup_id_z 0
		.amdhsa_system_sgpr_workgroup_info 0
		.amdhsa_system_vgpr_workitem_id 0
		.amdhsa_next_free_vgpr 39
		.amdhsa_next_free_sgpr 50
		.amdhsa_reserve_vcc 1
		.amdhsa_reserve_flat_scratch 0
		.amdhsa_float_round_mode_32 0
		.amdhsa_float_round_mode_16_64 0
		.amdhsa_float_denorm_mode_32 3
		.amdhsa_float_denorm_mode_16_64 3
		.amdhsa_dx10_clamp 1
		.amdhsa_ieee_mode 1
		.amdhsa_fp16_overflow 0
		.amdhsa_exception_fp_ieee_invalid_op 0
		.amdhsa_exception_fp_denorm_src 0
		.amdhsa_exception_fp_ieee_div_zero 0
		.amdhsa_exception_fp_ieee_overflow 0
		.amdhsa_exception_fp_ieee_underflow 0
		.amdhsa_exception_fp_ieee_inexact 0
		.amdhsa_exception_int_div_zero 0
	.end_amdhsa_kernel
	.section	.text._ZN2at6native29vectorized_elementwise_kernelILi2ENS0_12_GLOBAL__N_114CompareFunctorIN3c104HalfEEESt5arrayIPcLm3EEEEviT0_T1_,"axG",@progbits,_ZN2at6native29vectorized_elementwise_kernelILi2ENS0_12_GLOBAL__N_114CompareFunctorIN3c104HalfEEESt5arrayIPcLm3EEEEviT0_T1_,comdat
.Lfunc_end123:
	.size	_ZN2at6native29vectorized_elementwise_kernelILi2ENS0_12_GLOBAL__N_114CompareFunctorIN3c104HalfEEESt5arrayIPcLm3EEEEviT0_T1_, .Lfunc_end123-_ZN2at6native29vectorized_elementwise_kernelILi2ENS0_12_GLOBAL__N_114CompareFunctorIN3c104HalfEEESt5arrayIPcLm3EEEEviT0_T1_
                                        ; -- End function
	.set _ZN2at6native29vectorized_elementwise_kernelILi2ENS0_12_GLOBAL__N_114CompareFunctorIN3c104HalfEEESt5arrayIPcLm3EEEEviT0_T1_.num_vgpr, 39
	.set _ZN2at6native29vectorized_elementwise_kernelILi2ENS0_12_GLOBAL__N_114CompareFunctorIN3c104HalfEEESt5arrayIPcLm3EEEEviT0_T1_.num_agpr, 0
	.set _ZN2at6native29vectorized_elementwise_kernelILi2ENS0_12_GLOBAL__N_114CompareFunctorIN3c104HalfEEESt5arrayIPcLm3EEEEviT0_T1_.numbered_sgpr, 50
	.set _ZN2at6native29vectorized_elementwise_kernelILi2ENS0_12_GLOBAL__N_114CompareFunctorIN3c104HalfEEESt5arrayIPcLm3EEEEviT0_T1_.num_named_barrier, 0
	.set _ZN2at6native29vectorized_elementwise_kernelILi2ENS0_12_GLOBAL__N_114CompareFunctorIN3c104HalfEEESt5arrayIPcLm3EEEEviT0_T1_.private_seg_size, 0
	.set _ZN2at6native29vectorized_elementwise_kernelILi2ENS0_12_GLOBAL__N_114CompareFunctorIN3c104HalfEEESt5arrayIPcLm3EEEEviT0_T1_.uses_vcc, 1
	.set _ZN2at6native29vectorized_elementwise_kernelILi2ENS0_12_GLOBAL__N_114CompareFunctorIN3c104HalfEEESt5arrayIPcLm3EEEEviT0_T1_.uses_flat_scratch, 0
	.set _ZN2at6native29vectorized_elementwise_kernelILi2ENS0_12_GLOBAL__N_114CompareFunctorIN3c104HalfEEESt5arrayIPcLm3EEEEviT0_T1_.has_dyn_sized_stack, 0
	.set _ZN2at6native29vectorized_elementwise_kernelILi2ENS0_12_GLOBAL__N_114CompareFunctorIN3c104HalfEEESt5arrayIPcLm3EEEEviT0_T1_.has_recursion, 0
	.set _ZN2at6native29vectorized_elementwise_kernelILi2ENS0_12_GLOBAL__N_114CompareFunctorIN3c104HalfEEESt5arrayIPcLm3EEEEviT0_T1_.has_indirect_call, 0
	.section	.AMDGPU.csdata,"",@progbits
; Kernel info:
; codeLenInByte = 9080
; TotalNumSgprs: 54
; NumVgprs: 39
; ScratchSize: 0
; MemoryBound: 0
; FloatMode: 240
; IeeeMode: 1
; LDSByteSize: 0 bytes/workgroup (compile time only)
; SGPRBlocks: 6
; VGPRBlocks: 9
; NumSGPRsForWavesPerEU: 54
; NumVGPRsForWavesPerEU: 39
; Occupancy: 6
; WaveLimiterHint : 1
; COMPUTE_PGM_RSRC2:SCRATCH_EN: 0
; COMPUTE_PGM_RSRC2:USER_SGPR: 6
; COMPUTE_PGM_RSRC2:TRAP_HANDLER: 0
; COMPUTE_PGM_RSRC2:TGID_X_EN: 1
; COMPUTE_PGM_RSRC2:TGID_Y_EN: 0
; COMPUTE_PGM_RSRC2:TGID_Z_EN: 0
; COMPUTE_PGM_RSRC2:TIDIG_COMP_CNT: 0
	.section	.text._ZN2at6native27unrolled_elementwise_kernelINS0_12_GLOBAL__N_114CompareFunctorIN3c104HalfEEESt5arrayIPcLm3EELi4E23TrivialOffsetCalculatorILi2EjESA_ILi1EjENS0_6memory15LoadWithoutCastENSD_16StoreWithoutCastEEEviT_T0_T2_T3_T4_T5_,"axG",@progbits,_ZN2at6native27unrolled_elementwise_kernelINS0_12_GLOBAL__N_114CompareFunctorIN3c104HalfEEESt5arrayIPcLm3EELi4E23TrivialOffsetCalculatorILi2EjESA_ILi1EjENS0_6memory15LoadWithoutCastENSD_16StoreWithoutCastEEEviT_T0_T2_T3_T4_T5_,comdat
	.globl	_ZN2at6native27unrolled_elementwise_kernelINS0_12_GLOBAL__N_114CompareFunctorIN3c104HalfEEESt5arrayIPcLm3EELi4E23TrivialOffsetCalculatorILi2EjESA_ILi1EjENS0_6memory15LoadWithoutCastENSD_16StoreWithoutCastEEEviT_T0_T2_T3_T4_T5_ ; -- Begin function _ZN2at6native27unrolled_elementwise_kernelINS0_12_GLOBAL__N_114CompareFunctorIN3c104HalfEEESt5arrayIPcLm3EELi4E23TrivialOffsetCalculatorILi2EjESA_ILi1EjENS0_6memory15LoadWithoutCastENSD_16StoreWithoutCastEEEviT_T0_T2_T3_T4_T5_
	.p2align	8
	.type	_ZN2at6native27unrolled_elementwise_kernelINS0_12_GLOBAL__N_114CompareFunctorIN3c104HalfEEESt5arrayIPcLm3EELi4E23TrivialOffsetCalculatorILi2EjESA_ILi1EjENS0_6memory15LoadWithoutCastENSD_16StoreWithoutCastEEEviT_T0_T2_T3_T4_T5_,@function
_ZN2at6native27unrolled_elementwise_kernelINS0_12_GLOBAL__N_114CompareFunctorIN3c104HalfEEESt5arrayIPcLm3EELi4E23TrivialOffsetCalculatorILi2EjESA_ILi1EjENS0_6memory15LoadWithoutCastENSD_16StoreWithoutCastEEEviT_T0_T2_T3_T4_T5_: ; @_ZN2at6native27unrolled_elementwise_kernelINS0_12_GLOBAL__N_114CompareFunctorIN3c104HalfEEESt5arrayIPcLm3EELi4E23TrivialOffsetCalculatorILi2EjESA_ILi1EjENS0_6memory15LoadWithoutCastENSD_16StoreWithoutCastEEEviT_T0_T2_T3_T4_T5_
; %bb.0:
	s_load_dwordx2 s[2:3], s[4:5], 0x0
	s_load_dwordx4 s[8:11], s[4:5], 0x8
	s_load_dwordx2 s[12:13], s[4:5], 0x18
	s_lshl_b32 s16, s6, 10
	v_mov_b32_e32 v8, 0
	s_waitcnt lgkmcnt(0)
	s_sub_i32 s2, s2, s16
	v_cmp_gt_i32_e64 s[0:1], s2, v0
	v_or_b32_e32 v1, s16, v0
	v_mov_b32_e32 v7, 0
	v_mov_b32_e32 v10, 0
	;; [unrolled: 1-line block ×3, first 2 shown]
	s_and_saveexec_b64 s[4:5], s[0:1]
	s_cbranch_execz .LBB124_2
; %bb.1:
	v_mov_b32_e32 v2, 0
	v_lshlrev_b64 v[2:3], 1, v[1:2]
	v_mov_b32_e32 v5, s11
	v_add_co_u32_e32 v4, vcc, s10, v2
	v_addc_co_u32_e32 v5, vcc, v5, v3, vcc
	v_mov_b32_e32 v6, s13
	v_add_co_u32_e32 v2, vcc, s12, v2
	v_addc_co_u32_e32 v3, vcc, v6, v3, vcc
	global_load_ushort v7, v[4:5], off
	global_load_ushort v10, v[2:3], off
	v_or_b32_e32 v4, 0x100, v0
.LBB124_2:
	s_or_b64 exec, exec, s[4:5]
	v_cmp_gt_i32_e32 vcc, s2, v4
	v_mov_b32_e32 v9, 0
	s_and_saveexec_b64 s[4:5], vcc
	s_cbranch_execz .LBB124_4
; %bb.3:
	v_add_u32_e32 v2, s16, v4
	v_mov_b32_e32 v3, 0
	v_lshlrev_b64 v[2:3], 1, v[2:3]
	v_mov_b32_e32 v6, s11
	v_add_co_u32_e32 v5, vcc, s10, v2
	v_addc_co_u32_e32 v6, vcc, v6, v3, vcc
	v_mov_b32_e32 v8, s13
	v_add_co_u32_e32 v2, vcc, s12, v2
	v_addc_co_u32_e32 v3, vcc, v8, v3, vcc
	global_load_ushort v8, v[5:6], off
	global_load_ushort v9, v[2:3], off
	v_add_u32_e32 v4, 0x100, v4
.LBB124_4:
	s_or_b64 exec, exec, s[4:5]
	v_cmp_gt_i32_e32 vcc, s2, v4
	v_mov_b32_e32 v2, 0
	v_mov_b32_e32 v5, 0
	;; [unrolled: 1-line block ×3, first 2 shown]
	s_and_saveexec_b64 s[4:5], vcc
	s_cbranch_execz .LBB124_6
; %bb.5:
	v_add_u32_e32 v5, s16, v4
	v_mov_b32_e32 v6, 0
	v_lshlrev_b64 v[5:6], 1, v[5:6]
	v_mov_b32_e32 v3, s11
	v_add_co_u32_e32 v11, vcc, s10, v5
	v_addc_co_u32_e32 v12, vcc, v3, v6, vcc
	v_mov_b32_e32 v3, s13
	v_add_co_u32_e32 v13, vcc, s12, v5
	v_addc_co_u32_e32 v14, vcc, v3, v6, vcc
	global_load_ushort v5, v[11:12], off
	global_load_ushort v6, v[13:14], off
	v_add_u32_e32 v4, 0x100, v4
.LBB124_6:
	s_or_b64 exec, exec, s[4:5]
	v_cmp_gt_i32_e32 vcc, s2, v4
	v_mov_b32_e32 v3, 0
	s_and_saveexec_b64 s[4:5], vcc
	s_cbranch_execz .LBB124_8
; %bb.7:
	v_add_u32_e32 v2, s16, v4
	v_mov_b32_e32 v3, 0
	v_lshlrev_b64 v[2:3], 1, v[2:3]
	v_mov_b32_e32 v4, s11
	v_add_co_u32_e32 v11, vcc, s10, v2
	v_addc_co_u32_e32 v12, vcc, v4, v3, vcc
	v_mov_b32_e32 v4, s13
	v_add_co_u32_e32 v13, vcc, s12, v2
	v_addc_co_u32_e32 v14, vcc, v4, v3, vcc
	global_load_ushort v2, v[11:12], off
	global_load_ushort v3, v[13:14], off
.LBB124_8:
	s_or_b64 exec, exec, s[4:5]
	v_mov_b32_e32 v4, 0
	s_and_saveexec_b64 s[4:5], s[0:1]
	s_cbranch_execz .LBB124_24
; %bb.9:
	s_cmp_lt_i32 s3, 1
	s_mov_b64 s[6:7], 0
	s_cbranch_scc1 .LBB124_13
; %bb.10:
	s_cmp_gt_i32 s3, 1
	s_cbranch_scc0 .LBB124_14
; %bb.11:
	s_cmp_eq_u32 s3, 2
	s_cbranch_scc0 .LBB124_15
; %bb.12:
	s_waitcnt vmcnt(0)
	v_cmp_le_f16_e64 s[10:11], v7, v10
	s_mov_b64 s[12:13], 0
	s_branch .LBB124_16
.LBB124_13:
                                        ; implicit-def: $sgpr10_sgpr11
	s_mov_b64 s[12:13], 0
	s_cbranch_execnz .LBB124_19
	s_branch .LBB124_20
.LBB124_14:
	s_mov_b64 s[12:13], 0
                                        ; implicit-def: $sgpr10_sgpr11
	s_cbranch_execnz .LBB124_17
	s_branch .LBB124_18
.LBB124_15:
	s_mov_b64 s[12:13], -1
                                        ; implicit-def: $sgpr10_sgpr11
.LBB124_16:
	s_branch .LBB124_18
.LBB124_17:
	s_waitcnt vmcnt(0)
	v_cmp_gt_f16_e32 vcc, v7, v10
	s_andn2_b64 s[10:11], s[10:11], exec
	s_and_b64 s[14:15], vcc, exec
	s_or_b64 s[10:11], s[10:11], s[14:15]
.LBB124_18:
	s_branch .LBB124_20
.LBB124_19:
	s_cmp_lg_u32 s3, 0
	s_mov_b64 s[6:7], -1
	s_cselect_b64 s[12:13], -1, 0
.LBB124_20:
	s_andn2_b64 vcc, exec, s[12:13]
	s_cbranch_vccz .LBB124_29
; %bb.21:
	s_andn2_b64 vcc, exec, s[6:7]
	s_cbranch_vccnz .LBB124_23
.LBB124_22:
	s_waitcnt vmcnt(0)
	v_cmp_ge_f16_e32 vcc, v7, v10
	s_andn2_b64 s[6:7], s[10:11], exec
	s_and_b64 s[10:11], vcc, exec
	s_or_b64 s[10:11], s[6:7], s[10:11]
.LBB124_23:
	v_cndmask_b32_e64 v4, 0, 1, s[10:11]
.LBB124_24:
	s_or_b64 exec, exec, s[4:5]
	s_waitcnt vmcnt(1)
	v_or_b32_e32 v7, 0x100, v0
	v_cmp_gt_i32_e32 vcc, s2, v7
	s_and_saveexec_b64 s[4:5], vcc
	s_cbranch_execz .LBB124_39
; %bb.25:
	s_cmp_lt_i32 s3, 1
	s_mov_b64 s[6:7], 0
	s_cbranch_scc1 .LBB124_30
; %bb.26:
	s_cmp_gt_i32 s3, 1
	s_cbranch_scc0 .LBB124_31
; %bb.27:
	s_cmp_eq_u32 s3, 2
	s_cbranch_scc0 .LBB124_79
; %bb.28:
	s_waitcnt vmcnt(0)
	v_cmp_le_f16_e64 s[10:11], v8, v9
	s_mov_b64 s[12:13], 0
	s_branch .LBB124_33
.LBB124_29:
	s_waitcnt vmcnt(0)
	v_cmp_lt_f16_e32 vcc, v7, v10
	s_andn2_b64 s[10:11], s[10:11], exec
	s_and_b64 s[12:13], vcc, exec
	s_or_b64 s[10:11], s[10:11], s[12:13]
	s_cbranch_execz .LBB124_22
	s_branch .LBB124_23
.LBB124_30:
                                        ; implicit-def: $sgpr10_sgpr11
	s_mov_b64 s[12:13], 0
	s_cbranch_execnz .LBB124_34
	s_branch .LBB124_35
.LBB124_31:
	s_mov_b64 s[12:13], 0
                                        ; implicit-def: $sgpr10_sgpr11
	s_cbranch_execz .LBB124_33
; %bb.32:
	s_waitcnt vmcnt(0)
	v_cmp_gt_f16_e32 vcc, v8, v9
	s_andn2_b64 s[10:11], s[10:11], exec
	s_and_b64 s[14:15], vcc, exec
	s_or_b64 s[10:11], s[10:11], s[14:15]
.LBB124_33:
	s_branch .LBB124_35
.LBB124_34:
	s_cmp_lg_u32 s3, 0
	s_mov_b64 s[6:7], -1
	s_cselect_b64 s[12:13], -1, 0
.LBB124_35:
	s_andn2_b64 vcc, exec, s[12:13]
	s_cbranch_vccz .LBB124_44
; %bb.36:
	s_andn2_b64 vcc, exec, s[6:7]
	s_cbranch_vccnz .LBB124_38
.LBB124_37:
	s_waitcnt vmcnt(0)
	v_cmp_ge_f16_e32 vcc, v8, v9
	s_andn2_b64 s[6:7], s[10:11], exec
	s_and_b64 s[10:11], vcc, exec
	s_or_b64 s[10:11], s[6:7], s[10:11]
.LBB124_38:
	v_cndmask_b32_e64 v8, 0, 1, s[10:11]
	v_lshlrev_b16_e32 v8, 8, v8
	v_or_b32_e32 v4, v4, v8
	v_and_b32_e32 v4, 0xffff, v4
.LBB124_39:
	s_or_b64 exec, exec, s[4:5]
	v_or_b32_e32 v8, 0x200, v0
	v_cmp_gt_i32_e32 vcc, s2, v8
	s_and_saveexec_b64 s[4:5], vcc
	s_cbranch_execz .LBB124_54
; %bb.40:
	s_cmp_lt_i32 s3, 1
	s_mov_b64 s[6:7], 0
	s_cbranch_scc1 .LBB124_45
; %bb.41:
	s_cmp_gt_i32 s3, 1
	s_cbranch_scc0 .LBB124_46
; %bb.42:
	s_cmp_eq_u32 s3, 2
	s_cbranch_scc0 .LBB124_80
; %bb.43:
	s_waitcnt vmcnt(0)
	v_cmp_le_f16_e64 s[10:11], v5, v6
	s_mov_b64 s[12:13], 0
	s_branch .LBB124_48
.LBB124_44:
	s_waitcnt vmcnt(0)
	v_cmp_lt_f16_e32 vcc, v8, v9
	s_andn2_b64 s[10:11], s[10:11], exec
	s_and_b64 s[12:13], vcc, exec
	s_or_b64 s[10:11], s[10:11], s[12:13]
	s_cbranch_execz .LBB124_37
	s_branch .LBB124_38
.LBB124_45:
                                        ; implicit-def: $sgpr10_sgpr11
	s_mov_b64 s[12:13], 0
	s_cbranch_execnz .LBB124_49
	s_branch .LBB124_50
.LBB124_46:
	s_mov_b64 s[12:13], 0
                                        ; implicit-def: $sgpr10_sgpr11
	s_cbranch_execz .LBB124_48
; %bb.47:
	s_waitcnt vmcnt(0)
	v_cmp_gt_f16_e32 vcc, v5, v6
	s_andn2_b64 s[10:11], s[10:11], exec
	s_and_b64 s[14:15], vcc, exec
	s_or_b64 s[10:11], s[10:11], s[14:15]
.LBB124_48:
	s_branch .LBB124_50
.LBB124_49:
	s_cmp_lg_u32 s3, 0
	s_mov_b64 s[6:7], -1
	s_cselect_b64 s[12:13], -1, 0
.LBB124_50:
	s_andn2_b64 vcc, exec, s[12:13]
	s_cbranch_vccz .LBB124_59
; %bb.51:
	s_andn2_b64 vcc, exec, s[6:7]
	s_cbranch_vccnz .LBB124_53
.LBB124_52:
	s_waitcnt vmcnt(0)
	v_cmp_ge_f16_e32 vcc, v5, v6
	s_andn2_b64 s[6:7], s[10:11], exec
	s_and_b64 s[10:11], vcc, exec
	s_or_b64 s[10:11], s[6:7], s[10:11]
.LBB124_53:
	v_cndmask_b32_e64 v5, 0, 1, s[10:11]
	v_lshl_or_b32 v4, v5, 16, v4
.LBB124_54:
	s_or_b64 exec, exec, s[4:5]
	v_or_b32_e32 v5, 0x300, v0
	v_cmp_gt_i32_e32 vcc, s2, v5
	s_and_saveexec_b64 s[4:5], vcc
	s_cbranch_execz .LBB124_69
; %bb.55:
	s_cmp_lt_i32 s3, 1
	s_mov_b64 s[6:7], 0
	s_cbranch_scc1 .LBB124_60
; %bb.56:
	s_cmp_gt_i32 s3, 1
	s_cbranch_scc0 .LBB124_61
; %bb.57:
	s_cmp_eq_u32 s3, 2
	s_cbranch_scc0 .LBB124_81
; %bb.58:
	s_waitcnt vmcnt(0)
	v_cmp_le_f16_e64 s[10:11], v2, v3
	s_mov_b64 s[12:13], 0
	s_branch .LBB124_63
.LBB124_59:
	s_waitcnt vmcnt(0)
	v_cmp_lt_f16_e32 vcc, v5, v6
	s_andn2_b64 s[10:11], s[10:11], exec
	s_and_b64 s[12:13], vcc, exec
	s_or_b64 s[10:11], s[10:11], s[12:13]
	s_cbranch_execz .LBB124_52
	s_branch .LBB124_53
.LBB124_60:
                                        ; implicit-def: $sgpr10_sgpr11
	s_mov_b64 s[12:13], 0
	s_cbranch_execnz .LBB124_64
	s_branch .LBB124_65
.LBB124_61:
	s_mov_b64 s[12:13], 0
                                        ; implicit-def: $sgpr10_sgpr11
	s_cbranch_execz .LBB124_63
; %bb.62:
	s_waitcnt vmcnt(0)
	v_cmp_gt_f16_e32 vcc, v2, v3
	s_andn2_b64 s[10:11], s[10:11], exec
	s_and_b64 s[14:15], vcc, exec
	s_or_b64 s[10:11], s[10:11], s[14:15]
.LBB124_63:
	s_branch .LBB124_65
.LBB124_64:
	s_cmp_lg_u32 s3, 0
	s_mov_b64 s[6:7], -1
	s_cselect_b64 s[12:13], -1, 0
.LBB124_65:
	s_andn2_b64 vcc, exec, s[12:13]
	s_cbranch_vccz .LBB124_78
; %bb.66:
	s_andn2_b64 vcc, exec, s[6:7]
	s_cbranch_vccnz .LBB124_68
.LBB124_67:
	s_waitcnt vmcnt(0)
	v_cmp_ge_f16_e32 vcc, v2, v3
	s_andn2_b64 s[6:7], s[10:11], exec
	s_and_b64 s[10:11], vcc, exec
	s_or_b64 s[10:11], s[6:7], s[10:11]
.LBB124_68:
	v_cndmask_b32_e64 v2, 0, 1, s[10:11]
	v_lshlrev_b16_e32 v2, 8, v2
	v_or_b32_sdwa v2, v4, v2 dst_sel:WORD_1 dst_unused:UNUSED_PAD src0_sel:WORD_1 src1_sel:DWORD
	s_mov_b32 s3, 0xffff
	v_and_or_b32 v4, v4, s3, v2
.LBB124_69:
	s_or_b64 exec, exec, s[4:5]
	s_and_saveexec_b64 s[4:5], s[0:1]
	s_xor_b64 s[0:1], exec, s[4:5]
	s_cbranch_execz .LBB124_71
; %bb.70:
	v_mov_b32_e32 v0, v7
	global_store_byte v1, v4, s[8:9]
.LBB124_71:
	s_or_b64 exec, exec, s[0:1]
	v_cmp_gt_i32_e32 vcc, s2, v0
	s_and_saveexec_b64 s[0:1], vcc
	s_cbranch_execnz .LBB124_75
; %bb.72:
	s_or_b64 exec, exec, s[0:1]
	v_cmp_gt_i32_e32 vcc, s2, v0
	s_and_saveexec_b64 s[0:1], vcc
	s_cbranch_execnz .LBB124_76
.LBB124_73:
	s_or_b64 exec, exec, s[0:1]
	v_cmp_gt_i32_e32 vcc, s2, v0
	s_and_saveexec_b64 s[0:1], vcc
	s_cbranch_execnz .LBB124_77
.LBB124_74:
	s_endpgm
.LBB124_75:
	v_add_u32_e32 v1, 0x100, v0
	v_add_u32_e32 v0, s16, v0
	v_lshrrev_b32_e32 v2, 8, v4
	global_store_byte v0, v2, s[8:9]
	v_mov_b32_e32 v0, v1
	s_or_b64 exec, exec, s[0:1]
	v_cmp_gt_i32_e32 vcc, s2, v0
	s_and_saveexec_b64 s[0:1], vcc
	s_cbranch_execz .LBB124_73
.LBB124_76:
	v_add_u32_e32 v1, 0x100, v0
	v_add_u32_e32 v0, s16, v0
	global_store_byte_d16_hi v0, v4, s[8:9]
	v_mov_b32_e32 v0, v1
	s_or_b64 exec, exec, s[0:1]
	v_cmp_gt_i32_e32 vcc, s2, v0
	s_and_saveexec_b64 s[0:1], vcc
	s_cbranch_execz .LBB124_74
.LBB124_77:
	v_add_u32_e32 v0, s16, v0
	v_lshrrev_b32_e32 v1, 24, v4
	global_store_byte v0, v1, s[8:9]
	s_endpgm
.LBB124_78:
	s_waitcnt vmcnt(0)
	v_cmp_lt_f16_e32 vcc, v2, v3
	s_andn2_b64 s[10:11], s[10:11], exec
	s_and_b64 s[12:13], vcc, exec
	s_or_b64 s[10:11], s[10:11], s[12:13]
	s_cbranch_execz .LBB124_67
	s_branch .LBB124_68
.LBB124_79:
	s_mov_b64 s[12:13], -1
                                        ; implicit-def: $sgpr10_sgpr11
	s_branch .LBB124_33
.LBB124_80:
	s_mov_b64 s[12:13], -1
                                        ; implicit-def: $sgpr10_sgpr11
	s_branch .LBB124_48
.LBB124_81:
	s_mov_b64 s[12:13], -1
                                        ; implicit-def: $sgpr10_sgpr11
	s_branch .LBB124_63
	.section	.rodata,"a",@progbits
	.p2align	6, 0x0
	.amdhsa_kernel _ZN2at6native27unrolled_elementwise_kernelINS0_12_GLOBAL__N_114CompareFunctorIN3c104HalfEEESt5arrayIPcLm3EELi4E23TrivialOffsetCalculatorILi2EjESA_ILi1EjENS0_6memory15LoadWithoutCastENSD_16StoreWithoutCastEEEviT_T0_T2_T3_T4_T5_
		.amdhsa_group_segment_fixed_size 0
		.amdhsa_private_segment_fixed_size 0
		.amdhsa_kernarg_size 36
		.amdhsa_user_sgpr_count 6
		.amdhsa_user_sgpr_private_segment_buffer 1
		.amdhsa_user_sgpr_dispatch_ptr 0
		.amdhsa_user_sgpr_queue_ptr 0
		.amdhsa_user_sgpr_kernarg_segment_ptr 1
		.amdhsa_user_sgpr_dispatch_id 0
		.amdhsa_user_sgpr_flat_scratch_init 0
		.amdhsa_user_sgpr_private_segment_size 0
		.amdhsa_uses_dynamic_stack 0
		.amdhsa_system_sgpr_private_segment_wavefront_offset 0
		.amdhsa_system_sgpr_workgroup_id_x 1
		.amdhsa_system_sgpr_workgroup_id_y 0
		.amdhsa_system_sgpr_workgroup_id_z 0
		.amdhsa_system_sgpr_workgroup_info 0
		.amdhsa_system_vgpr_workitem_id 0
		.amdhsa_next_free_vgpr 15
		.amdhsa_next_free_sgpr 17
		.amdhsa_reserve_vcc 1
		.amdhsa_reserve_flat_scratch 0
		.amdhsa_float_round_mode_32 0
		.amdhsa_float_round_mode_16_64 0
		.amdhsa_float_denorm_mode_32 3
		.amdhsa_float_denorm_mode_16_64 3
		.amdhsa_dx10_clamp 1
		.amdhsa_ieee_mode 1
		.amdhsa_fp16_overflow 0
		.amdhsa_exception_fp_ieee_invalid_op 0
		.amdhsa_exception_fp_denorm_src 0
		.amdhsa_exception_fp_ieee_div_zero 0
		.amdhsa_exception_fp_ieee_overflow 0
		.amdhsa_exception_fp_ieee_underflow 0
		.amdhsa_exception_fp_ieee_inexact 0
		.amdhsa_exception_int_div_zero 0
	.end_amdhsa_kernel
	.section	.text._ZN2at6native27unrolled_elementwise_kernelINS0_12_GLOBAL__N_114CompareFunctorIN3c104HalfEEESt5arrayIPcLm3EELi4E23TrivialOffsetCalculatorILi2EjESA_ILi1EjENS0_6memory15LoadWithoutCastENSD_16StoreWithoutCastEEEviT_T0_T2_T3_T4_T5_,"axG",@progbits,_ZN2at6native27unrolled_elementwise_kernelINS0_12_GLOBAL__N_114CompareFunctorIN3c104HalfEEESt5arrayIPcLm3EELi4E23TrivialOffsetCalculatorILi2EjESA_ILi1EjENS0_6memory15LoadWithoutCastENSD_16StoreWithoutCastEEEviT_T0_T2_T3_T4_T5_,comdat
.Lfunc_end124:
	.size	_ZN2at6native27unrolled_elementwise_kernelINS0_12_GLOBAL__N_114CompareFunctorIN3c104HalfEEESt5arrayIPcLm3EELi4E23TrivialOffsetCalculatorILi2EjESA_ILi1EjENS0_6memory15LoadWithoutCastENSD_16StoreWithoutCastEEEviT_T0_T2_T3_T4_T5_, .Lfunc_end124-_ZN2at6native27unrolled_elementwise_kernelINS0_12_GLOBAL__N_114CompareFunctorIN3c104HalfEEESt5arrayIPcLm3EELi4E23TrivialOffsetCalculatorILi2EjESA_ILi1EjENS0_6memory15LoadWithoutCastENSD_16StoreWithoutCastEEEviT_T0_T2_T3_T4_T5_
                                        ; -- End function
	.set _ZN2at6native27unrolled_elementwise_kernelINS0_12_GLOBAL__N_114CompareFunctorIN3c104HalfEEESt5arrayIPcLm3EELi4E23TrivialOffsetCalculatorILi2EjESA_ILi1EjENS0_6memory15LoadWithoutCastENSD_16StoreWithoutCastEEEviT_T0_T2_T3_T4_T5_.num_vgpr, 15
	.set _ZN2at6native27unrolled_elementwise_kernelINS0_12_GLOBAL__N_114CompareFunctorIN3c104HalfEEESt5arrayIPcLm3EELi4E23TrivialOffsetCalculatorILi2EjESA_ILi1EjENS0_6memory15LoadWithoutCastENSD_16StoreWithoutCastEEEviT_T0_T2_T3_T4_T5_.num_agpr, 0
	.set _ZN2at6native27unrolled_elementwise_kernelINS0_12_GLOBAL__N_114CompareFunctorIN3c104HalfEEESt5arrayIPcLm3EELi4E23TrivialOffsetCalculatorILi2EjESA_ILi1EjENS0_6memory15LoadWithoutCastENSD_16StoreWithoutCastEEEviT_T0_T2_T3_T4_T5_.numbered_sgpr, 17
	.set _ZN2at6native27unrolled_elementwise_kernelINS0_12_GLOBAL__N_114CompareFunctorIN3c104HalfEEESt5arrayIPcLm3EELi4E23TrivialOffsetCalculatorILi2EjESA_ILi1EjENS0_6memory15LoadWithoutCastENSD_16StoreWithoutCastEEEviT_T0_T2_T3_T4_T5_.num_named_barrier, 0
	.set _ZN2at6native27unrolled_elementwise_kernelINS0_12_GLOBAL__N_114CompareFunctorIN3c104HalfEEESt5arrayIPcLm3EELi4E23TrivialOffsetCalculatorILi2EjESA_ILi1EjENS0_6memory15LoadWithoutCastENSD_16StoreWithoutCastEEEviT_T0_T2_T3_T4_T5_.private_seg_size, 0
	.set _ZN2at6native27unrolled_elementwise_kernelINS0_12_GLOBAL__N_114CompareFunctorIN3c104HalfEEESt5arrayIPcLm3EELi4E23TrivialOffsetCalculatorILi2EjESA_ILi1EjENS0_6memory15LoadWithoutCastENSD_16StoreWithoutCastEEEviT_T0_T2_T3_T4_T5_.uses_vcc, 1
	.set _ZN2at6native27unrolled_elementwise_kernelINS0_12_GLOBAL__N_114CompareFunctorIN3c104HalfEEESt5arrayIPcLm3EELi4E23TrivialOffsetCalculatorILi2EjESA_ILi1EjENS0_6memory15LoadWithoutCastENSD_16StoreWithoutCastEEEviT_T0_T2_T3_T4_T5_.uses_flat_scratch, 0
	.set _ZN2at6native27unrolled_elementwise_kernelINS0_12_GLOBAL__N_114CompareFunctorIN3c104HalfEEESt5arrayIPcLm3EELi4E23TrivialOffsetCalculatorILi2EjESA_ILi1EjENS0_6memory15LoadWithoutCastENSD_16StoreWithoutCastEEEviT_T0_T2_T3_T4_T5_.has_dyn_sized_stack, 0
	.set _ZN2at6native27unrolled_elementwise_kernelINS0_12_GLOBAL__N_114CompareFunctorIN3c104HalfEEESt5arrayIPcLm3EELi4E23TrivialOffsetCalculatorILi2EjESA_ILi1EjENS0_6memory15LoadWithoutCastENSD_16StoreWithoutCastEEEviT_T0_T2_T3_T4_T5_.has_recursion, 0
	.set _ZN2at6native27unrolled_elementwise_kernelINS0_12_GLOBAL__N_114CompareFunctorIN3c104HalfEEESt5arrayIPcLm3EELi4E23TrivialOffsetCalculatorILi2EjESA_ILi1EjENS0_6memory15LoadWithoutCastENSD_16StoreWithoutCastEEEviT_T0_T2_T3_T4_T5_.has_indirect_call, 0
	.section	.AMDGPU.csdata,"",@progbits
; Kernel info:
; codeLenInByte = 1452
; TotalNumSgprs: 21
; NumVgprs: 15
; ScratchSize: 0
; MemoryBound: 0
; FloatMode: 240
; IeeeMode: 1
; LDSByteSize: 0 bytes/workgroup (compile time only)
; SGPRBlocks: 2
; VGPRBlocks: 3
; NumSGPRsForWavesPerEU: 21
; NumVGPRsForWavesPerEU: 15
; Occupancy: 10
; WaveLimiterHint : 0
; COMPUTE_PGM_RSRC2:SCRATCH_EN: 0
; COMPUTE_PGM_RSRC2:USER_SGPR: 6
; COMPUTE_PGM_RSRC2:TRAP_HANDLER: 0
; COMPUTE_PGM_RSRC2:TGID_X_EN: 1
; COMPUTE_PGM_RSRC2:TGID_Y_EN: 0
; COMPUTE_PGM_RSRC2:TGID_Z_EN: 0
; COMPUTE_PGM_RSRC2:TIDIG_COMP_CNT: 0
	.section	.text._ZN2at6native32elementwise_kernel_manual_unrollILi128ELi8EZNS0_22gpu_kernel_impl_nocastINS0_12_GLOBAL__N_114CompareFunctorIN3c104HalfEEEEEvRNS_18TensorIteratorBaseERKT_EUlibE_EEviT1_,"axG",@progbits,_ZN2at6native32elementwise_kernel_manual_unrollILi128ELi8EZNS0_22gpu_kernel_impl_nocastINS0_12_GLOBAL__N_114CompareFunctorIN3c104HalfEEEEEvRNS_18TensorIteratorBaseERKT_EUlibE_EEviT1_,comdat
	.globl	_ZN2at6native32elementwise_kernel_manual_unrollILi128ELi8EZNS0_22gpu_kernel_impl_nocastINS0_12_GLOBAL__N_114CompareFunctorIN3c104HalfEEEEEvRNS_18TensorIteratorBaseERKT_EUlibE_EEviT1_ ; -- Begin function _ZN2at6native32elementwise_kernel_manual_unrollILi128ELi8EZNS0_22gpu_kernel_impl_nocastINS0_12_GLOBAL__N_114CompareFunctorIN3c104HalfEEEEEvRNS_18TensorIteratorBaseERKT_EUlibE_EEviT1_
	.p2align	8
	.type	_ZN2at6native32elementwise_kernel_manual_unrollILi128ELi8EZNS0_22gpu_kernel_impl_nocastINS0_12_GLOBAL__N_114CompareFunctorIN3c104HalfEEEEEvRNS_18TensorIteratorBaseERKT_EUlibE_EEviT1_,@function
_ZN2at6native32elementwise_kernel_manual_unrollILi128ELi8EZNS0_22gpu_kernel_impl_nocastINS0_12_GLOBAL__N_114CompareFunctorIN3c104HalfEEEEEvRNS_18TensorIteratorBaseERKT_EUlibE_EEviT1_: ; @_ZN2at6native32elementwise_kernel_manual_unrollILi128ELi8EZNS0_22gpu_kernel_impl_nocastINS0_12_GLOBAL__N_114CompareFunctorIN3c104HalfEEEEEvRNS_18TensorIteratorBaseERKT_EUlibE_EEviT1_
; %bb.0:
	s_load_dword s43, s[4:5], 0x0
	s_load_dword s33, s[4:5], 0x8
	s_add_u32 s12, s4, 8
	s_addc_u32 s13, s5, 0
	v_lshl_or_b32 v21, s6, 10, v0
	v_or_b32_e32 v37, 0x380, v21
	s_waitcnt lgkmcnt(0)
	s_add_i32 s40, s33, -1
	s_cmp_gt_u32 s40, 1
	v_cmp_le_i32_e32 vcc, s43, v37
	s_cselect_b64 s[14:15], -1, 0
	s_and_saveexec_b64 s[0:1], vcc
	s_xor_b64 s[16:17], exec, s[0:1]
	s_cbranch_execz .LBB125_211
; %bb.1:
	s_load_dwordx4 s[8:11], s[12:13], 0x4
	s_load_dwordx2 s[22:23], s[12:13], 0x14
	s_load_dwordx4 s[4:7], s[12:13], 0xc4
	s_load_dwordx2 s[20:21], s[12:13], 0xd4
	s_load_dwordx2 s[18:19], s[12:13], 0x198
	s_load_dwordx4 s[0:3], s[12:13], 0x188
	s_load_dword s41, s[12:13], 0x1a0
	s_cmp_lg_u32 s33, 0
	s_cselect_b64 s[26:27], -1, 0
	s_min_u32 s42, s40, 15
	s_cmp_gt_u32 s33, 1
	s_cselect_b64 s[24:25], -1, 0
	v_cmp_gt_i32_e32 vcc, s43, v21
	s_and_saveexec_b64 s[28:29], vcc
	s_cbranch_execnz .LBB125_9
; %bb.2:
	s_or_b64 exec, exec, s[28:29]
	v_cmp_gt_i32_e32 vcc, s43, v21
	s_and_saveexec_b64 s[28:29], vcc
	s_cbranch_execnz .LBB125_35
.LBB125_3:
	s_or_b64 exec, exec, s[28:29]
	v_cmp_gt_i32_e32 vcc, s43, v21
	s_and_saveexec_b64 s[28:29], vcc
	s_cbranch_execnz .LBB125_60
.LBB125_4:
	s_or_b64 exec, exec, s[28:29]
	v_cmp_gt_i32_e32 vcc, s43, v21
	s_and_saveexec_b64 s[28:29], vcc
	s_cbranch_execnz .LBB125_85
.LBB125_5:
	s_or_b64 exec, exec, s[28:29]
	v_cmp_gt_i32_e32 vcc, s43, v21
	s_and_saveexec_b64 s[28:29], vcc
	s_cbranch_execnz .LBB125_110
.LBB125_6:
	s_or_b64 exec, exec, s[28:29]
	v_cmp_gt_i32_e32 vcc, s43, v21
	s_and_saveexec_b64 s[28:29], vcc
	s_cbranch_execnz .LBB125_135
.LBB125_7:
	s_or_b64 exec, exec, s[28:29]
	v_cmp_gt_i32_e32 vcc, s43, v21
	s_and_saveexec_b64 s[28:29], vcc
	s_cbranch_execnz .LBB125_160
.LBB125_8:
	s_or_b64 exec, exec, s[28:29]
	v_cmp_gt_i32_e32 vcc, s43, v21
	s_and_saveexec_b64 s[28:29], vcc
	s_cbranch_execnz .LBB125_185
	s_branch .LBB125_210
.LBB125_9:
	s_andn2_b64 vcc, exec, s[14:15]
	s_cbranch_vccnz .LBB125_15
; %bb.10:
	s_andn2_b64 vcc, exec, s[26:27]
	s_cbranch_vccnz .LBB125_16
; %bb.11:
	s_add_i32 s30, s42, 1
	s_and_b32 s34, s30, 30
	s_add_u32 s30, s12, 0xffffffe8
	s_addc_u32 s31, s13, -1
	v_mov_b32_e32 v2, 0
	v_mov_b32_e32 v4, 0
	;; [unrolled: 1-line block ×4, first 2 shown]
.LBB125_12:                             ; =>This Inner Loop Header: Depth=1
	s_load_dwordx4 s[36:39], s[30:31], 0x1c
	s_load_dwordx2 s[48:49], s[30:31], 0x2c
	s_load_dwordx2 s[50:51], s[30:31], 0xec
	s_load_dwordx4 s[44:47], s[30:31], 0xdc
	s_add_u32 s30, s30, 24
	s_waitcnt lgkmcnt(0)
	v_mul_hi_u32 v3, s37, v1
	s_addc_u32 s31, s31, 0
	s_add_i32 s34, s34, -2
	s_cmp_lg_u32 s34, 0
	v_add_u32_e32 v3, v1, v3
	v_lshrrev_b32_e32 v3, s38, v3
	v_mul_lo_u32 v5, v3, s36
	v_mul_hi_u32 v6, s48, v3
	v_sub_u32_e32 v5, v1, v5
	v_add_u32_e32 v1, v3, v6
	v_lshrrev_b32_e32 v1, s49, v1
	v_mul_lo_u32 v8, v1, s39
	v_mul_lo_u32 v6, v5, s44
	;; [unrolled: 1-line block ×4, first 2 shown]
	v_sub_u32_e32 v3, v3, v8
	v_mul_lo_u32 v8, v3, s47
	v_mul_lo_u32 v9, v3, s50
	;; [unrolled: 1-line block ×3, first 2 shown]
	v_add3_u32 v0, v6, v0, v8
	v_add3_u32 v4, v7, v4, v9
	;; [unrolled: 1-line block ×3, first 2 shown]
	s_cbranch_scc1 .LBB125_12
; %bb.13:
	s_bitcmp1_b32 s42, 0
	s_cselect_b64 s[34:35], -1, 0
	s_and_b64 vcc, exec, s[34:35]
	s_cbranch_vccnz .LBB125_17
; %bb.14:
	s_load_dwordx2 s[34:35], s[30:31], 0x1c
	s_load_dword s38, s[30:31], 0x24
	s_load_dwordx2 s[36:37], s[30:31], 0xdc
	s_waitcnt lgkmcnt(0)
	v_mul_hi_u32 v3, s35, v1
	v_add_u32_e32 v3, v1, v3
	v_lshrrev_b32_e32 v3, s38, v3
	v_mul_lo_u32 v3, v3, s34
	s_load_dword s34, s[30:31], 0xe4
	v_sub_u32_e32 v3, v1, v3
	v_mad_u64_u32 v[0:1], s[30:31], v3, s36, v[0:1]
	v_mad_u64_u32 v[4:5], s[30:31], v3, s37, v[4:5]
	s_waitcnt lgkmcnt(0)
	v_mad_u64_u32 v[2:3], s[30:31], v3, s34, v[2:3]
	s_cbranch_execz .LBB125_18
	s_branch .LBB125_20
.LBB125_15:
                                        ; implicit-def: $vgpr0
                                        ; implicit-def: $vgpr4
                                        ; implicit-def: $vgpr2
	s_branch .LBB125_18
.LBB125_16:
	v_mov_b32_e32 v0, 0
	v_mov_b32_e32 v4, 0
	;; [unrolled: 1-line block ×3, first 2 shown]
.LBB125_17:
	s_cbranch_execnz .LBB125_20
.LBB125_18:
	s_waitcnt lgkmcnt(0)
	v_mul_hi_u32 v0, s9, v21
	s_andn2_b64 vcc, exec, s[24:25]
	v_add_u32_e32 v0, v21, v0
	v_lshrrev_b32_e32 v1, s10, v0
	v_mul_lo_u32 v0, v1, s8
	v_sub_u32_e32 v2, v21, v0
	v_mul_lo_u32 v0, v2, s4
	v_mul_lo_u32 v4, v2, s5
	;; [unrolled: 1-line block ×3, first 2 shown]
	s_cbranch_vccnz .LBB125_20
; %bb.19:
	v_mul_hi_u32 v3, s22, v1
	v_add_u32_e32 v3, v1, v3
	v_lshrrev_b32_e32 v3, s23, v3
	v_mul_lo_u32 v3, v3, s11
	v_sub_u32_e32 v3, v1, v3
	v_mad_u64_u32 v[0:1], s[30:31], v3, s7, v[0:1]
	v_mad_u64_u32 v[4:5], s[30:31], v3, s20, v[4:5]
	;; [unrolled: 1-line block ×3, first 2 shown]
.LBB125_20:
	s_waitcnt lgkmcnt(0)
	global_load_ushort v1, v4, s[2:3]
	global_load_ushort v3, v2, s[18:19]
	s_cmp_lt_i32 s41, 1
	s_mov_b64 s[30:31], 0
	s_cbranch_scc1 .LBB125_24
; %bb.21:
	s_cmp_gt_i32 s41, 1
	s_cbranch_scc0 .LBB125_25
; %bb.22:
	s_cmp_eq_u32 s41, 2
	s_cbranch_scc0 .LBB125_26
; %bb.23:
	s_waitcnt vmcnt(0)
	v_cmp_le_f16_e64 s[34:35], v1, v3
	s_mov_b64 s[36:37], 0
	s_branch .LBB125_27
.LBB125_24:
                                        ; implicit-def: $sgpr34_sgpr35
	s_mov_b64 s[36:37], 0
	s_cbranch_execnz .LBB125_30
	s_branch .LBB125_31
.LBB125_25:
	s_mov_b64 s[36:37], 0
                                        ; implicit-def: $sgpr34_sgpr35
	s_cbranch_execnz .LBB125_28
	s_branch .LBB125_29
.LBB125_26:
	s_mov_b64 s[36:37], -1
                                        ; implicit-def: $sgpr34_sgpr35
.LBB125_27:
	s_branch .LBB125_29
.LBB125_28:
	s_waitcnt vmcnt(0)
	v_cmp_gt_f16_e32 vcc, v1, v3
	s_andn2_b64 s[34:35], s[34:35], exec
	s_and_b64 s[38:39], vcc, exec
	s_or_b64 s[34:35], s[34:35], s[38:39]
.LBB125_29:
	s_branch .LBB125_31
.LBB125_30:
	s_cmp_lg_u32 s41, 0
	s_mov_b64 s[30:31], -1
	s_cselect_b64 s[36:37], -1, 0
.LBB125_31:
	s_andn2_b64 vcc, exec, s[36:37]
	s_cbranch_vccz .LBB125_41
; %bb.32:
	s_andn2_b64 vcc, exec, s[30:31]
	s_cbranch_vccnz .LBB125_34
.LBB125_33:
	s_waitcnt vmcnt(0)
	v_cmp_ge_f16_e32 vcc, v1, v3
	s_andn2_b64 s[30:31], s[34:35], exec
	s_and_b64 s[34:35], vcc, exec
	s_or_b64 s[34:35], s[30:31], s[34:35]
.LBB125_34:
	s_waitcnt vmcnt(1)
	v_cndmask_b32_e64 v1, 0, 1, s[34:35]
	v_add_u32_e32 v21, 0x80, v21
	global_store_byte v0, v1, s[0:1]
	s_or_b64 exec, exec, s[28:29]
	v_cmp_gt_i32_e32 vcc, s43, v21
	s_and_saveexec_b64 s[28:29], vcc
	s_cbranch_execz .LBB125_3
.LBB125_35:
	s_andn2_b64 vcc, exec, s[14:15]
	s_cbranch_vccnz .LBB125_42
; %bb.36:
	s_andn2_b64 vcc, exec, s[26:27]
	s_cbranch_vccnz .LBB125_43
; %bb.37:
	s_add_i32 s30, s42, 1
	s_and_b32 s34, s30, 30
	s_add_u32 s30, s12, 0xffffffe8
	s_addc_u32 s31, s13, -1
	v_mov_b32_e32 v2, 0
	v_mov_b32_e32 v4, 0
	;; [unrolled: 1-line block ×4, first 2 shown]
.LBB125_38:                             ; =>This Inner Loop Header: Depth=1
	s_load_dwordx4 s[36:39], s[30:31], 0x1c
	s_load_dwordx2 s[48:49], s[30:31], 0x2c
	s_load_dwordx2 s[50:51], s[30:31], 0xec
	s_load_dwordx4 s[44:47], s[30:31], 0xdc
	s_add_u32 s30, s30, 24
	s_waitcnt vmcnt(1) lgkmcnt(0)
	v_mul_hi_u32 v3, s37, v1
	s_addc_u32 s31, s31, 0
	s_add_i32 s34, s34, -2
	s_cmp_eq_u32 s34, 0
	v_add_u32_e32 v3, v1, v3
	v_lshrrev_b32_e32 v3, s38, v3
	v_mul_lo_u32 v5, v3, s36
	v_mul_hi_u32 v6, s48, v3
	v_sub_u32_e32 v5, v1, v5
	v_add_u32_e32 v1, v3, v6
	v_lshrrev_b32_e32 v1, s49, v1
	v_mul_lo_u32 v8, v1, s39
	v_mul_lo_u32 v6, v5, s44
	;; [unrolled: 1-line block ×4, first 2 shown]
	v_sub_u32_e32 v3, v3, v8
	v_mul_lo_u32 v8, v3, s47
	v_mul_lo_u32 v9, v3, s50
	;; [unrolled: 1-line block ×3, first 2 shown]
	v_add3_u32 v0, v6, v0, v8
	v_add3_u32 v4, v7, v4, v9
	;; [unrolled: 1-line block ×3, first 2 shown]
	s_cbranch_scc0 .LBB125_38
; %bb.39:
	s_bitcmp1_b32 s42, 0
	s_cselect_b64 s[34:35], -1, 0
	s_and_b64 vcc, exec, s[34:35]
	s_cbranch_vccnz .LBB125_44
; %bb.40:
	s_load_dwordx2 s[34:35], s[30:31], 0x1c
	s_load_dword s38, s[30:31], 0x24
	s_load_dwordx2 s[36:37], s[30:31], 0xdc
	s_waitcnt lgkmcnt(0)
	v_mul_hi_u32 v3, s35, v1
	v_add_u32_e32 v3, v1, v3
	v_lshrrev_b32_e32 v3, s38, v3
	v_mul_lo_u32 v3, v3, s34
	s_load_dword s34, s[30:31], 0xe4
	v_sub_u32_e32 v3, v1, v3
	v_mad_u64_u32 v[0:1], s[30:31], v3, s36, v[0:1]
	v_mad_u64_u32 v[4:5], s[30:31], v3, s37, v[4:5]
	s_waitcnt lgkmcnt(0)
	v_mad_u64_u32 v[2:3], s[30:31], v3, s34, v[2:3]
	s_branch .LBB125_44
.LBB125_41:
	s_waitcnt vmcnt(0)
	v_cmp_lt_f16_e32 vcc, v1, v3
	s_andn2_b64 s[34:35], s[34:35], exec
	s_and_b64 s[36:37], vcc, exec
	s_or_b64 s[34:35], s[34:35], s[36:37]
	s_cbranch_execz .LBB125_33
	s_branch .LBB125_34
.LBB125_42:
                                        ; implicit-def: $vgpr0
                                        ; implicit-def: $vgpr4
                                        ; implicit-def: $vgpr2
	s_branch .LBB125_45
.LBB125_43:
	v_mov_b32_e32 v0, 0
	v_mov_b32_e32 v4, 0
	;; [unrolled: 1-line block ×3, first 2 shown]
.LBB125_44:
	s_cbranch_execnz .LBB125_47
.LBB125_45:
	s_waitcnt lgkmcnt(0)
	v_mul_hi_u32 v0, s9, v21
	s_andn2_b64 vcc, exec, s[24:25]
	v_add_u32_e32 v0, v21, v0
	v_lshrrev_b32_e32 v1, s10, v0
	v_mul_lo_u32 v0, v1, s8
	v_sub_u32_e32 v2, v21, v0
	v_mul_lo_u32 v0, v2, s4
	v_mul_lo_u32 v4, v2, s5
	;; [unrolled: 1-line block ×3, first 2 shown]
	s_cbranch_vccnz .LBB125_47
; %bb.46:
	s_waitcnt vmcnt(1)
	v_mul_hi_u32 v3, s22, v1
	v_add_u32_e32 v3, v1, v3
	v_lshrrev_b32_e32 v3, s23, v3
	v_mul_lo_u32 v3, v3, s11
	v_sub_u32_e32 v3, v1, v3
	v_mad_u64_u32 v[0:1], s[30:31], v3, s7, v[0:1]
	v_mad_u64_u32 v[4:5], s[30:31], v3, s20, v[4:5]
	;; [unrolled: 1-line block ×3, first 2 shown]
.LBB125_47:
	s_waitcnt lgkmcnt(0)
	global_load_ushort v1, v4, s[2:3]
	global_load_ushort v3, v2, s[18:19]
	s_cmp_lt_i32 s41, 1
	s_mov_b64 s[30:31], 0
	s_cbranch_scc1 .LBB125_51
; %bb.48:
	s_cmp_gt_i32 s41, 1
	s_cbranch_scc0 .LBB125_52
; %bb.49:
	s_cmp_eq_u32 s41, 2
	s_cbranch_scc0 .LBB125_423
; %bb.50:
	s_waitcnt vmcnt(0)
	v_cmp_le_f16_e64 s[34:35], v1, v3
	s_mov_b64 s[36:37], 0
	s_branch .LBB125_54
.LBB125_51:
                                        ; implicit-def: $sgpr34_sgpr35
	s_mov_b64 s[36:37], 0
	s_cbranch_execnz .LBB125_55
	s_branch .LBB125_56
.LBB125_52:
	s_mov_b64 s[36:37], 0
                                        ; implicit-def: $sgpr34_sgpr35
	s_cbranch_execz .LBB125_54
; %bb.53:
	s_waitcnt vmcnt(0)
	v_cmp_gt_f16_e32 vcc, v1, v3
	s_andn2_b64 s[34:35], s[34:35], exec
	s_and_b64 s[38:39], vcc, exec
	s_or_b64 s[34:35], s[34:35], s[38:39]
.LBB125_54:
	s_branch .LBB125_56
.LBB125_55:
	s_cmp_lg_u32 s41, 0
	s_mov_b64 s[30:31], -1
	s_cselect_b64 s[36:37], -1, 0
.LBB125_56:
	s_andn2_b64 vcc, exec, s[36:37]
	s_cbranch_vccz .LBB125_66
; %bb.57:
	s_andn2_b64 vcc, exec, s[30:31]
	s_cbranch_vccnz .LBB125_59
.LBB125_58:
	s_waitcnt vmcnt(0)
	v_cmp_ge_f16_e32 vcc, v1, v3
	s_andn2_b64 s[30:31], s[34:35], exec
	s_and_b64 s[34:35], vcc, exec
	s_or_b64 s[34:35], s[30:31], s[34:35]
.LBB125_59:
	s_waitcnt vmcnt(1)
	v_cndmask_b32_e64 v1, 0, 1, s[34:35]
	v_add_u32_e32 v21, 0x80, v21
	global_store_byte v0, v1, s[0:1]
	s_or_b64 exec, exec, s[28:29]
	v_cmp_gt_i32_e32 vcc, s43, v21
	s_and_saveexec_b64 s[28:29], vcc
	s_cbranch_execz .LBB125_4
.LBB125_60:
	s_andn2_b64 vcc, exec, s[14:15]
	s_cbranch_vccnz .LBB125_67
; %bb.61:
	s_andn2_b64 vcc, exec, s[26:27]
	s_cbranch_vccnz .LBB125_68
; %bb.62:
	s_add_i32 s30, s42, 1
	s_and_b32 s34, s30, 30
	s_add_u32 s30, s12, 0xffffffe8
	s_addc_u32 s31, s13, -1
	v_mov_b32_e32 v2, 0
	v_mov_b32_e32 v4, 0
	;; [unrolled: 1-line block ×4, first 2 shown]
.LBB125_63:                             ; =>This Inner Loop Header: Depth=1
	s_load_dwordx4 s[36:39], s[30:31], 0x1c
	s_load_dwordx2 s[48:49], s[30:31], 0x2c
	s_load_dwordx2 s[50:51], s[30:31], 0xec
	s_load_dwordx4 s[44:47], s[30:31], 0xdc
	s_add_u32 s30, s30, 24
	s_waitcnt vmcnt(1) lgkmcnt(0)
	v_mul_hi_u32 v3, s37, v1
	s_addc_u32 s31, s31, 0
	s_add_i32 s34, s34, -2
	s_cmp_eq_u32 s34, 0
	v_add_u32_e32 v3, v1, v3
	v_lshrrev_b32_e32 v3, s38, v3
	v_mul_lo_u32 v5, v3, s36
	v_mul_hi_u32 v6, s48, v3
	v_sub_u32_e32 v5, v1, v5
	v_add_u32_e32 v1, v3, v6
	v_lshrrev_b32_e32 v1, s49, v1
	v_mul_lo_u32 v8, v1, s39
	v_mul_lo_u32 v6, v5, s44
	;; [unrolled: 1-line block ×4, first 2 shown]
	v_sub_u32_e32 v3, v3, v8
	v_mul_lo_u32 v8, v3, s47
	v_mul_lo_u32 v9, v3, s50
	;; [unrolled: 1-line block ×3, first 2 shown]
	v_add3_u32 v0, v6, v0, v8
	v_add3_u32 v4, v7, v4, v9
	;; [unrolled: 1-line block ×3, first 2 shown]
	s_cbranch_scc0 .LBB125_63
; %bb.64:
	s_bitcmp1_b32 s42, 0
	s_cselect_b64 s[34:35], -1, 0
	s_and_b64 vcc, exec, s[34:35]
	s_cbranch_vccnz .LBB125_69
; %bb.65:
	s_load_dwordx2 s[34:35], s[30:31], 0x1c
	s_load_dword s38, s[30:31], 0x24
	s_load_dwordx2 s[36:37], s[30:31], 0xdc
	s_waitcnt lgkmcnt(0)
	v_mul_hi_u32 v3, s35, v1
	v_add_u32_e32 v3, v1, v3
	v_lshrrev_b32_e32 v3, s38, v3
	v_mul_lo_u32 v3, v3, s34
	s_load_dword s34, s[30:31], 0xe4
	v_sub_u32_e32 v3, v1, v3
	v_mad_u64_u32 v[0:1], s[30:31], v3, s36, v[0:1]
	v_mad_u64_u32 v[4:5], s[30:31], v3, s37, v[4:5]
	s_waitcnt lgkmcnt(0)
	v_mad_u64_u32 v[2:3], s[30:31], v3, s34, v[2:3]
	s_branch .LBB125_69
.LBB125_66:
	s_waitcnt vmcnt(0)
	v_cmp_lt_f16_e32 vcc, v1, v3
	s_andn2_b64 s[34:35], s[34:35], exec
	s_and_b64 s[36:37], vcc, exec
	s_or_b64 s[34:35], s[34:35], s[36:37]
	s_cbranch_execz .LBB125_58
	s_branch .LBB125_59
.LBB125_67:
                                        ; implicit-def: $vgpr0
                                        ; implicit-def: $vgpr4
                                        ; implicit-def: $vgpr2
	s_branch .LBB125_70
.LBB125_68:
	v_mov_b32_e32 v0, 0
	v_mov_b32_e32 v4, 0
	v_mov_b32_e32 v2, 0
.LBB125_69:
	s_cbranch_execnz .LBB125_72
.LBB125_70:
	s_waitcnt lgkmcnt(0)
	v_mul_hi_u32 v0, s9, v21
	s_andn2_b64 vcc, exec, s[24:25]
	v_add_u32_e32 v0, v21, v0
	v_lshrrev_b32_e32 v1, s10, v0
	v_mul_lo_u32 v0, v1, s8
	v_sub_u32_e32 v2, v21, v0
	v_mul_lo_u32 v0, v2, s4
	v_mul_lo_u32 v4, v2, s5
	;; [unrolled: 1-line block ×3, first 2 shown]
	s_cbranch_vccnz .LBB125_72
; %bb.71:
	s_waitcnt vmcnt(1)
	v_mul_hi_u32 v3, s22, v1
	v_add_u32_e32 v3, v1, v3
	v_lshrrev_b32_e32 v3, s23, v3
	v_mul_lo_u32 v3, v3, s11
	v_sub_u32_e32 v3, v1, v3
	v_mad_u64_u32 v[0:1], s[30:31], v3, s7, v[0:1]
	v_mad_u64_u32 v[4:5], s[30:31], v3, s20, v[4:5]
	;; [unrolled: 1-line block ×3, first 2 shown]
.LBB125_72:
	s_waitcnt lgkmcnt(0)
	global_load_ushort v1, v4, s[2:3]
	global_load_ushort v3, v2, s[18:19]
	s_cmp_lt_i32 s41, 1
	s_mov_b64 s[30:31], 0
	s_cbranch_scc1 .LBB125_76
; %bb.73:
	s_cmp_gt_i32 s41, 1
	s_cbranch_scc0 .LBB125_77
; %bb.74:
	s_cmp_eq_u32 s41, 2
	s_cbranch_scc0 .LBB125_424
; %bb.75:
	s_waitcnt vmcnt(0)
	v_cmp_le_f16_e64 s[34:35], v1, v3
	s_mov_b64 s[36:37], 0
	s_branch .LBB125_79
.LBB125_76:
                                        ; implicit-def: $sgpr34_sgpr35
	s_mov_b64 s[36:37], 0
	s_cbranch_execnz .LBB125_80
	s_branch .LBB125_81
.LBB125_77:
	s_mov_b64 s[36:37], 0
                                        ; implicit-def: $sgpr34_sgpr35
	s_cbranch_execz .LBB125_79
; %bb.78:
	s_waitcnt vmcnt(0)
	v_cmp_gt_f16_e32 vcc, v1, v3
	s_andn2_b64 s[34:35], s[34:35], exec
	s_and_b64 s[38:39], vcc, exec
	s_or_b64 s[34:35], s[34:35], s[38:39]
.LBB125_79:
	s_branch .LBB125_81
.LBB125_80:
	s_cmp_lg_u32 s41, 0
	s_mov_b64 s[30:31], -1
	s_cselect_b64 s[36:37], -1, 0
.LBB125_81:
	s_andn2_b64 vcc, exec, s[36:37]
	s_cbranch_vccz .LBB125_91
; %bb.82:
	s_andn2_b64 vcc, exec, s[30:31]
	s_cbranch_vccnz .LBB125_84
.LBB125_83:
	s_waitcnt vmcnt(0)
	v_cmp_ge_f16_e32 vcc, v1, v3
	s_andn2_b64 s[30:31], s[34:35], exec
	s_and_b64 s[34:35], vcc, exec
	s_or_b64 s[34:35], s[30:31], s[34:35]
.LBB125_84:
	s_waitcnt vmcnt(1)
	v_cndmask_b32_e64 v1, 0, 1, s[34:35]
	v_add_u32_e32 v21, 0x80, v21
	global_store_byte v0, v1, s[0:1]
	s_or_b64 exec, exec, s[28:29]
	v_cmp_gt_i32_e32 vcc, s43, v21
	s_and_saveexec_b64 s[28:29], vcc
	s_cbranch_execz .LBB125_5
.LBB125_85:
	s_andn2_b64 vcc, exec, s[14:15]
	s_cbranch_vccnz .LBB125_92
; %bb.86:
	s_andn2_b64 vcc, exec, s[26:27]
	s_cbranch_vccnz .LBB125_93
; %bb.87:
	s_add_i32 s30, s42, 1
	s_and_b32 s34, s30, 30
	s_add_u32 s30, s12, 0xffffffe8
	s_addc_u32 s31, s13, -1
	v_mov_b32_e32 v2, 0
	v_mov_b32_e32 v4, 0
	;; [unrolled: 1-line block ×4, first 2 shown]
.LBB125_88:                             ; =>This Inner Loop Header: Depth=1
	s_load_dwordx4 s[36:39], s[30:31], 0x1c
	s_load_dwordx2 s[48:49], s[30:31], 0x2c
	s_load_dwordx2 s[50:51], s[30:31], 0xec
	s_load_dwordx4 s[44:47], s[30:31], 0xdc
	s_add_u32 s30, s30, 24
	s_waitcnt vmcnt(1) lgkmcnt(0)
	v_mul_hi_u32 v3, s37, v1
	s_addc_u32 s31, s31, 0
	s_add_i32 s34, s34, -2
	s_cmp_eq_u32 s34, 0
	v_add_u32_e32 v3, v1, v3
	v_lshrrev_b32_e32 v3, s38, v3
	v_mul_lo_u32 v5, v3, s36
	v_mul_hi_u32 v6, s48, v3
	v_sub_u32_e32 v5, v1, v5
	v_add_u32_e32 v1, v3, v6
	v_lshrrev_b32_e32 v1, s49, v1
	v_mul_lo_u32 v8, v1, s39
	v_mul_lo_u32 v6, v5, s44
	v_mul_lo_u32 v7, v5, s45
	v_mul_lo_u32 v5, v5, s46
	v_sub_u32_e32 v3, v3, v8
	v_mul_lo_u32 v8, v3, s47
	v_mul_lo_u32 v9, v3, s50
	;; [unrolled: 1-line block ×3, first 2 shown]
	v_add3_u32 v0, v6, v0, v8
	v_add3_u32 v4, v7, v4, v9
	;; [unrolled: 1-line block ×3, first 2 shown]
	s_cbranch_scc0 .LBB125_88
; %bb.89:
	s_bitcmp1_b32 s42, 0
	s_cselect_b64 s[34:35], -1, 0
	s_and_b64 vcc, exec, s[34:35]
	s_cbranch_vccnz .LBB125_94
; %bb.90:
	s_load_dwordx2 s[34:35], s[30:31], 0x1c
	s_load_dword s38, s[30:31], 0x24
	s_load_dwordx2 s[36:37], s[30:31], 0xdc
	s_waitcnt lgkmcnt(0)
	v_mul_hi_u32 v3, s35, v1
	v_add_u32_e32 v3, v1, v3
	v_lshrrev_b32_e32 v3, s38, v3
	v_mul_lo_u32 v3, v3, s34
	s_load_dword s34, s[30:31], 0xe4
	v_sub_u32_e32 v3, v1, v3
	v_mad_u64_u32 v[0:1], s[30:31], v3, s36, v[0:1]
	v_mad_u64_u32 v[4:5], s[30:31], v3, s37, v[4:5]
	s_waitcnt lgkmcnt(0)
	v_mad_u64_u32 v[2:3], s[30:31], v3, s34, v[2:3]
	s_branch .LBB125_94
.LBB125_91:
	s_waitcnt vmcnt(0)
	v_cmp_lt_f16_e32 vcc, v1, v3
	s_andn2_b64 s[34:35], s[34:35], exec
	s_and_b64 s[36:37], vcc, exec
	s_or_b64 s[34:35], s[34:35], s[36:37]
	s_cbranch_execz .LBB125_83
	s_branch .LBB125_84
.LBB125_92:
                                        ; implicit-def: $vgpr0
                                        ; implicit-def: $vgpr4
                                        ; implicit-def: $vgpr2
	s_branch .LBB125_95
.LBB125_93:
	v_mov_b32_e32 v0, 0
	v_mov_b32_e32 v4, 0
	v_mov_b32_e32 v2, 0
.LBB125_94:
	s_cbranch_execnz .LBB125_97
.LBB125_95:
	s_waitcnt lgkmcnt(0)
	v_mul_hi_u32 v0, s9, v21
	s_andn2_b64 vcc, exec, s[24:25]
	v_add_u32_e32 v0, v21, v0
	v_lshrrev_b32_e32 v1, s10, v0
	v_mul_lo_u32 v0, v1, s8
	v_sub_u32_e32 v2, v21, v0
	v_mul_lo_u32 v0, v2, s4
	v_mul_lo_u32 v4, v2, s5
	;; [unrolled: 1-line block ×3, first 2 shown]
	s_cbranch_vccnz .LBB125_97
; %bb.96:
	s_waitcnt vmcnt(1)
	v_mul_hi_u32 v3, s22, v1
	v_add_u32_e32 v3, v1, v3
	v_lshrrev_b32_e32 v3, s23, v3
	v_mul_lo_u32 v3, v3, s11
	v_sub_u32_e32 v3, v1, v3
	v_mad_u64_u32 v[0:1], s[30:31], v3, s7, v[0:1]
	v_mad_u64_u32 v[4:5], s[30:31], v3, s20, v[4:5]
	;; [unrolled: 1-line block ×3, first 2 shown]
.LBB125_97:
	s_waitcnt lgkmcnt(0)
	global_load_ushort v1, v4, s[2:3]
	global_load_ushort v3, v2, s[18:19]
	s_cmp_lt_i32 s41, 1
	s_mov_b64 s[30:31], 0
	s_cbranch_scc1 .LBB125_101
; %bb.98:
	s_cmp_gt_i32 s41, 1
	s_cbranch_scc0 .LBB125_102
; %bb.99:
	s_cmp_eq_u32 s41, 2
	s_cbranch_scc0 .LBB125_425
; %bb.100:
	s_waitcnt vmcnt(0)
	v_cmp_le_f16_e64 s[34:35], v1, v3
	s_mov_b64 s[36:37], 0
	s_branch .LBB125_104
.LBB125_101:
                                        ; implicit-def: $sgpr34_sgpr35
	s_mov_b64 s[36:37], 0
	s_cbranch_execnz .LBB125_105
	s_branch .LBB125_106
.LBB125_102:
	s_mov_b64 s[36:37], 0
                                        ; implicit-def: $sgpr34_sgpr35
	s_cbranch_execz .LBB125_104
; %bb.103:
	s_waitcnt vmcnt(0)
	v_cmp_gt_f16_e32 vcc, v1, v3
	s_andn2_b64 s[34:35], s[34:35], exec
	s_and_b64 s[38:39], vcc, exec
	s_or_b64 s[34:35], s[34:35], s[38:39]
.LBB125_104:
	s_branch .LBB125_106
.LBB125_105:
	s_cmp_lg_u32 s41, 0
	s_mov_b64 s[30:31], -1
	s_cselect_b64 s[36:37], -1, 0
.LBB125_106:
	s_andn2_b64 vcc, exec, s[36:37]
	s_cbranch_vccz .LBB125_116
; %bb.107:
	s_andn2_b64 vcc, exec, s[30:31]
	s_cbranch_vccnz .LBB125_109
.LBB125_108:
	s_waitcnt vmcnt(0)
	v_cmp_ge_f16_e32 vcc, v1, v3
	s_andn2_b64 s[30:31], s[34:35], exec
	s_and_b64 s[34:35], vcc, exec
	s_or_b64 s[34:35], s[30:31], s[34:35]
.LBB125_109:
	s_waitcnt vmcnt(1)
	v_cndmask_b32_e64 v1, 0, 1, s[34:35]
	v_add_u32_e32 v21, 0x80, v21
	global_store_byte v0, v1, s[0:1]
	s_or_b64 exec, exec, s[28:29]
	v_cmp_gt_i32_e32 vcc, s43, v21
	s_and_saveexec_b64 s[28:29], vcc
	s_cbranch_execz .LBB125_6
.LBB125_110:
	s_andn2_b64 vcc, exec, s[14:15]
	s_cbranch_vccnz .LBB125_117
; %bb.111:
	s_andn2_b64 vcc, exec, s[26:27]
	s_cbranch_vccnz .LBB125_118
; %bb.112:
	s_add_i32 s30, s42, 1
	s_and_b32 s34, s30, 30
	s_add_u32 s30, s12, 0xffffffe8
	s_addc_u32 s31, s13, -1
	v_mov_b32_e32 v2, 0
	v_mov_b32_e32 v4, 0
	;; [unrolled: 1-line block ×4, first 2 shown]
.LBB125_113:                            ; =>This Inner Loop Header: Depth=1
	s_load_dwordx4 s[36:39], s[30:31], 0x1c
	s_load_dwordx2 s[48:49], s[30:31], 0x2c
	s_load_dwordx2 s[50:51], s[30:31], 0xec
	s_load_dwordx4 s[44:47], s[30:31], 0xdc
	s_add_u32 s30, s30, 24
	s_waitcnt vmcnt(1) lgkmcnt(0)
	v_mul_hi_u32 v3, s37, v1
	s_addc_u32 s31, s31, 0
	s_add_i32 s34, s34, -2
	s_cmp_eq_u32 s34, 0
	v_add_u32_e32 v3, v1, v3
	v_lshrrev_b32_e32 v3, s38, v3
	v_mul_lo_u32 v5, v3, s36
	v_mul_hi_u32 v6, s48, v3
	v_sub_u32_e32 v5, v1, v5
	v_add_u32_e32 v1, v3, v6
	v_lshrrev_b32_e32 v1, s49, v1
	v_mul_lo_u32 v8, v1, s39
	v_mul_lo_u32 v6, v5, s44
	;; [unrolled: 1-line block ×4, first 2 shown]
	v_sub_u32_e32 v3, v3, v8
	v_mul_lo_u32 v8, v3, s47
	v_mul_lo_u32 v9, v3, s50
	;; [unrolled: 1-line block ×3, first 2 shown]
	v_add3_u32 v0, v6, v0, v8
	v_add3_u32 v4, v7, v4, v9
	;; [unrolled: 1-line block ×3, first 2 shown]
	s_cbranch_scc0 .LBB125_113
; %bb.114:
	s_bitcmp1_b32 s42, 0
	s_cselect_b64 s[34:35], -1, 0
	s_and_b64 vcc, exec, s[34:35]
	s_cbranch_vccnz .LBB125_119
; %bb.115:
	s_load_dwordx2 s[34:35], s[30:31], 0x1c
	s_load_dword s38, s[30:31], 0x24
	s_load_dwordx2 s[36:37], s[30:31], 0xdc
	s_waitcnt lgkmcnt(0)
	v_mul_hi_u32 v3, s35, v1
	v_add_u32_e32 v3, v1, v3
	v_lshrrev_b32_e32 v3, s38, v3
	v_mul_lo_u32 v3, v3, s34
	s_load_dword s34, s[30:31], 0xe4
	v_sub_u32_e32 v3, v1, v3
	v_mad_u64_u32 v[0:1], s[30:31], v3, s36, v[0:1]
	v_mad_u64_u32 v[4:5], s[30:31], v3, s37, v[4:5]
	s_waitcnt lgkmcnt(0)
	v_mad_u64_u32 v[2:3], s[30:31], v3, s34, v[2:3]
	s_branch .LBB125_119
.LBB125_116:
	s_waitcnt vmcnt(0)
	v_cmp_lt_f16_e32 vcc, v1, v3
	s_andn2_b64 s[34:35], s[34:35], exec
	s_and_b64 s[36:37], vcc, exec
	s_or_b64 s[34:35], s[34:35], s[36:37]
	s_cbranch_execz .LBB125_108
	s_branch .LBB125_109
.LBB125_117:
                                        ; implicit-def: $vgpr0
                                        ; implicit-def: $vgpr4
                                        ; implicit-def: $vgpr2
	s_branch .LBB125_120
.LBB125_118:
	v_mov_b32_e32 v0, 0
	v_mov_b32_e32 v4, 0
	;; [unrolled: 1-line block ×3, first 2 shown]
.LBB125_119:
	s_cbranch_execnz .LBB125_122
.LBB125_120:
	s_waitcnt lgkmcnt(0)
	v_mul_hi_u32 v0, s9, v21
	s_andn2_b64 vcc, exec, s[24:25]
	v_add_u32_e32 v0, v21, v0
	v_lshrrev_b32_e32 v1, s10, v0
	v_mul_lo_u32 v0, v1, s8
	v_sub_u32_e32 v2, v21, v0
	v_mul_lo_u32 v0, v2, s4
	v_mul_lo_u32 v4, v2, s5
	;; [unrolled: 1-line block ×3, first 2 shown]
	s_cbranch_vccnz .LBB125_122
; %bb.121:
	s_waitcnt vmcnt(1)
	v_mul_hi_u32 v3, s22, v1
	v_add_u32_e32 v3, v1, v3
	v_lshrrev_b32_e32 v3, s23, v3
	v_mul_lo_u32 v3, v3, s11
	v_sub_u32_e32 v3, v1, v3
	v_mad_u64_u32 v[0:1], s[30:31], v3, s7, v[0:1]
	v_mad_u64_u32 v[4:5], s[30:31], v3, s20, v[4:5]
	;; [unrolled: 1-line block ×3, first 2 shown]
.LBB125_122:
	s_waitcnt lgkmcnt(0)
	global_load_ushort v1, v4, s[2:3]
	global_load_ushort v3, v2, s[18:19]
	s_cmp_lt_i32 s41, 1
	s_mov_b64 s[30:31], 0
	s_cbranch_scc1 .LBB125_126
; %bb.123:
	s_cmp_gt_i32 s41, 1
	s_cbranch_scc0 .LBB125_127
; %bb.124:
	s_cmp_eq_u32 s41, 2
	s_cbranch_scc0 .LBB125_426
; %bb.125:
	s_waitcnt vmcnt(0)
	v_cmp_le_f16_e64 s[34:35], v1, v3
	s_mov_b64 s[36:37], 0
	s_branch .LBB125_129
.LBB125_126:
                                        ; implicit-def: $sgpr34_sgpr35
	s_mov_b64 s[36:37], 0
	s_cbranch_execnz .LBB125_130
	s_branch .LBB125_131
.LBB125_127:
	s_mov_b64 s[36:37], 0
                                        ; implicit-def: $sgpr34_sgpr35
	s_cbranch_execz .LBB125_129
; %bb.128:
	s_waitcnt vmcnt(0)
	v_cmp_gt_f16_e32 vcc, v1, v3
	s_andn2_b64 s[34:35], s[34:35], exec
	s_and_b64 s[38:39], vcc, exec
	s_or_b64 s[34:35], s[34:35], s[38:39]
.LBB125_129:
	s_branch .LBB125_131
.LBB125_130:
	s_cmp_lg_u32 s41, 0
	s_mov_b64 s[30:31], -1
	s_cselect_b64 s[36:37], -1, 0
.LBB125_131:
	s_andn2_b64 vcc, exec, s[36:37]
	s_cbranch_vccz .LBB125_141
; %bb.132:
	s_andn2_b64 vcc, exec, s[30:31]
	s_cbranch_vccnz .LBB125_134
.LBB125_133:
	s_waitcnt vmcnt(0)
	v_cmp_ge_f16_e32 vcc, v1, v3
	s_andn2_b64 s[30:31], s[34:35], exec
	s_and_b64 s[34:35], vcc, exec
	s_or_b64 s[34:35], s[30:31], s[34:35]
.LBB125_134:
	s_waitcnt vmcnt(1)
	v_cndmask_b32_e64 v1, 0, 1, s[34:35]
	v_add_u32_e32 v21, 0x80, v21
	global_store_byte v0, v1, s[0:1]
	s_or_b64 exec, exec, s[28:29]
	v_cmp_gt_i32_e32 vcc, s43, v21
	s_and_saveexec_b64 s[28:29], vcc
	s_cbranch_execz .LBB125_7
.LBB125_135:
	s_andn2_b64 vcc, exec, s[14:15]
	s_cbranch_vccnz .LBB125_142
; %bb.136:
	s_andn2_b64 vcc, exec, s[26:27]
	s_cbranch_vccnz .LBB125_143
; %bb.137:
	s_add_i32 s30, s42, 1
	s_and_b32 s34, s30, 30
	s_add_u32 s30, s12, 0xffffffe8
	s_addc_u32 s31, s13, -1
	v_mov_b32_e32 v2, 0
	v_mov_b32_e32 v4, 0
	;; [unrolled: 1-line block ×4, first 2 shown]
.LBB125_138:                            ; =>This Inner Loop Header: Depth=1
	s_load_dwordx4 s[36:39], s[30:31], 0x1c
	s_load_dwordx2 s[48:49], s[30:31], 0x2c
	s_load_dwordx2 s[50:51], s[30:31], 0xec
	s_load_dwordx4 s[44:47], s[30:31], 0xdc
	s_add_u32 s30, s30, 24
	s_waitcnt vmcnt(1) lgkmcnt(0)
	v_mul_hi_u32 v3, s37, v1
	s_addc_u32 s31, s31, 0
	s_add_i32 s34, s34, -2
	s_cmp_eq_u32 s34, 0
	v_add_u32_e32 v3, v1, v3
	v_lshrrev_b32_e32 v3, s38, v3
	v_mul_lo_u32 v5, v3, s36
	v_mul_hi_u32 v6, s48, v3
	v_sub_u32_e32 v5, v1, v5
	v_add_u32_e32 v1, v3, v6
	v_lshrrev_b32_e32 v1, s49, v1
	v_mul_lo_u32 v8, v1, s39
	v_mul_lo_u32 v6, v5, s44
	;; [unrolled: 1-line block ×4, first 2 shown]
	v_sub_u32_e32 v3, v3, v8
	v_mul_lo_u32 v8, v3, s47
	v_mul_lo_u32 v9, v3, s50
	;; [unrolled: 1-line block ×3, first 2 shown]
	v_add3_u32 v0, v6, v0, v8
	v_add3_u32 v4, v7, v4, v9
	;; [unrolled: 1-line block ×3, first 2 shown]
	s_cbranch_scc0 .LBB125_138
; %bb.139:
	s_bitcmp1_b32 s42, 0
	s_cselect_b64 s[34:35], -1, 0
	s_and_b64 vcc, exec, s[34:35]
	s_cbranch_vccnz .LBB125_144
; %bb.140:
	s_load_dwordx2 s[34:35], s[30:31], 0x1c
	s_load_dword s38, s[30:31], 0x24
	s_load_dwordx2 s[36:37], s[30:31], 0xdc
	s_waitcnt lgkmcnt(0)
	v_mul_hi_u32 v3, s35, v1
	v_add_u32_e32 v3, v1, v3
	v_lshrrev_b32_e32 v3, s38, v3
	v_mul_lo_u32 v3, v3, s34
	s_load_dword s34, s[30:31], 0xe4
	v_sub_u32_e32 v3, v1, v3
	v_mad_u64_u32 v[0:1], s[30:31], v3, s36, v[0:1]
	v_mad_u64_u32 v[4:5], s[30:31], v3, s37, v[4:5]
	s_waitcnt lgkmcnt(0)
	v_mad_u64_u32 v[2:3], s[30:31], v3, s34, v[2:3]
	s_branch .LBB125_144
.LBB125_141:
	s_waitcnt vmcnt(0)
	v_cmp_lt_f16_e32 vcc, v1, v3
	s_andn2_b64 s[34:35], s[34:35], exec
	s_and_b64 s[36:37], vcc, exec
	s_or_b64 s[34:35], s[34:35], s[36:37]
	s_cbranch_execz .LBB125_133
	s_branch .LBB125_134
.LBB125_142:
                                        ; implicit-def: $vgpr0
                                        ; implicit-def: $vgpr4
                                        ; implicit-def: $vgpr2
	s_branch .LBB125_145
.LBB125_143:
	v_mov_b32_e32 v0, 0
	v_mov_b32_e32 v4, 0
	;; [unrolled: 1-line block ×3, first 2 shown]
.LBB125_144:
	s_cbranch_execnz .LBB125_147
.LBB125_145:
	s_waitcnt lgkmcnt(0)
	v_mul_hi_u32 v0, s9, v21
	s_andn2_b64 vcc, exec, s[24:25]
	v_add_u32_e32 v0, v21, v0
	v_lshrrev_b32_e32 v1, s10, v0
	v_mul_lo_u32 v0, v1, s8
	v_sub_u32_e32 v2, v21, v0
	v_mul_lo_u32 v0, v2, s4
	v_mul_lo_u32 v4, v2, s5
	;; [unrolled: 1-line block ×3, first 2 shown]
	s_cbranch_vccnz .LBB125_147
; %bb.146:
	s_waitcnt vmcnt(1)
	v_mul_hi_u32 v3, s22, v1
	v_add_u32_e32 v3, v1, v3
	v_lshrrev_b32_e32 v3, s23, v3
	v_mul_lo_u32 v3, v3, s11
	v_sub_u32_e32 v3, v1, v3
	v_mad_u64_u32 v[0:1], s[30:31], v3, s7, v[0:1]
	v_mad_u64_u32 v[4:5], s[30:31], v3, s20, v[4:5]
	;; [unrolled: 1-line block ×3, first 2 shown]
.LBB125_147:
	s_waitcnt lgkmcnt(0)
	global_load_ushort v1, v4, s[2:3]
	global_load_ushort v3, v2, s[18:19]
	s_cmp_lt_i32 s41, 1
	s_mov_b64 s[30:31], 0
	s_cbranch_scc1 .LBB125_151
; %bb.148:
	s_cmp_gt_i32 s41, 1
	s_cbranch_scc0 .LBB125_152
; %bb.149:
	s_cmp_eq_u32 s41, 2
	s_cbranch_scc0 .LBB125_427
; %bb.150:
	s_waitcnt vmcnt(0)
	v_cmp_le_f16_e64 s[34:35], v1, v3
	s_mov_b64 s[36:37], 0
	s_branch .LBB125_154
.LBB125_151:
                                        ; implicit-def: $sgpr34_sgpr35
	s_mov_b64 s[36:37], 0
	s_cbranch_execnz .LBB125_155
	s_branch .LBB125_156
.LBB125_152:
	s_mov_b64 s[36:37], 0
                                        ; implicit-def: $sgpr34_sgpr35
	s_cbranch_execz .LBB125_154
; %bb.153:
	s_waitcnt vmcnt(0)
	v_cmp_gt_f16_e32 vcc, v1, v3
	s_andn2_b64 s[34:35], s[34:35], exec
	s_and_b64 s[38:39], vcc, exec
	s_or_b64 s[34:35], s[34:35], s[38:39]
.LBB125_154:
	s_branch .LBB125_156
.LBB125_155:
	s_cmp_lg_u32 s41, 0
	s_mov_b64 s[30:31], -1
	s_cselect_b64 s[36:37], -1, 0
.LBB125_156:
	s_andn2_b64 vcc, exec, s[36:37]
	s_cbranch_vccz .LBB125_166
; %bb.157:
	s_andn2_b64 vcc, exec, s[30:31]
	s_cbranch_vccnz .LBB125_159
.LBB125_158:
	s_waitcnt vmcnt(0)
	v_cmp_ge_f16_e32 vcc, v1, v3
	s_andn2_b64 s[30:31], s[34:35], exec
	s_and_b64 s[34:35], vcc, exec
	s_or_b64 s[34:35], s[30:31], s[34:35]
.LBB125_159:
	s_waitcnt vmcnt(1)
	v_cndmask_b32_e64 v1, 0, 1, s[34:35]
	v_add_u32_e32 v21, 0x80, v21
	global_store_byte v0, v1, s[0:1]
	s_or_b64 exec, exec, s[28:29]
	v_cmp_gt_i32_e32 vcc, s43, v21
	s_and_saveexec_b64 s[28:29], vcc
	s_cbranch_execz .LBB125_8
.LBB125_160:
	s_andn2_b64 vcc, exec, s[14:15]
	s_cbranch_vccnz .LBB125_167
; %bb.161:
	s_andn2_b64 vcc, exec, s[26:27]
	s_cbranch_vccnz .LBB125_168
; %bb.162:
	s_add_i32 s30, s42, 1
	s_and_b32 s34, s30, 30
	s_add_u32 s30, s12, 0xffffffe8
	s_addc_u32 s31, s13, -1
	v_mov_b32_e32 v2, 0
	v_mov_b32_e32 v4, 0
	;; [unrolled: 1-line block ×4, first 2 shown]
.LBB125_163:                            ; =>This Inner Loop Header: Depth=1
	s_load_dwordx4 s[36:39], s[30:31], 0x1c
	s_load_dwordx2 s[48:49], s[30:31], 0x2c
	s_load_dwordx2 s[50:51], s[30:31], 0xec
	s_load_dwordx4 s[44:47], s[30:31], 0xdc
	s_add_u32 s30, s30, 24
	s_waitcnt vmcnt(1) lgkmcnt(0)
	v_mul_hi_u32 v3, s37, v1
	s_addc_u32 s31, s31, 0
	s_add_i32 s34, s34, -2
	s_cmp_eq_u32 s34, 0
	v_add_u32_e32 v3, v1, v3
	v_lshrrev_b32_e32 v3, s38, v3
	v_mul_lo_u32 v5, v3, s36
	v_mul_hi_u32 v6, s48, v3
	v_sub_u32_e32 v5, v1, v5
	v_add_u32_e32 v1, v3, v6
	v_lshrrev_b32_e32 v1, s49, v1
	v_mul_lo_u32 v8, v1, s39
	v_mul_lo_u32 v6, v5, s44
	;; [unrolled: 1-line block ×4, first 2 shown]
	v_sub_u32_e32 v3, v3, v8
	v_mul_lo_u32 v8, v3, s47
	v_mul_lo_u32 v9, v3, s50
	;; [unrolled: 1-line block ×3, first 2 shown]
	v_add3_u32 v0, v6, v0, v8
	v_add3_u32 v4, v7, v4, v9
	;; [unrolled: 1-line block ×3, first 2 shown]
	s_cbranch_scc0 .LBB125_163
; %bb.164:
	s_bitcmp1_b32 s42, 0
	s_cselect_b64 s[34:35], -1, 0
	s_and_b64 vcc, exec, s[34:35]
	s_cbranch_vccnz .LBB125_169
; %bb.165:
	s_load_dwordx2 s[34:35], s[30:31], 0x1c
	s_load_dword s38, s[30:31], 0x24
	s_load_dwordx2 s[36:37], s[30:31], 0xdc
	s_waitcnt lgkmcnt(0)
	v_mul_hi_u32 v3, s35, v1
	v_add_u32_e32 v3, v1, v3
	v_lshrrev_b32_e32 v3, s38, v3
	v_mul_lo_u32 v3, v3, s34
	s_load_dword s34, s[30:31], 0xe4
	v_sub_u32_e32 v3, v1, v3
	v_mad_u64_u32 v[0:1], s[30:31], v3, s36, v[0:1]
	v_mad_u64_u32 v[4:5], s[30:31], v3, s37, v[4:5]
	s_waitcnt lgkmcnt(0)
	v_mad_u64_u32 v[2:3], s[30:31], v3, s34, v[2:3]
	s_branch .LBB125_169
.LBB125_166:
	s_waitcnt vmcnt(0)
	v_cmp_lt_f16_e32 vcc, v1, v3
	s_andn2_b64 s[34:35], s[34:35], exec
	s_and_b64 s[36:37], vcc, exec
	s_or_b64 s[34:35], s[34:35], s[36:37]
	s_cbranch_execz .LBB125_158
	s_branch .LBB125_159
.LBB125_167:
                                        ; implicit-def: $vgpr0
                                        ; implicit-def: $vgpr4
                                        ; implicit-def: $vgpr2
	s_branch .LBB125_170
.LBB125_168:
	v_mov_b32_e32 v0, 0
	v_mov_b32_e32 v4, 0
	;; [unrolled: 1-line block ×3, first 2 shown]
.LBB125_169:
	s_cbranch_execnz .LBB125_172
.LBB125_170:
	s_waitcnt lgkmcnt(0)
	v_mul_hi_u32 v0, s9, v21
	s_andn2_b64 vcc, exec, s[24:25]
	v_add_u32_e32 v0, v21, v0
	v_lshrrev_b32_e32 v1, s10, v0
	v_mul_lo_u32 v0, v1, s8
	v_sub_u32_e32 v2, v21, v0
	v_mul_lo_u32 v0, v2, s4
	v_mul_lo_u32 v4, v2, s5
	;; [unrolled: 1-line block ×3, first 2 shown]
	s_cbranch_vccnz .LBB125_172
; %bb.171:
	s_waitcnt vmcnt(1)
	v_mul_hi_u32 v3, s22, v1
	v_add_u32_e32 v3, v1, v3
	v_lshrrev_b32_e32 v3, s23, v3
	v_mul_lo_u32 v3, v3, s11
	v_sub_u32_e32 v3, v1, v3
	v_mad_u64_u32 v[0:1], s[30:31], v3, s7, v[0:1]
	v_mad_u64_u32 v[4:5], s[30:31], v3, s20, v[4:5]
	;; [unrolled: 1-line block ×3, first 2 shown]
.LBB125_172:
	s_waitcnt lgkmcnt(0)
	global_load_ushort v1, v4, s[2:3]
	global_load_ushort v3, v2, s[18:19]
	s_cmp_lt_i32 s41, 1
	s_mov_b64 s[30:31], 0
	s_cbranch_scc1 .LBB125_176
; %bb.173:
	s_cmp_gt_i32 s41, 1
	s_cbranch_scc0 .LBB125_177
; %bb.174:
	s_cmp_eq_u32 s41, 2
	s_cbranch_scc0 .LBB125_428
; %bb.175:
	s_waitcnt vmcnt(0)
	v_cmp_le_f16_e64 s[34:35], v1, v3
	s_mov_b64 s[36:37], 0
	s_branch .LBB125_179
.LBB125_176:
                                        ; implicit-def: $sgpr34_sgpr35
	s_mov_b64 s[36:37], 0
	s_cbranch_execnz .LBB125_180
	s_branch .LBB125_181
.LBB125_177:
	s_mov_b64 s[36:37], 0
                                        ; implicit-def: $sgpr34_sgpr35
	s_cbranch_execz .LBB125_179
; %bb.178:
	s_waitcnt vmcnt(0)
	v_cmp_gt_f16_e32 vcc, v1, v3
	s_andn2_b64 s[34:35], s[34:35], exec
	s_and_b64 s[38:39], vcc, exec
	s_or_b64 s[34:35], s[34:35], s[38:39]
.LBB125_179:
	s_branch .LBB125_181
.LBB125_180:
	s_cmp_lg_u32 s41, 0
	s_mov_b64 s[30:31], -1
	s_cselect_b64 s[36:37], -1, 0
.LBB125_181:
	s_andn2_b64 vcc, exec, s[36:37]
	s_cbranch_vccz .LBB125_191
; %bb.182:
	s_andn2_b64 vcc, exec, s[30:31]
	s_cbranch_vccnz .LBB125_184
.LBB125_183:
	s_waitcnt vmcnt(0)
	v_cmp_ge_f16_e32 vcc, v1, v3
	s_andn2_b64 s[30:31], s[34:35], exec
	s_and_b64 s[34:35], vcc, exec
	s_or_b64 s[34:35], s[30:31], s[34:35]
.LBB125_184:
	s_waitcnt vmcnt(1)
	v_cndmask_b32_e64 v1, 0, 1, s[34:35]
	v_add_u32_e32 v21, 0x80, v21
	global_store_byte v0, v1, s[0:1]
	s_or_b64 exec, exec, s[28:29]
	v_cmp_gt_i32_e32 vcc, s43, v21
	s_and_saveexec_b64 s[28:29], vcc
	s_cbranch_execz .LBB125_210
.LBB125_185:
	s_andn2_b64 vcc, exec, s[14:15]
	s_cbranch_vccnz .LBB125_192
; %bb.186:
	s_andn2_b64 vcc, exec, s[26:27]
	s_cbranch_vccnz .LBB125_193
; %bb.187:
	s_add_i32 s26, s42, 1
	s_and_b32 s30, s26, 30
	s_add_u32 s26, s12, 0xffffffe8
	s_addc_u32 s27, s13, -1
	v_mov_b32_e32 v2, 0
	v_mov_b32_e32 v4, 0
	;; [unrolled: 1-line block ×4, first 2 shown]
.LBB125_188:                            ; =>This Inner Loop Header: Depth=1
	s_load_dwordx4 s[36:39], s[26:27], 0x1c
	s_load_dwordx2 s[34:35], s[26:27], 0x2c
	s_load_dwordx2 s[48:49], s[26:27], 0xec
	s_load_dwordx4 s[44:47], s[26:27], 0xdc
	s_add_u32 s26, s26, 24
	s_waitcnt vmcnt(1) lgkmcnt(0)
	v_mul_hi_u32 v3, s37, v1
	s_addc_u32 s27, s27, 0
	s_add_i32 s30, s30, -2
	s_cmp_eq_u32 s30, 0
	v_add_u32_e32 v3, v1, v3
	v_lshrrev_b32_e32 v3, s38, v3
	v_mul_lo_u32 v5, v3, s36
	v_mul_hi_u32 v6, s34, v3
	v_sub_u32_e32 v5, v1, v5
	v_add_u32_e32 v1, v3, v6
	v_lshrrev_b32_e32 v1, s35, v1
	v_mul_lo_u32 v8, v1, s39
	v_mul_lo_u32 v6, v5, s44
	;; [unrolled: 1-line block ×4, first 2 shown]
	v_sub_u32_e32 v3, v3, v8
	v_mul_lo_u32 v8, v3, s47
	v_mul_lo_u32 v9, v3, s48
	;; [unrolled: 1-line block ×3, first 2 shown]
	v_add3_u32 v0, v6, v0, v8
	v_add3_u32 v4, v7, v4, v9
	v_add3_u32 v2, v5, v2, v3
	s_cbranch_scc0 .LBB125_188
; %bb.189:
	s_bitcmp1_b32 s42, 0
	s_cselect_b64 s[30:31], -1, 0
	s_and_b64 vcc, exec, s[30:31]
	s_cbranch_vccnz .LBB125_194
; %bb.190:
	s_load_dwordx2 s[30:31], s[26:27], 0x1c
	s_load_dword s36, s[26:27], 0x24
	s_load_dwordx2 s[34:35], s[26:27], 0xdc
	s_waitcnt lgkmcnt(0)
	v_mul_hi_u32 v3, s31, v1
	v_add_u32_e32 v3, v1, v3
	v_lshrrev_b32_e32 v3, s36, v3
	v_mul_lo_u32 v3, v3, s30
	s_load_dword s30, s[26:27], 0xe4
	v_sub_u32_e32 v3, v1, v3
	v_mad_u64_u32 v[0:1], s[26:27], v3, s34, v[0:1]
	v_mad_u64_u32 v[4:5], s[26:27], v3, s35, v[4:5]
	s_waitcnt lgkmcnt(0)
	v_mad_u64_u32 v[2:3], s[26:27], v3, s30, v[2:3]
	s_branch .LBB125_194
.LBB125_191:
	s_waitcnt vmcnt(0)
	v_cmp_lt_f16_e32 vcc, v1, v3
	s_andn2_b64 s[34:35], s[34:35], exec
	s_and_b64 s[36:37], vcc, exec
	s_or_b64 s[34:35], s[34:35], s[36:37]
	s_cbranch_execz .LBB125_183
	s_branch .LBB125_184
.LBB125_192:
                                        ; implicit-def: $vgpr0
                                        ; implicit-def: $vgpr4
                                        ; implicit-def: $vgpr2
	s_branch .LBB125_195
.LBB125_193:
	v_mov_b32_e32 v0, 0
	v_mov_b32_e32 v4, 0
	;; [unrolled: 1-line block ×3, first 2 shown]
.LBB125_194:
	s_cbranch_execnz .LBB125_197
.LBB125_195:
	s_waitcnt lgkmcnt(0)
	v_mul_hi_u32 v0, s9, v21
	s_andn2_b64 vcc, exec, s[24:25]
	v_add_u32_e32 v0, v21, v0
	v_lshrrev_b32_e32 v1, s10, v0
	v_mul_lo_u32 v0, v1, s8
	v_sub_u32_e32 v2, v21, v0
	v_mul_lo_u32 v0, v2, s4
	v_mul_lo_u32 v4, v2, s5
	;; [unrolled: 1-line block ×3, first 2 shown]
	s_cbranch_vccnz .LBB125_197
; %bb.196:
	s_waitcnt vmcnt(1)
	v_mul_hi_u32 v3, s22, v1
	v_add_u32_e32 v3, v1, v3
	v_lshrrev_b32_e32 v3, s23, v3
	v_mul_lo_u32 v3, v3, s11
	v_sub_u32_e32 v3, v1, v3
	v_mad_u64_u32 v[0:1], s[4:5], v3, s7, v[0:1]
	v_mad_u64_u32 v[4:5], s[4:5], v3, s20, v[4:5]
	;; [unrolled: 1-line block ×3, first 2 shown]
.LBB125_197:
	s_waitcnt lgkmcnt(0)
	global_load_ushort v1, v4, s[2:3]
	global_load_ushort v3, v2, s[18:19]
	s_cmp_lt_i32 s41, 1
	s_mov_b64 s[2:3], 0
	s_cbranch_scc1 .LBB125_201
; %bb.198:
	s_cmp_gt_i32 s41, 1
	s_cbranch_scc0 .LBB125_202
; %bb.199:
	s_cmp_eq_u32 s41, 2
	s_cbranch_scc0 .LBB125_429
; %bb.200:
	s_waitcnt vmcnt(0)
	v_cmp_le_f16_e64 s[4:5], v1, v3
	s_mov_b64 s[6:7], 0
	s_branch .LBB125_204
.LBB125_201:
                                        ; implicit-def: $sgpr4_sgpr5
	s_mov_b64 s[6:7], 0
	s_cbranch_execnz .LBB125_205
	s_branch .LBB125_206
.LBB125_202:
	s_mov_b64 s[6:7], 0
                                        ; implicit-def: $sgpr4_sgpr5
	s_cbranch_execz .LBB125_204
; %bb.203:
	s_waitcnt vmcnt(0)
	v_cmp_gt_f16_e32 vcc, v1, v3
	s_andn2_b64 s[4:5], s[4:5], exec
	s_and_b64 s[8:9], vcc, exec
	s_or_b64 s[4:5], s[4:5], s[8:9]
.LBB125_204:
	s_branch .LBB125_206
.LBB125_205:
	s_cmp_lg_u32 s41, 0
	s_mov_b64 s[2:3], -1
	s_cselect_b64 s[6:7], -1, 0
.LBB125_206:
	s_andn2_b64 vcc, exec, s[6:7]
	s_cbranch_vccz .LBB125_220
; %bb.207:
	s_andn2_b64 vcc, exec, s[2:3]
	s_cbranch_vccnz .LBB125_209
.LBB125_208:
	s_waitcnt vmcnt(0)
	v_cmp_ge_f16_e32 vcc, v1, v3
	s_andn2_b64 s[2:3], s[4:5], exec
	s_and_b64 s[4:5], vcc, exec
	s_or_b64 s[4:5], s[2:3], s[4:5]
.LBB125_209:
	s_waitcnt vmcnt(1)
	v_cndmask_b32_e64 v1, 0, 1, s[4:5]
	global_store_byte v0, v1, s[0:1]
.LBB125_210:
	s_or_b64 exec, exec, s[28:29]
                                        ; implicit-def: $vgpr37
                                        ; implicit-def: $vgpr21
.LBB125_211:
	s_waitcnt lgkmcnt(0)
	s_andn2_saveexec_b64 s[0:1], s[16:17]
	s_cbranch_execz .LBB125_218
; %bb.212:
	v_cndmask_b32_e64 v0, 0, 1, s[14:15]
	v_cmp_ne_u32_e64 s[0:1], 1, v0
	s_andn2_b64 vcc, exec, s[14:15]
	s_cbranch_vccnz .LBB125_219
; %bb.213:
	s_cmp_lg_u32 s33, 0
	s_cbranch_scc0 .LBB125_221
; %bb.214:
	s_min_u32 s4, s40, 15
	s_add_i32 s2, s4, 1
	s_and_b32 s5, s2, 30
	s_add_u32 s2, s12, 0xffffffe8
	s_addc_u32 s3, s13, -1
	v_mov_b32_e32 v6, 0
	v_mov_b32_e32 v8, 0
	;; [unrolled: 1-line block ×4, first 2 shown]
.LBB125_215:                            ; =>This Inner Loop Header: Depth=1
	s_load_dwordx4 s[8:11], s[2:3], 0x1c
	s_load_dwordx2 s[6:7], s[2:3], 0x2c
	s_load_dwordx2 s[14:15], s[2:3], 0xec
	s_load_dwordx4 s[16:19], s[2:3], 0xdc
	s_add_u32 s2, s2, 24
	s_waitcnt lgkmcnt(0)
	v_mul_hi_u32 v2, s9, v1
	s_addc_u32 s3, s3, 0
	s_add_i32 s5, s5, -2
	s_cmp_lg_u32 s5, 0
	v_add_u32_e32 v2, v1, v2
	v_lshrrev_b32_e32 v2, s10, v2
	s_waitcnt vmcnt(1)
	v_mul_lo_u32 v3, v2, s8
	v_mul_hi_u32 v4, s6, v2
	v_sub_u32_e32 v3, v1, v3
	v_add_u32_e32 v1, v2, v4
	v_lshrrev_b32_e32 v1, s7, v1
	v_mul_lo_u32 v7, v1, s11
	v_mul_lo_u32 v4, v3, s16
	v_mul_lo_u32 v5, v3, s17
	v_mul_lo_u32 v3, v3, s18
	v_sub_u32_e32 v2, v2, v7
	v_mul_lo_u32 v7, v2, s19
	v_mul_lo_u32 v9, v2, s14
	;; [unrolled: 1-line block ×3, first 2 shown]
	v_add3_u32 v0, v4, v0, v7
	v_add3_u32 v8, v5, v8, v9
	;; [unrolled: 1-line block ×3, first 2 shown]
	s_cbranch_scc1 .LBB125_215
; %bb.216:
	s_bitcmp1_b32 s4, 0
	s_cselect_b64 s[4:5], -1, 0
	s_and_b64 vcc, exec, s[4:5]
	s_cbranch_vccnz .LBB125_222
; %bb.217:
	s_load_dwordx2 s[4:5], s[2:3], 0x1c
	s_load_dword s8, s[2:3], 0x24
	s_load_dwordx2 s[6:7], s[2:3], 0xdc
	s_waitcnt lgkmcnt(0)
	v_mul_hi_u32 v2, s5, v1
	v_add_u32_e32 v2, v1, v2
	v_lshrrev_b32_e32 v2, s8, v2
	v_mul_lo_u32 v2, v2, s4
	s_load_dword s4, s[2:3], 0xe4
	v_sub_u32_e32 v2, v1, v2
	v_mad_u64_u32 v[0:1], s[2:3], v2, s6, v[0:1]
	v_mad_u64_u32 v[8:9], s[2:3], v2, s7, v[8:9]
	s_waitcnt lgkmcnt(0)
	v_mad_u64_u32 v[6:7], s[2:3], v2, s4, v[6:7]
	s_cbranch_execz .LBB125_223
	s_branch .LBB125_225
.LBB125_218:
	s_endpgm
.LBB125_219:
                                        ; implicit-def: $vgpr0
                                        ; implicit-def: $vgpr8
                                        ; implicit-def: $vgpr6
	s_branch .LBB125_223
.LBB125_220:
	s_waitcnt vmcnt(0)
	v_cmp_lt_f16_e32 vcc, v1, v3
	s_andn2_b64 s[4:5], s[4:5], exec
	s_and_b64 s[6:7], vcc, exec
	s_or_b64 s[4:5], s[4:5], s[6:7]
	s_cbranch_execz .LBB125_208
	s_branch .LBB125_209
.LBB125_221:
	v_mov_b32_e32 v0, 0
	v_mov_b32_e32 v8, 0
	v_mov_b32_e32 v6, 0
.LBB125_222:
	s_cbranch_execnz .LBB125_225
.LBB125_223:
	s_load_dwordx4 s[4:7], s[12:13], 0x4
	s_load_dwordx4 s[8:11], s[12:13], 0xc4
	s_cmp_lt_u32 s33, 2
	s_waitcnt lgkmcnt(0)
	v_mul_hi_u32 v0, s5, v21
	v_add_u32_e32 v0, v21, v0
	v_lshrrev_b32_e32 v1, s6, v0
	v_mul_lo_u32 v0, v1, s4
	v_sub_u32_e32 v2, v21, v0
	v_mul_lo_u32 v0, v2, s8
	v_mul_lo_u32 v8, v2, s9
	;; [unrolled: 1-line block ×3, first 2 shown]
	s_cbranch_scc1 .LBB125_225
; %bb.224:
	s_load_dwordx4 s[4:7], s[12:13], 0x10
	s_load_dwordx4 s[8:11], s[12:13], 0xd0
	s_waitcnt lgkmcnt(0)
	v_mul_hi_u32 v2, s5, v1
	v_add_u32_e32 v2, v1, v2
	v_lshrrev_b32_e32 v2, s6, v2
	v_mul_lo_u32 v2, v2, s4
	v_sub_u32_e32 v2, v1, v2
	v_mad_u64_u32 v[0:1], s[2:3], v2, s8, v[0:1]
	v_mad_u64_u32 v[8:9], s[2:3], v2, s9, v[8:9]
	;; [unrolled: 1-line block ×3, first 2 shown]
.LBB125_225:
	s_and_b64 vcc, exec, s[0:1]
	s_waitcnt vmcnt(1)
	v_add_u32_e32 v3, 0x80, v21
	s_cbranch_vccnz .LBB125_231
; %bb.226:
	s_cmp_lg_u32 s33, 0
	s_cbranch_scc0 .LBB125_232
; %bb.227:
	s_min_u32 s4, s40, 15
	s_add_i32 s2, s4, 1
	s_and_b32 s5, s2, 30
	s_add_u32 s2, s12, 0xffffffe8
	s_addc_u32 s3, s13, -1
	v_mov_b32_e32 v9, 0
	v_mov_b32_e32 v11, 0
	;; [unrolled: 1-line block ×4, first 2 shown]
.LBB125_228:                            ; =>This Inner Loop Header: Depth=1
	s_load_dwordx4 s[8:11], s[2:3], 0x1c
	s_load_dwordx2 s[6:7], s[2:3], 0x2c
	s_load_dwordx2 s[14:15], s[2:3], 0xec
	s_load_dwordx4 s[16:19], s[2:3], 0xdc
	s_add_u32 s2, s2, 24
	s_waitcnt lgkmcnt(0)
	v_mul_hi_u32 v4, s9, v2
	s_addc_u32 s3, s3, 0
	s_add_i32 s5, s5, -2
	s_cmp_lg_u32 s5, 0
	v_add_u32_e32 v4, v2, v4
	v_lshrrev_b32_e32 v4, s10, v4
	v_mul_lo_u32 v5, v4, s8
	v_mul_hi_u32 v7, s6, v4
	v_sub_u32_e32 v5, v2, v5
	v_add_u32_e32 v2, v4, v7
	v_lshrrev_b32_e32 v2, s7, v2
	v_mul_lo_u32 v12, v2, s11
	v_mul_lo_u32 v7, v5, s16
	;; [unrolled: 1-line block ×4, first 2 shown]
	v_sub_u32_e32 v4, v4, v12
	v_mul_lo_u32 v12, v4, s19
	v_mul_lo_u32 v13, v4, s14
	;; [unrolled: 1-line block ×3, first 2 shown]
	v_add3_u32 v1, v7, v1, v12
	v_add3_u32 v11, v10, v11, v13
	;; [unrolled: 1-line block ×3, first 2 shown]
	s_cbranch_scc1 .LBB125_228
; %bb.229:
	s_bitcmp1_b32 s4, 0
	s_cselect_b64 s[4:5], -1, 0
	s_and_b64 vcc, exec, s[4:5]
	s_cbranch_vccnz .LBB125_233
; %bb.230:
	s_load_dwordx2 s[4:5], s[2:3], 0x1c
	s_load_dword s8, s[2:3], 0x24
	s_load_dwordx2 s[6:7], s[2:3], 0xdc
	s_waitcnt lgkmcnt(0)
	v_mul_hi_u32 v4, s5, v2
	v_add_u32_e32 v4, v2, v4
	v_lshrrev_b32_e32 v4, s8, v4
	v_mul_lo_u32 v4, v4, s4
	s_load_dword s4, s[2:3], 0xe4
	v_sub_u32_e32 v4, v2, v4
	v_mad_u64_u32 v[1:2], s[2:3], v4, s6, v[1:2]
	v_mad_u64_u32 v[11:12], s[2:3], v4, s7, v[11:12]
	s_waitcnt lgkmcnt(0)
	v_mad_u64_u32 v[9:10], s[2:3], v4, s4, v[9:10]
	s_cbranch_execz .LBB125_234
	s_branch .LBB125_236
.LBB125_231:
                                        ; implicit-def: $vgpr1
                                        ; implicit-def: $vgpr11
                                        ; implicit-def: $vgpr9
	s_branch .LBB125_234
.LBB125_232:
	v_mov_b32_e32 v1, 0
	v_mov_b32_e32 v11, 0
	;; [unrolled: 1-line block ×3, first 2 shown]
.LBB125_233:
	s_cbranch_execnz .LBB125_236
.LBB125_234:
	s_load_dwordx4 s[4:7], s[12:13], 0x4
	s_load_dwordx4 s[8:11], s[12:13], 0xc4
	s_cmp_lt_u32 s33, 2
	s_waitcnt lgkmcnt(0)
	v_mul_hi_u32 v1, s5, v3
	v_add_u32_e32 v1, v3, v1
	v_lshrrev_b32_e32 v2, s6, v1
	v_mul_lo_u32 v1, v2, s4
	v_sub_u32_e32 v3, v3, v1
	v_mul_lo_u32 v1, v3, s8
	v_mul_lo_u32 v11, v3, s9
	;; [unrolled: 1-line block ×3, first 2 shown]
	s_cbranch_scc1 .LBB125_236
; %bb.235:
	s_load_dwordx4 s[4:7], s[12:13], 0x10
	s_load_dwordx4 s[8:11], s[12:13], 0xd0
	s_waitcnt lgkmcnt(0)
	v_mul_hi_u32 v3, s5, v2
	v_add_u32_e32 v3, v2, v3
	v_lshrrev_b32_e32 v3, s6, v3
	v_mul_lo_u32 v3, v3, s4
	v_sub_u32_e32 v3, v2, v3
	v_mad_u64_u32 v[1:2], s[2:3], v3, s8, v[1:2]
	v_mad_u64_u32 v[11:12], s[2:3], v3, s9, v[11:12]
	;; [unrolled: 1-line block ×3, first 2 shown]
.LBB125_236:
	s_and_b64 vcc, exec, s[0:1]
	v_add_u32_e32 v4, 0x100, v21
	s_cbranch_vccnz .LBB125_242
; %bb.237:
	s_cmp_lg_u32 s33, 0
	s_cbranch_scc0 .LBB125_243
; %bb.238:
	s_min_u32 s4, s40, 15
	s_add_i32 s2, s4, 1
	s_and_b32 s5, s2, 30
	s_add_u32 s2, s12, 0xffffffe8
	s_addc_u32 s3, s13, -1
	v_mov_b32_e32 v14, 0
	v_mov_b32_e32 v16, 0
	;; [unrolled: 1-line block ×4, first 2 shown]
.LBB125_239:                            ; =>This Inner Loop Header: Depth=1
	s_load_dwordx4 s[8:11], s[2:3], 0x1c
	s_load_dwordx2 s[6:7], s[2:3], 0x2c
	s_load_dwordx2 s[14:15], s[2:3], 0xec
	s_load_dwordx4 s[16:19], s[2:3], 0xdc
	s_add_u32 s2, s2, 24
	s_waitcnt lgkmcnt(0)
	v_mul_hi_u32 v5, s9, v3
	s_addc_u32 s3, s3, 0
	s_add_i32 s5, s5, -2
	s_cmp_lg_u32 s5, 0
	v_add_u32_e32 v5, v3, v5
	v_lshrrev_b32_e32 v5, s10, v5
	v_mul_lo_u32 v7, v5, s8
	v_mul_hi_u32 v10, s6, v5
	v_sub_u32_e32 v7, v3, v7
	v_add_u32_e32 v3, v5, v10
	v_lshrrev_b32_e32 v3, s7, v3
	v_mul_lo_u32 v13, v3, s11
	v_mul_lo_u32 v10, v7, s16
	;; [unrolled: 1-line block ×4, first 2 shown]
	v_sub_u32_e32 v5, v5, v13
	v_mul_lo_u32 v13, v5, s19
	v_mul_lo_u32 v15, v5, s14
	;; [unrolled: 1-line block ×3, first 2 shown]
	v_add3_u32 v2, v10, v2, v13
	v_add3_u32 v16, v12, v16, v15
	;; [unrolled: 1-line block ×3, first 2 shown]
	s_cbranch_scc1 .LBB125_239
; %bb.240:
	s_bitcmp1_b32 s4, 0
	s_cselect_b64 s[4:5], -1, 0
	s_and_b64 vcc, exec, s[4:5]
	s_cbranch_vccnz .LBB125_244
; %bb.241:
	s_load_dwordx2 s[4:5], s[2:3], 0x1c
	s_load_dword s8, s[2:3], 0x24
	s_load_dwordx2 s[6:7], s[2:3], 0xdc
	s_waitcnt lgkmcnt(0)
	v_mul_hi_u32 v5, s5, v3
	v_add_u32_e32 v5, v3, v5
	v_lshrrev_b32_e32 v5, s8, v5
	v_mul_lo_u32 v5, v5, s4
	s_load_dword s4, s[2:3], 0xe4
	v_sub_u32_e32 v5, v3, v5
	v_mad_u64_u32 v[2:3], s[2:3], v5, s6, v[2:3]
	v_mad_u64_u32 v[16:17], s[2:3], v5, s7, v[16:17]
	s_waitcnt lgkmcnt(0)
	v_mad_u64_u32 v[14:15], s[2:3], v5, s4, v[14:15]
	s_cbranch_execz .LBB125_245
	s_branch .LBB125_247
.LBB125_242:
                                        ; implicit-def: $vgpr2
                                        ; implicit-def: $vgpr16
                                        ; implicit-def: $vgpr14
	s_branch .LBB125_245
.LBB125_243:
	v_mov_b32_e32 v2, 0
	v_mov_b32_e32 v16, 0
	;; [unrolled: 1-line block ×3, first 2 shown]
.LBB125_244:
	s_cbranch_execnz .LBB125_247
.LBB125_245:
	s_load_dwordx4 s[4:7], s[12:13], 0x4
	s_load_dwordx4 s[8:11], s[12:13], 0xc4
	s_cmp_lt_u32 s33, 2
	s_waitcnt lgkmcnt(0)
	v_mul_hi_u32 v2, s5, v4
	v_add_u32_e32 v2, v4, v2
	v_lshrrev_b32_e32 v3, s6, v2
	v_mul_lo_u32 v2, v3, s4
	v_sub_u32_e32 v4, v4, v2
	v_mul_lo_u32 v2, v4, s8
	v_mul_lo_u32 v16, v4, s9
	;; [unrolled: 1-line block ×3, first 2 shown]
	s_cbranch_scc1 .LBB125_247
; %bb.246:
	s_load_dwordx4 s[4:7], s[12:13], 0x10
	s_load_dwordx4 s[8:11], s[12:13], 0xd0
	s_waitcnt lgkmcnt(0)
	v_mul_hi_u32 v4, s5, v3
	v_add_u32_e32 v4, v3, v4
	v_lshrrev_b32_e32 v4, s6, v4
	v_mul_lo_u32 v4, v4, s4
	v_sub_u32_e32 v4, v3, v4
	v_mad_u64_u32 v[2:3], s[2:3], v4, s8, v[2:3]
	v_mad_u64_u32 v[16:17], s[2:3], v4, s9, v[16:17]
	;; [unrolled: 1-line block ×3, first 2 shown]
.LBB125_247:
	s_and_b64 vcc, exec, s[0:1]
	v_add_u32_e32 v5, 0x180, v21
	s_cbranch_vccnz .LBB125_253
; %bb.248:
	s_cmp_lg_u32 s33, 0
	s_cbranch_scc0 .LBB125_254
; %bb.249:
	s_min_u32 s4, s40, 15
	s_add_i32 s2, s4, 1
	s_and_b32 s5, s2, 30
	s_add_u32 s2, s12, 0xffffffe8
	s_addc_u32 s3, s13, -1
	v_mov_b32_e32 v17, 0
	v_mov_b32_e32 v19, 0
	;; [unrolled: 1-line block ×4, first 2 shown]
.LBB125_250:                            ; =>This Inner Loop Header: Depth=1
	s_load_dwordx4 s[8:11], s[2:3], 0x1c
	s_load_dwordx2 s[6:7], s[2:3], 0x2c
	s_load_dwordx2 s[14:15], s[2:3], 0xec
	s_load_dwordx4 s[16:19], s[2:3], 0xdc
	s_add_u32 s2, s2, 24
	s_waitcnt lgkmcnt(0)
	v_mul_hi_u32 v7, s9, v4
	s_addc_u32 s3, s3, 0
	s_add_i32 s5, s5, -2
	s_cmp_lg_u32 s5, 0
	v_add_u32_e32 v7, v4, v7
	v_lshrrev_b32_e32 v7, s10, v7
	v_mul_lo_u32 v10, v7, s8
	v_mul_hi_u32 v12, s6, v7
	v_sub_u32_e32 v10, v4, v10
	v_add_u32_e32 v4, v7, v12
	v_lshrrev_b32_e32 v4, s7, v4
	v_mul_lo_u32 v15, v4, s11
	v_mul_lo_u32 v12, v10, s16
	;; [unrolled: 1-line block ×4, first 2 shown]
	v_sub_u32_e32 v7, v7, v15
	v_mul_lo_u32 v15, v7, s19
	v_mul_lo_u32 v18, v7, s14
	;; [unrolled: 1-line block ×3, first 2 shown]
	v_add3_u32 v3, v12, v3, v15
	v_add3_u32 v19, v13, v19, v18
	v_add3_u32 v17, v10, v17, v7
	s_cbranch_scc1 .LBB125_250
; %bb.251:
	s_bitcmp1_b32 s4, 0
	s_cselect_b64 s[4:5], -1, 0
	s_and_b64 vcc, exec, s[4:5]
	s_cbranch_vccnz .LBB125_255
; %bb.252:
	s_load_dwordx2 s[4:5], s[2:3], 0x1c
	s_load_dword s8, s[2:3], 0x24
	s_load_dwordx2 s[6:7], s[2:3], 0xdc
	s_waitcnt lgkmcnt(0)
	v_mul_hi_u32 v7, s5, v4
	v_add_u32_e32 v7, v4, v7
	v_lshrrev_b32_e32 v7, s8, v7
	v_mul_lo_u32 v7, v7, s4
	s_load_dword s4, s[2:3], 0xe4
	v_sub_u32_e32 v7, v4, v7
	v_mad_u64_u32 v[3:4], s[2:3], v7, s6, v[3:4]
	v_mad_u64_u32 v[19:20], s[2:3], v7, s7, v[19:20]
	s_waitcnt lgkmcnt(0)
	v_mad_u64_u32 v[17:18], s[2:3], v7, s4, v[17:18]
	s_cbranch_execz .LBB125_256
	s_branch .LBB125_258
.LBB125_253:
                                        ; implicit-def: $vgpr3
                                        ; implicit-def: $vgpr19
                                        ; implicit-def: $vgpr17
	s_branch .LBB125_256
.LBB125_254:
	v_mov_b32_e32 v3, 0
	v_mov_b32_e32 v19, 0
	;; [unrolled: 1-line block ×3, first 2 shown]
.LBB125_255:
	s_cbranch_execnz .LBB125_258
.LBB125_256:
	s_load_dwordx4 s[4:7], s[12:13], 0x4
	s_load_dwordx4 s[8:11], s[12:13], 0xc4
	s_cmp_lt_u32 s33, 2
	s_waitcnt lgkmcnt(0)
	v_mul_hi_u32 v3, s5, v5
	v_add_u32_e32 v3, v5, v3
	v_lshrrev_b32_e32 v4, s6, v3
	v_mul_lo_u32 v3, v4, s4
	v_sub_u32_e32 v5, v5, v3
	v_mul_lo_u32 v3, v5, s8
	v_mul_lo_u32 v19, v5, s9
	;; [unrolled: 1-line block ×3, first 2 shown]
	s_cbranch_scc1 .LBB125_258
; %bb.257:
	s_load_dwordx4 s[4:7], s[12:13], 0x10
	s_load_dwordx4 s[8:11], s[12:13], 0xd0
	s_waitcnt lgkmcnt(0)
	v_mul_hi_u32 v5, s5, v4
	v_add_u32_e32 v5, v4, v5
	v_lshrrev_b32_e32 v5, s6, v5
	v_mul_lo_u32 v5, v5, s4
	v_sub_u32_e32 v5, v4, v5
	v_mad_u64_u32 v[3:4], s[2:3], v5, s8, v[3:4]
	v_mad_u64_u32 v[19:20], s[2:3], v5, s9, v[19:20]
	;; [unrolled: 1-line block ×3, first 2 shown]
.LBB125_258:
	s_and_b64 vcc, exec, s[0:1]
	v_add_u32_e32 v7, 0x200, v21
	s_cbranch_vccnz .LBB125_264
; %bb.259:
	s_cmp_lg_u32 s33, 0
	s_cbranch_scc0 .LBB125_265
; %bb.260:
	s_min_u32 s4, s40, 15
	s_add_i32 s2, s4, 1
	s_and_b32 s5, s2, 30
	s_add_u32 s2, s12, 0xffffffe8
	s_addc_u32 s3, s13, -1
	v_mov_b32_e32 v22, 0
	v_mov_b32_e32 v24, 0
	;; [unrolled: 1-line block ×4, first 2 shown]
.LBB125_261:                            ; =>This Inner Loop Header: Depth=1
	s_load_dwordx4 s[8:11], s[2:3], 0x1c
	s_load_dwordx2 s[6:7], s[2:3], 0x2c
	s_load_dwordx2 s[14:15], s[2:3], 0xec
	s_load_dwordx4 s[16:19], s[2:3], 0xdc
	s_add_u32 s2, s2, 24
	s_waitcnt lgkmcnt(0)
	v_mul_hi_u32 v10, s9, v5
	s_addc_u32 s3, s3, 0
	s_add_i32 s5, s5, -2
	s_cmp_lg_u32 s5, 0
	v_add_u32_e32 v10, v5, v10
	v_lshrrev_b32_e32 v10, s10, v10
	v_mul_lo_u32 v12, v10, s8
	v_mul_hi_u32 v13, s6, v10
	v_sub_u32_e32 v12, v5, v12
	v_add_u32_e32 v5, v10, v13
	v_lshrrev_b32_e32 v5, s7, v5
	v_mul_lo_u32 v18, v5, s11
	v_mul_lo_u32 v13, v12, s16
	;; [unrolled: 1-line block ×4, first 2 shown]
	v_sub_u32_e32 v10, v10, v18
	v_mul_lo_u32 v18, v10, s19
	v_mul_lo_u32 v20, v10, s14
	v_mul_lo_u32 v10, v10, s15
	v_add3_u32 v4, v13, v4, v18
	v_add3_u32 v24, v15, v24, v20
	;; [unrolled: 1-line block ×3, first 2 shown]
	s_cbranch_scc1 .LBB125_261
; %bb.262:
	s_bitcmp1_b32 s4, 0
	s_cselect_b64 s[4:5], -1, 0
	s_and_b64 vcc, exec, s[4:5]
	s_cbranch_vccnz .LBB125_266
; %bb.263:
	s_load_dwordx2 s[4:5], s[2:3], 0x1c
	s_load_dword s8, s[2:3], 0x24
	s_load_dwordx2 s[6:7], s[2:3], 0xdc
	s_waitcnt lgkmcnt(0)
	v_mul_hi_u32 v10, s5, v5
	v_add_u32_e32 v10, v5, v10
	v_lshrrev_b32_e32 v10, s8, v10
	v_mul_lo_u32 v10, v10, s4
	s_load_dword s4, s[2:3], 0xe4
	v_sub_u32_e32 v10, v5, v10
	v_mad_u64_u32 v[4:5], s[2:3], v10, s6, v[4:5]
	v_mad_u64_u32 v[24:25], s[2:3], v10, s7, v[24:25]
	s_waitcnt lgkmcnt(0)
	v_mad_u64_u32 v[22:23], s[2:3], v10, s4, v[22:23]
	s_cbranch_execz .LBB125_267
	s_branch .LBB125_269
.LBB125_264:
                                        ; implicit-def: $vgpr4
                                        ; implicit-def: $vgpr24
                                        ; implicit-def: $vgpr22
	s_branch .LBB125_267
.LBB125_265:
	v_mov_b32_e32 v4, 0
	v_mov_b32_e32 v24, 0
	;; [unrolled: 1-line block ×3, first 2 shown]
.LBB125_266:
	s_cbranch_execnz .LBB125_269
.LBB125_267:
	s_load_dwordx4 s[4:7], s[12:13], 0x4
	s_load_dwordx4 s[8:11], s[12:13], 0xc4
	s_cmp_lt_u32 s33, 2
	s_waitcnt lgkmcnt(0)
	v_mul_hi_u32 v4, s5, v7
	v_add_u32_e32 v4, v7, v4
	v_lshrrev_b32_e32 v5, s6, v4
	v_mul_lo_u32 v4, v5, s4
	v_sub_u32_e32 v7, v7, v4
	v_mul_lo_u32 v4, v7, s8
	v_mul_lo_u32 v24, v7, s9
	;; [unrolled: 1-line block ×3, first 2 shown]
	s_cbranch_scc1 .LBB125_269
; %bb.268:
	s_load_dwordx4 s[4:7], s[12:13], 0x10
	s_load_dwordx4 s[8:11], s[12:13], 0xd0
	s_waitcnt lgkmcnt(0)
	v_mul_hi_u32 v7, s5, v5
	v_add_u32_e32 v7, v5, v7
	v_lshrrev_b32_e32 v7, s6, v7
	v_mul_lo_u32 v7, v7, s4
	v_sub_u32_e32 v7, v5, v7
	v_mad_u64_u32 v[4:5], s[2:3], v7, s8, v[4:5]
	v_mad_u64_u32 v[24:25], s[2:3], v7, s9, v[24:25]
	;; [unrolled: 1-line block ×3, first 2 shown]
.LBB125_269:
	s_and_b64 vcc, exec, s[0:1]
	v_add_u32_e32 v5, 0x280, v21
	s_cbranch_vccnz .LBB125_275
; %bb.270:
	s_cmp_lg_u32 s33, 0
	s_cbranch_scc0 .LBB125_276
; %bb.271:
	s_min_u32 s4, s40, 15
	s_add_i32 s2, s4, 1
	s_and_b32 s5, s2, 30
	s_add_u32 s2, s12, 0xffffffe8
	s_addc_u32 s3, s13, -1
	v_mov_b32_e32 v25, 0
	v_mov_b32_e32 v27, 0
	;; [unrolled: 1-line block ×4, first 2 shown]
.LBB125_272:                            ; =>This Inner Loop Header: Depth=1
	s_load_dwordx4 s[8:11], s[2:3], 0x1c
	s_load_dwordx2 s[6:7], s[2:3], 0x2c
	s_load_dwordx2 s[14:15], s[2:3], 0xec
	s_load_dwordx4 s[16:19], s[2:3], 0xdc
	s_add_u32 s2, s2, 24
	s_waitcnt lgkmcnt(0)
	v_mul_hi_u32 v10, s9, v7
	s_addc_u32 s3, s3, 0
	s_add_i32 s5, s5, -2
	s_cmp_lg_u32 s5, 0
	v_add_u32_e32 v10, v7, v10
	v_lshrrev_b32_e32 v10, s10, v10
	v_mul_lo_u32 v13, v10, s8
	v_mul_hi_u32 v15, s6, v10
	v_sub_u32_e32 v13, v7, v13
	v_add_u32_e32 v7, v10, v15
	v_lshrrev_b32_e32 v7, s7, v7
	v_mul_lo_u32 v20, v7, s11
	v_mul_lo_u32 v15, v13, s16
	;; [unrolled: 1-line block ×4, first 2 shown]
	v_sub_u32_e32 v10, v10, v20
	v_mul_lo_u32 v20, v10, s19
	v_mul_lo_u32 v23, v10, s14
	;; [unrolled: 1-line block ×3, first 2 shown]
	v_add3_u32 v12, v15, v12, v20
	v_add3_u32 v27, v18, v27, v23
	;; [unrolled: 1-line block ×3, first 2 shown]
	s_cbranch_scc1 .LBB125_272
; %bb.273:
	s_bitcmp1_b32 s4, 0
	s_cselect_b64 s[4:5], -1, 0
	s_and_b64 vcc, exec, s[4:5]
	s_cbranch_vccnz .LBB125_277
; %bb.274:
	s_load_dwordx2 s[4:5], s[2:3], 0x1c
	s_load_dword s8, s[2:3], 0x24
	s_load_dwordx2 s[6:7], s[2:3], 0xdc
	s_waitcnt lgkmcnt(0)
	v_mul_hi_u32 v10, s5, v7
	v_add_u32_e32 v10, v7, v10
	v_lshrrev_b32_e32 v10, s8, v10
	v_mul_lo_u32 v10, v10, s4
	s_load_dword s4, s[2:3], 0xe4
	v_sub_u32_e32 v7, v7, v10
	v_mad_u64_u32 v[12:13], s[2:3], v7, s6, v[12:13]
	v_mad_u64_u32 v[27:28], s[2:3], v7, s7, v[27:28]
	s_waitcnt lgkmcnt(0)
	v_mad_u64_u32 v[25:26], s[2:3], v7, s4, v[25:26]
	s_cbranch_execz .LBB125_278
	s_branch .LBB125_280
.LBB125_275:
                                        ; implicit-def: $vgpr12
                                        ; implicit-def: $vgpr27
                                        ; implicit-def: $vgpr25
	s_branch .LBB125_278
.LBB125_276:
	v_mov_b32_e32 v12, 0
	v_mov_b32_e32 v27, 0
	;; [unrolled: 1-line block ×3, first 2 shown]
.LBB125_277:
	s_cbranch_execnz .LBB125_280
.LBB125_278:
	s_load_dwordx4 s[4:7], s[12:13], 0x4
	s_load_dwordx4 s[8:11], s[12:13], 0xc4
	s_cmp_lt_u32 s33, 2
	s_waitcnt lgkmcnt(0)
	v_mul_hi_u32 v7, s5, v5
	v_add_u32_e32 v7, v5, v7
	v_lshrrev_b32_e32 v7, s6, v7
	v_mul_lo_u32 v10, v7, s4
	v_sub_u32_e32 v5, v5, v10
	v_mul_lo_u32 v12, v5, s8
	v_mul_lo_u32 v27, v5, s9
	v_mul_lo_u32 v25, v5, s10
	s_cbranch_scc1 .LBB125_280
; %bb.279:
	s_load_dwordx4 s[4:7], s[12:13], 0x10
	s_load_dwordx4 s[8:11], s[12:13], 0xd0
	s_waitcnt lgkmcnt(0)
	v_mul_hi_u32 v5, s5, v7
	v_add_u32_e32 v5, v7, v5
	v_lshrrev_b32_e32 v5, s6, v5
	v_mul_lo_u32 v5, v5, s4
	v_sub_u32_e32 v5, v7, v5
	v_mad_u64_u32 v[12:13], s[2:3], v5, s8, v[12:13]
	v_mad_u64_u32 v[27:28], s[2:3], v5, s9, v[27:28]
	;; [unrolled: 1-line block ×3, first 2 shown]
.LBB125_280:
	s_and_b64 vcc, exec, s[0:1]
	v_add_u32_e32 v5, 0x300, v21
	s_cbranch_vccnz .LBB125_286
; %bb.281:
	s_cmp_lg_u32 s33, 0
	s_cbranch_scc0 .LBB125_287
; %bb.282:
	s_min_u32 s4, s40, 15
	s_add_i32 s2, s4, 1
	s_and_b32 s5, s2, 30
	s_add_u32 s2, s12, 0xffffffe8
	s_addc_u32 s3, s13, -1
	v_mov_b32_e32 v30, 0
	v_mov_b32_e32 v32, 0
	;; [unrolled: 1-line block ×4, first 2 shown]
.LBB125_283:                            ; =>This Inner Loop Header: Depth=1
	s_load_dwordx4 s[8:11], s[2:3], 0x1c
	s_load_dwordx2 s[6:7], s[2:3], 0x2c
	s_load_dwordx2 s[14:15], s[2:3], 0xec
	s_load_dwordx4 s[16:19], s[2:3], 0xdc
	s_add_u32 s2, s2, 24
	s_waitcnt lgkmcnt(0)
	v_mul_hi_u32 v10, s9, v7
	s_addc_u32 s3, s3, 0
	s_add_i32 s5, s5, -2
	s_cmp_lg_u32 s5, 0
	v_add_u32_e32 v10, v7, v10
	v_lshrrev_b32_e32 v10, s10, v10
	v_mul_lo_u32 v13, v10, s8
	v_mul_hi_u32 v15, s6, v10
	v_sub_u32_e32 v13, v7, v13
	v_add_u32_e32 v7, v10, v15
	v_lshrrev_b32_e32 v7, s7, v7
	v_mul_lo_u32 v21, v7, s11
	v_mul_lo_u32 v15, v13, s16
	;; [unrolled: 1-line block ×4, first 2 shown]
	v_sub_u32_e32 v10, v10, v21
	v_mul_lo_u32 v21, v10, s19
	v_mul_lo_u32 v23, v10, s14
	;; [unrolled: 1-line block ×3, first 2 shown]
	v_add3_u32 v20, v15, v20, v21
	v_add3_u32 v32, v18, v32, v23
	;; [unrolled: 1-line block ×3, first 2 shown]
	s_cbranch_scc1 .LBB125_283
; %bb.284:
	s_bitcmp1_b32 s4, 0
	s_cselect_b64 s[4:5], -1, 0
	s_and_b64 vcc, exec, s[4:5]
	s_cbranch_vccnz .LBB125_288
; %bb.285:
	s_load_dwordx2 s[4:5], s[2:3], 0x1c
	s_load_dword s8, s[2:3], 0x24
	s_load_dwordx2 s[6:7], s[2:3], 0xdc
	s_waitcnt lgkmcnt(0)
	v_mul_hi_u32 v10, s5, v7
	v_add_u32_e32 v10, v7, v10
	v_lshrrev_b32_e32 v10, s8, v10
	v_mul_lo_u32 v10, v10, s4
	s_load_dword s4, s[2:3], 0xe4
	v_sub_u32_e32 v7, v7, v10
	v_mad_u64_u32 v[20:21], s[2:3], v7, s6, v[20:21]
	v_mad_u64_u32 v[32:33], s[2:3], v7, s7, v[32:33]
	s_waitcnt lgkmcnt(0)
	v_mad_u64_u32 v[30:31], s[2:3], v7, s4, v[30:31]
	s_cbranch_execz .LBB125_289
	s_branch .LBB125_291
.LBB125_286:
                                        ; implicit-def: $vgpr20
                                        ; implicit-def: $vgpr32
                                        ; implicit-def: $vgpr30
	s_branch .LBB125_289
.LBB125_287:
	v_mov_b32_e32 v20, 0
	v_mov_b32_e32 v32, 0
	;; [unrolled: 1-line block ×3, first 2 shown]
.LBB125_288:
	s_cbranch_execnz .LBB125_291
.LBB125_289:
	s_load_dwordx4 s[4:7], s[12:13], 0x4
	s_load_dwordx4 s[8:11], s[12:13], 0xc4
	s_cmp_lt_u32 s33, 2
	s_waitcnt lgkmcnt(0)
	v_mul_hi_u32 v7, s5, v5
	v_add_u32_e32 v7, v5, v7
	v_lshrrev_b32_e32 v7, s6, v7
	v_mul_lo_u32 v10, v7, s4
	v_sub_u32_e32 v5, v5, v10
	v_mul_lo_u32 v20, v5, s8
	v_mul_lo_u32 v32, v5, s9
	;; [unrolled: 1-line block ×3, first 2 shown]
	s_cbranch_scc1 .LBB125_291
; %bb.290:
	s_load_dwordx4 s[4:7], s[12:13], 0x10
	s_load_dwordx4 s[8:11], s[12:13], 0xd0
	s_waitcnt lgkmcnt(0)
	v_mul_hi_u32 v5, s5, v7
	v_add_u32_e32 v5, v7, v5
	v_lshrrev_b32_e32 v5, s6, v5
	v_mul_lo_u32 v5, v5, s4
	v_sub_u32_e32 v5, v7, v5
	v_mad_u64_u32 v[20:21], s[2:3], v5, s8, v[20:21]
	v_mad_u64_u32 v[32:33], s[2:3], v5, s9, v[32:33]
	;; [unrolled: 1-line block ×3, first 2 shown]
.LBB125_291:
	s_and_b64 vcc, exec, s[0:1]
	s_cbranch_vccnz .LBB125_297
; %bb.292:
	s_cmp_lg_u32 s33, 0
	s_cbranch_scc0 .LBB125_298
; %bb.293:
	s_min_u32 s2, s40, 15
	s_add_i32 s0, s2, 1
	s_and_b32 s3, s0, 30
	s_add_u32 s0, s12, 0xffffffe8
	s_addc_u32 s1, s13, -1
	v_mov_b32_e32 v35, 0
	v_mov_b32_e32 v33, 0
	;; [unrolled: 1-line block ×4, first 2 shown]
.LBB125_294:                            ; =>This Inner Loop Header: Depth=1
	s_load_dwordx4 s[4:7], s[0:1], 0x1c
	s_load_dwordx2 s[14:15], s[0:1], 0x2c
	s_load_dwordx2 s[16:17], s[0:1], 0xec
	s_load_dwordx4 s[8:11], s[0:1], 0xdc
	s_add_u32 s0, s0, 24
	s_waitcnt lgkmcnt(0)
	v_mul_hi_u32 v7, s5, v5
	s_addc_u32 s1, s1, 0
	s_add_i32 s3, s3, -2
	s_cmp_lg_u32 s3, 0
	v_add_u32_e32 v7, v5, v7
	v_lshrrev_b32_e32 v7, s6, v7
	v_mul_lo_u32 v10, v7, s4
	v_mul_hi_u32 v13, s14, v7
	v_sub_u32_e32 v10, v5, v10
	v_add_u32_e32 v5, v7, v13
	v_lshrrev_b32_e32 v5, s15, v5
	v_mul_lo_u32 v18, v5, s7
	v_mul_lo_u32 v13, v10, s8
	;; [unrolled: 1-line block ×4, first 2 shown]
	v_sub_u32_e32 v7, v7, v18
	v_mul_lo_u32 v18, v7, s11
	v_mul_lo_u32 v21, v7, s16
	;; [unrolled: 1-line block ×3, first 2 shown]
	v_add3_u32 v28, v13, v28, v18
	v_add3_u32 v33, v15, v33, v21
	;; [unrolled: 1-line block ×3, first 2 shown]
	s_cbranch_scc1 .LBB125_294
; %bb.295:
	s_bitcmp1_b32 s2, 0
	s_cselect_b64 s[2:3], -1, 0
	s_and_b64 vcc, exec, s[2:3]
	s_cbranch_vccnz .LBB125_299
; %bb.296:
	s_load_dwordx2 s[2:3], s[0:1], 0x1c
	s_load_dword s6, s[0:1], 0x24
	s_load_dwordx2 s[4:5], s[0:1], 0xdc
	s_waitcnt lgkmcnt(0)
	v_mul_hi_u32 v7, s3, v5
	v_add_u32_e32 v7, v5, v7
	v_lshrrev_b32_e32 v7, s6, v7
	v_mul_lo_u32 v7, v7, s2
	s_load_dword s2, s[0:1], 0xe4
	v_sub_u32_e32 v5, v5, v7
	v_mad_u64_u32 v[28:29], s[0:1], v5, s4, v[28:29]
	v_mad_u64_u32 v[33:34], s[0:1], v5, s5, v[33:34]
	s_waitcnt lgkmcnt(0)
	v_mad_u64_u32 v[35:36], s[0:1], v5, s2, v[35:36]
	s_cbranch_execz .LBB125_300
	s_branch .LBB125_302
.LBB125_297:
                                        ; implicit-def: $vgpr28
                                        ; implicit-def: $vgpr33
                                        ; implicit-def: $vgpr35
	s_branch .LBB125_300
.LBB125_298:
	v_mov_b32_e32 v28, 0
	v_mov_b32_e32 v33, 0
	;; [unrolled: 1-line block ×3, first 2 shown]
.LBB125_299:
	s_cbranch_execnz .LBB125_302
.LBB125_300:
	s_load_dwordx4 s[0:3], s[12:13], 0x4
	s_load_dwordx4 s[4:7], s[12:13], 0xc4
	s_cmp_lt_u32 s33, 2
	s_waitcnt lgkmcnt(0)
	v_mul_hi_u32 v5, s1, v37
	v_add_u32_e32 v5, v37, v5
	v_lshrrev_b32_e32 v5, s2, v5
	v_mul_lo_u32 v7, v5, s0
	v_sub_u32_e32 v7, v37, v7
	v_mul_lo_u32 v28, v7, s4
	v_mul_lo_u32 v33, v7, s5
	;; [unrolled: 1-line block ×3, first 2 shown]
	s_cbranch_scc1 .LBB125_302
; %bb.301:
	s_load_dwordx4 s[0:3], s[12:13], 0x10
	s_load_dwordx4 s[4:7], s[12:13], 0xd0
	s_waitcnt lgkmcnt(0)
	v_mul_hi_u32 v7, s1, v5
	v_add_u32_e32 v7, v5, v7
	v_lshrrev_b32_e32 v7, s2, v7
	v_mul_lo_u32 v7, v7, s0
	v_sub_u32_e32 v5, v5, v7
	v_mad_u64_u32 v[28:29], s[0:1], v5, s4, v[28:29]
	v_mad_u64_u32 v[33:34], s[0:1], v5, s5, v[33:34]
	;; [unrolled: 1-line block ×3, first 2 shown]
.LBB125_302:
	s_load_dwordx4 s[0:3], s[12:13], 0x188
	s_load_dwordx2 s[6:7], s[12:13], 0x198
	s_load_dword s26, s[12:13], 0x1a0
	s_mov_b64 s[8:9], 0
	s_waitcnt lgkmcnt(0)
	global_load_ushort v5, v8, s[2:3]
	global_load_ushort v7, v6, s[6:7]
	s_cmp_lt_i32 s26, 1
	s_cbranch_scc1 .LBB125_306
; %bb.303:
	s_cmp_gt_i32 s26, 1
	s_cbranch_scc0 .LBB125_307
; %bb.304:
	s_cmp_eq_u32 s26, 2
	s_cbranch_scc0 .LBB125_308
; %bb.305:
	s_waitcnt vmcnt(0)
	v_cmp_le_f16_e64 s[4:5], v5, v7
	s_mov_b64 s[10:11], 0
	s_branch .LBB125_309
.LBB125_306:
                                        ; implicit-def: $sgpr4_sgpr5
	s_mov_b64 s[10:11], 0
	s_cbranch_execnz .LBB125_312
	s_branch .LBB125_313
.LBB125_307:
	s_mov_b64 s[10:11], 0
                                        ; implicit-def: $sgpr4_sgpr5
	s_cbranch_execnz .LBB125_310
	s_branch .LBB125_311
.LBB125_308:
	s_mov_b64 s[10:11], -1
                                        ; implicit-def: $sgpr4_sgpr5
.LBB125_309:
	s_branch .LBB125_311
.LBB125_310:
	s_waitcnt vmcnt(0)
	v_cmp_gt_f16_e32 vcc, v5, v7
	s_andn2_b64 s[4:5], s[4:5], exec
	s_and_b64 s[12:13], vcc, exec
	s_or_b64 s[4:5], s[4:5], s[12:13]
.LBB125_311:
	s_branch .LBB125_313
.LBB125_312:
	s_cmp_lg_u32 s26, 0
	s_mov_b64 s[8:9], -1
	s_cselect_b64 s[10:11], -1, 0
.LBB125_313:
	s_andn2_b64 vcc, exec, s[10:11]
	s_cbranch_vccz .LBB125_320
; %bb.314:
	s_andn2_b64 vcc, exec, s[8:9]
	s_cbranch_vccnz .LBB125_316
.LBB125_315:
	s_waitcnt vmcnt(0)
	v_cmp_ge_f16_e32 vcc, v5, v7
	s_andn2_b64 s[4:5], s[4:5], exec
	s_and_b64 s[8:9], vcc, exec
	s_or_b64 s[4:5], s[4:5], s[8:9]
.LBB125_316:
	global_load_ushort v5, v11, s[2:3]
	global_load_ushort v6, v9, s[6:7]
	s_cmp_lt_i32 s26, 1
	s_mov_b64 s[10:11], 0
	s_cbranch_scc1 .LBB125_321
; %bb.317:
	s_cmp_gt_i32 s26, 1
	s_cbranch_scc0 .LBB125_322
; %bb.318:
	s_cmp_eq_u32 s26, 2
	s_cbranch_scc0 .LBB125_323
; %bb.319:
	s_waitcnt vmcnt(0)
	v_cmp_le_f16_e64 s[8:9], v5, v6
	s_mov_b64 s[12:13], 0
	s_branch .LBB125_324
.LBB125_320:
	s_waitcnt vmcnt(0)
	v_cmp_lt_f16_e32 vcc, v5, v7
	s_andn2_b64 s[4:5], s[4:5], exec
	s_and_b64 s[10:11], vcc, exec
	s_or_b64 s[4:5], s[4:5], s[10:11]
	s_cbranch_execz .LBB125_315
	s_branch .LBB125_316
.LBB125_321:
                                        ; implicit-def: $sgpr8_sgpr9
	s_mov_b64 s[12:13], 0
	s_cbranch_execnz .LBB125_327
	s_branch .LBB125_328
.LBB125_322:
	s_mov_b64 s[12:13], 0
                                        ; implicit-def: $sgpr8_sgpr9
	s_cbranch_execnz .LBB125_325
	s_branch .LBB125_326
.LBB125_323:
	s_mov_b64 s[12:13], -1
                                        ; implicit-def: $sgpr8_sgpr9
.LBB125_324:
	s_branch .LBB125_326
.LBB125_325:
	s_waitcnt vmcnt(0)
	v_cmp_gt_f16_e32 vcc, v5, v6
	s_andn2_b64 s[8:9], s[8:9], exec
	s_and_b64 s[14:15], vcc, exec
	s_or_b64 s[8:9], s[8:9], s[14:15]
.LBB125_326:
	s_branch .LBB125_328
.LBB125_327:
	s_cmp_lg_u32 s26, 0
	s_mov_b64 s[10:11], -1
	s_cselect_b64 s[12:13], -1, 0
.LBB125_328:
	s_andn2_b64 vcc, exec, s[12:13]
	s_cbranch_vccz .LBB125_335
; %bb.329:
	s_andn2_b64 vcc, exec, s[10:11]
	s_cbranch_vccnz .LBB125_331
.LBB125_330:
	s_waitcnt vmcnt(0)
	v_cmp_ge_f16_e32 vcc, v5, v6
	s_andn2_b64 s[8:9], s[8:9], exec
	s_and_b64 s[10:11], vcc, exec
	s_or_b64 s[8:9], s[8:9], s[10:11]
.LBB125_331:
	global_load_ushort v5, v16, s[2:3]
	global_load_ushort v6, v14, s[6:7]
	s_cmp_lt_i32 s26, 1
	s_mov_b64 s[12:13], 0
	s_cbranch_scc1 .LBB125_336
; %bb.332:
	s_cmp_gt_i32 s26, 1
	s_cbranch_scc0 .LBB125_337
; %bb.333:
	s_cmp_eq_u32 s26, 2
	s_cbranch_scc0 .LBB125_338
; %bb.334:
	s_waitcnt vmcnt(0)
	v_cmp_le_f16_e64 s[10:11], v5, v6
	s_mov_b64 s[14:15], 0
	s_branch .LBB125_339
.LBB125_335:
	s_waitcnt vmcnt(0)
	v_cmp_lt_f16_e32 vcc, v5, v6
	s_andn2_b64 s[8:9], s[8:9], exec
	s_and_b64 s[12:13], vcc, exec
	s_or_b64 s[8:9], s[8:9], s[12:13]
	s_cbranch_execz .LBB125_330
	s_branch .LBB125_331
.LBB125_336:
                                        ; implicit-def: $sgpr10_sgpr11
	s_mov_b64 s[14:15], 0
	s_cbranch_execnz .LBB125_342
	s_branch .LBB125_343
.LBB125_337:
	s_mov_b64 s[14:15], 0
                                        ; implicit-def: $sgpr10_sgpr11
	s_cbranch_execnz .LBB125_340
	s_branch .LBB125_341
.LBB125_338:
	s_mov_b64 s[14:15], -1
                                        ; implicit-def: $sgpr10_sgpr11
.LBB125_339:
	s_branch .LBB125_341
.LBB125_340:
	s_waitcnt vmcnt(0)
	v_cmp_gt_f16_e32 vcc, v5, v6
	s_andn2_b64 s[10:11], s[10:11], exec
	s_and_b64 s[16:17], vcc, exec
	s_or_b64 s[10:11], s[10:11], s[16:17]
.LBB125_341:
	s_branch .LBB125_343
.LBB125_342:
	s_cmp_lg_u32 s26, 0
	s_mov_b64 s[12:13], -1
	s_cselect_b64 s[14:15], -1, 0
.LBB125_343:
	s_andn2_b64 vcc, exec, s[14:15]
	s_cbranch_vccz .LBB125_350
; %bb.344:
	s_andn2_b64 vcc, exec, s[12:13]
	s_cbranch_vccnz .LBB125_346
.LBB125_345:
	s_waitcnt vmcnt(0)
	v_cmp_ge_f16_e32 vcc, v5, v6
	s_andn2_b64 s[10:11], s[10:11], exec
	s_and_b64 s[12:13], vcc, exec
	s_or_b64 s[10:11], s[10:11], s[12:13]
.LBB125_346:
	global_load_ushort v5, v19, s[2:3]
	global_load_ushort v6, v17, s[6:7]
	s_cmp_lt_i32 s26, 1
	s_mov_b64 s[14:15], 0
	s_cbranch_scc1 .LBB125_351
; %bb.347:
	s_cmp_gt_i32 s26, 1
	s_cbranch_scc0 .LBB125_352
; %bb.348:
	s_cmp_eq_u32 s26, 2
	s_cbranch_scc0 .LBB125_353
; %bb.349:
	s_waitcnt vmcnt(0)
	v_cmp_le_f16_e64 s[12:13], v5, v6
	s_mov_b64 s[16:17], 0
	s_branch .LBB125_354
.LBB125_350:
	s_waitcnt vmcnt(0)
	v_cmp_lt_f16_e32 vcc, v5, v6
	s_andn2_b64 s[10:11], s[10:11], exec
	s_and_b64 s[14:15], vcc, exec
	s_or_b64 s[10:11], s[10:11], s[14:15]
	s_cbranch_execz .LBB125_345
	s_branch .LBB125_346
.LBB125_351:
                                        ; implicit-def: $sgpr12_sgpr13
	s_mov_b64 s[16:17], 0
	s_cbranch_execnz .LBB125_357
	s_branch .LBB125_358
.LBB125_352:
	s_mov_b64 s[16:17], 0
                                        ; implicit-def: $sgpr12_sgpr13
	s_cbranch_execnz .LBB125_355
	s_branch .LBB125_356
.LBB125_353:
	s_mov_b64 s[16:17], -1
                                        ; implicit-def: $sgpr12_sgpr13
.LBB125_354:
	s_branch .LBB125_356
.LBB125_355:
	s_waitcnt vmcnt(0)
	v_cmp_gt_f16_e32 vcc, v5, v6
	s_andn2_b64 s[12:13], s[12:13], exec
	s_and_b64 s[18:19], vcc, exec
	s_or_b64 s[12:13], s[12:13], s[18:19]
.LBB125_356:
	s_branch .LBB125_358
.LBB125_357:
	s_cmp_lg_u32 s26, 0
	s_mov_b64 s[14:15], -1
	s_cselect_b64 s[16:17], -1, 0
.LBB125_358:
	s_andn2_b64 vcc, exec, s[16:17]
	s_cbranch_vccz .LBB125_365
; %bb.359:
	s_andn2_b64 vcc, exec, s[14:15]
	s_cbranch_vccnz .LBB125_361
.LBB125_360:
	s_waitcnt vmcnt(0)
	v_cmp_ge_f16_e32 vcc, v5, v6
	s_andn2_b64 s[12:13], s[12:13], exec
	s_and_b64 s[14:15], vcc, exec
	s_or_b64 s[12:13], s[12:13], s[14:15]
.LBB125_361:
	global_load_ushort v5, v24, s[2:3]
	global_load_ushort v6, v22, s[6:7]
	s_cmp_lt_i32 s26, 1
	s_mov_b64 s[16:17], 0
	s_cbranch_scc1 .LBB125_366
; %bb.362:
	s_cmp_gt_i32 s26, 1
	s_cbranch_scc0 .LBB125_367
; %bb.363:
	s_cmp_eq_u32 s26, 2
	s_cbranch_scc0 .LBB125_368
; %bb.364:
	s_waitcnt vmcnt(0)
	v_cmp_le_f16_e64 s[14:15], v5, v6
	s_mov_b64 s[18:19], 0
	s_branch .LBB125_369
.LBB125_365:
	s_waitcnt vmcnt(0)
	v_cmp_lt_f16_e32 vcc, v5, v6
	s_andn2_b64 s[12:13], s[12:13], exec
	s_and_b64 s[16:17], vcc, exec
	s_or_b64 s[12:13], s[12:13], s[16:17]
	s_cbranch_execz .LBB125_360
	s_branch .LBB125_361
.LBB125_366:
                                        ; implicit-def: $sgpr14_sgpr15
	s_mov_b64 s[18:19], 0
	s_cbranch_execnz .LBB125_372
	s_branch .LBB125_373
.LBB125_367:
	s_mov_b64 s[18:19], 0
                                        ; implicit-def: $sgpr14_sgpr15
	s_cbranch_execnz .LBB125_370
	s_branch .LBB125_371
.LBB125_368:
	s_mov_b64 s[18:19], -1
                                        ; implicit-def: $sgpr14_sgpr15
.LBB125_369:
	s_branch .LBB125_371
.LBB125_370:
	s_waitcnt vmcnt(0)
	v_cmp_gt_f16_e32 vcc, v5, v6
	s_andn2_b64 s[14:15], s[14:15], exec
	s_and_b64 s[20:21], vcc, exec
	s_or_b64 s[14:15], s[14:15], s[20:21]
.LBB125_371:
	s_branch .LBB125_373
.LBB125_372:
	s_cmp_lg_u32 s26, 0
	s_mov_b64 s[16:17], -1
	s_cselect_b64 s[18:19], -1, 0
.LBB125_373:
	s_andn2_b64 vcc, exec, s[18:19]
	s_cbranch_vccz .LBB125_380
; %bb.374:
	s_andn2_b64 vcc, exec, s[16:17]
	s_cbranch_vccnz .LBB125_376
.LBB125_375:
	s_waitcnt vmcnt(0)
	v_cmp_ge_f16_e32 vcc, v5, v6
	s_andn2_b64 s[14:15], s[14:15], exec
	s_and_b64 s[16:17], vcc, exec
	s_or_b64 s[14:15], s[14:15], s[16:17]
.LBB125_376:
	global_load_ushort v5, v27, s[2:3]
	global_load_ushort v6, v25, s[6:7]
	s_cmp_lt_i32 s26, 1
	s_mov_b64 s[18:19], 0
	s_cbranch_scc1 .LBB125_381
; %bb.377:
	s_cmp_gt_i32 s26, 1
	s_cbranch_scc0 .LBB125_382
; %bb.378:
	s_cmp_eq_u32 s26, 2
	s_cbranch_scc0 .LBB125_383
; %bb.379:
	s_waitcnt vmcnt(0)
	v_cmp_le_f16_e64 s[16:17], v5, v6
	s_mov_b64 s[20:21], 0
	s_branch .LBB125_384
.LBB125_380:
	s_waitcnt vmcnt(0)
	v_cmp_lt_f16_e32 vcc, v5, v6
	s_andn2_b64 s[14:15], s[14:15], exec
	s_and_b64 s[18:19], vcc, exec
	s_or_b64 s[14:15], s[14:15], s[18:19]
	s_cbranch_execz .LBB125_375
	s_branch .LBB125_376
.LBB125_381:
                                        ; implicit-def: $sgpr16_sgpr17
	s_mov_b64 s[20:21], 0
	s_cbranch_execnz .LBB125_387
	s_branch .LBB125_388
.LBB125_382:
	s_mov_b64 s[20:21], 0
                                        ; implicit-def: $sgpr16_sgpr17
	s_cbranch_execnz .LBB125_385
	s_branch .LBB125_386
.LBB125_383:
	s_mov_b64 s[20:21], -1
                                        ; implicit-def: $sgpr16_sgpr17
.LBB125_384:
	s_branch .LBB125_386
.LBB125_385:
	s_waitcnt vmcnt(0)
	v_cmp_gt_f16_e32 vcc, v5, v6
	s_andn2_b64 s[16:17], s[16:17], exec
	s_and_b64 s[22:23], vcc, exec
	s_or_b64 s[16:17], s[16:17], s[22:23]
.LBB125_386:
	s_branch .LBB125_388
.LBB125_387:
	s_cmp_lg_u32 s26, 0
	s_mov_b64 s[18:19], -1
	s_cselect_b64 s[20:21], -1, 0
.LBB125_388:
	s_andn2_b64 vcc, exec, s[20:21]
	s_cbranch_vccz .LBB125_395
; %bb.389:
	s_andn2_b64 vcc, exec, s[18:19]
	s_cbranch_vccnz .LBB125_391
.LBB125_390:
	s_waitcnt vmcnt(0)
	v_cmp_ge_f16_e32 vcc, v5, v6
	s_andn2_b64 s[16:17], s[16:17], exec
	s_and_b64 s[18:19], vcc, exec
	s_or_b64 s[16:17], s[16:17], s[18:19]
.LBB125_391:
	global_load_ushort v5, v32, s[2:3]
	global_load_ushort v6, v30, s[6:7]
	s_cmp_lt_i32 s26, 1
	s_mov_b64 s[20:21], 0
	s_cbranch_scc1 .LBB125_396
; %bb.392:
	s_cmp_gt_i32 s26, 1
	s_cbranch_scc0 .LBB125_397
; %bb.393:
	s_cmp_eq_u32 s26, 2
	s_cbranch_scc0 .LBB125_398
; %bb.394:
	s_waitcnt vmcnt(0)
	v_cmp_le_f16_e64 s[18:19], v5, v6
	s_mov_b64 s[22:23], 0
	s_branch .LBB125_399
.LBB125_395:
	s_waitcnt vmcnt(0)
	v_cmp_lt_f16_e32 vcc, v5, v6
	s_andn2_b64 s[16:17], s[16:17], exec
	s_and_b64 s[20:21], vcc, exec
	s_or_b64 s[16:17], s[16:17], s[20:21]
	s_cbranch_execz .LBB125_390
	s_branch .LBB125_391
.LBB125_396:
                                        ; implicit-def: $sgpr18_sgpr19
	s_mov_b64 s[22:23], 0
	s_cbranch_execnz .LBB125_402
	s_branch .LBB125_403
.LBB125_397:
	s_mov_b64 s[22:23], 0
                                        ; implicit-def: $sgpr18_sgpr19
	s_cbranch_execnz .LBB125_400
	s_branch .LBB125_401
.LBB125_398:
	s_mov_b64 s[22:23], -1
                                        ; implicit-def: $sgpr18_sgpr19
.LBB125_399:
	s_branch .LBB125_401
.LBB125_400:
	s_waitcnt vmcnt(0)
	v_cmp_gt_f16_e32 vcc, v5, v6
	s_andn2_b64 s[18:19], s[18:19], exec
	s_and_b64 s[24:25], vcc, exec
	s_or_b64 s[18:19], s[18:19], s[24:25]
.LBB125_401:
	s_branch .LBB125_403
.LBB125_402:
	s_cmp_lg_u32 s26, 0
	s_mov_b64 s[20:21], -1
	s_cselect_b64 s[22:23], -1, 0
.LBB125_403:
	s_andn2_b64 vcc, exec, s[22:23]
	s_cbranch_vccz .LBB125_410
; %bb.404:
	s_andn2_b64 vcc, exec, s[20:21]
	s_cbranch_vccnz .LBB125_406
.LBB125_405:
	s_waitcnt vmcnt(0)
	v_cmp_ge_f16_e32 vcc, v5, v6
	s_andn2_b64 s[18:19], s[18:19], exec
	s_and_b64 s[20:21], vcc, exec
	s_or_b64 s[18:19], s[18:19], s[20:21]
.LBB125_406:
	global_load_ushort v5, v33, s[2:3]
	global_load_ushort v6, v35, s[6:7]
	s_cmp_lt_i32 s26, 1
	s_mov_b64 s[6:7], 0
	s_cbranch_scc1 .LBB125_411
; %bb.407:
	s_cmp_gt_i32 s26, 1
	s_cbranch_scc0 .LBB125_412
; %bb.408:
	s_cmp_eq_u32 s26, 2
	s_cbranch_scc0 .LBB125_413
; %bb.409:
	s_waitcnt vmcnt(0)
	v_cmp_le_f16_e64 s[2:3], v5, v6
	s_mov_b64 s[20:21], 0
	s_branch .LBB125_414
.LBB125_410:
	s_waitcnt vmcnt(0)
	v_cmp_lt_f16_e32 vcc, v5, v6
	s_andn2_b64 s[18:19], s[18:19], exec
	s_and_b64 s[22:23], vcc, exec
	s_or_b64 s[18:19], s[18:19], s[22:23]
	s_cbranch_execz .LBB125_405
	s_branch .LBB125_406
.LBB125_411:
                                        ; implicit-def: $sgpr2_sgpr3
	s_mov_b64 s[20:21], 0
	s_cbranch_execnz .LBB125_417
	s_branch .LBB125_418
.LBB125_412:
	s_mov_b64 s[20:21], 0
                                        ; implicit-def: $sgpr2_sgpr3
	s_cbranch_execnz .LBB125_415
	s_branch .LBB125_416
.LBB125_413:
	s_mov_b64 s[20:21], -1
                                        ; implicit-def: $sgpr2_sgpr3
.LBB125_414:
	s_branch .LBB125_416
.LBB125_415:
	s_waitcnt vmcnt(0)
	v_cmp_gt_f16_e32 vcc, v5, v6
	s_andn2_b64 s[2:3], s[2:3], exec
	s_and_b64 s[22:23], vcc, exec
	s_or_b64 s[2:3], s[2:3], s[22:23]
.LBB125_416:
	s_branch .LBB125_418
.LBB125_417:
	s_cmp_lg_u32 s26, 0
	s_mov_b64 s[6:7], -1
	s_cselect_b64 s[20:21], -1, 0
.LBB125_418:
	s_andn2_b64 vcc, exec, s[20:21]
	s_cbranch_vccz .LBB125_422
; %bb.419:
	s_andn2_b64 vcc, exec, s[6:7]
	s_cbranch_vccnz .LBB125_421
.LBB125_420:
	s_waitcnt vmcnt(0)
	v_cmp_ge_f16_e32 vcc, v5, v6
	s_andn2_b64 s[2:3], s[2:3], exec
	s_and_b64 s[6:7], vcc, exec
	s_or_b64 s[2:3], s[2:3], s[6:7]
.LBB125_421:
	v_cndmask_b32_e64 v11, 0, 1, s[4:5]
	s_waitcnt vmcnt(1)
	v_cndmask_b32_e64 v5, 0, 1, s[18:19]
	s_waitcnt vmcnt(0)
	v_cndmask_b32_e64 v6, 0, 1, s[16:17]
	v_cndmask_b32_e64 v7, 0, 1, s[14:15]
	;; [unrolled: 1-line block ×6, first 2 shown]
	global_store_byte v0, v11, s[0:1]
	global_store_byte v1, v10, s[0:1]
	;; [unrolled: 1-line block ×8, first 2 shown]
	s_endpgm
.LBB125_422:
	s_waitcnt vmcnt(0)
	v_cmp_lt_f16_e32 vcc, v5, v6
	s_andn2_b64 s[2:3], s[2:3], exec
	s_and_b64 s[20:21], vcc, exec
	s_or_b64 s[2:3], s[2:3], s[20:21]
	s_cbranch_execz .LBB125_420
	s_branch .LBB125_421
.LBB125_423:
	s_mov_b64 s[36:37], -1
                                        ; implicit-def: $sgpr34_sgpr35
	s_branch .LBB125_54
.LBB125_424:
	s_mov_b64 s[36:37], -1
                                        ; implicit-def: $sgpr34_sgpr35
	s_branch .LBB125_79
.LBB125_425:
	s_mov_b64 s[36:37], -1
                                        ; implicit-def: $sgpr34_sgpr35
	s_branch .LBB125_104
.LBB125_426:
	s_mov_b64 s[36:37], -1
                                        ; implicit-def: $sgpr34_sgpr35
	s_branch .LBB125_129
.LBB125_427:
	s_mov_b64 s[36:37], -1
                                        ; implicit-def: $sgpr34_sgpr35
	s_branch .LBB125_154
.LBB125_428:
	s_mov_b64 s[36:37], -1
                                        ; implicit-def: $sgpr34_sgpr35
	s_branch .LBB125_179
.LBB125_429:
	s_mov_b64 s[6:7], -1
                                        ; implicit-def: $sgpr4_sgpr5
	s_branch .LBB125_204
	.section	.rodata,"a",@progbits
	.p2align	6, 0x0
	.amdhsa_kernel _ZN2at6native32elementwise_kernel_manual_unrollILi128ELi8EZNS0_22gpu_kernel_impl_nocastINS0_12_GLOBAL__N_114CompareFunctorIN3c104HalfEEEEEvRNS_18TensorIteratorBaseERKT_EUlibE_EEviT1_
		.amdhsa_group_segment_fixed_size 0
		.amdhsa_private_segment_fixed_size 0
		.amdhsa_kernarg_size 432
		.amdhsa_user_sgpr_count 6
		.amdhsa_user_sgpr_private_segment_buffer 1
		.amdhsa_user_sgpr_dispatch_ptr 0
		.amdhsa_user_sgpr_queue_ptr 0
		.amdhsa_user_sgpr_kernarg_segment_ptr 1
		.amdhsa_user_sgpr_dispatch_id 0
		.amdhsa_user_sgpr_flat_scratch_init 0
		.amdhsa_user_sgpr_private_segment_size 0
		.amdhsa_uses_dynamic_stack 0
		.amdhsa_system_sgpr_private_segment_wavefront_offset 0
		.amdhsa_system_sgpr_workgroup_id_x 1
		.amdhsa_system_sgpr_workgroup_id_y 0
		.amdhsa_system_sgpr_workgroup_id_z 0
		.amdhsa_system_sgpr_workgroup_info 0
		.amdhsa_system_vgpr_workitem_id 0
		.amdhsa_next_free_vgpr 38
		.amdhsa_next_free_sgpr 52
		.amdhsa_reserve_vcc 1
		.amdhsa_reserve_flat_scratch 0
		.amdhsa_float_round_mode_32 0
		.amdhsa_float_round_mode_16_64 0
		.amdhsa_float_denorm_mode_32 3
		.amdhsa_float_denorm_mode_16_64 3
		.amdhsa_dx10_clamp 1
		.amdhsa_ieee_mode 1
		.amdhsa_fp16_overflow 0
		.amdhsa_exception_fp_ieee_invalid_op 0
		.amdhsa_exception_fp_denorm_src 0
		.amdhsa_exception_fp_ieee_div_zero 0
		.amdhsa_exception_fp_ieee_overflow 0
		.amdhsa_exception_fp_ieee_underflow 0
		.amdhsa_exception_fp_ieee_inexact 0
		.amdhsa_exception_int_div_zero 0
	.end_amdhsa_kernel
	.section	.text._ZN2at6native32elementwise_kernel_manual_unrollILi128ELi8EZNS0_22gpu_kernel_impl_nocastINS0_12_GLOBAL__N_114CompareFunctorIN3c104HalfEEEEEvRNS_18TensorIteratorBaseERKT_EUlibE_EEviT1_,"axG",@progbits,_ZN2at6native32elementwise_kernel_manual_unrollILi128ELi8EZNS0_22gpu_kernel_impl_nocastINS0_12_GLOBAL__N_114CompareFunctorIN3c104HalfEEEEEvRNS_18TensorIteratorBaseERKT_EUlibE_EEviT1_,comdat
.Lfunc_end125:
	.size	_ZN2at6native32elementwise_kernel_manual_unrollILi128ELi8EZNS0_22gpu_kernel_impl_nocastINS0_12_GLOBAL__N_114CompareFunctorIN3c104HalfEEEEEvRNS_18TensorIteratorBaseERKT_EUlibE_EEviT1_, .Lfunc_end125-_ZN2at6native32elementwise_kernel_manual_unrollILi128ELi8EZNS0_22gpu_kernel_impl_nocastINS0_12_GLOBAL__N_114CompareFunctorIN3c104HalfEEEEEvRNS_18TensorIteratorBaseERKT_EUlibE_EEviT1_
                                        ; -- End function
	.set _ZN2at6native32elementwise_kernel_manual_unrollILi128ELi8EZNS0_22gpu_kernel_impl_nocastINS0_12_GLOBAL__N_114CompareFunctorIN3c104HalfEEEEEvRNS_18TensorIteratorBaseERKT_EUlibE_EEviT1_.num_vgpr, 38
	.set _ZN2at6native32elementwise_kernel_manual_unrollILi128ELi8EZNS0_22gpu_kernel_impl_nocastINS0_12_GLOBAL__N_114CompareFunctorIN3c104HalfEEEEEvRNS_18TensorIteratorBaseERKT_EUlibE_EEviT1_.num_agpr, 0
	.set _ZN2at6native32elementwise_kernel_manual_unrollILi128ELi8EZNS0_22gpu_kernel_impl_nocastINS0_12_GLOBAL__N_114CompareFunctorIN3c104HalfEEEEEvRNS_18TensorIteratorBaseERKT_EUlibE_EEviT1_.numbered_sgpr, 52
	.set _ZN2at6native32elementwise_kernel_manual_unrollILi128ELi8EZNS0_22gpu_kernel_impl_nocastINS0_12_GLOBAL__N_114CompareFunctorIN3c104HalfEEEEEvRNS_18TensorIteratorBaseERKT_EUlibE_EEviT1_.num_named_barrier, 0
	.set _ZN2at6native32elementwise_kernel_manual_unrollILi128ELi8EZNS0_22gpu_kernel_impl_nocastINS0_12_GLOBAL__N_114CompareFunctorIN3c104HalfEEEEEvRNS_18TensorIteratorBaseERKT_EUlibE_EEviT1_.private_seg_size, 0
	.set _ZN2at6native32elementwise_kernel_manual_unrollILi128ELi8EZNS0_22gpu_kernel_impl_nocastINS0_12_GLOBAL__N_114CompareFunctorIN3c104HalfEEEEEvRNS_18TensorIteratorBaseERKT_EUlibE_EEviT1_.uses_vcc, 1
	.set _ZN2at6native32elementwise_kernel_manual_unrollILi128ELi8EZNS0_22gpu_kernel_impl_nocastINS0_12_GLOBAL__N_114CompareFunctorIN3c104HalfEEEEEvRNS_18TensorIteratorBaseERKT_EUlibE_EEviT1_.uses_flat_scratch, 0
	.set _ZN2at6native32elementwise_kernel_manual_unrollILi128ELi8EZNS0_22gpu_kernel_impl_nocastINS0_12_GLOBAL__N_114CompareFunctorIN3c104HalfEEEEEvRNS_18TensorIteratorBaseERKT_EUlibE_EEviT1_.has_dyn_sized_stack, 0
	.set _ZN2at6native32elementwise_kernel_manual_unrollILi128ELi8EZNS0_22gpu_kernel_impl_nocastINS0_12_GLOBAL__N_114CompareFunctorIN3c104HalfEEEEEvRNS_18TensorIteratorBaseERKT_EUlibE_EEviT1_.has_recursion, 0
	.set _ZN2at6native32elementwise_kernel_manual_unrollILi128ELi8EZNS0_22gpu_kernel_impl_nocastINS0_12_GLOBAL__N_114CompareFunctorIN3c104HalfEEEEEvRNS_18TensorIteratorBaseERKT_EUlibE_EEviT1_.has_indirect_call, 0
	.section	.AMDGPU.csdata,"",@progbits
; Kernel info:
; codeLenInByte = 12132
; TotalNumSgprs: 56
; NumVgprs: 38
; ScratchSize: 0
; MemoryBound: 0
; FloatMode: 240
; IeeeMode: 1
; LDSByteSize: 0 bytes/workgroup (compile time only)
; SGPRBlocks: 6
; VGPRBlocks: 9
; NumSGPRsForWavesPerEU: 56
; NumVGPRsForWavesPerEU: 38
; Occupancy: 6
; WaveLimiterHint : 1
; COMPUTE_PGM_RSRC2:SCRATCH_EN: 0
; COMPUTE_PGM_RSRC2:USER_SGPR: 6
; COMPUTE_PGM_RSRC2:TRAP_HANDLER: 0
; COMPUTE_PGM_RSRC2:TGID_X_EN: 1
; COMPUTE_PGM_RSRC2:TGID_Y_EN: 0
; COMPUTE_PGM_RSRC2:TGID_Z_EN: 0
; COMPUTE_PGM_RSRC2:TIDIG_COMP_CNT: 0
	.section	.text._ZN2at6native32elementwise_kernel_manual_unrollILi128ELi4EZNS0_15gpu_kernel_implINS0_12_GLOBAL__N_114CompareFunctorIN3c104HalfEEEEEvRNS_18TensorIteratorBaseERKT_EUlibE_EEviT1_,"axG",@progbits,_ZN2at6native32elementwise_kernel_manual_unrollILi128ELi4EZNS0_15gpu_kernel_implINS0_12_GLOBAL__N_114CompareFunctorIN3c104HalfEEEEEvRNS_18TensorIteratorBaseERKT_EUlibE_EEviT1_,comdat
	.globl	_ZN2at6native32elementwise_kernel_manual_unrollILi128ELi4EZNS0_15gpu_kernel_implINS0_12_GLOBAL__N_114CompareFunctorIN3c104HalfEEEEEvRNS_18TensorIteratorBaseERKT_EUlibE_EEviT1_ ; -- Begin function _ZN2at6native32elementwise_kernel_manual_unrollILi128ELi4EZNS0_15gpu_kernel_implINS0_12_GLOBAL__N_114CompareFunctorIN3c104HalfEEEEEvRNS_18TensorIteratorBaseERKT_EUlibE_EEviT1_
	.p2align	8
	.type	_ZN2at6native32elementwise_kernel_manual_unrollILi128ELi4EZNS0_15gpu_kernel_implINS0_12_GLOBAL__N_114CompareFunctorIN3c104HalfEEEEEvRNS_18TensorIteratorBaseERKT_EUlibE_EEviT1_,@function
_ZN2at6native32elementwise_kernel_manual_unrollILi128ELi4EZNS0_15gpu_kernel_implINS0_12_GLOBAL__N_114CompareFunctorIN3c104HalfEEEEEvRNS_18TensorIteratorBaseERKT_EUlibE_EEviT1_: ; @_ZN2at6native32elementwise_kernel_manual_unrollILi128ELi4EZNS0_15gpu_kernel_implINS0_12_GLOBAL__N_114CompareFunctorIN3c104HalfEEEEEvRNS_18TensorIteratorBaseERKT_EUlibE_EEviT1_
; %bb.0:
	s_load_dword s33, s[4:5], 0x30
	s_load_dword s48, s[4:5], 0x0
	s_load_dwordx4 s[8:11], s[4:5], 0x8
	s_load_dwordx2 s[2:3], s[4:5], 0x18
	s_load_dwordx4 s[12:15], s[4:5], 0x20
	v_lshl_or_b32 v2, s6, 9, v0
	v_or_b32_e32 v0, 0x180, v2
	s_waitcnt lgkmcnt(0)
	s_lshr_b32 s55, s33, 8
	s_lshr_b32 s54, s33, 16
	v_cmp_le_i32_e32 vcc, s48, v0
	s_mov_b64 s[4:5], 0
	s_mov_b64 s[16:17], 0
	s_and_saveexec_b64 s[0:1], vcc
	s_xor_b64 s[6:7], exec, s[0:1]
	s_cbranch_execz .LBB126_1610
; %bb.1:
	v_cmp_gt_i32_e32 vcc, s48, v2
	s_mov_b64 s[0:1], -1
	s_mov_b64 s[26:27], 0
	s_mov_b64 s[20:21], 0
	;; [unrolled: 1-line block ×3, first 2 shown]
	s_and_saveexec_b64 s[22:23], vcc
	s_cbranch_execz .LBB126_399
; %bb.2:
	v_mul_lo_u32 v0, v2, s13
	v_mov_b32_e32 v1, s11
	s_and_b32 s24, s55, 0xff
	s_cmp_lt_i32 s24, 11
	v_ashrrev_i32_e32 v3, 31, v0
	v_add_co_u32_e32 v0, vcc, s10, v0
	v_addc_co_u32_e32 v1, vcc, v1, v3, vcc
	s_cbranch_scc1 .LBB126_9
; %bb.3:
	s_and_b32 s25, 0xffff, s24
	s_cmp_gt_i32 s25, 25
	s_cbranch_scc0 .LBB126_18
; %bb.4:
	s_cmp_gt_i32 s25, 28
	s_cbranch_scc0 .LBB126_25
; %bb.5:
	;; [unrolled: 3-line block ×4, first 2 shown]
	s_cmp_eq_u32 s25, 46
	s_cbranch_scc0 .LBB126_53
; %bb.8:
	global_load_dword v3, v[0:1], off
	s_waitcnt vmcnt(0)
	v_lshlrev_b32_e32 v3, 16, v3
	v_cvt_f16_f32_e32 v3, v3
	s_branch .LBB126_55
.LBB126_9:
                                        ; implicit-def: $vgpr3
	s_mov_b64 s[0:1], 0
	s_cbranch_execnz .LBB126_121
.LBB126_10:
	s_andn2_b64 vcc, exec, s[0:1]
	s_cbranch_vccnz .LBB126_168
.LBB126_11:
	v_mul_lo_u32 v0, v2, s14
	v_mov_b32_e32 v1, s3
	s_and_b32 s28, s54, 0xff
	s_cmp_lt_i32 s28, 11
	v_ashrrev_i32_e32 v4, 31, v0
	v_add_co_u32_e32 v0, vcc, s2, v0
	v_addc_co_u32_e32 v1, vcc, v1, v4, vcc
	s_cbranch_scc1 .LBB126_19
; %bb.12:
	s_and_b32 s29, 0xffff, s28
	s_cmp_gt_i32 s29, 25
	s_cbranch_scc0 .LBB126_26
; %bb.13:
	s_cmp_gt_i32 s29, 28
	s_cbranch_scc0 .LBB126_31
; %bb.14:
	;; [unrolled: 3-line block ×4, first 2 shown]
	s_cmp_eq_u32 s29, 46
	s_mov_b64 s[16:17], 0
	s_cbranch_scc0 .LBB126_169
; %bb.17:
	global_load_dword v4, v[0:1], off
	s_mov_b64 s[0:1], -1
	s_mov_b64 s[18:19], 0
	s_waitcnt vmcnt(0)
	v_lshlrev_b32_e32 v4, 16, v4
	v_cvt_f16_f32_e32 v4, v4
	s_branch .LBB126_171
.LBB126_18:
	s_mov_b64 s[0:1], 0
                                        ; implicit-def: $vgpr3
	s_cbranch_execnz .LBB126_86
	s_branch .LBB126_120
.LBB126_19:
	s_mov_b64 s[18:19], 0
                                        ; implicit-def: $vgpr4
	s_mov_b64 s[0:1], 0
	s_cbranch_execnz .LBB126_348
.LBB126_20:
	s_andn2_b64 vcc, exec, s[0:1]
	s_cbranch_vccnz .LBB126_396
.LBB126_21:
	s_cmp_lt_i32 s15, 1
	s_mov_b64 s[0:1], 0
	s_cbranch_scc1 .LBB126_27
; %bb.22:
	s_cmp_gt_i32 s15, 1
	s_cbranch_scc0 .LBB126_32
; %bb.23:
	s_cmp_eq_u32 s15, 2
	s_cbranch_scc0 .LBB126_35
; %bb.24:
	s_waitcnt vmcnt(0)
	v_cmp_le_f16_e64 s[16:17], v3, v4
	s_mov_b64 s[24:25], 0
	s_branch .LBB126_36
.LBB126_25:
	s_mov_b64 s[16:17], -1
	s_mov_b64 s[0:1], 0
                                        ; implicit-def: $vgpr3
	s_branch .LBB126_67
.LBB126_26:
	s_mov_b64 s[16:17], -1
	s_mov_b64 s[18:19], 0
	s_mov_b64 s[0:1], 0
                                        ; implicit-def: $vgpr4
	s_branch .LBB126_312
.LBB126_27:
                                        ; implicit-def: $sgpr16_sgpr17
	s_mov_b64 s[24:25], 0
	s_cbranch_execnz .LBB126_40
.LBB126_28:
	s_andn2_b64 vcc, exec, s[24:25]
	s_cbranch_vccnz .LBB126_41
.LBB126_29:
	s_waitcnt vmcnt(0)
	v_cmp_lt_f16_e32 vcc, v3, v4
	s_andn2_b64 s[16:17], s[16:17], exec
	s_and_b64 s[24:25], vcc, exec
	s_or_b64 s[16:17], s[16:17], s[24:25]
	s_cbranch_execz .LBB126_42
	s_branch .LBB126_43
.LBB126_30:
	s_mov_b64 s[16:17], -1
	s_mov_b64 s[0:1], 0
                                        ; implicit-def: $vgpr3
	s_branch .LBB126_62
.LBB126_31:
	s_mov_b64 s[16:17], -1
	s_mov_b64 s[18:19], 0
	s_mov_b64 s[0:1], 0
                                        ; implicit-def: $vgpr4
	s_branch .LBB126_293
.LBB126_32:
	s_mov_b64 s[28:29], -1
	s_mov_b64 s[24:25], 0
                                        ; implicit-def: $sgpr16_sgpr17
	s_branch .LBB126_37
.LBB126_33:
	s_mov_b64 s[16:17], -1
	s_branch .LBB126_54
.LBB126_34:
	s_mov_b64 s[16:17], -1
	s_mov_b64 s[18:19], 0
	s_mov_b64 s[0:1], 0
                                        ; implicit-def: $vgpr4
	s_branch .LBB126_288
.LBB126_35:
	s_mov_b64 s[24:25], -1
                                        ; implicit-def: $sgpr16_sgpr17
.LBB126_36:
	s_mov_b64 s[28:29], 0
.LBB126_37:
	s_and_b64 vcc, exec, s[28:29]
	s_cbranch_vccz .LBB126_39
; %bb.38:
	s_waitcnt vmcnt(0)
	v_cmp_gt_f16_e32 vcc, v3, v4
	s_andn2_b64 s[16:17], s[16:17], exec
	s_and_b64 s[28:29], vcc, exec
	s_or_b64 s[16:17], s[16:17], s[28:29]
.LBB126_39:
	s_branch .LBB126_28
.LBB126_40:
	s_cmp_lg_u32 s15, 0
	s_mov_b64 s[0:1], -1
	s_cselect_b64 s[24:25], -1, 0
	s_andn2_b64 vcc, exec, s[24:25]
	s_cbranch_vccz .LBB126_29
.LBB126_41:
	s_andn2_b64 vcc, exec, s[0:1]
	s_cbranch_vccnz .LBB126_43
.LBB126_42:
	s_waitcnt vmcnt(0)
	v_cmp_ge_f16_e32 vcc, v3, v4
	s_andn2_b64 s[0:1], s[16:17], exec
	s_and_b64 s[16:17], vcc, exec
	s_or_b64 s[16:17], s[0:1], s[16:17]
.LBB126_43:
	v_mul_lo_u32 v0, v2, s12
	v_mov_b32_e32 v1, s9
	s_and_b32 s34, s33, 0xff
	s_cmp_lt_i32 s34, 11
	s_waitcnt vmcnt(0)
	v_ashrrev_i32_e32 v3, 31, v0
	v_add_co_u32_e32 v0, vcc, s8, v0
	v_addc_co_u32_e32 v1, vcc, v1, v3, vcc
	s_cbranch_scc1 .LBB126_50
; %bb.44:
	s_and_b32 s35, 0xffff, s34
	s_cmp_gt_i32 s35, 25
	s_cbranch_scc0 .LBB126_51
; %bb.45:
	s_cmp_gt_i32 s35, 28
	s_cbranch_scc0 .LBB126_52
; %bb.46:
	;; [unrolled: 3-line block ×4, first 2 shown]
	s_mov_b64 s[28:29], 0
	s_mov_b64 s[0:1], -1
	s_cmp_eq_u32 s35, 46
	s_mov_b64 s[24:25], 0
	s_cbranch_scc0 .LBB126_175
; %bb.49:
	v_cndmask_b32_e64 v3, 0, 1.0, s[16:17]
	v_bfe_u32 v4, v3, 16, 1
	s_movk_i32 s0, 0x7fff
	v_add3_u32 v3, v3, v4, s0
	v_lshrrev_b32_e32 v3, 16, v3
	global_store_dword v[0:1], v3, off
	s_mov_b64 s[24:25], -1
	s_mov_b64 s[0:1], 0
	s_branch .LBB126_175
.LBB126_50:
	s_mov_b64 s[28:29], -1
	s_mov_b64 s[0:1], 0
	s_mov_b64 s[24:25], 0
	s_branch .LBB126_244
.LBB126_51:
	s_mov_b64 s[28:29], -1
	s_mov_b64 s[0:1], 0
	s_mov_b64 s[24:25], 0
	s_branch .LBB126_202
.LBB126_52:
	s_mov_b64 s[28:29], -1
	s_mov_b64 s[0:1], 0
	s_mov_b64 s[24:25], 0
	s_branch .LBB126_185
.LBB126_53:
	s_mov_b64 s[20:21], -1
.LBB126_54:
	s_mov_b64 s[0:1], 0
                                        ; implicit-def: $vgpr3
.LBB126_55:
	s_and_b64 vcc, exec, s[16:17]
	s_cbranch_vccz .LBB126_61
; %bb.56:
	s_cmp_eq_u32 s25, 44
	s_cbranch_scc0 .LBB126_60
; %bb.57:
	global_load_ubyte v3, v[0:1], off
	s_movk_i32 s16, 0xff
	v_mov_b32_e32 v5, 0x7e00
	s_mov_b64 s[0:1], -1
	s_mov_b64 s[20:21], 0
	s_waitcnt vmcnt(0)
	v_lshlrev_b32_e32 v4, 23, v3
	v_cvt_f16_f32_e32 v4, v4
	v_cmp_ne_u32_e32 vcc, s16, v3
	v_cndmask_b32_e32 v4, v5, v4, vcc
	v_cmp_ne_u32_e32 vcc, 0, v3
	v_cndmask_b32_e32 v3, 0, v4, vcc
	s_branch .LBB126_61
.LBB126_58:
	s_mov_b64 s[16:17], -1
	s_mov_b64 s[18:19], 0
	s_branch .LBB126_170
.LBB126_59:
	s_mov_b64 s[28:29], -1
	s_mov_b64 s[0:1], 0
	s_mov_b64 s[24:25], 0
	s_branch .LBB126_181
.LBB126_60:
	s_mov_b64 s[20:21], -1
                                        ; implicit-def: $vgpr3
.LBB126_61:
	s_mov_b64 s[16:17], 0
.LBB126_62:
	s_and_b64 vcc, exec, s[16:17]
	s_cbranch_vccz .LBB126_66
; %bb.63:
	s_cmp_eq_u32 s25, 29
	s_cbranch_scc0 .LBB126_65
; %bb.64:
	global_load_dwordx2 v[3:4], v[0:1], off
	s_mov_b64 s[0:1], -1
	s_mov_b64 s[20:21], 0
	s_mov_b64 s[16:17], 0
	s_waitcnt vmcnt(0)
	v_ffbh_u32_e32 v5, v4
	v_min_u32_e32 v5, 32, v5
	v_lshlrev_b64 v[3:4], v5, v[3:4]
	v_min_u32_e32 v3, 1, v3
	v_or_b32_e32 v3, v4, v3
	v_cvt_f32_u32_e32 v3, v3
	v_sub_u32_e32 v4, 32, v5
	v_ldexp_f32 v3, v3, v4
	v_cvt_f16_f32_e32 v3, v3
	s_branch .LBB126_67
.LBB126_65:
	s_mov_b64 s[20:21], -1
                                        ; implicit-def: $vgpr3
.LBB126_66:
	s_mov_b64 s[16:17], 0
.LBB126_67:
	s_and_b64 vcc, exec, s[16:17]
	s_cbranch_vccz .LBB126_85
; %bb.68:
	s_cmp_lt_i32 s25, 27
	s_cbranch_scc1 .LBB126_71
; %bb.69:
	s_cmp_gt_i32 s25, 27
	s_cbranch_scc0 .LBB126_72
; %bb.70:
	global_load_dword v3, v[0:1], off
	s_mov_b64 s[0:1], 0
	s_waitcnt vmcnt(0)
	v_cvt_f32_u32_e32 v3, v3
	v_cvt_f16_f32_e32 v3, v3
	s_branch .LBB126_73
.LBB126_71:
	s_mov_b64 s[0:1], -1
                                        ; implicit-def: $vgpr3
	s_branch .LBB126_76
.LBB126_72:
	s_mov_b64 s[0:1], -1
                                        ; implicit-def: $vgpr3
.LBB126_73:
	s_andn2_b64 vcc, exec, s[0:1]
	s_cbranch_vccnz .LBB126_75
; %bb.74:
	global_load_ushort v3, v[0:1], off
	s_waitcnt vmcnt(0)
	v_cvt_f16_u16_e32 v3, v3
.LBB126_75:
	s_mov_b64 s[0:1], 0
.LBB126_76:
	s_andn2_b64 vcc, exec, s[0:1]
	s_cbranch_vccnz .LBB126_84
; %bb.77:
	global_load_ubyte v4, v[0:1], off
	s_movk_i32 s0, 0x7f
	s_waitcnt vmcnt(0)
	v_cmp_lt_i16_e32 vcc, s0, v4
	s_mov_b64 s[0:1], 0
	s_and_saveexec_b64 s[16:17], vcc
	s_xor_b64 s[16:17], exec, s[16:17]
	s_cbranch_execz .LBB126_97
; %bb.78:
	s_movk_i32 s0, 0x80
	v_cmp_eq_u16_e32 vcc, s0, v4
	s_mov_b64 s[0:1], -1
	s_and_saveexec_b64 s[18:19], vcc
; %bb.79:
	s_xor_b64 s[0:1], exec, -1
; %bb.80:
	s_or_b64 exec, exec, s[18:19]
	s_and_b64 s[0:1], s[0:1], exec
	s_or_saveexec_b64 s[16:17], s[16:17]
	v_mov_b32_e32 v3, 0x7e00
	s_xor_b64 exec, exec, s[16:17]
	s_cbranch_execnz .LBB126_98
.LBB126_81:
	s_or_b64 exec, exec, s[16:17]
	s_and_saveexec_b64 s[16:17], s[0:1]
	s_cbranch_execz .LBB126_83
.LBB126_82:
	v_lshlrev_b32_e32 v3, 24, v4
	v_and_b32_e32 v4, 0xffff, v4
	v_and_b32_e32 v5, 7, v4
	v_ffbh_u32_e32 v7, v5
	v_min_u32_e32 v7, 32, v7
	v_subrev_u32_e32 v8, 28, v7
	v_bfe_u32 v6, v4, 3, 4
	v_lshlrev_b32_e32 v4, v8, v4
	v_sub_u32_e32 v7, 29, v7
	v_and_b32_e32 v4, 7, v4
	v_cmp_eq_u32_e32 vcc, 0, v6
	v_cndmask_b32_e32 v6, v6, v7, vcc
	v_cndmask_b32_e32 v4, v5, v4, vcc
	v_mov_b32_e32 v5, 0x3b800000
	v_lshlrev_b32_e32 v4, 20, v4
	v_and_b32_e32 v3, 0x80000000, v3
	v_lshl_add_u32 v5, v6, 23, v5
	v_or3_b32 v3, v3, v5, v4
	v_cvt_f16_f32_e32 v3, v3
.LBB126_83:
	s_or_b64 exec, exec, s[16:17]
.LBB126_84:
	s_mov_b64 s[0:1], -1
.LBB126_85:
	s_branch .LBB126_120
.LBB126_86:
	s_cmp_gt_i32 s25, 22
	s_cbranch_scc0 .LBB126_96
; %bb.87:
	s_cmp_lt_i32 s25, 24
	s_cbranch_scc1 .LBB126_99
; %bb.88:
	s_cmp_gt_i32 s25, 24
	s_cbranch_scc0 .LBB126_100
; %bb.89:
	global_load_ubyte v4, v[0:1], off
	s_movk_i32 s0, 0x7f
	s_waitcnt vmcnt(0)
	v_cmp_lt_i16_e32 vcc, s0, v4
	s_mov_b64 s[0:1], 0
	s_and_saveexec_b64 s[16:17], vcc
	s_xor_b64 s[16:17], exec, s[16:17]
	s_cbranch_execz .LBB126_112
; %bb.90:
	s_movk_i32 s0, 0x80
	v_cmp_eq_u16_e32 vcc, s0, v4
	s_mov_b64 s[0:1], -1
	s_and_saveexec_b64 s[18:19], vcc
; %bb.91:
	s_xor_b64 s[0:1], exec, -1
; %bb.92:
	s_or_b64 exec, exec, s[18:19]
	s_and_b64 s[0:1], s[0:1], exec
	s_or_saveexec_b64 s[16:17], s[16:17]
	v_mov_b32_e32 v3, 0x7e00
	s_xor_b64 exec, exec, s[16:17]
	s_cbranch_execnz .LBB126_113
.LBB126_93:
	s_or_b64 exec, exec, s[16:17]
	s_and_saveexec_b64 s[16:17], s[0:1]
	s_cbranch_execz .LBB126_95
.LBB126_94:
	v_lshlrev_b32_e32 v3, 24, v4
	v_and_b32_e32 v4, 0xffff, v4
	v_and_b32_e32 v5, 3, v4
	v_ffbh_u32_e32 v7, v5
	v_min_u32_e32 v7, 32, v7
	v_subrev_u32_e32 v8, 29, v7
	v_bfe_u32 v6, v4, 2, 5
	v_lshlrev_b32_e32 v4, v8, v4
	v_sub_u32_e32 v7, 30, v7
	v_and_b32_e32 v4, 3, v4
	v_cmp_eq_u32_e32 vcc, 0, v6
	v_cndmask_b32_e32 v6, v6, v7, vcc
	v_cndmask_b32_e32 v4, v5, v4, vcc
	v_mov_b32_e32 v5, 0x37800000
	v_lshlrev_b32_e32 v4, 21, v4
	v_and_b32_e32 v3, 0x80000000, v3
	v_lshl_add_u32 v5, v6, 23, v5
	v_or3_b32 v3, v3, v5, v4
	v_cvt_f16_f32_e32 v3, v3
.LBB126_95:
	s_or_b64 exec, exec, s[16:17]
	s_mov_b64 s[0:1], 0
	s_branch .LBB126_101
.LBB126_96:
	s_mov_b64 s[16:17], -1
                                        ; implicit-def: $vgpr3
	s_branch .LBB126_107
.LBB126_97:
	s_or_saveexec_b64 s[16:17], s[16:17]
	v_mov_b32_e32 v3, 0x7e00
	s_xor_b64 exec, exec, s[16:17]
	s_cbranch_execz .LBB126_81
.LBB126_98:
	v_cmp_ne_u16_e32 vcc, 0, v4
	s_andn2_b64 s[0:1], s[0:1], exec
	s_and_b64 s[18:19], vcc, exec
	s_or_b64 s[0:1], s[0:1], s[18:19]
	v_mov_b32_e32 v3, v4
	s_or_b64 exec, exec, s[16:17]
	s_and_saveexec_b64 s[16:17], s[0:1]
	s_cbranch_execnz .LBB126_82
	s_branch .LBB126_83
.LBB126_99:
	s_mov_b64 s[0:1], -1
                                        ; implicit-def: $vgpr3
	s_branch .LBB126_104
.LBB126_100:
	s_mov_b64 s[0:1], -1
                                        ; implicit-def: $vgpr3
.LBB126_101:
	s_and_b64 vcc, exec, s[0:1]
	s_cbranch_vccz .LBB126_103
; %bb.102:
	global_load_ubyte v3, v[0:1], off
	s_mov_b32 s0, 0x7f800000
	s_waitcnt vmcnt(0)
	v_lshlrev_b32_e32 v3, 24, v3
	v_and_b32_e32 v4, 0x7f000000, v3
	v_ffbh_u32_e32 v5, v4
	v_min_u32_e32 v5, 32, v5
	v_sub_u32_e64 v5, v5, 4 clamp
	v_lshlrev_b32_e32 v7, v5, v4
	v_lshlrev_b32_e32 v5, 23, v5
	v_lshrrev_b32_e32 v7, 4, v7
	v_add_u32_e32 v6, 0x1000000, v4
	v_sub_u32_e32 v5, v7, v5
	v_ashrrev_i32_e32 v6, 8, v6
	v_add_u32_e32 v5, 0x3c000000, v5
	v_and_or_b32 v5, v6, s0, v5
	v_cmp_ne_u32_e32 vcc, 0, v4
	v_cndmask_b32_e32 v4, 0, v5, vcc
	s_brev_b32 s0, 1
	v_and_or_b32 v3, v3, s0, v4
	v_cvt_f16_f32_e32 v3, v3
.LBB126_103:
	s_mov_b64 s[0:1], 0
.LBB126_104:
	s_andn2_b64 vcc, exec, s[0:1]
	s_cbranch_vccnz .LBB126_106
; %bb.105:
	global_load_ubyte v3, v[0:1], off
	s_movk_i32 s0, 0x7f00
	s_brev_b32 s1, 16
	s_waitcnt vmcnt(0)
	v_lshlrev_b16_e32 v4, 8, v3
	v_lshlrev_b32_e32 v3, 25, v3
	v_lshrrev_b32_e32 v5, 4, v3
	v_and_or_b32 v6, v4, s0, 0.5
	v_or_b32_e32 v5, 0x70000000, v5
	v_add_f32_e32 v6, -0.5, v6
	v_mul_f32_e32 v5, 0x7800000, v5
	v_cmp_gt_u32_e32 vcc, s1, v3
	v_bfe_i32 v4, v4, 0, 16
	v_cndmask_b32_e32 v3, v5, v6, vcc
	s_brev_b32 s0, 1
	v_and_or_b32 v3, v4, s0, v3
	v_cvt_f16_f32_e32 v3, v3
.LBB126_106:
	s_mov_b64 s[16:17], 0
	s_mov_b64 s[0:1], -1
.LBB126_107:
	s_andn2_b64 vcc, exec, s[16:17]
	s_cbranch_vccnz .LBB126_120
; %bb.108:
	s_cmp_gt_i32 s25, 14
	s_cbranch_scc0 .LBB126_111
; %bb.109:
	s_cmp_eq_u32 s25, 15
	s_cbranch_scc0 .LBB126_114
; %bb.110:
	global_load_ushort v3, v[0:1], off
	s_mov_b64 s[0:1], -1
	s_mov_b64 s[20:21], 0
	s_waitcnt vmcnt(0)
	v_lshlrev_b32_e32 v3, 16, v3
	v_cvt_f16_f32_e32 v3, v3
	s_branch .LBB126_115
.LBB126_111:
	s_mov_b64 s[16:17], -1
                                        ; implicit-def: $vgpr3
	s_branch .LBB126_116
.LBB126_112:
	s_or_saveexec_b64 s[16:17], s[16:17]
	v_mov_b32_e32 v3, 0x7e00
	s_xor_b64 exec, exec, s[16:17]
	s_cbranch_execz .LBB126_93
.LBB126_113:
	v_cmp_ne_u16_e32 vcc, 0, v4
	s_andn2_b64 s[0:1], s[0:1], exec
	s_and_b64 s[18:19], vcc, exec
	s_or_b64 s[0:1], s[0:1], s[18:19]
	v_mov_b32_e32 v3, v4
	s_or_b64 exec, exec, s[16:17]
	s_and_saveexec_b64 s[16:17], s[0:1]
	s_cbranch_execnz .LBB126_94
	s_branch .LBB126_95
.LBB126_114:
	s_mov_b64 s[20:21], -1
                                        ; implicit-def: $vgpr3
.LBB126_115:
	s_mov_b64 s[16:17], 0
.LBB126_116:
	s_and_b64 vcc, exec, s[16:17]
	s_cbranch_vccz .LBB126_120
; %bb.117:
	s_cmp_eq_u32 s25, 11
	s_cbranch_scc0 .LBB126_119
; %bb.118:
	global_load_ubyte v3, v[0:1], off
	v_mov_b32_e32 v4, 0x3c00
	s_mov_b64 s[0:1], -1
	s_mov_b64 s[20:21], 0
	s_waitcnt vmcnt(0)
	v_cmp_ne_u16_e32 vcc, 0, v3
	v_cndmask_b32_e32 v3, 0, v4, vcc
	s_branch .LBB126_120
.LBB126_119:
	s_mov_b64 s[20:21], -1
                                        ; implicit-def: $vgpr3
.LBB126_120:
	s_branch .LBB126_10
.LBB126_121:
	s_and_b32 s16, 0xffff, s24
	s_cmp_lt_i32 s16, 5
	s_cbranch_scc1 .LBB126_126
; %bb.122:
	s_cmp_lt_i32 s16, 8
	s_cbranch_scc1 .LBB126_127
; %bb.123:
	;; [unrolled: 3-line block ×3, first 2 shown]
	s_cmp_gt_i32 s16, 9
	s_cbranch_scc0 .LBB126_129
; %bb.125:
	global_load_dwordx2 v[3:4], v[0:1], off
	s_movk_i32 s0, 0x1ff
	s_movk_i32 s1, 0xffe
	v_mov_b32_e32 v5, 0x7c00
	v_mov_b32_e32 v6, 0x7e00
	s_movk_i32 s17, 0x40f
	s_mov_b32 s18, 0x8000
	s_waitcnt vmcnt(0)
	v_and_or_b32 v3, v4, s0, v3
	v_cmp_ne_u32_e32 vcc, 0, v3
	v_lshrrev_b32_e32 v7, 8, v4
	v_bfe_u32 v8, v4, 20, 11
	v_cndmask_b32_e64 v3, 0, 1, vcc
	v_sub_u32_e32 v9, 0x3f1, v8
	v_and_or_b32 v3, v7, s1, v3
	v_add_u32_e32 v8, 0xfffffc10, v8
	v_med3_i32 v7, v9, 0, 13
	v_or_b32_e32 v9, 0x1000, v3
	v_cmp_ne_u32_e32 vcc, 0, v3
	v_lshl_or_b32 v10, v8, 12, v3
	v_cndmask_b32_e32 v3, v5, v6, vcc
	v_lshrrev_b32_e32 v6, v7, v9
	v_lshlrev_b32_e32 v7, v7, v6
	v_cmp_ne_u32_e32 vcc, v7, v9
	v_cndmask_b32_e64 v7, 0, 1, vcc
	v_or_b32_e32 v6, v6, v7
	v_cmp_gt_i32_e32 vcc, 1, v8
	v_cndmask_b32_e32 v6, v10, v6, vcc
	v_and_b32_e32 v7, 7, v6
	v_cmp_lt_i32_e32 vcc, 5, v7
	v_cndmask_b32_e64 v9, 0, 1, vcc
	v_cmp_eq_u32_e32 vcc, 3, v7
	v_cndmask_b32_e64 v7, 0, 1, vcc
	v_lshrrev_b32_e32 v6, 2, v6
	v_or_b32_e32 v7, v7, v9
	v_add_u32_e32 v6, v6, v7
	v_cmp_gt_i32_e32 vcc, 31, v8
	v_cndmask_b32_e32 v5, v5, v6, vcc
	v_cmp_eq_u32_e32 vcc, s17, v8
	v_lshrrev_b32_e32 v4, 16, v4
	v_cndmask_b32_e32 v3, v5, v3, vcc
	v_and_or_b32 v3, v4, s18, v3
	s_mov_b64 s[0:1], 0
	s_branch .LBB126_130
.LBB126_126:
                                        ; implicit-def: $vgpr3
	s_branch .LBB126_148
.LBB126_127:
	s_mov_b64 s[0:1], -1
                                        ; implicit-def: $vgpr3
	s_branch .LBB126_136
.LBB126_128:
	s_mov_b64 s[0:1], -1
                                        ; implicit-def: $vgpr3
	s_branch .LBB126_133
.LBB126_129:
	s_mov_b64 s[0:1], -1
                                        ; implicit-def: $vgpr3
.LBB126_130:
	s_andn2_b64 vcc, exec, s[0:1]
	s_cbranch_vccnz .LBB126_132
; %bb.131:
	global_load_dword v3, v[0:1], off
	s_waitcnt vmcnt(0)
	v_cvt_f16_f32_e32 v3, v3
.LBB126_132:
	s_mov_b64 s[0:1], 0
.LBB126_133:
	s_andn2_b64 vcc, exec, s[0:1]
	s_cbranch_vccnz .LBB126_135
; %bb.134:
	global_load_dword v3, v[0:1], off
.LBB126_135:
	s_mov_b64 s[0:1], 0
.LBB126_136:
	s_andn2_b64 vcc, exec, s[0:1]
	s_cbranch_vccnz .LBB126_147
; %bb.137:
	s_cmp_lt_i32 s16, 6
	s_cbranch_scc1 .LBB126_140
; %bb.138:
	s_cmp_gt_i32 s16, 6
	s_cbranch_scc0 .LBB126_141
; %bb.139:
	global_load_dwordx2 v[3:4], v[0:1], off
	s_movk_i32 s0, 0x1ff
	s_movk_i32 s1, 0xffe
	v_mov_b32_e32 v5, 0x7c00
	v_mov_b32_e32 v6, 0x7e00
	s_movk_i32 s17, 0x40f
	s_mov_b32 s18, 0x8000
	s_waitcnt vmcnt(0)
	v_and_or_b32 v3, v4, s0, v3
	v_cmp_ne_u32_e32 vcc, 0, v3
	v_lshrrev_b32_e32 v7, 8, v4
	v_bfe_u32 v8, v4, 20, 11
	v_cndmask_b32_e64 v3, 0, 1, vcc
	v_sub_u32_e32 v9, 0x3f1, v8
	v_and_or_b32 v3, v7, s1, v3
	v_add_u32_e32 v8, 0xfffffc10, v8
	v_med3_i32 v7, v9, 0, 13
	v_or_b32_e32 v9, 0x1000, v3
	v_cmp_ne_u32_e32 vcc, 0, v3
	v_lshl_or_b32 v10, v8, 12, v3
	v_cndmask_b32_e32 v3, v5, v6, vcc
	v_lshrrev_b32_e32 v6, v7, v9
	v_lshlrev_b32_e32 v7, v7, v6
	v_cmp_ne_u32_e32 vcc, v7, v9
	v_cndmask_b32_e64 v7, 0, 1, vcc
	v_or_b32_e32 v6, v6, v7
	v_cmp_gt_i32_e32 vcc, 1, v8
	v_cndmask_b32_e32 v6, v10, v6, vcc
	v_and_b32_e32 v7, 7, v6
	v_cmp_lt_i32_e32 vcc, 5, v7
	v_cndmask_b32_e64 v9, 0, 1, vcc
	v_cmp_eq_u32_e32 vcc, 3, v7
	v_cndmask_b32_e64 v7, 0, 1, vcc
	v_lshrrev_b32_e32 v6, 2, v6
	v_or_b32_e32 v7, v7, v9
	v_add_u32_e32 v6, v6, v7
	v_cmp_gt_i32_e32 vcc, 31, v8
	v_cndmask_b32_e32 v5, v5, v6, vcc
	v_cmp_eq_u32_e32 vcc, s17, v8
	v_lshrrev_b32_e32 v4, 16, v4
	v_cndmask_b32_e32 v3, v5, v3, vcc
	v_and_or_b32 v3, v4, s18, v3
	s_mov_b64 s[0:1], 0
	s_branch .LBB126_142
.LBB126_140:
	s_mov_b64 s[0:1], -1
                                        ; implicit-def: $vgpr3
	s_branch .LBB126_145
.LBB126_141:
	s_mov_b64 s[0:1], -1
                                        ; implicit-def: $vgpr3
.LBB126_142:
	s_andn2_b64 vcc, exec, s[0:1]
	s_cbranch_vccnz .LBB126_144
; %bb.143:
	global_load_dword v3, v[0:1], off
	s_waitcnt vmcnt(0)
	v_cvt_f16_f32_e32 v3, v3
.LBB126_144:
	s_mov_b64 s[0:1], 0
.LBB126_145:
	s_andn2_b64 vcc, exec, s[0:1]
	s_cbranch_vccnz .LBB126_147
; %bb.146:
	global_load_ushort v3, v[0:1], off
.LBB126_147:
	s_cbranch_execnz .LBB126_167
.LBB126_148:
	s_cmp_lt_i32 s16, 2
	s_cbranch_scc1 .LBB126_152
; %bb.149:
	s_cmp_lt_i32 s16, 3
	s_cbranch_scc1 .LBB126_153
; %bb.150:
	s_cmp_gt_i32 s16, 3
	s_cbranch_scc0 .LBB126_154
; %bb.151:
	global_load_dwordx2 v[3:4], v[0:1], off
	s_mov_b64 s[0:1], 0
	s_waitcnt vmcnt(0)
	v_xor_b32_e32 v6, v3, v4
	v_ffbh_i32_e32 v5, v4
	v_ashrrev_i32_e32 v6, 31, v6
	v_add_u32_e32 v5, -1, v5
	v_add_u32_e32 v6, 32, v6
	v_min_u32_e32 v5, v5, v6
	v_lshlrev_b64 v[3:4], v5, v[3:4]
	v_min_u32_e32 v3, 1, v3
	v_or_b32_e32 v3, v4, v3
	v_cvt_f32_i32_e32 v3, v3
	v_sub_u32_e32 v4, 32, v5
	v_ldexp_f32 v3, v3, v4
	v_cvt_f16_f32_e32 v3, v3
	s_branch .LBB126_155
.LBB126_152:
	s_mov_b64 s[0:1], -1
                                        ; implicit-def: $vgpr3
	s_branch .LBB126_161
.LBB126_153:
	s_mov_b64 s[0:1], -1
                                        ; implicit-def: $vgpr3
	s_branch .LBB126_158
.LBB126_154:
	s_mov_b64 s[0:1], -1
                                        ; implicit-def: $vgpr3
.LBB126_155:
	s_andn2_b64 vcc, exec, s[0:1]
	s_cbranch_vccnz .LBB126_157
; %bb.156:
	global_load_dword v3, v[0:1], off
	s_waitcnt vmcnt(0)
	v_cvt_f32_i32_e32 v3, v3
	v_cvt_f16_f32_e32 v3, v3
.LBB126_157:
	s_mov_b64 s[0:1], 0
.LBB126_158:
	s_andn2_b64 vcc, exec, s[0:1]
	s_cbranch_vccnz .LBB126_160
; %bb.159:
	global_load_ushort v3, v[0:1], off
	s_waitcnt vmcnt(0)
	v_cvt_f16_i16_e32 v3, v3
.LBB126_160:
	s_mov_b64 s[0:1], 0
.LBB126_161:
	s_andn2_b64 vcc, exec, s[0:1]
	s_cbranch_vccnz .LBB126_167
; %bb.162:
	s_cmp_gt_i32 s16, 0
	s_cbranch_scc0 .LBB126_164
; %bb.163:
	global_load_sbyte v3, v[0:1], off
	s_mov_b64 s[0:1], 0
	s_waitcnt vmcnt(0)
	v_cvt_f16_i16_e32 v3, v3
	s_branch .LBB126_165
.LBB126_164:
	s_mov_b64 s[0:1], -1
                                        ; implicit-def: $vgpr3
.LBB126_165:
	s_andn2_b64 vcc, exec, s[0:1]
	s_cbranch_vccnz .LBB126_167
; %bb.166:
	global_load_ubyte v0, v[0:1], off
	s_waitcnt vmcnt(0)
	v_cvt_f16_u16_e32 v3, v0
.LBB126_167:
	s_branch .LBB126_11
.LBB126_168:
	s_mov_b64 s[0:1], 0
	s_mov_b64 s[18:19], 0
	s_branch .LBB126_397
.LBB126_169:
	s_mov_b64 s[18:19], -1
.LBB126_170:
	s_mov_b64 s[0:1], 0
                                        ; implicit-def: $vgpr4
.LBB126_171:
	s_and_b64 vcc, exec, s[16:17]
	s_cbranch_vccz .LBB126_287
; %bb.172:
	s_cmp_eq_u32 s29, 44
	s_cbranch_scc0 .LBB126_286
; %bb.173:
	global_load_ubyte v4, v[0:1], off
	s_movk_i32 s16, 0xff
	v_mov_b32_e32 v6, 0x7e00
	s_mov_b64 s[0:1], -1
	s_mov_b64 s[18:19], 0
	s_waitcnt vmcnt(0)
	v_lshlrev_b32_e32 v5, 23, v4
	v_cvt_f16_f32_e32 v5, v5
	v_cmp_ne_u32_e32 vcc, s16, v4
	v_cndmask_b32_e32 v5, v6, v5, vcc
	v_cmp_ne_u32_e32 vcc, 0, v4
	v_cndmask_b32_e32 v4, 0, v5, vcc
	s_branch .LBB126_287
.LBB126_174:
	s_mov_b64 s[28:29], -1
	s_mov_b64 s[0:1], 0
	s_mov_b64 s[24:25], 0
.LBB126_175:
	s_and_b64 vcc, exec, s[28:29]
	s_cbranch_vccz .LBB126_180
; %bb.176:
	s_cmp_eq_u32 s35, 44
	s_mov_b64 s[0:1], -1
	s_cbranch_scc0 .LBB126_180
; %bb.177:
	v_cndmask_b32_e64 v4, 0, 1.0, s[16:17]
	v_lshrrev_b32_e32 v3, 23, v4
	s_movk_i32 s0, 0xff
	v_cmp_ne_u32_e32 vcc, s0, v3
	v_mov_b32_e32 v5, 0xff
	s_and_saveexec_b64 s[24:25], vcc
; %bb.178:
	s_mov_b32 s0, 0x3fffff
	v_and_b32_e32 v5, 0x400000, v4
	v_and_or_b32 v4, v4, s0, v3
	v_cmp_ne_u32_e32 vcc, 0, v5
	v_cmp_ne_u32_e64 s[0:1], 0, v4
	s_and_b64 s[0:1], vcc, s[0:1]
	v_cndmask_b32_e64 v4, 0, 1, s[0:1]
	v_add_u32_e32 v5, v3, v4
; %bb.179:
	s_or_b64 exec, exec, s[24:25]
	s_mov_b64 s[24:25], -1
	s_mov_b64 s[0:1], 0
	global_store_byte v[0:1], v5, off
.LBB126_180:
	s_mov_b64 s[28:29], 0
.LBB126_181:
	s_and_b64 vcc, exec, s[28:29]
	s_cbranch_vccz .LBB126_184
; %bb.182:
	s_cmp_eq_u32 s35, 29
	s_mov_b64 s[0:1], -1
	s_cbranch_scc0 .LBB126_184
; %bb.183:
	s_mov_b32 s0, 0
	v_cndmask_b32_e64 v3, 0, 1, s[16:17]
	v_mov_b32_e32 v4, s0
	global_store_dwordx2 v[0:1], v[3:4], off
	s_mov_b64 s[24:25], -1
	s_mov_b64 s[0:1], 0
.LBB126_184:
	s_mov_b64 s[28:29], 0
.LBB126_185:
	s_and_b64 vcc, exec, s[28:29]
	s_cbranch_vccz .LBB126_201
; %bb.186:
	s_cmp_lt_i32 s35, 27
	s_mov_b64 s[24:25], -1
	s_cbranch_scc1 .LBB126_192
; %bb.187:
	s_cmp_gt_i32 s35, 27
	s_cbranch_scc0 .LBB126_189
; %bb.188:
	v_cndmask_b32_e64 v3, 0, 1, s[16:17]
	s_mov_b64 s[24:25], 0
	global_store_dword v[0:1], v3, off
.LBB126_189:
	s_andn2_b64 vcc, exec, s[24:25]
	s_cbranch_vccnz .LBB126_191
; %bb.190:
	v_cndmask_b32_e64 v3, 0, 1, s[16:17]
	global_store_short v[0:1], v3, off
.LBB126_191:
	s_mov_b64 s[24:25], 0
.LBB126_192:
	s_andn2_b64 vcc, exec, s[24:25]
	s_cbranch_vccnz .LBB126_200
; %bb.193:
	v_cndmask_b32_e64 v4, 0, 1.0, s[16:17]
	s_mov_b32 s24, 0x43800000
	v_cmp_gt_u32_e32 vcc, s24, v4
	v_mov_b32_e32 v5, 0x80
	s_and_saveexec_b64 s[24:25], vcc
	s_cbranch_execz .LBB126_199
; %bb.194:
	s_mov_b32 s28, 0x3bffffff
	v_cmp_lt_u32_e32 vcc, s28, v4
	s_mov_b64 s[28:29], 0
                                        ; implicit-def: $vgpr3
	s_and_saveexec_b64 s[30:31], vcc
	s_xor_b64 s[30:31], exec, s[30:31]
	s_cbranch_execz .LBB126_428
; %bb.195:
	v_bfe_u32 v3, v4, 20, 1
	s_mov_b32 s36, 0x487ffff
	v_add3_u32 v3, v4, v3, s36
	s_mov_b64 s[28:29], exec
	v_lshrrev_b32_e32 v3, 20, v3
                                        ; implicit-def: $vgpr4
	s_andn2_saveexec_b64 s[30:31], s[30:31]
	s_cbranch_execnz .LBB126_429
.LBB126_196:
	s_or_b64 exec, exec, s[30:31]
	v_mov_b32_e32 v5, 0
	s_and_saveexec_b64 s[30:31], s[28:29]
.LBB126_197:
	v_mov_b32_e32 v5, v3
.LBB126_198:
	s_or_b64 exec, exec, s[30:31]
.LBB126_199:
	s_or_b64 exec, exec, s[24:25]
	global_store_byte v[0:1], v5, off
.LBB126_200:
	s_mov_b64 s[24:25], -1
.LBB126_201:
	s_mov_b64 s[28:29], 0
.LBB126_202:
	s_and_b64 vcc, exec, s[28:29]
	s_cbranch_vccz .LBB126_243
; %bb.203:
	s_cmp_gt_i32 s35, 22
	s_mov_b64 s[28:29], -1
	s_cbranch_scc0 .LBB126_235
; %bb.204:
	s_cmp_lt_i32 s35, 24
	s_mov_b64 s[24:25], -1
	s_cbranch_scc1 .LBB126_224
; %bb.205:
	s_cmp_gt_i32 s35, 24
	s_cbranch_scc0 .LBB126_213
; %bb.206:
	v_cndmask_b32_e64 v4, 0, 1.0, s[16:17]
	s_mov_b32 s24, 0x47800000
	v_cmp_gt_u32_e32 vcc, s24, v4
	v_mov_b32_e32 v5, 0x80
	s_and_saveexec_b64 s[24:25], vcc
	s_cbranch_execz .LBB126_212
; %bb.207:
	s_mov_b32 s28, 0x37ffffff
	v_cmp_lt_u32_e32 vcc, s28, v4
	s_mov_b64 s[28:29], 0
                                        ; implicit-def: $vgpr3
	s_and_saveexec_b64 s[30:31], vcc
	s_xor_b64 s[30:31], exec, s[30:31]
	s_cbranch_execz .LBB126_547
; %bb.208:
	v_bfe_u32 v3, v4, 21, 1
	s_mov_b32 s36, 0x88fffff
	v_add3_u32 v3, v4, v3, s36
	s_mov_b64 s[28:29], exec
	v_lshrrev_b32_e32 v3, 21, v3
                                        ; implicit-def: $vgpr4
	s_andn2_saveexec_b64 s[30:31], s[30:31]
	s_cbranch_execnz .LBB126_548
.LBB126_209:
	s_or_b64 exec, exec, s[30:31]
	v_mov_b32_e32 v5, 0
	s_and_saveexec_b64 s[30:31], s[28:29]
.LBB126_210:
	v_mov_b32_e32 v5, v3
.LBB126_211:
	s_or_b64 exec, exec, s[30:31]
.LBB126_212:
	s_or_b64 exec, exec, s[24:25]
	s_mov_b64 s[24:25], 0
	global_store_byte v[0:1], v5, off
.LBB126_213:
	s_and_b64 vcc, exec, s[24:25]
	s_cbranch_vccz .LBB126_223
; %bb.214:
	v_cndmask_b32_e64 v3, 0, 1.0, s[16:17]
	s_mov_b32 s24, 0x43f00000
	v_cmp_gt_u32_e32 vcc, s24, v3
                                        ; implicit-def: $vgpr4
	s_and_saveexec_b64 s[24:25], vcc
	s_xor_b64 s[24:25], exec, s[24:25]
	s_cbranch_execz .LBB126_220
; %bb.215:
	s_mov_b32 s28, 0x3c7fffff
	v_cmp_lt_u32_e32 vcc, s28, v3
                                        ; implicit-def: $vgpr4
	s_and_saveexec_b64 s[28:29], vcc
	s_xor_b64 s[28:29], exec, s[28:29]
; %bb.216:
	v_bfe_u32 v4, v3, 20, 1
	s_mov_b32 s30, 0x407ffff
	v_add3_u32 v3, v3, v4, s30
	v_lshrrev_b32_e32 v4, 20, v3
	v_and_b32_e32 v3, 0xff00000, v3
	s_mov_b32 s30, 0x7f00000
	v_mov_b32_e32 v5, 0x7e
	v_cmp_ne_u32_e32 vcc, s30, v3
	v_cndmask_b32_e32 v4, v5, v4, vcc
                                        ; implicit-def: $vgpr3
; %bb.217:
	s_andn2_saveexec_b64 s[28:29], s[28:29]
; %bb.218:
	v_add_f32_e32 v4, 0x46800000, v3
; %bb.219:
	s_or_b64 exec, exec, s[28:29]
                                        ; implicit-def: $vgpr3
.LBB126_220:
	s_andn2_saveexec_b64 s[24:25], s[24:25]
; %bb.221:
	s_mov_b32 s28, 0x7f800000
	v_mov_b32_e32 v4, 0x7e
	v_mov_b32_e32 v5, 0x7f
	v_cmp_lt_u32_e32 vcc, s28, v3
	v_cndmask_b32_e32 v4, v4, v5, vcc
; %bb.222:
	s_or_b64 exec, exec, s[24:25]
	global_store_byte v[0:1], v4, off
.LBB126_223:
	s_mov_b64 s[24:25], 0
.LBB126_224:
	s_andn2_b64 vcc, exec, s[24:25]
	s_cbranch_vccnz .LBB126_234
; %bb.225:
	v_cndmask_b32_e64 v3, 0, 1.0, s[16:17]
	s_mov_b32 s24, 0x47800000
	v_cmp_gt_u32_e32 vcc, s24, v3
                                        ; implicit-def: $vgpr4
	s_and_saveexec_b64 s[24:25], vcc
	s_xor_b64 s[24:25], exec, s[24:25]
	s_cbranch_execz .LBB126_231
; %bb.226:
	s_mov_b32 s28, 0x387fffff
	v_cmp_lt_u32_e32 vcc, s28, v3
                                        ; implicit-def: $vgpr4
	s_and_saveexec_b64 s[28:29], vcc
	s_xor_b64 s[28:29], exec, s[28:29]
; %bb.227:
	v_bfe_u32 v4, v3, 21, 1
	s_mov_b32 s30, 0x80fffff
	v_add3_u32 v3, v3, v4, s30
	v_lshrrev_b32_e32 v4, 21, v3
                                        ; implicit-def: $vgpr3
; %bb.228:
	s_andn2_saveexec_b64 s[28:29], s[28:29]
; %bb.229:
	v_add_f32_e32 v4, 0x43000000, v3
; %bb.230:
	s_or_b64 exec, exec, s[28:29]
                                        ; implicit-def: $vgpr3
.LBB126_231:
	s_andn2_saveexec_b64 s[24:25], s[24:25]
; %bb.232:
	s_mov_b32 s28, 0x7f800000
	v_mov_b32_e32 v4, 0x7c
	v_mov_b32_e32 v5, 0x7f
	v_cmp_lt_u32_e32 vcc, s28, v3
	v_cndmask_b32_e32 v4, v4, v5, vcc
; %bb.233:
	s_or_b64 exec, exec, s[24:25]
	global_store_byte v[0:1], v4, off
.LBB126_234:
	s_mov_b64 s[28:29], 0
	s_mov_b64 s[24:25], -1
.LBB126_235:
	s_andn2_b64 vcc, exec, s[28:29]
	s_cbranch_vccnz .LBB126_243
; %bb.236:
	s_cmp_gt_i32 s35, 14
	s_mov_b64 s[28:29], -1
	s_cbranch_scc0 .LBB126_240
; %bb.237:
	s_cmp_eq_u32 s35, 15
	s_mov_b64 s[0:1], -1
	s_cbranch_scc0 .LBB126_239
; %bb.238:
	v_cndmask_b32_e64 v3, 0, 1.0, s[16:17]
	v_bfe_u32 v4, v3, 16, 1
	s_movk_i32 s0, 0x7fff
	v_add3_u32 v3, v3, v4, s0
	global_store_short_d16_hi v[0:1], v3, off
	s_mov_b64 s[24:25], -1
	s_mov_b64 s[0:1], 0
.LBB126_239:
	s_mov_b64 s[28:29], 0
.LBB126_240:
	s_and_b64 vcc, exec, s[28:29]
	s_cbranch_vccz .LBB126_243
; %bb.241:
	s_cmp_eq_u32 s35, 11
	s_mov_b64 s[0:1], -1
	s_cbranch_scc0 .LBB126_243
; %bb.242:
	v_cndmask_b32_e64 v3, 0, 1, s[16:17]
	s_mov_b64 s[24:25], -1
	s_mov_b64 s[0:1], 0
	global_store_byte v[0:1], v3, off
.LBB126_243:
	s_mov_b64 s[28:29], 0
.LBB126_244:
	s_and_b64 vcc, exec, s[28:29]
	s_cbranch_vccz .LBB126_283
; %bb.245:
	s_and_b32 s28, 0xffff, s34
	s_cmp_lt_i32 s28, 5
	s_mov_b64 s[24:25], -1
	s_cbranch_scc1 .LBB126_266
; %bb.246:
	s_cmp_lt_i32 s28, 8
	s_cbranch_scc1 .LBB126_256
; %bb.247:
	s_cmp_lt_i32 s28, 9
	s_cbranch_scc1 .LBB126_253
; %bb.248:
	s_cmp_gt_i32 s28, 9
	s_cbranch_scc0 .LBB126_250
; %bb.249:
	v_cndmask_b32_e64 v3, 0, 1, s[16:17]
	v_cvt_f64_u32_e32 v[3:4], v3
	v_mov_b32_e32 v5, 0
	v_mov_b32_e32 v6, v5
	s_mov_b64 s[24:25], 0
	global_store_dwordx4 v[0:1], v[3:6], off
.LBB126_250:
	s_andn2_b64 vcc, exec, s[24:25]
	s_cbranch_vccnz .LBB126_252
; %bb.251:
	v_cndmask_b32_e64 v3, 0, 1.0, s[16:17]
	v_mov_b32_e32 v4, 0
	global_store_dwordx2 v[0:1], v[3:4], off
.LBB126_252:
	s_mov_b64 s[24:25], 0
.LBB126_253:
	s_andn2_b64 vcc, exec, s[24:25]
	s_cbranch_vccnz .LBB126_255
; %bb.254:
	v_cndmask_b32_e64 v3, 0, 1.0, s[16:17]
	v_cvt_f16_f32_e32 v3, v3
	global_store_dword v[0:1], v3, off
.LBB126_255:
	s_mov_b64 s[24:25], 0
.LBB126_256:
	s_andn2_b64 vcc, exec, s[24:25]
	s_cbranch_vccnz .LBB126_265
; %bb.257:
	s_cmp_lt_i32 s28, 6
	s_mov_b64 s[24:25], -1
	s_cbranch_scc1 .LBB126_263
; %bb.258:
	s_cmp_gt_i32 s28, 6
	s_cbranch_scc0 .LBB126_260
; %bb.259:
	v_cndmask_b32_e64 v3, 0, 1, s[16:17]
	v_cvt_f64_u32_e32 v[3:4], v3
	s_mov_b64 s[24:25], 0
	global_store_dwordx2 v[0:1], v[3:4], off
.LBB126_260:
	s_andn2_b64 vcc, exec, s[24:25]
	s_cbranch_vccnz .LBB126_262
; %bb.261:
	v_cndmask_b32_e64 v3, 0, 1.0, s[16:17]
	global_store_dword v[0:1], v3, off
.LBB126_262:
	s_mov_b64 s[24:25], 0
.LBB126_263:
	s_andn2_b64 vcc, exec, s[24:25]
	s_cbranch_vccnz .LBB126_265
; %bb.264:
	v_cndmask_b32_e64 v3, 0, 1.0, s[16:17]
	v_cvt_f16_f32_e32 v3, v3
	global_store_short v[0:1], v3, off
.LBB126_265:
	s_mov_b64 s[24:25], 0
.LBB126_266:
	s_andn2_b64 vcc, exec, s[24:25]
	s_cbranch_vccnz .LBB126_282
; %bb.267:
	s_cmp_lt_i32 s28, 2
	s_mov_b64 s[24:25], -1
	s_cbranch_scc1 .LBB126_277
; %bb.268:
	s_cmp_lt_i32 s28, 3
	s_cbranch_scc1 .LBB126_274
; %bb.269:
	s_cmp_gt_i32 s28, 3
	s_cbranch_scc0 .LBB126_271
; %bb.270:
	s_mov_b32 s24, 0
	v_cndmask_b32_e64 v3, 0, 1, s[16:17]
	v_mov_b32_e32 v4, s24
	global_store_dwordx2 v[0:1], v[3:4], off
	s_mov_b64 s[24:25], 0
.LBB126_271:
	s_andn2_b64 vcc, exec, s[24:25]
	s_cbranch_vccnz .LBB126_273
; %bb.272:
	v_cndmask_b32_e64 v3, 0, 1, s[16:17]
	global_store_dword v[0:1], v3, off
.LBB126_273:
	s_mov_b64 s[24:25], 0
.LBB126_274:
	s_andn2_b64 vcc, exec, s[24:25]
	s_cbranch_vccnz .LBB126_276
; %bb.275:
	v_cndmask_b32_e64 v3, 0, 1, s[16:17]
	global_store_short v[0:1], v3, off
.LBB126_276:
	s_mov_b64 s[24:25], 0
.LBB126_277:
	s_andn2_b64 vcc, exec, s[24:25]
	s_cbranch_vccnz .LBB126_282
; %bb.278:
	s_mov_b64 s[24:25], -1
	s_cmp_gt_i32 s28, 0
	v_cndmask_b32_e64 v3, 0, 1, s[16:17]
	s_cbranch_scc0 .LBB126_280
; %bb.279:
	global_store_byte v[0:1], v3, off
	s_mov_b64 s[24:25], 0
.LBB126_280:
	s_andn2_b64 vcc, exec, s[24:25]
	s_cbranch_vccnz .LBB126_282
; %bb.281:
	global_store_byte v[0:1], v3, off
.LBB126_282:
	s_mov_b64 s[24:25], -1
.LBB126_283:
	s_andn2_b64 vcc, exec, s[24:25]
	s_cbranch_vccnz .LBB126_285
; %bb.284:
	v_add_u32_e32 v2, 0x80, v2
	s_mov_b64 s[24:25], -1
	s_branch .LBB126_398
.LBB126_285:
	s_mov_b64 s[24:25], 0
                                        ; implicit-def: $vgpr2
	s_branch .LBB126_398
.LBB126_286:
	s_mov_b64 s[18:19], -1
                                        ; implicit-def: $vgpr4
.LBB126_287:
	s_mov_b64 s[16:17], 0
.LBB126_288:
	s_and_b64 vcc, exec, s[16:17]
	s_cbranch_vccz .LBB126_292
; %bb.289:
	s_cmp_eq_u32 s29, 29
	s_cbranch_scc0 .LBB126_291
; %bb.290:
	global_load_dwordx2 v[4:5], v[0:1], off
	s_mov_b64 s[0:1], -1
	s_mov_b64 s[18:19], 0
	s_mov_b64 s[16:17], 0
	s_waitcnt vmcnt(0)
	v_ffbh_u32_e32 v6, v5
	v_min_u32_e32 v6, 32, v6
	v_lshlrev_b64 v[4:5], v6, v[4:5]
	v_min_u32_e32 v4, 1, v4
	v_or_b32_e32 v4, v5, v4
	v_cvt_f32_u32_e32 v4, v4
	v_sub_u32_e32 v5, 32, v6
	v_ldexp_f32 v4, v4, v5
	v_cvt_f16_f32_e32 v4, v4
	s_branch .LBB126_293
.LBB126_291:
	s_mov_b64 s[18:19], -1
                                        ; implicit-def: $vgpr4
.LBB126_292:
	s_mov_b64 s[16:17], 0
.LBB126_293:
	s_and_b64 vcc, exec, s[16:17]
	s_cbranch_vccz .LBB126_311
; %bb.294:
	s_cmp_lt_i32 s29, 27
	s_cbranch_scc1 .LBB126_297
; %bb.295:
	s_cmp_gt_i32 s29, 27
	s_cbranch_scc0 .LBB126_298
; %bb.296:
	global_load_dword v4, v[0:1], off
	s_mov_b64 s[0:1], 0
	s_waitcnt vmcnt(0)
	v_cvt_f32_u32_e32 v4, v4
	v_cvt_f16_f32_e32 v4, v4
	s_branch .LBB126_299
.LBB126_297:
	s_mov_b64 s[0:1], -1
                                        ; implicit-def: $vgpr4
	s_branch .LBB126_302
.LBB126_298:
	s_mov_b64 s[0:1], -1
                                        ; implicit-def: $vgpr4
.LBB126_299:
	s_andn2_b64 vcc, exec, s[0:1]
	s_cbranch_vccnz .LBB126_301
; %bb.300:
	global_load_ushort v4, v[0:1], off
	s_waitcnt vmcnt(0)
	v_cvt_f16_u16_e32 v4, v4
.LBB126_301:
	s_mov_b64 s[0:1], 0
.LBB126_302:
	s_andn2_b64 vcc, exec, s[0:1]
	s_cbranch_vccnz .LBB126_310
; %bb.303:
	global_load_ubyte v5, v[0:1], off
	s_movk_i32 s0, 0x7f
	s_waitcnt vmcnt(0)
	v_cmp_lt_i16_e32 vcc, s0, v5
	s_mov_b64 s[0:1], 0
	s_and_saveexec_b64 s[16:17], vcc
	s_xor_b64 s[16:17], exec, s[16:17]
	s_cbranch_execz .LBB126_324
; %bb.304:
	s_movk_i32 s0, 0x80
	v_cmp_eq_u16_e32 vcc, s0, v5
	s_mov_b64 s[0:1], -1
	s_and_saveexec_b64 s[24:25], vcc
; %bb.305:
	s_xor_b64 s[0:1], exec, -1
; %bb.306:
	s_or_b64 exec, exec, s[24:25]
	s_and_b64 s[0:1], s[0:1], exec
	s_or_saveexec_b64 s[16:17], s[16:17]
	v_mov_b32_e32 v4, 0x7e00
	s_xor_b64 exec, exec, s[16:17]
	s_cbranch_execnz .LBB126_325
.LBB126_307:
	s_or_b64 exec, exec, s[16:17]
	s_and_saveexec_b64 s[16:17], s[0:1]
	s_cbranch_execz .LBB126_309
.LBB126_308:
	v_lshlrev_b32_e32 v4, 24, v5
	v_and_b32_e32 v5, 0xffff, v5
	v_and_b32_e32 v6, 7, v5
	v_ffbh_u32_e32 v8, v6
	v_min_u32_e32 v8, 32, v8
	v_subrev_u32_e32 v9, 28, v8
	v_bfe_u32 v7, v5, 3, 4
	v_lshlrev_b32_e32 v5, v9, v5
	v_sub_u32_e32 v8, 29, v8
	v_and_b32_e32 v5, 7, v5
	v_cmp_eq_u32_e32 vcc, 0, v7
	v_cndmask_b32_e32 v7, v7, v8, vcc
	v_cndmask_b32_e32 v5, v6, v5, vcc
	v_mov_b32_e32 v6, 0x3b800000
	v_lshlrev_b32_e32 v5, 20, v5
	v_and_b32_e32 v4, 0x80000000, v4
	v_lshl_add_u32 v6, v7, 23, v6
	v_or3_b32 v4, v4, v6, v5
	v_cvt_f16_f32_e32 v4, v4
.LBB126_309:
	s_or_b64 exec, exec, s[16:17]
.LBB126_310:
	s_mov_b64 s[0:1], -1
.LBB126_311:
	s_mov_b64 s[16:17], 0
.LBB126_312:
	s_and_b64 vcc, exec, s[16:17]
	s_cbranch_vccz .LBB126_347
; %bb.313:
	s_cmp_gt_i32 s29, 22
	s_cbranch_scc0 .LBB126_323
; %bb.314:
	s_cmp_lt_i32 s29, 24
	s_cbranch_scc1 .LBB126_326
; %bb.315:
	s_cmp_gt_i32 s29, 24
	s_cbranch_scc0 .LBB126_327
; %bb.316:
	global_load_ubyte v5, v[0:1], off
	s_movk_i32 s0, 0x7f
	s_waitcnt vmcnt(0)
	v_cmp_lt_i16_e32 vcc, s0, v5
	s_mov_b64 s[0:1], 0
	s_and_saveexec_b64 s[16:17], vcc
	s_xor_b64 s[16:17], exec, s[16:17]
	s_cbranch_execz .LBB126_339
; %bb.317:
	s_movk_i32 s0, 0x80
	v_cmp_eq_u16_e32 vcc, s0, v5
	s_mov_b64 s[0:1], -1
	s_and_saveexec_b64 s[24:25], vcc
; %bb.318:
	s_xor_b64 s[0:1], exec, -1
; %bb.319:
	s_or_b64 exec, exec, s[24:25]
	s_and_b64 s[0:1], s[0:1], exec
	s_or_saveexec_b64 s[16:17], s[16:17]
	v_mov_b32_e32 v4, 0x7e00
	s_xor_b64 exec, exec, s[16:17]
	s_cbranch_execnz .LBB126_340
.LBB126_320:
	s_or_b64 exec, exec, s[16:17]
	s_and_saveexec_b64 s[16:17], s[0:1]
	s_cbranch_execz .LBB126_322
.LBB126_321:
	v_lshlrev_b32_e32 v4, 24, v5
	v_and_b32_e32 v5, 0xffff, v5
	v_and_b32_e32 v6, 3, v5
	v_ffbh_u32_e32 v8, v6
	v_min_u32_e32 v8, 32, v8
	v_subrev_u32_e32 v9, 29, v8
	v_bfe_u32 v7, v5, 2, 5
	v_lshlrev_b32_e32 v5, v9, v5
	v_sub_u32_e32 v8, 30, v8
	v_and_b32_e32 v5, 3, v5
	v_cmp_eq_u32_e32 vcc, 0, v7
	v_cndmask_b32_e32 v7, v7, v8, vcc
	v_cndmask_b32_e32 v5, v6, v5, vcc
	v_mov_b32_e32 v6, 0x37800000
	v_lshlrev_b32_e32 v5, 21, v5
	v_and_b32_e32 v4, 0x80000000, v4
	v_lshl_add_u32 v6, v7, 23, v6
	v_or3_b32 v4, v4, v6, v5
	v_cvt_f16_f32_e32 v4, v4
.LBB126_322:
	s_or_b64 exec, exec, s[16:17]
	s_mov_b64 s[0:1], 0
	s_branch .LBB126_328
.LBB126_323:
	s_mov_b64 s[16:17], -1
                                        ; implicit-def: $vgpr4
	s_branch .LBB126_334
.LBB126_324:
	s_or_saveexec_b64 s[16:17], s[16:17]
	v_mov_b32_e32 v4, 0x7e00
	s_xor_b64 exec, exec, s[16:17]
	s_cbranch_execz .LBB126_307
.LBB126_325:
	v_cmp_ne_u16_e32 vcc, 0, v5
	s_andn2_b64 s[0:1], s[0:1], exec
	s_and_b64 s[24:25], vcc, exec
	s_or_b64 s[0:1], s[0:1], s[24:25]
	v_mov_b32_e32 v4, v5
	s_or_b64 exec, exec, s[16:17]
	s_and_saveexec_b64 s[16:17], s[0:1]
	s_cbranch_execnz .LBB126_308
	s_branch .LBB126_309
.LBB126_326:
	s_mov_b64 s[0:1], -1
                                        ; implicit-def: $vgpr4
	s_branch .LBB126_331
.LBB126_327:
	s_mov_b64 s[0:1], -1
                                        ; implicit-def: $vgpr4
.LBB126_328:
	s_and_b64 vcc, exec, s[0:1]
	s_cbranch_vccz .LBB126_330
; %bb.329:
	global_load_ubyte v4, v[0:1], off
	s_mov_b32 s0, 0x7f800000
	s_waitcnt vmcnt(0)
	v_lshlrev_b32_e32 v4, 24, v4
	v_and_b32_e32 v5, 0x7f000000, v4
	v_ffbh_u32_e32 v6, v5
	v_min_u32_e32 v6, 32, v6
	v_sub_u32_e64 v6, v6, 4 clamp
	v_lshlrev_b32_e32 v8, v6, v5
	v_lshlrev_b32_e32 v6, 23, v6
	v_lshrrev_b32_e32 v8, 4, v8
	v_add_u32_e32 v7, 0x1000000, v5
	v_sub_u32_e32 v6, v8, v6
	v_ashrrev_i32_e32 v7, 8, v7
	v_add_u32_e32 v6, 0x3c000000, v6
	v_and_or_b32 v6, v7, s0, v6
	v_cmp_ne_u32_e32 vcc, 0, v5
	v_cndmask_b32_e32 v5, 0, v6, vcc
	s_brev_b32 s0, 1
	v_and_or_b32 v4, v4, s0, v5
	v_cvt_f16_f32_e32 v4, v4
.LBB126_330:
	s_mov_b64 s[0:1], 0
.LBB126_331:
	s_andn2_b64 vcc, exec, s[0:1]
	s_cbranch_vccnz .LBB126_333
; %bb.332:
	global_load_ubyte v4, v[0:1], off
	s_movk_i32 s0, 0x7f00
	s_brev_b32 s1, 16
	s_waitcnt vmcnt(0)
	v_lshlrev_b16_e32 v5, 8, v4
	v_lshlrev_b32_e32 v4, 25, v4
	v_lshrrev_b32_e32 v6, 4, v4
	v_and_or_b32 v7, v5, s0, 0.5
	v_or_b32_e32 v6, 0x70000000, v6
	v_add_f32_e32 v7, -0.5, v7
	v_mul_f32_e32 v6, 0x7800000, v6
	v_cmp_gt_u32_e32 vcc, s1, v4
	v_bfe_i32 v5, v5, 0, 16
	v_cndmask_b32_e32 v4, v6, v7, vcc
	s_brev_b32 s0, 1
	v_and_or_b32 v4, v5, s0, v4
	v_cvt_f16_f32_e32 v4, v4
.LBB126_333:
	s_mov_b64 s[16:17], 0
	s_mov_b64 s[0:1], -1
.LBB126_334:
	s_andn2_b64 vcc, exec, s[16:17]
	s_cbranch_vccnz .LBB126_347
; %bb.335:
	s_cmp_gt_i32 s29, 14
	s_cbranch_scc0 .LBB126_338
; %bb.336:
	s_cmp_eq_u32 s29, 15
	s_cbranch_scc0 .LBB126_341
; %bb.337:
	global_load_ushort v4, v[0:1], off
	s_mov_b64 s[0:1], -1
	s_mov_b64 s[18:19], 0
	s_waitcnt vmcnt(0)
	v_lshlrev_b32_e32 v4, 16, v4
	v_cvt_f16_f32_e32 v4, v4
	s_branch .LBB126_342
.LBB126_338:
	s_mov_b64 s[16:17], -1
                                        ; implicit-def: $vgpr4
	s_branch .LBB126_343
.LBB126_339:
	s_or_saveexec_b64 s[16:17], s[16:17]
	v_mov_b32_e32 v4, 0x7e00
	s_xor_b64 exec, exec, s[16:17]
	s_cbranch_execz .LBB126_320
.LBB126_340:
	v_cmp_ne_u16_e32 vcc, 0, v5
	s_andn2_b64 s[0:1], s[0:1], exec
	s_and_b64 s[24:25], vcc, exec
	s_or_b64 s[0:1], s[0:1], s[24:25]
	v_mov_b32_e32 v4, v5
	s_or_b64 exec, exec, s[16:17]
	s_and_saveexec_b64 s[16:17], s[0:1]
	s_cbranch_execnz .LBB126_321
	s_branch .LBB126_322
.LBB126_341:
	s_mov_b64 s[18:19], -1
                                        ; implicit-def: $vgpr4
.LBB126_342:
	s_mov_b64 s[16:17], 0
.LBB126_343:
	s_and_b64 vcc, exec, s[16:17]
	s_cbranch_vccz .LBB126_347
; %bb.344:
	s_cmp_eq_u32 s29, 11
	s_cbranch_scc0 .LBB126_346
; %bb.345:
	global_load_ubyte v4, v[0:1], off
	v_mov_b32_e32 v5, 0x3c00
	s_mov_b64 s[0:1], -1
	s_mov_b64 s[18:19], 0
	s_waitcnt vmcnt(0)
	v_cmp_ne_u16_e32 vcc, 0, v4
	v_cndmask_b32_e32 v4, 0, v5, vcc
	s_branch .LBB126_347
.LBB126_346:
	s_mov_b64 s[18:19], -1
                                        ; implicit-def: $vgpr4
.LBB126_347:
	s_branch .LBB126_20
.LBB126_348:
	s_and_b32 s16, 0xffff, s28
	s_cmp_lt_i32 s16, 5
	s_cbranch_scc1 .LBB126_353
; %bb.349:
	s_cmp_lt_i32 s16, 8
	s_cbranch_scc1 .LBB126_354
; %bb.350:
	;; [unrolled: 3-line block ×3, first 2 shown]
	s_cmp_gt_i32 s16, 9
	s_cbranch_scc0 .LBB126_356
; %bb.352:
	global_load_dwordx2 v[4:5], v[0:1], off
	s_movk_i32 s0, 0x1ff
	s_movk_i32 s1, 0xffe
	v_mov_b32_e32 v6, 0x7c00
	v_mov_b32_e32 v7, 0x7e00
	s_movk_i32 s17, 0x40f
	s_mov_b32 s24, 0x8000
	s_waitcnt vmcnt(0)
	v_and_or_b32 v4, v5, s0, v4
	v_cmp_ne_u32_e32 vcc, 0, v4
	v_lshrrev_b32_e32 v8, 8, v5
	v_bfe_u32 v9, v5, 20, 11
	v_cndmask_b32_e64 v4, 0, 1, vcc
	v_sub_u32_e32 v10, 0x3f1, v9
	v_and_or_b32 v4, v8, s1, v4
	v_add_u32_e32 v9, 0xfffffc10, v9
	v_med3_i32 v8, v10, 0, 13
	v_or_b32_e32 v10, 0x1000, v4
	v_cmp_ne_u32_e32 vcc, 0, v4
	v_lshl_or_b32 v11, v9, 12, v4
	v_cndmask_b32_e32 v4, v6, v7, vcc
	v_lshrrev_b32_e32 v7, v8, v10
	v_lshlrev_b32_e32 v8, v8, v7
	v_cmp_ne_u32_e32 vcc, v8, v10
	v_cndmask_b32_e64 v8, 0, 1, vcc
	v_or_b32_e32 v7, v7, v8
	v_cmp_gt_i32_e32 vcc, 1, v9
	v_cndmask_b32_e32 v7, v11, v7, vcc
	v_and_b32_e32 v8, 7, v7
	v_cmp_lt_i32_e32 vcc, 5, v8
	v_cndmask_b32_e64 v10, 0, 1, vcc
	v_cmp_eq_u32_e32 vcc, 3, v8
	v_cndmask_b32_e64 v8, 0, 1, vcc
	v_lshrrev_b32_e32 v7, 2, v7
	v_or_b32_e32 v8, v8, v10
	v_add_u32_e32 v7, v7, v8
	v_cmp_gt_i32_e32 vcc, 31, v9
	v_cndmask_b32_e32 v6, v6, v7, vcc
	v_cmp_eq_u32_e32 vcc, s17, v9
	v_lshrrev_b32_e32 v5, 16, v5
	v_cndmask_b32_e32 v4, v6, v4, vcc
	v_and_or_b32 v4, v5, s24, v4
	s_mov_b64 s[0:1], 0
	s_branch .LBB126_357
.LBB126_353:
	s_mov_b64 s[0:1], -1
                                        ; implicit-def: $vgpr4
	s_branch .LBB126_375
.LBB126_354:
	s_mov_b64 s[0:1], -1
                                        ; implicit-def: $vgpr4
	s_branch .LBB126_363
.LBB126_355:
	s_mov_b64 s[0:1], -1
                                        ; implicit-def: $vgpr4
	s_branch .LBB126_360
.LBB126_356:
	s_mov_b64 s[0:1], -1
                                        ; implicit-def: $vgpr4
.LBB126_357:
	s_andn2_b64 vcc, exec, s[0:1]
	s_cbranch_vccnz .LBB126_359
; %bb.358:
	global_load_dword v4, v[0:1], off
	s_waitcnt vmcnt(0)
	v_cvt_f16_f32_e32 v4, v4
.LBB126_359:
	s_mov_b64 s[0:1], 0
.LBB126_360:
	s_andn2_b64 vcc, exec, s[0:1]
	s_cbranch_vccnz .LBB126_362
; %bb.361:
	global_load_dword v4, v[0:1], off
.LBB126_362:
	s_mov_b64 s[0:1], 0
.LBB126_363:
	s_andn2_b64 vcc, exec, s[0:1]
	s_cbranch_vccnz .LBB126_374
; %bb.364:
	s_cmp_lt_i32 s16, 6
	s_cbranch_scc1 .LBB126_367
; %bb.365:
	s_cmp_gt_i32 s16, 6
	s_cbranch_scc0 .LBB126_368
; %bb.366:
	global_load_dwordx2 v[4:5], v[0:1], off
	s_movk_i32 s0, 0x1ff
	s_movk_i32 s1, 0xffe
	v_mov_b32_e32 v6, 0x7c00
	v_mov_b32_e32 v7, 0x7e00
	s_movk_i32 s17, 0x40f
	s_mov_b32 s24, 0x8000
	s_waitcnt vmcnt(0)
	v_and_or_b32 v4, v5, s0, v4
	v_cmp_ne_u32_e32 vcc, 0, v4
	v_lshrrev_b32_e32 v8, 8, v5
	v_bfe_u32 v9, v5, 20, 11
	v_cndmask_b32_e64 v4, 0, 1, vcc
	v_sub_u32_e32 v10, 0x3f1, v9
	v_and_or_b32 v4, v8, s1, v4
	v_add_u32_e32 v9, 0xfffffc10, v9
	v_med3_i32 v8, v10, 0, 13
	v_or_b32_e32 v10, 0x1000, v4
	v_cmp_ne_u32_e32 vcc, 0, v4
	v_lshl_or_b32 v11, v9, 12, v4
	v_cndmask_b32_e32 v4, v6, v7, vcc
	v_lshrrev_b32_e32 v7, v8, v10
	v_lshlrev_b32_e32 v8, v8, v7
	v_cmp_ne_u32_e32 vcc, v8, v10
	v_cndmask_b32_e64 v8, 0, 1, vcc
	v_or_b32_e32 v7, v7, v8
	v_cmp_gt_i32_e32 vcc, 1, v9
	v_cndmask_b32_e32 v7, v11, v7, vcc
	v_and_b32_e32 v8, 7, v7
	v_cmp_lt_i32_e32 vcc, 5, v8
	v_cndmask_b32_e64 v10, 0, 1, vcc
	v_cmp_eq_u32_e32 vcc, 3, v8
	v_cndmask_b32_e64 v8, 0, 1, vcc
	v_lshrrev_b32_e32 v7, 2, v7
	v_or_b32_e32 v8, v8, v10
	v_add_u32_e32 v7, v7, v8
	v_cmp_gt_i32_e32 vcc, 31, v9
	v_cndmask_b32_e32 v6, v6, v7, vcc
	v_cmp_eq_u32_e32 vcc, s17, v9
	v_lshrrev_b32_e32 v5, 16, v5
	v_cndmask_b32_e32 v4, v6, v4, vcc
	v_and_or_b32 v4, v5, s24, v4
	s_mov_b64 s[0:1], 0
	s_branch .LBB126_369
.LBB126_367:
	s_mov_b64 s[0:1], -1
                                        ; implicit-def: $vgpr4
	s_branch .LBB126_372
.LBB126_368:
	s_mov_b64 s[0:1], -1
                                        ; implicit-def: $vgpr4
.LBB126_369:
	s_andn2_b64 vcc, exec, s[0:1]
	s_cbranch_vccnz .LBB126_371
; %bb.370:
	global_load_dword v4, v[0:1], off
	s_waitcnt vmcnt(0)
	v_cvt_f16_f32_e32 v4, v4
.LBB126_371:
	s_mov_b64 s[0:1], 0
.LBB126_372:
	s_andn2_b64 vcc, exec, s[0:1]
	s_cbranch_vccnz .LBB126_374
; %bb.373:
	global_load_ushort v4, v[0:1], off
.LBB126_374:
	s_mov_b64 s[0:1], 0
.LBB126_375:
	s_andn2_b64 vcc, exec, s[0:1]
	s_cbranch_vccnz .LBB126_395
; %bb.376:
	s_cmp_lt_i32 s16, 2
	s_cbranch_scc1 .LBB126_380
; %bb.377:
	s_cmp_lt_i32 s16, 3
	s_cbranch_scc1 .LBB126_381
; %bb.378:
	s_cmp_gt_i32 s16, 3
	s_cbranch_scc0 .LBB126_382
; %bb.379:
	global_load_dwordx2 v[4:5], v[0:1], off
	s_mov_b64 s[0:1], 0
	s_waitcnt vmcnt(0)
	v_xor_b32_e32 v7, v4, v5
	v_ffbh_i32_e32 v6, v5
	v_ashrrev_i32_e32 v7, 31, v7
	v_add_u32_e32 v6, -1, v6
	v_add_u32_e32 v7, 32, v7
	v_min_u32_e32 v6, v6, v7
	v_lshlrev_b64 v[4:5], v6, v[4:5]
	v_min_u32_e32 v4, 1, v4
	v_or_b32_e32 v4, v5, v4
	v_cvt_f32_i32_e32 v4, v4
	v_sub_u32_e32 v5, 32, v6
	v_ldexp_f32 v4, v4, v5
	v_cvt_f16_f32_e32 v4, v4
	s_branch .LBB126_383
.LBB126_380:
	s_mov_b64 s[0:1], -1
                                        ; implicit-def: $vgpr4
	s_branch .LBB126_389
.LBB126_381:
	s_mov_b64 s[0:1], -1
                                        ; implicit-def: $vgpr4
	s_branch .LBB126_386
.LBB126_382:
	s_mov_b64 s[0:1], -1
                                        ; implicit-def: $vgpr4
.LBB126_383:
	s_andn2_b64 vcc, exec, s[0:1]
	s_cbranch_vccnz .LBB126_385
; %bb.384:
	global_load_dword v4, v[0:1], off
	s_waitcnt vmcnt(0)
	v_cvt_f32_i32_e32 v4, v4
	v_cvt_f16_f32_e32 v4, v4
.LBB126_385:
	s_mov_b64 s[0:1], 0
.LBB126_386:
	s_andn2_b64 vcc, exec, s[0:1]
	s_cbranch_vccnz .LBB126_388
; %bb.387:
	global_load_ushort v4, v[0:1], off
	s_waitcnt vmcnt(0)
	v_cvt_f16_i16_e32 v4, v4
.LBB126_388:
	s_mov_b64 s[0:1], 0
.LBB126_389:
	s_andn2_b64 vcc, exec, s[0:1]
	s_cbranch_vccnz .LBB126_395
; %bb.390:
	s_cmp_gt_i32 s16, 0
	s_cbranch_scc0 .LBB126_392
; %bb.391:
	global_load_sbyte v4, v[0:1], off
	s_mov_b64 s[0:1], 0
	s_waitcnt vmcnt(0)
	v_cvt_f16_i16_e32 v4, v4
	s_branch .LBB126_393
.LBB126_392:
	s_mov_b64 s[0:1], -1
                                        ; implicit-def: $vgpr4
.LBB126_393:
	s_andn2_b64 vcc, exec, s[0:1]
	s_cbranch_vccnz .LBB126_395
; %bb.394:
	global_load_ubyte v0, v[0:1], off
	s_waitcnt vmcnt(0)
	v_cvt_f16_u16_e32 v4, v0
.LBB126_395:
	s_branch .LBB126_21
.LBB126_396:
	s_mov_b64 s[0:1], 0
.LBB126_397:
                                        ; implicit-def: $vgpr2
	s_mov_b64 s[24:25], 0
.LBB126_398:
	s_and_b64 s[16:17], s[0:1], exec
	s_and_b64 s[18:19], s[18:19], exec
	;; [unrolled: 1-line block ×3, first 2 shown]
	s_orn2_b64 s[0:1], s[24:25], exec
.LBB126_399:
	s_or_b64 exec, exec, s[22:23]
	s_mov_b64 s[30:31], 0
	s_mov_b64 s[28:29], 0
                                        ; implicit-def: $sgpr56
                                        ; implicit-def: $vgpr0_vgpr1
                                        ; implicit-def: $vgpr3
	s_and_saveexec_b64 s[22:23], s[0:1]
	s_cbranch_execz .LBB126_408
; %bb.400:
	v_cmp_gt_i32_e32 vcc, s48, v2
	s_mov_b64 s[0:1], -1
	s_mov_b64 s[24:25], s[20:21]
	s_mov_b64 s[26:27], s[18:19]
	;; [unrolled: 1-line block ×3, first 2 shown]
	s_and_saveexec_b64 s[30:31], vcc
	s_cbranch_execz .LBB126_806
; %bb.401:
	v_mul_lo_u32 v0, v2, s13
	v_mov_b32_e32 v1, s11
	s_and_b32 s34, s55, 0xff
	s_cmp_lt_i32 s34, 11
	s_waitcnt vmcnt(0)
	v_ashrrev_i32_e32 v3, 31, v0
	v_add_co_u32_e32 v0, vcc, s10, v0
	v_addc_co_u32_e32 v1, vcc, v1, v3, vcc
	s_cbranch_scc1 .LBB126_411
; %bb.402:
	s_and_b32 s35, 0xffff, s34
	s_cmp_gt_i32 s35, 25
	s_cbranch_scc0 .LBB126_420
; %bb.403:
	s_cmp_gt_i32 s35, 28
	s_cbranch_scc0 .LBB126_422
; %bb.404:
	;; [unrolled: 3-line block ×4, first 2 shown]
	s_cmp_eq_u32 s35, 46
	s_mov_b64 s[26:27], 0
	s_cbranch_scc0 .LBB126_430
; %bb.407:
	global_load_dword v3, v[0:1], off
	s_mov_b64 s[24:25], 0
	s_waitcnt vmcnt(0)
	v_lshlrev_b32_e32 v3, 16, v3
	v_cvt_f16_f32_e32 v3, v3
	s_branch .LBB126_431
.LBB126_408:
	s_or_b64 exec, exec, s[22:23]
	s_mov_b64 s[22:23], 0
	s_and_saveexec_b64 s[0:1], s[20:21]
	s_cbranch_execnz .LBB126_1298
.LBB126_409:
	s_or_b64 exec, exec, s[0:1]
	s_and_saveexec_b64 s[0:1], s[26:27]
	s_xor_b64 s[0:1], exec, s[0:1]
	s_cbranch_execz .LBB126_1299
.LBB126_410:
	global_load_ubyte v3, v[0:1], off
	s_waitcnt vmcnt(1)
	v_mov_b32_e32 v4, 0x3c00
	s_or_b64 s[28:29], s[28:29], exec
	s_waitcnt vmcnt(0)
	v_cmp_ne_u16_e32 vcc, 0, v3
	v_cndmask_b32_e32 v3, 0, v4, vcc
	s_or_b64 exec, exec, s[0:1]
	s_and_saveexec_b64 s[0:1], s[30:31]
	s_cbranch_execz .LBB126_1345
	s_branch .LBB126_1300
.LBB126_411:
	s_mov_b64 s[0:1], 0
                                        ; implicit-def: $vgpr3
	s_mov_b64 s[24:25], s[20:21]
	s_cbranch_execnz .LBB126_497
.LBB126_412:
	s_andn2_b64 vcc, exec, s[0:1]
	s_cbranch_vccnz .LBB126_545
.LBB126_413:
	v_mul_lo_u32 v0, v2, s14
	v_mov_b32_e32 v1, s3
	s_and_b32 s36, s54, 0xff
	s_cmp_lt_i32 s36, 11
	v_ashrrev_i32_e32 v4, 31, v0
	v_add_co_u32_e32 v0, vcc, s2, v0
	v_addc_co_u32_e32 v1, vcc, v1, v4, vcc
	s_cbranch_scc1 .LBB126_421
; %bb.414:
	s_and_b32 s37, 0xffff, s36
	s_cmp_gt_i32 s37, 25
	s_cbranch_scc0 .LBB126_423
; %bb.415:
	s_cmp_gt_i32 s37, 28
	s_cbranch_scc0 .LBB126_425
; %bb.416:
	;; [unrolled: 3-line block ×4, first 2 shown]
	s_cmp_eq_u32 s37, 46
	s_mov_b64 s[28:29], 0
	s_cbranch_scc0 .LBB126_549
; %bb.419:
	global_load_dword v4, v[0:1], off
	s_mov_b64 s[0:1], -1
	s_mov_b64 s[26:27], 0
	s_waitcnt vmcnt(0)
	v_lshlrev_b32_e32 v4, 16, v4
	v_cvt_f16_f32_e32 v4, v4
	s_branch .LBB126_550
.LBB126_420:
	s_mov_b64 s[26:27], -1
	s_mov_b64 s[0:1], 0
	s_mov_b64 s[24:25], s[20:21]
                                        ; implicit-def: $vgpr3
	s_branch .LBB126_461
.LBB126_421:
	s_mov_b64 s[28:29], -1
	s_mov_b64 s[0:1], 0
                                        ; implicit-def: $vgpr4
	s_mov_b64 s[26:27], s[18:19]
	s_branch .LBB126_615
.LBB126_422:
	s_mov_b64 s[26:27], -1
	s_mov_b64 s[0:1], 0
	s_mov_b64 s[24:25], s[20:21]
                                        ; implicit-def: $vgpr3
	s_branch .LBB126_442
.LBB126_423:
	s_mov_b64 s[28:29], -1
	s_mov_b64 s[0:1], 0
	s_mov_b64 s[26:27], s[18:19]
                                        ; implicit-def: $vgpr4
	s_branch .LBB126_579
.LBB126_424:
	s_mov_b64 s[26:27], -1
	s_mov_b64 s[0:1], 0
	s_mov_b64 s[24:25], s[20:21]
                                        ; implicit-def: $vgpr3
	s_branch .LBB126_437
.LBB126_425:
	s_mov_b64 s[28:29], -1
	s_mov_b64 s[0:1], 0
	s_mov_b64 s[26:27], s[18:19]
                                        ; implicit-def: $vgpr4
	s_branch .LBB126_560
.LBB126_426:
	s_mov_b64 s[26:27], -1
	s_mov_b64 s[0:1], 0
	s_mov_b64 s[24:25], s[20:21]
                                        ; implicit-def: $vgpr3
	s_branch .LBB126_431
.LBB126_427:
	s_mov_b64 s[28:29], -1
	s_mov_b64 s[0:1], 0
	s_mov_b64 s[26:27], s[18:19]
                                        ; implicit-def: $vgpr4
	s_branch .LBB126_555
.LBB126_428:
	s_andn2_saveexec_b64 s[30:31], s[30:31]
	s_cbranch_execz .LBB126_196
.LBB126_429:
	v_add_f32_e32 v3, 0x46000000, v4
	v_and_b32_e32 v3, 0xff, v3
	v_cmp_ne_u32_e32 vcc, 0, v3
	s_andn2_b64 s[28:29], s[28:29], exec
	s_and_b64 s[36:37], vcc, exec
	s_or_b64 s[28:29], s[28:29], s[36:37]
	s_or_b64 exec, exec, s[30:31]
	v_mov_b32_e32 v5, 0
	s_and_saveexec_b64 s[30:31], s[28:29]
	s_cbranch_execnz .LBB126_197
	s_branch .LBB126_198
.LBB126_430:
	s_mov_b64 s[24:25], -1
                                        ; implicit-def: $vgpr3
	s_mov_b64 s[0:1], 0
.LBB126_431:
	s_and_b64 vcc, exec, s[26:27]
	s_cbranch_vccz .LBB126_436
; %bb.432:
	s_cmp_eq_u32 s35, 44
	s_cbranch_scc0 .LBB126_435
; %bb.433:
	global_load_ubyte v3, v[0:1], off
	s_movk_i32 s24, 0xff
	v_mov_b32_e32 v5, 0x7e00
	s_mov_b64 s[0:1], -1
	s_waitcnt vmcnt(0)
	v_lshlrev_b32_e32 v4, 23, v3
	v_cvt_f16_f32_e32 v4, v4
	v_cmp_ne_u32_e32 vcc, s24, v3
	s_mov_b64 s[24:25], 0
	v_cndmask_b32_e32 v4, v5, v4, vcc
	v_cmp_ne_u32_e32 vcc, 0, v3
	v_cndmask_b32_e32 v3, 0, v4, vcc
	s_branch .LBB126_436
.LBB126_434:
	s_mov_b64 s[28:29], -1
	s_mov_b64 s[0:1], 0
	s_mov_b64 s[26:27], s[18:19]
                                        ; implicit-def: $vgpr4
	s_branch .LBB126_550
.LBB126_435:
	s_mov_b64 s[24:25], -1
                                        ; implicit-def: $vgpr3
.LBB126_436:
	s_mov_b64 s[26:27], 0
.LBB126_437:
	s_and_b64 vcc, exec, s[26:27]
	s_cbranch_vccz .LBB126_441
; %bb.438:
	s_cmp_eq_u32 s35, 29
	s_cbranch_scc0 .LBB126_440
; %bb.439:
	global_load_dwordx2 v[3:4], v[0:1], off
	s_mov_b64 s[0:1], -1
	s_mov_b64 s[24:25], 0
	s_mov_b64 s[26:27], 0
	s_waitcnt vmcnt(0)
	v_ffbh_u32_e32 v5, v4
	v_min_u32_e32 v5, 32, v5
	v_lshlrev_b64 v[3:4], v5, v[3:4]
	v_min_u32_e32 v3, 1, v3
	v_or_b32_e32 v3, v4, v3
	v_cvt_f32_u32_e32 v3, v3
	v_sub_u32_e32 v4, 32, v5
	v_ldexp_f32 v3, v3, v4
	v_cvt_f16_f32_e32 v3, v3
	s_branch .LBB126_442
.LBB126_440:
	s_mov_b64 s[24:25], -1
                                        ; implicit-def: $vgpr3
.LBB126_441:
	s_mov_b64 s[26:27], 0
.LBB126_442:
	s_and_b64 vcc, exec, s[26:27]
	s_cbranch_vccz .LBB126_460
; %bb.443:
	s_cmp_lt_i32 s35, 27
	s_cbranch_scc1 .LBB126_446
; %bb.444:
	s_cmp_gt_i32 s35, 27
	s_cbranch_scc0 .LBB126_447
; %bb.445:
	global_load_dword v3, v[0:1], off
	s_mov_b64 s[0:1], 0
	s_waitcnt vmcnt(0)
	v_cvt_f32_u32_e32 v3, v3
	v_cvt_f16_f32_e32 v3, v3
	s_branch .LBB126_448
.LBB126_446:
	s_mov_b64 s[0:1], -1
                                        ; implicit-def: $vgpr3
	s_branch .LBB126_451
.LBB126_447:
	s_mov_b64 s[0:1], -1
                                        ; implicit-def: $vgpr3
.LBB126_448:
	s_andn2_b64 vcc, exec, s[0:1]
	s_cbranch_vccnz .LBB126_450
; %bb.449:
	global_load_ushort v3, v[0:1], off
	s_waitcnt vmcnt(0)
	v_cvt_f16_u16_e32 v3, v3
.LBB126_450:
	s_mov_b64 s[0:1], 0
.LBB126_451:
	s_andn2_b64 vcc, exec, s[0:1]
	s_cbranch_vccnz .LBB126_459
; %bb.452:
	global_load_ubyte v4, v[0:1], off
	s_movk_i32 s0, 0x7f
	s_waitcnt vmcnt(0)
	v_cmp_lt_i16_e32 vcc, s0, v4
	s_mov_b64 s[0:1], 0
	s_and_saveexec_b64 s[26:27], vcc
	s_xor_b64 s[26:27], exec, s[26:27]
	s_cbranch_execz .LBB126_473
; %bb.453:
	s_movk_i32 s0, 0x80
	v_cmp_eq_u16_e32 vcc, s0, v4
	s_mov_b64 s[0:1], -1
	s_and_saveexec_b64 s[28:29], vcc
; %bb.454:
	s_xor_b64 s[0:1], exec, -1
; %bb.455:
	s_or_b64 exec, exec, s[28:29]
	s_and_b64 s[0:1], s[0:1], exec
	s_or_saveexec_b64 s[26:27], s[26:27]
	v_mov_b32_e32 v3, 0x7e00
	s_xor_b64 exec, exec, s[26:27]
	s_cbranch_execnz .LBB126_474
.LBB126_456:
	s_or_b64 exec, exec, s[26:27]
	s_and_saveexec_b64 s[26:27], s[0:1]
	s_cbranch_execz .LBB126_458
.LBB126_457:
	v_lshlrev_b32_e32 v3, 24, v4
	v_and_b32_e32 v4, 0xffff, v4
	v_and_b32_e32 v5, 7, v4
	v_ffbh_u32_e32 v7, v5
	v_min_u32_e32 v7, 32, v7
	v_subrev_u32_e32 v8, 28, v7
	v_bfe_u32 v6, v4, 3, 4
	v_lshlrev_b32_e32 v4, v8, v4
	v_sub_u32_e32 v7, 29, v7
	v_and_b32_e32 v4, 7, v4
	v_cmp_eq_u32_e32 vcc, 0, v6
	v_cndmask_b32_e32 v6, v6, v7, vcc
	v_cndmask_b32_e32 v4, v5, v4, vcc
	v_mov_b32_e32 v5, 0x3b800000
	v_lshlrev_b32_e32 v4, 20, v4
	v_and_b32_e32 v3, 0x80000000, v3
	v_lshl_add_u32 v5, v6, 23, v5
	v_or3_b32 v3, v3, v5, v4
	v_cvt_f16_f32_e32 v3, v3
.LBB126_458:
	s_or_b64 exec, exec, s[26:27]
.LBB126_459:
	s_mov_b64 s[0:1], -1
.LBB126_460:
	s_mov_b64 s[26:27], 0
.LBB126_461:
	s_and_b64 vcc, exec, s[26:27]
	s_cbranch_vccz .LBB126_496
; %bb.462:
	s_cmp_gt_i32 s35, 22
	s_cbranch_scc0 .LBB126_472
; %bb.463:
	s_cmp_lt_i32 s35, 24
	s_cbranch_scc1 .LBB126_475
; %bb.464:
	s_cmp_gt_i32 s35, 24
	s_cbranch_scc0 .LBB126_476
; %bb.465:
	global_load_ubyte v4, v[0:1], off
	s_movk_i32 s0, 0x7f
	s_waitcnt vmcnt(0)
	v_cmp_lt_i16_e32 vcc, s0, v4
	s_mov_b64 s[0:1], 0
	s_and_saveexec_b64 s[26:27], vcc
	s_xor_b64 s[26:27], exec, s[26:27]
	s_cbranch_execz .LBB126_488
; %bb.466:
	s_movk_i32 s0, 0x80
	v_cmp_eq_u16_e32 vcc, s0, v4
	s_mov_b64 s[0:1], -1
	s_and_saveexec_b64 s[28:29], vcc
; %bb.467:
	s_xor_b64 s[0:1], exec, -1
; %bb.468:
	s_or_b64 exec, exec, s[28:29]
	s_and_b64 s[0:1], s[0:1], exec
	s_or_saveexec_b64 s[26:27], s[26:27]
	v_mov_b32_e32 v3, 0x7e00
	s_xor_b64 exec, exec, s[26:27]
	s_cbranch_execnz .LBB126_489
.LBB126_469:
	s_or_b64 exec, exec, s[26:27]
	s_and_saveexec_b64 s[26:27], s[0:1]
	s_cbranch_execz .LBB126_471
.LBB126_470:
	v_lshlrev_b32_e32 v3, 24, v4
	v_and_b32_e32 v4, 0xffff, v4
	v_and_b32_e32 v5, 3, v4
	v_ffbh_u32_e32 v7, v5
	v_min_u32_e32 v7, 32, v7
	v_subrev_u32_e32 v8, 29, v7
	v_bfe_u32 v6, v4, 2, 5
	v_lshlrev_b32_e32 v4, v8, v4
	v_sub_u32_e32 v7, 30, v7
	v_and_b32_e32 v4, 3, v4
	v_cmp_eq_u32_e32 vcc, 0, v6
	v_cndmask_b32_e32 v6, v6, v7, vcc
	v_cndmask_b32_e32 v4, v5, v4, vcc
	v_mov_b32_e32 v5, 0x37800000
	v_lshlrev_b32_e32 v4, 21, v4
	v_and_b32_e32 v3, 0x80000000, v3
	v_lshl_add_u32 v5, v6, 23, v5
	v_or3_b32 v3, v3, v5, v4
	v_cvt_f16_f32_e32 v3, v3
.LBB126_471:
	s_or_b64 exec, exec, s[26:27]
	s_mov_b64 s[0:1], 0
	s_branch .LBB126_477
.LBB126_472:
	s_mov_b64 s[26:27], -1
                                        ; implicit-def: $vgpr3
	s_branch .LBB126_483
.LBB126_473:
	s_or_saveexec_b64 s[26:27], s[26:27]
	v_mov_b32_e32 v3, 0x7e00
	s_xor_b64 exec, exec, s[26:27]
	s_cbranch_execz .LBB126_456
.LBB126_474:
	v_cmp_ne_u16_e32 vcc, 0, v4
	s_andn2_b64 s[0:1], s[0:1], exec
	s_and_b64 s[28:29], vcc, exec
	s_or_b64 s[0:1], s[0:1], s[28:29]
	v_mov_b32_e32 v3, v4
	s_or_b64 exec, exec, s[26:27]
	s_and_saveexec_b64 s[26:27], s[0:1]
	s_cbranch_execnz .LBB126_457
	s_branch .LBB126_458
.LBB126_475:
	s_mov_b64 s[0:1], -1
                                        ; implicit-def: $vgpr3
	s_branch .LBB126_480
.LBB126_476:
	s_mov_b64 s[0:1], -1
                                        ; implicit-def: $vgpr3
.LBB126_477:
	s_and_b64 vcc, exec, s[0:1]
	s_cbranch_vccz .LBB126_479
; %bb.478:
	global_load_ubyte v3, v[0:1], off
	s_mov_b32 s0, 0x7f800000
	s_waitcnt vmcnt(0)
	v_lshlrev_b32_e32 v3, 24, v3
	v_and_b32_e32 v4, 0x7f000000, v3
	v_ffbh_u32_e32 v5, v4
	v_min_u32_e32 v5, 32, v5
	v_sub_u32_e64 v5, v5, 4 clamp
	v_lshlrev_b32_e32 v7, v5, v4
	v_lshlrev_b32_e32 v5, 23, v5
	v_lshrrev_b32_e32 v7, 4, v7
	v_add_u32_e32 v6, 0x1000000, v4
	v_sub_u32_e32 v5, v7, v5
	v_ashrrev_i32_e32 v6, 8, v6
	v_add_u32_e32 v5, 0x3c000000, v5
	v_and_or_b32 v5, v6, s0, v5
	v_cmp_ne_u32_e32 vcc, 0, v4
	v_cndmask_b32_e32 v4, 0, v5, vcc
	s_brev_b32 s0, 1
	v_and_or_b32 v3, v3, s0, v4
	v_cvt_f16_f32_e32 v3, v3
.LBB126_479:
	s_mov_b64 s[0:1], 0
.LBB126_480:
	s_andn2_b64 vcc, exec, s[0:1]
	s_cbranch_vccnz .LBB126_482
; %bb.481:
	global_load_ubyte v3, v[0:1], off
	s_movk_i32 s0, 0x7f00
	s_brev_b32 s1, 16
	s_waitcnt vmcnt(0)
	v_lshlrev_b16_e32 v4, 8, v3
	v_lshlrev_b32_e32 v3, 25, v3
	v_lshrrev_b32_e32 v5, 4, v3
	v_and_or_b32 v6, v4, s0, 0.5
	v_or_b32_e32 v5, 0x70000000, v5
	v_add_f32_e32 v6, -0.5, v6
	v_mul_f32_e32 v5, 0x7800000, v5
	v_cmp_gt_u32_e32 vcc, s1, v3
	v_bfe_i32 v4, v4, 0, 16
	v_cndmask_b32_e32 v3, v5, v6, vcc
	s_brev_b32 s0, 1
	v_and_or_b32 v3, v4, s0, v3
	v_cvt_f16_f32_e32 v3, v3
.LBB126_482:
	s_mov_b64 s[26:27], 0
	s_mov_b64 s[0:1], -1
.LBB126_483:
	s_andn2_b64 vcc, exec, s[26:27]
	s_cbranch_vccnz .LBB126_496
; %bb.484:
	s_cmp_gt_i32 s35, 14
	s_cbranch_scc0 .LBB126_487
; %bb.485:
	s_cmp_eq_u32 s35, 15
	s_cbranch_scc0 .LBB126_490
; %bb.486:
	global_load_ushort v3, v[0:1], off
	s_mov_b64 s[0:1], -1
	s_mov_b64 s[24:25], 0
	s_waitcnt vmcnt(0)
	v_lshlrev_b32_e32 v3, 16, v3
	v_cvt_f16_f32_e32 v3, v3
	s_branch .LBB126_491
.LBB126_487:
	s_mov_b64 s[26:27], -1
                                        ; implicit-def: $vgpr3
	s_branch .LBB126_492
.LBB126_488:
	s_or_saveexec_b64 s[26:27], s[26:27]
	v_mov_b32_e32 v3, 0x7e00
	s_xor_b64 exec, exec, s[26:27]
	s_cbranch_execz .LBB126_469
.LBB126_489:
	v_cmp_ne_u16_e32 vcc, 0, v4
	s_andn2_b64 s[0:1], s[0:1], exec
	s_and_b64 s[28:29], vcc, exec
	s_or_b64 s[0:1], s[0:1], s[28:29]
	v_mov_b32_e32 v3, v4
	s_or_b64 exec, exec, s[26:27]
	s_and_saveexec_b64 s[26:27], s[0:1]
	s_cbranch_execnz .LBB126_470
	s_branch .LBB126_471
.LBB126_490:
	s_mov_b64 s[24:25], -1
                                        ; implicit-def: $vgpr3
.LBB126_491:
	s_mov_b64 s[26:27], 0
.LBB126_492:
	s_and_b64 vcc, exec, s[26:27]
	s_cbranch_vccz .LBB126_496
; %bb.493:
	s_cmp_eq_u32 s35, 11
	s_cbranch_scc0 .LBB126_495
; %bb.494:
	global_load_ubyte v3, v[0:1], off
	v_mov_b32_e32 v4, 0x3c00
	s_mov_b64 s[0:1], -1
	s_mov_b64 s[24:25], 0
	s_waitcnt vmcnt(0)
	v_cmp_ne_u16_e32 vcc, 0, v3
	v_cndmask_b32_e32 v3, 0, v4, vcc
	s_branch .LBB126_496
.LBB126_495:
	s_mov_b64 s[24:25], -1
                                        ; implicit-def: $vgpr3
.LBB126_496:
	s_branch .LBB126_412
.LBB126_497:
	s_and_b32 s26, 0xffff, s34
	s_cmp_lt_i32 s26, 5
	s_cbranch_scc1 .LBB126_502
; %bb.498:
	s_cmp_lt_i32 s26, 8
	s_cbranch_scc1 .LBB126_503
; %bb.499:
	;; [unrolled: 3-line block ×3, first 2 shown]
	s_cmp_gt_i32 s26, 9
	s_cbranch_scc0 .LBB126_505
; %bb.501:
	global_load_dwordx2 v[3:4], v[0:1], off
	s_movk_i32 s0, 0x1ff
	s_movk_i32 s1, 0xffe
	v_mov_b32_e32 v5, 0x7c00
	v_mov_b32_e32 v6, 0x7e00
	s_movk_i32 s27, 0x40f
	s_mov_b32 s28, 0x8000
	s_waitcnt vmcnt(0)
	v_and_or_b32 v3, v4, s0, v3
	v_cmp_ne_u32_e32 vcc, 0, v3
	v_lshrrev_b32_e32 v7, 8, v4
	v_bfe_u32 v8, v4, 20, 11
	v_cndmask_b32_e64 v3, 0, 1, vcc
	v_sub_u32_e32 v9, 0x3f1, v8
	v_and_or_b32 v3, v7, s1, v3
	v_add_u32_e32 v8, 0xfffffc10, v8
	v_med3_i32 v7, v9, 0, 13
	v_or_b32_e32 v9, 0x1000, v3
	v_cmp_ne_u32_e32 vcc, 0, v3
	v_lshl_or_b32 v10, v8, 12, v3
	v_cndmask_b32_e32 v3, v5, v6, vcc
	v_lshrrev_b32_e32 v6, v7, v9
	v_lshlrev_b32_e32 v7, v7, v6
	v_cmp_ne_u32_e32 vcc, v7, v9
	v_cndmask_b32_e64 v7, 0, 1, vcc
	v_or_b32_e32 v6, v6, v7
	v_cmp_gt_i32_e32 vcc, 1, v8
	v_cndmask_b32_e32 v6, v10, v6, vcc
	v_and_b32_e32 v7, 7, v6
	v_cmp_lt_i32_e32 vcc, 5, v7
	v_cndmask_b32_e64 v9, 0, 1, vcc
	v_cmp_eq_u32_e32 vcc, 3, v7
	v_cndmask_b32_e64 v7, 0, 1, vcc
	v_lshrrev_b32_e32 v6, 2, v6
	v_or_b32_e32 v7, v7, v9
	v_add_u32_e32 v6, v6, v7
	v_cmp_gt_i32_e32 vcc, 31, v8
	v_cndmask_b32_e32 v5, v5, v6, vcc
	v_cmp_eq_u32_e32 vcc, s27, v8
	v_lshrrev_b32_e32 v4, 16, v4
	v_cndmask_b32_e32 v3, v5, v3, vcc
	v_and_or_b32 v3, v4, s28, v3
	s_mov_b64 s[0:1], 0
	s_branch .LBB126_506
.LBB126_502:
	s_mov_b64 s[0:1], -1
                                        ; implicit-def: $vgpr3
	s_branch .LBB126_524
.LBB126_503:
	s_mov_b64 s[0:1], -1
                                        ; implicit-def: $vgpr3
	s_branch .LBB126_512
.LBB126_504:
	s_mov_b64 s[0:1], -1
                                        ; implicit-def: $vgpr3
	s_branch .LBB126_509
.LBB126_505:
	s_mov_b64 s[0:1], -1
                                        ; implicit-def: $vgpr3
.LBB126_506:
	s_andn2_b64 vcc, exec, s[0:1]
	s_cbranch_vccnz .LBB126_508
; %bb.507:
	global_load_dword v3, v[0:1], off
	s_waitcnt vmcnt(0)
	v_cvt_f16_f32_e32 v3, v3
.LBB126_508:
	s_mov_b64 s[0:1], 0
.LBB126_509:
	s_andn2_b64 vcc, exec, s[0:1]
	s_cbranch_vccnz .LBB126_511
; %bb.510:
	global_load_dword v3, v[0:1], off
.LBB126_511:
	s_mov_b64 s[0:1], 0
.LBB126_512:
	s_andn2_b64 vcc, exec, s[0:1]
	s_cbranch_vccnz .LBB126_523
; %bb.513:
	s_cmp_lt_i32 s26, 6
	s_cbranch_scc1 .LBB126_516
; %bb.514:
	s_cmp_gt_i32 s26, 6
	s_cbranch_scc0 .LBB126_517
; %bb.515:
	global_load_dwordx2 v[3:4], v[0:1], off
	s_movk_i32 s0, 0x1ff
	s_movk_i32 s1, 0xffe
	v_mov_b32_e32 v5, 0x7c00
	v_mov_b32_e32 v6, 0x7e00
	s_movk_i32 s27, 0x40f
	s_mov_b32 s28, 0x8000
	s_waitcnt vmcnt(0)
	v_and_or_b32 v3, v4, s0, v3
	v_cmp_ne_u32_e32 vcc, 0, v3
	v_lshrrev_b32_e32 v7, 8, v4
	v_bfe_u32 v8, v4, 20, 11
	v_cndmask_b32_e64 v3, 0, 1, vcc
	v_sub_u32_e32 v9, 0x3f1, v8
	v_and_or_b32 v3, v7, s1, v3
	v_add_u32_e32 v8, 0xfffffc10, v8
	v_med3_i32 v7, v9, 0, 13
	v_or_b32_e32 v9, 0x1000, v3
	v_cmp_ne_u32_e32 vcc, 0, v3
	v_lshl_or_b32 v10, v8, 12, v3
	v_cndmask_b32_e32 v3, v5, v6, vcc
	v_lshrrev_b32_e32 v6, v7, v9
	v_lshlrev_b32_e32 v7, v7, v6
	v_cmp_ne_u32_e32 vcc, v7, v9
	v_cndmask_b32_e64 v7, 0, 1, vcc
	v_or_b32_e32 v6, v6, v7
	v_cmp_gt_i32_e32 vcc, 1, v8
	v_cndmask_b32_e32 v6, v10, v6, vcc
	v_and_b32_e32 v7, 7, v6
	v_cmp_lt_i32_e32 vcc, 5, v7
	v_cndmask_b32_e64 v9, 0, 1, vcc
	v_cmp_eq_u32_e32 vcc, 3, v7
	v_cndmask_b32_e64 v7, 0, 1, vcc
	v_lshrrev_b32_e32 v6, 2, v6
	v_or_b32_e32 v7, v7, v9
	v_add_u32_e32 v6, v6, v7
	v_cmp_gt_i32_e32 vcc, 31, v8
	v_cndmask_b32_e32 v5, v5, v6, vcc
	v_cmp_eq_u32_e32 vcc, s27, v8
	v_lshrrev_b32_e32 v4, 16, v4
	v_cndmask_b32_e32 v3, v5, v3, vcc
	v_and_or_b32 v3, v4, s28, v3
	s_mov_b64 s[0:1], 0
	s_branch .LBB126_518
.LBB126_516:
	s_mov_b64 s[0:1], -1
                                        ; implicit-def: $vgpr3
	s_branch .LBB126_521
.LBB126_517:
	s_mov_b64 s[0:1], -1
                                        ; implicit-def: $vgpr3
.LBB126_518:
	s_andn2_b64 vcc, exec, s[0:1]
	s_cbranch_vccnz .LBB126_520
; %bb.519:
	global_load_dword v3, v[0:1], off
	s_waitcnt vmcnt(0)
	v_cvt_f16_f32_e32 v3, v3
.LBB126_520:
	s_mov_b64 s[0:1], 0
.LBB126_521:
	s_andn2_b64 vcc, exec, s[0:1]
	s_cbranch_vccnz .LBB126_523
; %bb.522:
	global_load_ushort v3, v[0:1], off
.LBB126_523:
	s_mov_b64 s[0:1], 0
.LBB126_524:
	s_andn2_b64 vcc, exec, s[0:1]
	s_cbranch_vccnz .LBB126_544
; %bb.525:
	s_cmp_lt_i32 s26, 2
	s_cbranch_scc1 .LBB126_529
; %bb.526:
	s_cmp_lt_i32 s26, 3
	s_cbranch_scc1 .LBB126_530
; %bb.527:
	s_cmp_gt_i32 s26, 3
	s_cbranch_scc0 .LBB126_531
; %bb.528:
	global_load_dwordx2 v[3:4], v[0:1], off
	s_mov_b64 s[0:1], 0
	s_waitcnt vmcnt(0)
	v_xor_b32_e32 v6, v3, v4
	v_ffbh_i32_e32 v5, v4
	v_ashrrev_i32_e32 v6, 31, v6
	v_add_u32_e32 v5, -1, v5
	v_add_u32_e32 v6, 32, v6
	v_min_u32_e32 v5, v5, v6
	v_lshlrev_b64 v[3:4], v5, v[3:4]
	v_min_u32_e32 v3, 1, v3
	v_or_b32_e32 v3, v4, v3
	v_cvt_f32_i32_e32 v3, v3
	v_sub_u32_e32 v4, 32, v5
	v_ldexp_f32 v3, v3, v4
	v_cvt_f16_f32_e32 v3, v3
	s_branch .LBB126_532
.LBB126_529:
	s_mov_b64 s[0:1], -1
                                        ; implicit-def: $vgpr3
	s_branch .LBB126_538
.LBB126_530:
	s_mov_b64 s[0:1], -1
                                        ; implicit-def: $vgpr3
	s_branch .LBB126_535
.LBB126_531:
	s_mov_b64 s[0:1], -1
                                        ; implicit-def: $vgpr3
.LBB126_532:
	s_andn2_b64 vcc, exec, s[0:1]
	s_cbranch_vccnz .LBB126_534
; %bb.533:
	global_load_dword v3, v[0:1], off
	s_waitcnt vmcnt(0)
	v_cvt_f32_i32_e32 v3, v3
	v_cvt_f16_f32_e32 v3, v3
.LBB126_534:
	s_mov_b64 s[0:1], 0
.LBB126_535:
	s_andn2_b64 vcc, exec, s[0:1]
	s_cbranch_vccnz .LBB126_537
; %bb.536:
	global_load_ushort v3, v[0:1], off
	s_waitcnt vmcnt(0)
	v_cvt_f16_i16_e32 v3, v3
.LBB126_537:
	s_mov_b64 s[0:1], 0
.LBB126_538:
	s_andn2_b64 vcc, exec, s[0:1]
	s_cbranch_vccnz .LBB126_544
; %bb.539:
	s_cmp_gt_i32 s26, 0
	s_cbranch_scc0 .LBB126_541
; %bb.540:
	global_load_sbyte v3, v[0:1], off
	s_mov_b64 s[0:1], 0
	s_waitcnt vmcnt(0)
	v_cvt_f16_i16_e32 v3, v3
	s_branch .LBB126_542
.LBB126_541:
	s_mov_b64 s[0:1], -1
                                        ; implicit-def: $vgpr3
.LBB126_542:
	s_andn2_b64 vcc, exec, s[0:1]
	s_cbranch_vccnz .LBB126_544
; %bb.543:
	global_load_ubyte v0, v[0:1], off
	s_waitcnt vmcnt(0)
	v_cvt_f16_u16_e32 v3, v0
.LBB126_544:
	s_branch .LBB126_413
.LBB126_545:
	s_mov_b64 s[34:35], 0
	s_mov_b64 s[0:1], s[16:17]
	;; [unrolled: 1-line block ×3, first 2 shown]
.LBB126_546:
                                        ; implicit-def: $vgpr2
	s_branch .LBB126_805
.LBB126_547:
	s_andn2_saveexec_b64 s[30:31], s[30:31]
	s_cbranch_execz .LBB126_209
.LBB126_548:
	v_add_f32_e32 v3, 0x42800000, v4
	v_and_b32_e32 v3, 0xff, v3
	v_cmp_ne_u32_e32 vcc, 0, v3
	s_andn2_b64 s[28:29], s[28:29], exec
	s_and_b64 s[36:37], vcc, exec
	s_or_b64 s[28:29], s[28:29], s[36:37]
	s_or_b64 exec, exec, s[30:31]
	v_mov_b32_e32 v5, 0
	s_and_saveexec_b64 s[30:31], s[28:29]
	s_cbranch_execnz .LBB126_210
	s_branch .LBB126_211
.LBB126_549:
	s_mov_b64 s[26:27], -1
                                        ; implicit-def: $vgpr4
	s_mov_b64 s[0:1], 0
.LBB126_550:
	s_and_b64 vcc, exec, s[28:29]
	s_cbranch_vccz .LBB126_554
; %bb.551:
	s_cmp_eq_u32 s37, 44
	s_cbranch_scc0 .LBB126_553
; %bb.552:
	global_load_ubyte v4, v[0:1], off
	s_movk_i32 s26, 0xff
	v_mov_b32_e32 v6, 0x7e00
	s_mov_b64 s[0:1], -1
	s_waitcnt vmcnt(0)
	v_lshlrev_b32_e32 v5, 23, v4
	v_cvt_f16_f32_e32 v5, v5
	v_cmp_ne_u32_e32 vcc, s26, v4
	s_mov_b64 s[26:27], 0
	v_cndmask_b32_e32 v5, v6, v5, vcc
	v_cmp_ne_u32_e32 vcc, 0, v4
	v_cndmask_b32_e32 v4, 0, v5, vcc
	s_branch .LBB126_554
.LBB126_553:
	s_mov_b64 s[26:27], -1
                                        ; implicit-def: $vgpr4
.LBB126_554:
	s_mov_b64 s[28:29], 0
.LBB126_555:
	s_and_b64 vcc, exec, s[28:29]
	s_cbranch_vccz .LBB126_559
; %bb.556:
	s_cmp_eq_u32 s37, 29
	s_cbranch_scc0 .LBB126_558
; %bb.557:
	global_load_dwordx2 v[4:5], v[0:1], off
	s_mov_b64 s[0:1], -1
	s_mov_b64 s[26:27], 0
	s_mov_b64 s[28:29], 0
	s_waitcnt vmcnt(0)
	v_ffbh_u32_e32 v6, v5
	v_min_u32_e32 v6, 32, v6
	v_lshlrev_b64 v[4:5], v6, v[4:5]
	v_min_u32_e32 v4, 1, v4
	v_or_b32_e32 v4, v5, v4
	v_cvt_f32_u32_e32 v4, v4
	v_sub_u32_e32 v5, 32, v6
	v_ldexp_f32 v4, v4, v5
	v_cvt_f16_f32_e32 v4, v4
	s_branch .LBB126_560
.LBB126_558:
	s_mov_b64 s[26:27], -1
                                        ; implicit-def: $vgpr4
.LBB126_559:
	s_mov_b64 s[28:29], 0
.LBB126_560:
	s_and_b64 vcc, exec, s[28:29]
	s_cbranch_vccz .LBB126_578
; %bb.561:
	s_cmp_lt_i32 s37, 27
	s_cbranch_scc1 .LBB126_564
; %bb.562:
	s_cmp_gt_i32 s37, 27
	s_cbranch_scc0 .LBB126_565
; %bb.563:
	global_load_dword v4, v[0:1], off
	s_mov_b64 s[0:1], 0
	s_waitcnt vmcnt(0)
	v_cvt_f32_u32_e32 v4, v4
	v_cvt_f16_f32_e32 v4, v4
	s_branch .LBB126_566
.LBB126_564:
	s_mov_b64 s[0:1], -1
                                        ; implicit-def: $vgpr4
	s_branch .LBB126_569
.LBB126_565:
	s_mov_b64 s[0:1], -1
                                        ; implicit-def: $vgpr4
.LBB126_566:
	s_andn2_b64 vcc, exec, s[0:1]
	s_cbranch_vccnz .LBB126_568
; %bb.567:
	global_load_ushort v4, v[0:1], off
	s_waitcnt vmcnt(0)
	v_cvt_f16_u16_e32 v4, v4
.LBB126_568:
	s_mov_b64 s[0:1], 0
.LBB126_569:
	s_andn2_b64 vcc, exec, s[0:1]
	s_cbranch_vccnz .LBB126_577
; %bb.570:
	global_load_ubyte v5, v[0:1], off
	s_movk_i32 s0, 0x7f
	s_waitcnt vmcnt(0)
	v_cmp_lt_i16_e32 vcc, s0, v5
	s_mov_b64 s[0:1], 0
	s_and_saveexec_b64 s[28:29], vcc
	s_xor_b64 s[28:29], exec, s[28:29]
	s_cbranch_execz .LBB126_591
; %bb.571:
	s_movk_i32 s0, 0x80
	v_cmp_eq_u16_e32 vcc, s0, v5
	s_mov_b64 s[0:1], -1
	s_and_saveexec_b64 s[34:35], vcc
; %bb.572:
	s_xor_b64 s[0:1], exec, -1
; %bb.573:
	s_or_b64 exec, exec, s[34:35]
	s_and_b64 s[0:1], s[0:1], exec
	s_or_saveexec_b64 s[28:29], s[28:29]
	v_mov_b32_e32 v4, 0x7e00
	s_xor_b64 exec, exec, s[28:29]
	s_cbranch_execnz .LBB126_592
.LBB126_574:
	s_or_b64 exec, exec, s[28:29]
	s_and_saveexec_b64 s[28:29], s[0:1]
	s_cbranch_execz .LBB126_576
.LBB126_575:
	v_lshlrev_b32_e32 v4, 24, v5
	v_and_b32_e32 v5, 0xffff, v5
	v_and_b32_e32 v6, 7, v5
	v_ffbh_u32_e32 v8, v6
	v_min_u32_e32 v8, 32, v8
	v_subrev_u32_e32 v9, 28, v8
	v_bfe_u32 v7, v5, 3, 4
	v_lshlrev_b32_e32 v5, v9, v5
	v_sub_u32_e32 v8, 29, v8
	v_and_b32_e32 v5, 7, v5
	v_cmp_eq_u32_e32 vcc, 0, v7
	v_cndmask_b32_e32 v7, v7, v8, vcc
	v_cndmask_b32_e32 v5, v6, v5, vcc
	v_mov_b32_e32 v6, 0x3b800000
	v_lshlrev_b32_e32 v5, 20, v5
	v_and_b32_e32 v4, 0x80000000, v4
	v_lshl_add_u32 v6, v7, 23, v6
	v_or3_b32 v4, v4, v6, v5
	v_cvt_f16_f32_e32 v4, v4
.LBB126_576:
	s_or_b64 exec, exec, s[28:29]
.LBB126_577:
	s_mov_b64 s[0:1], -1
.LBB126_578:
	s_mov_b64 s[28:29], 0
.LBB126_579:
	s_and_b64 vcc, exec, s[28:29]
	s_cbranch_vccz .LBB126_614
; %bb.580:
	s_cmp_gt_i32 s37, 22
	s_cbranch_scc0 .LBB126_590
; %bb.581:
	s_cmp_lt_i32 s37, 24
	s_cbranch_scc1 .LBB126_593
; %bb.582:
	s_cmp_gt_i32 s37, 24
	s_cbranch_scc0 .LBB126_594
; %bb.583:
	global_load_ubyte v5, v[0:1], off
	s_movk_i32 s0, 0x7f
	s_waitcnt vmcnt(0)
	v_cmp_lt_i16_e32 vcc, s0, v5
	s_mov_b64 s[0:1], 0
	s_and_saveexec_b64 s[28:29], vcc
	s_xor_b64 s[28:29], exec, s[28:29]
	s_cbranch_execz .LBB126_606
; %bb.584:
	s_movk_i32 s0, 0x80
	v_cmp_eq_u16_e32 vcc, s0, v5
	s_mov_b64 s[0:1], -1
	s_and_saveexec_b64 s[34:35], vcc
; %bb.585:
	s_xor_b64 s[0:1], exec, -1
; %bb.586:
	s_or_b64 exec, exec, s[34:35]
	s_and_b64 s[0:1], s[0:1], exec
	s_or_saveexec_b64 s[28:29], s[28:29]
	v_mov_b32_e32 v4, 0x7e00
	s_xor_b64 exec, exec, s[28:29]
	s_cbranch_execnz .LBB126_607
.LBB126_587:
	s_or_b64 exec, exec, s[28:29]
	s_and_saveexec_b64 s[28:29], s[0:1]
	s_cbranch_execz .LBB126_589
.LBB126_588:
	v_lshlrev_b32_e32 v4, 24, v5
	v_and_b32_e32 v5, 0xffff, v5
	v_and_b32_e32 v6, 3, v5
	v_ffbh_u32_e32 v8, v6
	v_min_u32_e32 v8, 32, v8
	v_subrev_u32_e32 v9, 29, v8
	v_bfe_u32 v7, v5, 2, 5
	v_lshlrev_b32_e32 v5, v9, v5
	v_sub_u32_e32 v8, 30, v8
	v_and_b32_e32 v5, 3, v5
	v_cmp_eq_u32_e32 vcc, 0, v7
	v_cndmask_b32_e32 v7, v7, v8, vcc
	v_cndmask_b32_e32 v5, v6, v5, vcc
	v_mov_b32_e32 v6, 0x37800000
	v_lshlrev_b32_e32 v5, 21, v5
	v_and_b32_e32 v4, 0x80000000, v4
	v_lshl_add_u32 v6, v7, 23, v6
	v_or3_b32 v4, v4, v6, v5
	v_cvt_f16_f32_e32 v4, v4
.LBB126_589:
	s_or_b64 exec, exec, s[28:29]
	s_mov_b64 s[0:1], 0
	s_branch .LBB126_595
.LBB126_590:
	s_mov_b64 s[28:29], -1
                                        ; implicit-def: $vgpr4
	s_branch .LBB126_601
.LBB126_591:
	s_or_saveexec_b64 s[28:29], s[28:29]
	v_mov_b32_e32 v4, 0x7e00
	s_xor_b64 exec, exec, s[28:29]
	s_cbranch_execz .LBB126_574
.LBB126_592:
	v_cmp_ne_u16_e32 vcc, 0, v5
	s_andn2_b64 s[0:1], s[0:1], exec
	s_and_b64 s[34:35], vcc, exec
	s_or_b64 s[0:1], s[0:1], s[34:35]
	v_mov_b32_e32 v4, v5
	s_or_b64 exec, exec, s[28:29]
	s_and_saveexec_b64 s[28:29], s[0:1]
	s_cbranch_execnz .LBB126_575
	s_branch .LBB126_576
.LBB126_593:
	s_mov_b64 s[0:1], -1
                                        ; implicit-def: $vgpr4
	s_branch .LBB126_598
.LBB126_594:
	s_mov_b64 s[0:1], -1
                                        ; implicit-def: $vgpr4
.LBB126_595:
	s_and_b64 vcc, exec, s[0:1]
	s_cbranch_vccz .LBB126_597
; %bb.596:
	global_load_ubyte v4, v[0:1], off
	s_mov_b32 s0, 0x7f800000
	s_waitcnt vmcnt(0)
	v_lshlrev_b32_e32 v4, 24, v4
	v_and_b32_e32 v5, 0x7f000000, v4
	v_ffbh_u32_e32 v6, v5
	v_min_u32_e32 v6, 32, v6
	v_sub_u32_e64 v6, v6, 4 clamp
	v_lshlrev_b32_e32 v8, v6, v5
	v_lshlrev_b32_e32 v6, 23, v6
	v_lshrrev_b32_e32 v8, 4, v8
	v_add_u32_e32 v7, 0x1000000, v5
	v_sub_u32_e32 v6, v8, v6
	v_ashrrev_i32_e32 v7, 8, v7
	v_add_u32_e32 v6, 0x3c000000, v6
	v_and_or_b32 v6, v7, s0, v6
	v_cmp_ne_u32_e32 vcc, 0, v5
	v_cndmask_b32_e32 v5, 0, v6, vcc
	s_brev_b32 s0, 1
	v_and_or_b32 v4, v4, s0, v5
	v_cvt_f16_f32_e32 v4, v4
.LBB126_597:
	s_mov_b64 s[0:1], 0
.LBB126_598:
	s_andn2_b64 vcc, exec, s[0:1]
	s_cbranch_vccnz .LBB126_600
; %bb.599:
	global_load_ubyte v4, v[0:1], off
	s_movk_i32 s0, 0x7f00
	s_brev_b32 s1, 16
	s_waitcnt vmcnt(0)
	v_lshlrev_b16_e32 v5, 8, v4
	v_lshlrev_b32_e32 v4, 25, v4
	v_lshrrev_b32_e32 v6, 4, v4
	v_and_or_b32 v7, v5, s0, 0.5
	v_or_b32_e32 v6, 0x70000000, v6
	v_add_f32_e32 v7, -0.5, v7
	v_mul_f32_e32 v6, 0x7800000, v6
	v_cmp_gt_u32_e32 vcc, s1, v4
	v_bfe_i32 v5, v5, 0, 16
	v_cndmask_b32_e32 v4, v6, v7, vcc
	s_brev_b32 s0, 1
	v_and_or_b32 v4, v5, s0, v4
	v_cvt_f16_f32_e32 v4, v4
.LBB126_600:
	s_mov_b64 s[28:29], 0
	s_mov_b64 s[0:1], -1
.LBB126_601:
	s_andn2_b64 vcc, exec, s[28:29]
	s_cbranch_vccnz .LBB126_614
; %bb.602:
	s_cmp_gt_i32 s37, 14
	s_cbranch_scc0 .LBB126_605
; %bb.603:
	s_cmp_eq_u32 s37, 15
	s_cbranch_scc0 .LBB126_608
; %bb.604:
	global_load_ushort v4, v[0:1], off
	s_mov_b64 s[0:1], -1
	s_mov_b64 s[26:27], 0
	s_waitcnt vmcnt(0)
	v_lshlrev_b32_e32 v4, 16, v4
	v_cvt_f16_f32_e32 v4, v4
	s_branch .LBB126_609
.LBB126_605:
	s_mov_b64 s[28:29], -1
                                        ; implicit-def: $vgpr4
	s_branch .LBB126_610
.LBB126_606:
	s_or_saveexec_b64 s[28:29], s[28:29]
	v_mov_b32_e32 v4, 0x7e00
	s_xor_b64 exec, exec, s[28:29]
	s_cbranch_execz .LBB126_587
.LBB126_607:
	v_cmp_ne_u16_e32 vcc, 0, v5
	s_andn2_b64 s[0:1], s[0:1], exec
	s_and_b64 s[34:35], vcc, exec
	s_or_b64 s[0:1], s[0:1], s[34:35]
	v_mov_b32_e32 v4, v5
	s_or_b64 exec, exec, s[28:29]
	s_and_saveexec_b64 s[28:29], s[0:1]
	s_cbranch_execnz .LBB126_588
	s_branch .LBB126_589
.LBB126_608:
	s_mov_b64 s[26:27], -1
                                        ; implicit-def: $vgpr4
.LBB126_609:
	s_mov_b64 s[28:29], 0
.LBB126_610:
	s_and_b64 vcc, exec, s[28:29]
	s_cbranch_vccz .LBB126_614
; %bb.611:
	s_cmp_eq_u32 s37, 11
	s_cbranch_scc0 .LBB126_613
; %bb.612:
	global_load_ubyte v4, v[0:1], off
	v_mov_b32_e32 v5, 0x3c00
	s_mov_b64 s[0:1], -1
	s_mov_b64 s[26:27], 0
	s_waitcnt vmcnt(0)
	v_cmp_ne_u16_e32 vcc, 0, v4
	v_cndmask_b32_e32 v4, 0, v5, vcc
	s_branch .LBB126_614
.LBB126_613:
	s_mov_b64 s[26:27], -1
                                        ; implicit-def: $vgpr4
.LBB126_614:
	s_mov_b64 s[28:29], 0
.LBB126_615:
	s_and_b64 vcc, exec, s[28:29]
	s_cbranch_vccz .LBB126_664
; %bb.616:
	s_and_b32 s28, 0xffff, s36
	s_cmp_lt_i32 s28, 5
	s_cbranch_scc1 .LBB126_621
; %bb.617:
	s_cmp_lt_i32 s28, 8
	s_cbranch_scc1 .LBB126_622
; %bb.618:
	;; [unrolled: 3-line block ×3, first 2 shown]
	s_cmp_gt_i32 s28, 9
	s_cbranch_scc0 .LBB126_624
; %bb.620:
	global_load_dwordx2 v[4:5], v[0:1], off
	s_movk_i32 s0, 0x1ff
	s_movk_i32 s1, 0xffe
	v_mov_b32_e32 v6, 0x7c00
	v_mov_b32_e32 v7, 0x7e00
	s_movk_i32 s29, 0x40f
	s_mov_b32 s34, 0x8000
	s_waitcnt vmcnt(0)
	v_and_or_b32 v4, v5, s0, v4
	v_cmp_ne_u32_e32 vcc, 0, v4
	v_lshrrev_b32_e32 v8, 8, v5
	v_bfe_u32 v9, v5, 20, 11
	v_cndmask_b32_e64 v4, 0, 1, vcc
	v_sub_u32_e32 v10, 0x3f1, v9
	v_and_or_b32 v4, v8, s1, v4
	v_add_u32_e32 v9, 0xfffffc10, v9
	v_med3_i32 v8, v10, 0, 13
	v_or_b32_e32 v10, 0x1000, v4
	v_cmp_ne_u32_e32 vcc, 0, v4
	v_lshl_or_b32 v11, v9, 12, v4
	v_cndmask_b32_e32 v4, v6, v7, vcc
	v_lshrrev_b32_e32 v7, v8, v10
	v_lshlrev_b32_e32 v8, v8, v7
	v_cmp_ne_u32_e32 vcc, v8, v10
	v_cndmask_b32_e64 v8, 0, 1, vcc
	v_or_b32_e32 v7, v7, v8
	v_cmp_gt_i32_e32 vcc, 1, v9
	v_cndmask_b32_e32 v7, v11, v7, vcc
	v_and_b32_e32 v8, 7, v7
	v_cmp_lt_i32_e32 vcc, 5, v8
	v_cndmask_b32_e64 v10, 0, 1, vcc
	v_cmp_eq_u32_e32 vcc, 3, v8
	v_cndmask_b32_e64 v8, 0, 1, vcc
	v_lshrrev_b32_e32 v7, 2, v7
	v_or_b32_e32 v8, v8, v10
	v_add_u32_e32 v7, v7, v8
	v_cmp_gt_i32_e32 vcc, 31, v9
	v_cndmask_b32_e32 v6, v6, v7, vcc
	v_cmp_eq_u32_e32 vcc, s29, v9
	v_lshrrev_b32_e32 v5, 16, v5
	v_cndmask_b32_e32 v4, v6, v4, vcc
	v_and_or_b32 v4, v5, s34, v4
	s_mov_b64 s[0:1], 0
	s_branch .LBB126_625
.LBB126_621:
	s_mov_b64 s[0:1], -1
                                        ; implicit-def: $vgpr4
	s_branch .LBB126_643
.LBB126_622:
	s_mov_b64 s[0:1], -1
                                        ; implicit-def: $vgpr4
	s_branch .LBB126_631
.LBB126_623:
	s_mov_b64 s[0:1], -1
                                        ; implicit-def: $vgpr4
	s_branch .LBB126_628
.LBB126_624:
	s_mov_b64 s[0:1], -1
                                        ; implicit-def: $vgpr4
.LBB126_625:
	s_andn2_b64 vcc, exec, s[0:1]
	s_cbranch_vccnz .LBB126_627
; %bb.626:
	global_load_dword v4, v[0:1], off
	s_waitcnt vmcnt(0)
	v_cvt_f16_f32_e32 v4, v4
.LBB126_627:
	s_mov_b64 s[0:1], 0
.LBB126_628:
	s_andn2_b64 vcc, exec, s[0:1]
	s_cbranch_vccnz .LBB126_630
; %bb.629:
	global_load_dword v4, v[0:1], off
.LBB126_630:
	s_mov_b64 s[0:1], 0
.LBB126_631:
	s_andn2_b64 vcc, exec, s[0:1]
	s_cbranch_vccnz .LBB126_642
; %bb.632:
	s_cmp_lt_i32 s28, 6
	s_cbranch_scc1 .LBB126_635
; %bb.633:
	s_cmp_gt_i32 s28, 6
	s_cbranch_scc0 .LBB126_636
; %bb.634:
	global_load_dwordx2 v[4:5], v[0:1], off
	s_movk_i32 s0, 0x1ff
	s_movk_i32 s1, 0xffe
	v_mov_b32_e32 v6, 0x7c00
	v_mov_b32_e32 v7, 0x7e00
	s_movk_i32 s29, 0x40f
	s_mov_b32 s34, 0x8000
	s_waitcnt vmcnt(0)
	v_and_or_b32 v4, v5, s0, v4
	v_cmp_ne_u32_e32 vcc, 0, v4
	v_lshrrev_b32_e32 v8, 8, v5
	v_bfe_u32 v9, v5, 20, 11
	v_cndmask_b32_e64 v4, 0, 1, vcc
	v_sub_u32_e32 v10, 0x3f1, v9
	v_and_or_b32 v4, v8, s1, v4
	v_add_u32_e32 v9, 0xfffffc10, v9
	v_med3_i32 v8, v10, 0, 13
	v_or_b32_e32 v10, 0x1000, v4
	v_cmp_ne_u32_e32 vcc, 0, v4
	v_lshl_or_b32 v11, v9, 12, v4
	v_cndmask_b32_e32 v4, v6, v7, vcc
	v_lshrrev_b32_e32 v7, v8, v10
	v_lshlrev_b32_e32 v8, v8, v7
	v_cmp_ne_u32_e32 vcc, v8, v10
	v_cndmask_b32_e64 v8, 0, 1, vcc
	v_or_b32_e32 v7, v7, v8
	v_cmp_gt_i32_e32 vcc, 1, v9
	v_cndmask_b32_e32 v7, v11, v7, vcc
	v_and_b32_e32 v8, 7, v7
	v_cmp_lt_i32_e32 vcc, 5, v8
	v_cndmask_b32_e64 v10, 0, 1, vcc
	v_cmp_eq_u32_e32 vcc, 3, v8
	v_cndmask_b32_e64 v8, 0, 1, vcc
	v_lshrrev_b32_e32 v7, 2, v7
	v_or_b32_e32 v8, v8, v10
	v_add_u32_e32 v7, v7, v8
	v_cmp_gt_i32_e32 vcc, 31, v9
	v_cndmask_b32_e32 v6, v6, v7, vcc
	v_cmp_eq_u32_e32 vcc, s29, v9
	v_lshrrev_b32_e32 v5, 16, v5
	v_cndmask_b32_e32 v4, v6, v4, vcc
	v_and_or_b32 v4, v5, s34, v4
	s_mov_b64 s[0:1], 0
	s_branch .LBB126_637
.LBB126_635:
	s_mov_b64 s[0:1], -1
                                        ; implicit-def: $vgpr4
	s_branch .LBB126_640
.LBB126_636:
	s_mov_b64 s[0:1], -1
                                        ; implicit-def: $vgpr4
.LBB126_637:
	s_andn2_b64 vcc, exec, s[0:1]
	s_cbranch_vccnz .LBB126_639
; %bb.638:
	global_load_dword v4, v[0:1], off
	s_waitcnt vmcnt(0)
	v_cvt_f16_f32_e32 v4, v4
.LBB126_639:
	s_mov_b64 s[0:1], 0
.LBB126_640:
	s_andn2_b64 vcc, exec, s[0:1]
	s_cbranch_vccnz .LBB126_642
; %bb.641:
	global_load_ushort v4, v[0:1], off
.LBB126_642:
	s_mov_b64 s[0:1], 0
.LBB126_643:
	s_andn2_b64 vcc, exec, s[0:1]
	s_cbranch_vccnz .LBB126_663
; %bb.644:
	s_cmp_lt_i32 s28, 2
	s_cbranch_scc1 .LBB126_648
; %bb.645:
	s_cmp_lt_i32 s28, 3
	s_cbranch_scc1 .LBB126_649
; %bb.646:
	s_cmp_gt_i32 s28, 3
	s_cbranch_scc0 .LBB126_650
; %bb.647:
	global_load_dwordx2 v[4:5], v[0:1], off
	s_mov_b64 s[0:1], 0
	s_waitcnt vmcnt(0)
	v_xor_b32_e32 v7, v4, v5
	v_ffbh_i32_e32 v6, v5
	v_ashrrev_i32_e32 v7, 31, v7
	v_add_u32_e32 v6, -1, v6
	v_add_u32_e32 v7, 32, v7
	v_min_u32_e32 v6, v6, v7
	v_lshlrev_b64 v[4:5], v6, v[4:5]
	v_min_u32_e32 v4, 1, v4
	v_or_b32_e32 v4, v5, v4
	v_cvt_f32_i32_e32 v4, v4
	v_sub_u32_e32 v5, 32, v6
	v_ldexp_f32 v4, v4, v5
	v_cvt_f16_f32_e32 v4, v4
	s_branch .LBB126_651
.LBB126_648:
	s_mov_b64 s[0:1], -1
                                        ; implicit-def: $vgpr4
	s_branch .LBB126_657
.LBB126_649:
	s_mov_b64 s[0:1], -1
                                        ; implicit-def: $vgpr4
	s_branch .LBB126_654
.LBB126_650:
	s_mov_b64 s[0:1], -1
                                        ; implicit-def: $vgpr4
.LBB126_651:
	s_andn2_b64 vcc, exec, s[0:1]
	s_cbranch_vccnz .LBB126_653
; %bb.652:
	global_load_dword v4, v[0:1], off
	s_waitcnt vmcnt(0)
	v_cvt_f32_i32_e32 v4, v4
	v_cvt_f16_f32_e32 v4, v4
.LBB126_653:
	s_mov_b64 s[0:1], 0
.LBB126_654:
	s_andn2_b64 vcc, exec, s[0:1]
	s_cbranch_vccnz .LBB126_656
; %bb.655:
	global_load_ushort v4, v[0:1], off
	s_waitcnt vmcnt(0)
	v_cvt_f16_i16_e32 v4, v4
.LBB126_656:
	s_mov_b64 s[0:1], 0
.LBB126_657:
	s_andn2_b64 vcc, exec, s[0:1]
	s_cbranch_vccnz .LBB126_663
; %bb.658:
	s_cmp_gt_i32 s28, 0
	s_cbranch_scc0 .LBB126_660
; %bb.659:
	global_load_sbyte v4, v[0:1], off
	s_mov_b64 s[0:1], 0
	s_waitcnt vmcnt(0)
	v_cvt_f16_i16_e32 v4, v4
	s_branch .LBB126_661
.LBB126_660:
	s_mov_b64 s[0:1], -1
                                        ; implicit-def: $vgpr4
.LBB126_661:
	s_andn2_b64 vcc, exec, s[0:1]
	s_cbranch_vccnz .LBB126_663
; %bb.662:
	global_load_ubyte v0, v[0:1], off
	s_waitcnt vmcnt(0)
	v_cvt_f16_u16_e32 v4, v0
.LBB126_663:
	s_mov_b64 s[0:1], -1
.LBB126_664:
	s_andn2_b64 vcc, exec, s[0:1]
	s_cbranch_vccnz .LBB126_669
; %bb.665:
	s_cmp_lt_i32 s15, 1
	s_mov_b64 s[0:1], 0
	s_cbranch_scc1 .LBB126_670
; %bb.666:
	s_cmp_gt_i32 s15, 1
	s_cbranch_scc0 .LBB126_671
; %bb.667:
	s_cmp_eq_u32 s15, 2
	s_cbranch_scc0 .LBB126_672
; %bb.668:
	s_waitcnt vmcnt(0)
	v_cmp_le_f16_e64 s[28:29], v3, v4
	s_mov_b64 s[34:35], 0
	s_branch .LBB126_673
.LBB126_669:
	s_mov_b64 s[34:35], 0
                                        ; implicit-def: $vgpr2
	s_mov_b64 s[0:1], s[16:17]
	s_branch .LBB126_805
.LBB126_670:
	s_mov_b64 s[36:37], -1
                                        ; implicit-def: $sgpr28_sgpr29
	s_mov_b64 s[34:35], 0
	s_branch .LBB126_677
.LBB126_671:
	s_mov_b64 s[36:37], -1
	s_mov_b64 s[34:35], 0
                                        ; implicit-def: $sgpr28_sgpr29
	s_branch .LBB126_674
.LBB126_672:
	s_mov_b64 s[34:35], -1
                                        ; implicit-def: $sgpr28_sgpr29
.LBB126_673:
	s_mov_b64 s[36:37], 0
.LBB126_674:
	s_and_b64 vcc, exec, s[36:37]
	s_cbranch_vccz .LBB126_676
; %bb.675:
	s_waitcnt vmcnt(0)
	v_cmp_gt_f16_e32 vcc, v3, v4
	s_andn2_b64 s[28:29], s[28:29], exec
	s_and_b64 s[36:37], vcc, exec
	s_or_b64 s[28:29], s[28:29], s[36:37]
.LBB126_676:
	s_mov_b64 s[36:37], 0
.LBB126_677:
	s_and_b64 vcc, exec, s[36:37]
	s_cbranch_vccz .LBB126_688
; %bb.678:
	s_cmp_lg_u32 s15, 0
	s_mov_b64 s[0:1], -1
	s_cselect_b64 s[34:35], -1, 0
	s_andn2_b64 vcc, exec, s[34:35]
	s_cbranch_vccz .LBB126_689
.LBB126_679:
	s_andn2_b64 vcc, exec, s[0:1]
	s_cbranch_vccnz .LBB126_681
.LBB126_680:
	s_waitcnt vmcnt(0)
	v_cmp_ge_f16_e32 vcc, v3, v4
	s_andn2_b64 s[0:1], s[28:29], exec
	s_and_b64 s[28:29], vcc, exec
	s_or_b64 s[28:29], s[0:1], s[28:29]
.LBB126_681:
	v_mul_lo_u32 v0, v2, s12
	v_mov_b32_e32 v1, s9
	s_and_b32 s40, s33, 0xff
	s_cmp_lt_i32 s40, 11
	s_waitcnt vmcnt(0)
	v_ashrrev_i32_e32 v3, 31, v0
	v_add_co_u32_e32 v0, vcc, s8, v0
	v_addc_co_u32_e32 v1, vcc, v1, v3, vcc
	s_cbranch_scc1 .LBB126_690
; %bb.682:
	s_and_b32 s41, 0xffff, s40
	s_cmp_gt_i32 s41, 25
	s_cbranch_scc0 .LBB126_691
; %bb.683:
	s_cmp_gt_i32 s41, 28
	s_cbranch_scc0 .LBB126_692
; %bb.684:
	;; [unrolled: 3-line block ×4, first 2 shown]
	s_mov_b64 s[36:37], 0
	s_mov_b64 s[0:1], -1
	s_cmp_eq_u32 s41, 46
	s_mov_b64 s[34:35], 0
	s_cbranch_scc0 .LBB126_695
; %bb.687:
	v_cndmask_b32_e64 v3, 0, 1.0, s[28:29]
	v_bfe_u32 v4, v3, 16, 1
	s_movk_i32 s0, 0x7fff
	v_add3_u32 v3, v3, v4, s0
	v_lshrrev_b32_e32 v3, 16, v3
	global_store_dword v[0:1], v3, off
	s_mov_b64 s[34:35], -1
	s_mov_b64 s[0:1], 0
	s_branch .LBB126_695
.LBB126_688:
	s_andn2_b64 vcc, exec, s[34:35]
	s_cbranch_vccnz .LBB126_679
.LBB126_689:
	s_waitcnt vmcnt(0)
	v_cmp_lt_f16_e32 vcc, v3, v4
	s_andn2_b64 s[28:29], s[28:29], exec
	s_and_b64 s[34:35], vcc, exec
	s_or_b64 s[28:29], s[28:29], s[34:35]
	s_cbranch_execz .LBB126_680
	s_branch .LBB126_681
.LBB126_690:
	s_mov_b64 s[36:37], -1
	s_mov_b64 s[34:35], 0
	s_mov_b64 s[0:1], s[16:17]
	s_branch .LBB126_764
.LBB126_691:
	s_mov_b64 s[36:37], -1
	s_mov_b64 s[34:35], 0
	s_mov_b64 s[0:1], s[16:17]
	s_branch .LBB126_722
.LBB126_692:
	s_mov_b64 s[36:37], -1
	s_mov_b64 s[34:35], 0
	s_mov_b64 s[0:1], s[16:17]
	s_branch .LBB126_705
.LBB126_693:
	s_mov_b64 s[36:37], -1
	s_mov_b64 s[34:35], 0
	s_mov_b64 s[0:1], s[16:17]
	s_branch .LBB126_701
.LBB126_694:
	s_mov_b64 s[36:37], -1
	s_mov_b64 s[34:35], 0
	s_mov_b64 s[0:1], s[16:17]
.LBB126_695:
	s_and_b64 vcc, exec, s[36:37]
	s_cbranch_vccz .LBB126_700
; %bb.696:
	s_cmp_eq_u32 s41, 44
	s_mov_b64 s[0:1], -1
	s_cbranch_scc0 .LBB126_700
; %bb.697:
	v_cndmask_b32_e64 v4, 0, 1.0, s[28:29]
	v_lshrrev_b32_e32 v3, 23, v4
	s_movk_i32 s0, 0xff
	v_cmp_ne_u32_e32 vcc, s0, v3
	v_mov_b32_e32 v5, 0xff
	s_and_saveexec_b64 s[34:35], vcc
; %bb.698:
	s_mov_b32 s0, 0x3fffff
	v_and_b32_e32 v5, 0x400000, v4
	v_and_or_b32 v4, v4, s0, v3
	v_cmp_ne_u32_e32 vcc, 0, v5
	v_cmp_ne_u32_e64 s[0:1], 0, v4
	s_and_b64 s[0:1], vcc, s[0:1]
	v_cndmask_b32_e64 v4, 0, 1, s[0:1]
	v_add_u32_e32 v5, v3, v4
; %bb.699:
	s_or_b64 exec, exec, s[34:35]
	s_mov_b64 s[34:35], -1
	s_mov_b64 s[0:1], 0
	global_store_byte v[0:1], v5, off
.LBB126_700:
	s_mov_b64 s[36:37], 0
.LBB126_701:
	s_and_b64 vcc, exec, s[36:37]
	s_cbranch_vccz .LBB126_704
; %bb.702:
	s_cmp_eq_u32 s41, 29
	s_mov_b64 s[0:1], -1
	s_cbranch_scc0 .LBB126_704
; %bb.703:
	s_mov_b32 s0, 0
	v_cndmask_b32_e64 v3, 0, 1, s[28:29]
	v_mov_b32_e32 v4, s0
	global_store_dwordx2 v[0:1], v[3:4], off
	s_mov_b64 s[34:35], -1
	s_mov_b64 s[0:1], 0
.LBB126_704:
	s_mov_b64 s[36:37], 0
.LBB126_705:
	s_and_b64 vcc, exec, s[36:37]
	s_cbranch_vccz .LBB126_721
; %bb.706:
	s_cmp_lt_i32 s41, 27
	s_mov_b64 s[34:35], -1
	s_cbranch_scc1 .LBB126_712
; %bb.707:
	s_cmp_gt_i32 s41, 27
	s_cbranch_scc0 .LBB126_709
; %bb.708:
	v_cndmask_b32_e64 v3, 0, 1, s[28:29]
	s_mov_b64 s[34:35], 0
	global_store_dword v[0:1], v3, off
.LBB126_709:
	s_andn2_b64 vcc, exec, s[34:35]
	s_cbranch_vccnz .LBB126_711
; %bb.710:
	v_cndmask_b32_e64 v3, 0, 1, s[28:29]
	global_store_short v[0:1], v3, off
.LBB126_711:
	s_mov_b64 s[34:35], 0
.LBB126_712:
	s_andn2_b64 vcc, exec, s[34:35]
	s_cbranch_vccnz .LBB126_720
; %bb.713:
	v_cndmask_b32_e64 v4, 0, 1.0, s[28:29]
	s_mov_b32 s34, 0x43800000
	v_cmp_gt_u32_e32 vcc, s34, v4
	v_mov_b32_e32 v5, 0x80
	s_and_saveexec_b64 s[34:35], vcc
	s_cbranch_execz .LBB126_719
; %bb.714:
	s_mov_b32 s36, 0x3bffffff
	v_cmp_lt_u32_e32 vcc, s36, v4
	s_mov_b64 s[36:37], 0
                                        ; implicit-def: $vgpr3
	s_and_saveexec_b64 s[38:39], vcc
	s_xor_b64 s[38:39], exec, s[38:39]
	s_cbranch_execz .LBB126_821
; %bb.715:
	v_bfe_u32 v3, v4, 20, 1
	s_mov_b32 s42, 0x487ffff
	v_add3_u32 v3, v4, v3, s42
	s_mov_b64 s[36:37], exec
	v_lshrrev_b32_e32 v3, 20, v3
                                        ; implicit-def: $vgpr4
	s_andn2_saveexec_b64 s[38:39], s[38:39]
	s_cbranch_execnz .LBB126_822
.LBB126_716:
	s_or_b64 exec, exec, s[38:39]
	v_mov_b32_e32 v5, 0
	s_and_saveexec_b64 s[38:39], s[36:37]
.LBB126_717:
	v_mov_b32_e32 v5, v3
.LBB126_718:
	s_or_b64 exec, exec, s[38:39]
.LBB126_719:
	s_or_b64 exec, exec, s[34:35]
	global_store_byte v[0:1], v5, off
.LBB126_720:
	s_mov_b64 s[34:35], -1
.LBB126_721:
	s_mov_b64 s[36:37], 0
.LBB126_722:
	s_and_b64 vcc, exec, s[36:37]
	s_cbranch_vccz .LBB126_763
; %bb.723:
	s_cmp_gt_i32 s41, 22
	s_mov_b64 s[36:37], -1
	s_cbranch_scc0 .LBB126_755
; %bb.724:
	s_cmp_lt_i32 s41, 24
	s_mov_b64 s[34:35], -1
	s_cbranch_scc1 .LBB126_744
; %bb.725:
	s_cmp_gt_i32 s41, 24
	s_cbranch_scc0 .LBB126_733
; %bb.726:
	v_cndmask_b32_e64 v4, 0, 1.0, s[28:29]
	s_mov_b32 s34, 0x47800000
	v_cmp_gt_u32_e32 vcc, s34, v4
	v_mov_b32_e32 v5, 0x80
	s_and_saveexec_b64 s[34:35], vcc
	s_cbranch_execz .LBB126_732
; %bb.727:
	s_mov_b32 s36, 0x37ffffff
	v_cmp_lt_u32_e32 vcc, s36, v4
	s_mov_b64 s[36:37], 0
                                        ; implicit-def: $vgpr3
	s_and_saveexec_b64 s[38:39], vcc
	s_xor_b64 s[38:39], exec, s[38:39]
	s_cbranch_execz .LBB126_953
; %bb.728:
	v_bfe_u32 v3, v4, 21, 1
	s_mov_b32 s42, 0x88fffff
	v_add3_u32 v3, v4, v3, s42
	s_mov_b64 s[36:37], exec
	v_lshrrev_b32_e32 v3, 21, v3
                                        ; implicit-def: $vgpr4
	s_andn2_saveexec_b64 s[38:39], s[38:39]
	s_cbranch_execnz .LBB126_954
.LBB126_729:
	s_or_b64 exec, exec, s[38:39]
	v_mov_b32_e32 v5, 0
	s_and_saveexec_b64 s[38:39], s[36:37]
.LBB126_730:
	v_mov_b32_e32 v5, v3
.LBB126_731:
	s_or_b64 exec, exec, s[38:39]
.LBB126_732:
	s_or_b64 exec, exec, s[34:35]
	s_mov_b64 s[34:35], 0
	global_store_byte v[0:1], v5, off
.LBB126_733:
	s_and_b64 vcc, exec, s[34:35]
	s_cbranch_vccz .LBB126_743
; %bb.734:
	v_cndmask_b32_e64 v3, 0, 1.0, s[28:29]
	s_mov_b32 s34, 0x43f00000
	v_cmp_gt_u32_e32 vcc, s34, v3
                                        ; implicit-def: $vgpr4
	s_and_saveexec_b64 s[34:35], vcc
	s_xor_b64 s[34:35], exec, s[34:35]
	s_cbranch_execz .LBB126_740
; %bb.735:
	s_mov_b32 s36, 0x3c7fffff
	v_cmp_lt_u32_e32 vcc, s36, v3
                                        ; implicit-def: $vgpr4
	s_and_saveexec_b64 s[36:37], vcc
	s_xor_b64 s[36:37], exec, s[36:37]
; %bb.736:
	v_bfe_u32 v4, v3, 20, 1
	s_mov_b32 s38, 0x407ffff
	v_add3_u32 v3, v3, v4, s38
	v_lshrrev_b32_e32 v4, 20, v3
	v_and_b32_e32 v3, 0xff00000, v3
	s_mov_b32 s38, 0x7f00000
	v_mov_b32_e32 v5, 0x7e
	v_cmp_ne_u32_e32 vcc, s38, v3
	v_cndmask_b32_e32 v4, v5, v4, vcc
                                        ; implicit-def: $vgpr3
; %bb.737:
	s_andn2_saveexec_b64 s[36:37], s[36:37]
; %bb.738:
	v_add_f32_e32 v4, 0x46800000, v3
; %bb.739:
	s_or_b64 exec, exec, s[36:37]
                                        ; implicit-def: $vgpr3
.LBB126_740:
	s_andn2_saveexec_b64 s[34:35], s[34:35]
; %bb.741:
	s_mov_b32 s36, 0x7f800000
	v_mov_b32_e32 v4, 0x7e
	v_mov_b32_e32 v5, 0x7f
	v_cmp_lt_u32_e32 vcc, s36, v3
	v_cndmask_b32_e32 v4, v4, v5, vcc
; %bb.742:
	s_or_b64 exec, exec, s[34:35]
	global_store_byte v[0:1], v4, off
.LBB126_743:
	s_mov_b64 s[34:35], 0
.LBB126_744:
	s_andn2_b64 vcc, exec, s[34:35]
	s_cbranch_vccnz .LBB126_754
; %bb.745:
	v_cndmask_b32_e64 v3, 0, 1.0, s[28:29]
	s_mov_b32 s34, 0x47800000
	v_cmp_gt_u32_e32 vcc, s34, v3
                                        ; implicit-def: $vgpr4
	s_and_saveexec_b64 s[34:35], vcc
	s_xor_b64 s[34:35], exec, s[34:35]
	s_cbranch_execz .LBB126_751
; %bb.746:
	s_mov_b32 s36, 0x387fffff
	v_cmp_lt_u32_e32 vcc, s36, v3
                                        ; implicit-def: $vgpr4
	s_and_saveexec_b64 s[36:37], vcc
	s_xor_b64 s[36:37], exec, s[36:37]
; %bb.747:
	v_bfe_u32 v4, v3, 21, 1
	s_mov_b32 s38, 0x80fffff
	v_add3_u32 v3, v3, v4, s38
	v_lshrrev_b32_e32 v4, 21, v3
                                        ; implicit-def: $vgpr3
; %bb.748:
	s_andn2_saveexec_b64 s[36:37], s[36:37]
; %bb.749:
	v_add_f32_e32 v4, 0x43000000, v3
; %bb.750:
	s_or_b64 exec, exec, s[36:37]
                                        ; implicit-def: $vgpr3
.LBB126_751:
	s_andn2_saveexec_b64 s[34:35], s[34:35]
; %bb.752:
	s_mov_b32 s36, 0x7f800000
	v_mov_b32_e32 v4, 0x7c
	v_mov_b32_e32 v5, 0x7f
	v_cmp_lt_u32_e32 vcc, s36, v3
	v_cndmask_b32_e32 v4, v4, v5, vcc
; %bb.753:
	s_or_b64 exec, exec, s[34:35]
	global_store_byte v[0:1], v4, off
.LBB126_754:
	s_mov_b64 s[36:37], 0
	s_mov_b64 s[34:35], -1
.LBB126_755:
	s_andn2_b64 vcc, exec, s[36:37]
	s_cbranch_vccnz .LBB126_763
; %bb.756:
	s_cmp_gt_i32 s41, 14
	s_mov_b64 s[36:37], -1
	s_cbranch_scc0 .LBB126_760
; %bb.757:
	s_cmp_eq_u32 s41, 15
	s_mov_b64 s[0:1], -1
	s_cbranch_scc0 .LBB126_759
; %bb.758:
	v_cndmask_b32_e64 v3, 0, 1.0, s[28:29]
	v_bfe_u32 v4, v3, 16, 1
	s_movk_i32 s0, 0x7fff
	v_add3_u32 v3, v3, v4, s0
	global_store_short_d16_hi v[0:1], v3, off
	s_mov_b64 s[34:35], -1
	s_mov_b64 s[0:1], 0
.LBB126_759:
	s_mov_b64 s[36:37], 0
.LBB126_760:
	s_and_b64 vcc, exec, s[36:37]
	s_cbranch_vccz .LBB126_763
; %bb.761:
	s_cmp_eq_u32 s41, 11
	s_mov_b64 s[0:1], -1
	s_cbranch_scc0 .LBB126_763
; %bb.762:
	v_cndmask_b32_e64 v3, 0, 1, s[28:29]
	s_mov_b64 s[34:35], -1
	s_mov_b64 s[0:1], 0
	global_store_byte v[0:1], v3, off
.LBB126_763:
	s_mov_b64 s[36:37], 0
.LBB126_764:
	s_and_b64 vcc, exec, s[36:37]
	s_cbranch_vccz .LBB126_803
; %bb.765:
	s_and_b32 s36, 0xffff, s40
	s_cmp_lt_i32 s36, 5
	s_mov_b64 s[34:35], -1
	s_cbranch_scc1 .LBB126_786
; %bb.766:
	s_cmp_lt_i32 s36, 8
	s_cbranch_scc1 .LBB126_776
; %bb.767:
	s_cmp_lt_i32 s36, 9
	s_cbranch_scc1 .LBB126_773
; %bb.768:
	s_cmp_gt_i32 s36, 9
	s_cbranch_scc0 .LBB126_770
; %bb.769:
	v_cndmask_b32_e64 v3, 0, 1, s[28:29]
	v_cvt_f64_u32_e32 v[3:4], v3
	v_mov_b32_e32 v5, 0
	v_mov_b32_e32 v6, v5
	s_mov_b64 s[34:35], 0
	global_store_dwordx4 v[0:1], v[3:6], off
.LBB126_770:
	s_andn2_b64 vcc, exec, s[34:35]
	s_cbranch_vccnz .LBB126_772
; %bb.771:
	v_cndmask_b32_e64 v3, 0, 1.0, s[28:29]
	v_mov_b32_e32 v4, 0
	global_store_dwordx2 v[0:1], v[3:4], off
.LBB126_772:
	s_mov_b64 s[34:35], 0
.LBB126_773:
	s_andn2_b64 vcc, exec, s[34:35]
	s_cbranch_vccnz .LBB126_775
; %bb.774:
	v_cndmask_b32_e64 v3, 0, 1.0, s[28:29]
	v_cvt_f16_f32_e32 v3, v3
	global_store_dword v[0:1], v3, off
.LBB126_775:
	s_mov_b64 s[34:35], 0
.LBB126_776:
	s_andn2_b64 vcc, exec, s[34:35]
	s_cbranch_vccnz .LBB126_785
; %bb.777:
	s_cmp_lt_i32 s36, 6
	s_mov_b64 s[34:35], -1
	s_cbranch_scc1 .LBB126_783
; %bb.778:
	s_cmp_gt_i32 s36, 6
	s_cbranch_scc0 .LBB126_780
; %bb.779:
	v_cndmask_b32_e64 v3, 0, 1, s[28:29]
	v_cvt_f64_u32_e32 v[3:4], v3
	s_mov_b64 s[34:35], 0
	global_store_dwordx2 v[0:1], v[3:4], off
.LBB126_780:
	s_andn2_b64 vcc, exec, s[34:35]
	s_cbranch_vccnz .LBB126_782
; %bb.781:
	v_cndmask_b32_e64 v3, 0, 1.0, s[28:29]
	global_store_dword v[0:1], v3, off
.LBB126_782:
	s_mov_b64 s[34:35], 0
.LBB126_783:
	s_andn2_b64 vcc, exec, s[34:35]
	s_cbranch_vccnz .LBB126_785
; %bb.784:
	v_cndmask_b32_e64 v3, 0, 1.0, s[28:29]
	v_cvt_f16_f32_e32 v3, v3
	global_store_short v[0:1], v3, off
.LBB126_785:
	s_mov_b64 s[34:35], 0
.LBB126_786:
	s_andn2_b64 vcc, exec, s[34:35]
	s_cbranch_vccnz .LBB126_802
; %bb.787:
	s_cmp_lt_i32 s36, 2
	s_mov_b64 s[34:35], -1
	s_cbranch_scc1 .LBB126_797
; %bb.788:
	s_cmp_lt_i32 s36, 3
	s_cbranch_scc1 .LBB126_794
; %bb.789:
	s_cmp_gt_i32 s36, 3
	s_cbranch_scc0 .LBB126_791
; %bb.790:
	s_mov_b32 s34, 0
	v_cndmask_b32_e64 v3, 0, 1, s[28:29]
	v_mov_b32_e32 v4, s34
	s_mov_b64 s[34:35], 0
	global_store_dwordx2 v[0:1], v[3:4], off
.LBB126_791:
	s_andn2_b64 vcc, exec, s[34:35]
	s_cbranch_vccnz .LBB126_793
; %bb.792:
	v_cndmask_b32_e64 v3, 0, 1, s[28:29]
	global_store_dword v[0:1], v3, off
.LBB126_793:
	s_mov_b64 s[34:35], 0
.LBB126_794:
	s_andn2_b64 vcc, exec, s[34:35]
	s_cbranch_vccnz .LBB126_796
; %bb.795:
	v_cndmask_b32_e64 v3, 0, 1, s[28:29]
	global_store_short v[0:1], v3, off
.LBB126_796:
	s_mov_b64 s[34:35], 0
.LBB126_797:
	s_andn2_b64 vcc, exec, s[34:35]
	s_cbranch_vccnz .LBB126_802
; %bb.798:
	s_mov_b64 s[34:35], -1
	s_cmp_gt_i32 s36, 0
	v_cndmask_b32_e64 v3, 0, 1, s[28:29]
	s_cbranch_scc0 .LBB126_800
; %bb.799:
	s_mov_b64 s[34:35], 0
	global_store_byte v[0:1], v3, off
.LBB126_800:
	s_andn2_b64 vcc, exec, s[34:35]
	s_cbranch_vccnz .LBB126_802
; %bb.801:
	global_store_byte v[0:1], v3, off
.LBB126_802:
	s_mov_b64 s[34:35], -1
.LBB126_803:
	s_andn2_b64 vcc, exec, s[34:35]
	s_cbranch_vccnz .LBB126_816
; %bb.804:
	v_add_u32_e32 v2, 0x80, v2
	s_mov_b64 s[34:35], -1
.LBB126_805:
	s_andn2_b64 s[28:29], s[16:17], exec
	s_and_b64 s[0:1], s[0:1], exec
	s_or_b64 s[28:29], s[28:29], s[0:1]
	s_andn2_b64 s[0:1], s[18:19], exec
	s_and_b64 s[26:27], s[26:27], exec
	s_or_b64 s[26:27], s[0:1], s[26:27]
	;; [unrolled: 3-line block ×3, first 2 shown]
	s_orn2_b64 s[0:1], s[34:35], exec
.LBB126_806:
	s_or_b64 exec, exec, s[30:31]
	s_mov_b64 s[34:35], 0
	s_mov_b64 s[36:37], 0
	;; [unrolled: 1-line block ×3, first 2 shown]
                                        ; implicit-def: $sgpr56
                                        ; implicit-def: $vgpr0_vgpr1
                                        ; implicit-def: $vgpr3
	s_and_saveexec_b64 s[30:31], s[0:1]
	s_cbranch_execz .LBB126_1297
; %bb.807:
	v_cmp_gt_i32_e32 vcc, s48, v2
	s_mov_b64 s[46:47], -1
	s_mov_b64 s[0:1], s[24:25]
	s_mov_b64 s[38:39], s[26:27]
	s_mov_b64 s[40:41], s[28:29]
	s_and_saveexec_b64 s[34:35], vcc
	s_cbranch_execz .LBB126_1212
; %bb.808:
	v_mul_lo_u32 v0, v2, s13
	v_mov_b32_e32 v1, s11
	s_and_b32 s42, s55, 0xff
	s_cmp_lt_i32 s42, 11
	s_waitcnt vmcnt(0)
	v_ashrrev_i32_e32 v3, 31, v0
	v_add_co_u32_e32 v0, vcc, s10, v0
	v_addc_co_u32_e32 v1, vcc, v1, v3, vcc
	s_cbranch_scc1 .LBB126_815
; %bb.809:
	s_and_b32 s43, 0xffff, s42
	s_cmp_gt_i32 s43, 25
	s_cbranch_scc0 .LBB126_817
; %bb.810:
	s_cmp_gt_i32 s43, 28
	s_cbranch_scc0 .LBB126_818
; %bb.811:
	;; [unrolled: 3-line block ×4, first 2 shown]
	s_cmp_eq_u32 s43, 46
	s_mov_b64 s[38:39], 0
	s_cbranch_scc0 .LBB126_823
; %bb.814:
	global_load_dword v3, v[0:1], off
	s_mov_b64 s[0:1], -1
	s_waitcnt vmcnt(0)
	v_lshlrev_b32_e32 v3, 16, v3
	v_cvt_f16_f32_e32 v3, v3
	s_branch .LBB126_824
.LBB126_815:
	s_mov_b64 s[38:39], -1
	s_mov_b64 s[0:1], 0
                                        ; implicit-def: $vgpr3
	s_mov_b64 s[36:37], s[24:25]
	s_branch .LBB126_889
.LBB126_816:
	s_mov_b64 s[34:35], 0
	s_branch .LBB126_546
.LBB126_817:
	s_mov_b64 s[38:39], -1
	s_mov_b64 s[0:1], 0
	s_mov_b64 s[36:37], s[24:25]
                                        ; implicit-def: $vgpr3
	s_branch .LBB126_853
.LBB126_818:
	s_mov_b64 s[38:39], -1
	s_mov_b64 s[0:1], 0
	s_mov_b64 s[36:37], s[24:25]
                                        ; implicit-def: $vgpr3
	s_branch .LBB126_834
.LBB126_819:
	s_mov_b64 s[38:39], -1
	s_mov_b64 s[0:1], 0
	s_mov_b64 s[36:37], s[24:25]
                                        ; implicit-def: $vgpr3
	s_branch .LBB126_829
.LBB126_820:
	s_mov_b64 s[38:39], -1
	s_mov_b64 s[0:1], 0
	s_mov_b64 s[36:37], s[24:25]
                                        ; implicit-def: $vgpr3
	s_branch .LBB126_824
.LBB126_821:
	s_andn2_saveexec_b64 s[38:39], s[38:39]
	s_cbranch_execz .LBB126_716
.LBB126_822:
	v_add_f32_e32 v3, 0x46000000, v4
	v_and_b32_e32 v3, 0xff, v3
	v_cmp_ne_u32_e32 vcc, 0, v3
	s_andn2_b64 s[36:37], s[36:37], exec
	s_and_b64 s[42:43], vcc, exec
	s_or_b64 s[36:37], s[36:37], s[42:43]
	s_or_b64 exec, exec, s[38:39]
	v_mov_b32_e32 v5, 0
	s_and_saveexec_b64 s[38:39], s[36:37]
	s_cbranch_execnz .LBB126_717
	s_branch .LBB126_718
.LBB126_823:
	s_mov_b64 s[36:37], -1
                                        ; implicit-def: $vgpr3
	s_mov_b64 s[0:1], 0
.LBB126_824:
	s_and_b64 vcc, exec, s[38:39]
	s_cbranch_vccz .LBB126_828
; %bb.825:
	s_cmp_eq_u32 s43, 44
	s_cbranch_scc0 .LBB126_827
; %bb.826:
	global_load_ubyte v3, v[0:1], off
	s_movk_i32 s36, 0xff
	v_mov_b32_e32 v5, 0x7e00
	s_mov_b64 s[0:1], -1
	s_waitcnt vmcnt(0)
	v_lshlrev_b32_e32 v4, 23, v3
	v_cvt_f16_f32_e32 v4, v4
	v_cmp_ne_u32_e32 vcc, s36, v3
	s_mov_b64 s[36:37], 0
	v_cndmask_b32_e32 v4, v5, v4, vcc
	v_cmp_ne_u32_e32 vcc, 0, v3
	v_cndmask_b32_e32 v3, 0, v4, vcc
	s_branch .LBB126_828
.LBB126_827:
	s_mov_b64 s[36:37], -1
                                        ; implicit-def: $vgpr3
.LBB126_828:
	s_mov_b64 s[38:39], 0
.LBB126_829:
	s_and_b64 vcc, exec, s[38:39]
	s_cbranch_vccz .LBB126_833
; %bb.830:
	s_cmp_eq_u32 s43, 29
	s_cbranch_scc0 .LBB126_832
; %bb.831:
	global_load_dwordx2 v[3:4], v[0:1], off
	s_mov_b64 s[0:1], -1
	s_mov_b64 s[36:37], 0
	s_mov_b64 s[38:39], 0
	s_waitcnt vmcnt(0)
	v_ffbh_u32_e32 v5, v4
	v_min_u32_e32 v5, 32, v5
	v_lshlrev_b64 v[3:4], v5, v[3:4]
	v_min_u32_e32 v3, 1, v3
	v_or_b32_e32 v3, v4, v3
	v_cvt_f32_u32_e32 v3, v3
	v_sub_u32_e32 v4, 32, v5
	v_ldexp_f32 v3, v3, v4
	v_cvt_f16_f32_e32 v3, v3
	s_branch .LBB126_834
.LBB126_832:
	s_mov_b64 s[36:37], -1
                                        ; implicit-def: $vgpr3
.LBB126_833:
	s_mov_b64 s[38:39], 0
.LBB126_834:
	s_and_b64 vcc, exec, s[38:39]
	s_cbranch_vccz .LBB126_852
; %bb.835:
	s_cmp_lt_i32 s43, 27
	s_cbranch_scc1 .LBB126_838
; %bb.836:
	s_cmp_gt_i32 s43, 27
	s_cbranch_scc0 .LBB126_839
; %bb.837:
	global_load_dword v3, v[0:1], off
	s_mov_b64 s[0:1], 0
	s_waitcnt vmcnt(0)
	v_cvt_f32_u32_e32 v3, v3
	v_cvt_f16_f32_e32 v3, v3
	s_branch .LBB126_840
.LBB126_838:
	s_mov_b64 s[0:1], -1
                                        ; implicit-def: $vgpr3
	s_branch .LBB126_843
.LBB126_839:
	s_mov_b64 s[0:1], -1
                                        ; implicit-def: $vgpr3
.LBB126_840:
	s_andn2_b64 vcc, exec, s[0:1]
	s_cbranch_vccnz .LBB126_842
; %bb.841:
	global_load_ushort v3, v[0:1], off
	s_waitcnt vmcnt(0)
	v_cvt_f16_u16_e32 v3, v3
.LBB126_842:
	s_mov_b64 s[0:1], 0
.LBB126_843:
	s_andn2_b64 vcc, exec, s[0:1]
	s_cbranch_vccnz .LBB126_851
; %bb.844:
	global_load_ubyte v4, v[0:1], off
	s_movk_i32 s0, 0x7f
	s_waitcnt vmcnt(0)
	v_cmp_lt_i16_e32 vcc, s0, v4
	s_mov_b64 s[0:1], 0
	s_and_saveexec_b64 s[38:39], vcc
	s_xor_b64 s[38:39], exec, s[38:39]
	s_cbranch_execz .LBB126_865
; %bb.845:
	s_movk_i32 s0, 0x80
	v_cmp_eq_u16_e32 vcc, s0, v4
	s_mov_b64 s[0:1], -1
	s_and_saveexec_b64 s[40:41], vcc
; %bb.846:
	s_xor_b64 s[0:1], exec, -1
; %bb.847:
	s_or_b64 exec, exec, s[40:41]
	s_and_b64 s[0:1], s[0:1], exec
	s_or_saveexec_b64 s[38:39], s[38:39]
	v_mov_b32_e32 v3, 0x7e00
	s_xor_b64 exec, exec, s[38:39]
	s_cbranch_execnz .LBB126_866
.LBB126_848:
	s_or_b64 exec, exec, s[38:39]
	s_and_saveexec_b64 s[38:39], s[0:1]
	s_cbranch_execz .LBB126_850
.LBB126_849:
	v_lshlrev_b32_e32 v3, 24, v4
	v_and_b32_e32 v4, 0xffff, v4
	v_and_b32_e32 v5, 7, v4
	v_ffbh_u32_e32 v7, v5
	v_min_u32_e32 v7, 32, v7
	v_subrev_u32_e32 v8, 28, v7
	v_bfe_u32 v6, v4, 3, 4
	v_lshlrev_b32_e32 v4, v8, v4
	v_sub_u32_e32 v7, 29, v7
	v_and_b32_e32 v4, 7, v4
	v_cmp_eq_u32_e32 vcc, 0, v6
	v_cndmask_b32_e32 v6, v6, v7, vcc
	v_cndmask_b32_e32 v4, v5, v4, vcc
	v_mov_b32_e32 v5, 0x3b800000
	v_lshlrev_b32_e32 v4, 20, v4
	v_and_b32_e32 v3, 0x80000000, v3
	v_lshl_add_u32 v5, v6, 23, v5
	v_or3_b32 v3, v3, v5, v4
	v_cvt_f16_f32_e32 v3, v3
.LBB126_850:
	s_or_b64 exec, exec, s[38:39]
.LBB126_851:
	s_mov_b64 s[0:1], -1
.LBB126_852:
	s_mov_b64 s[38:39], 0
.LBB126_853:
	s_and_b64 vcc, exec, s[38:39]
	s_cbranch_vccz .LBB126_888
; %bb.854:
	s_cmp_gt_i32 s43, 22
	s_cbranch_scc0 .LBB126_864
; %bb.855:
	s_cmp_lt_i32 s43, 24
	s_cbranch_scc1 .LBB126_867
; %bb.856:
	s_cmp_gt_i32 s43, 24
	s_cbranch_scc0 .LBB126_868
; %bb.857:
	global_load_ubyte v4, v[0:1], off
	s_movk_i32 s0, 0x7f
	s_waitcnt vmcnt(0)
	v_cmp_lt_i16_e32 vcc, s0, v4
	s_mov_b64 s[0:1], 0
	s_and_saveexec_b64 s[38:39], vcc
	s_xor_b64 s[38:39], exec, s[38:39]
	s_cbranch_execz .LBB126_880
; %bb.858:
	s_movk_i32 s0, 0x80
	v_cmp_eq_u16_e32 vcc, s0, v4
	s_mov_b64 s[0:1], -1
	s_and_saveexec_b64 s[40:41], vcc
; %bb.859:
	s_xor_b64 s[0:1], exec, -1
; %bb.860:
	s_or_b64 exec, exec, s[40:41]
	s_and_b64 s[0:1], s[0:1], exec
	s_or_saveexec_b64 s[38:39], s[38:39]
	v_mov_b32_e32 v3, 0x7e00
	s_xor_b64 exec, exec, s[38:39]
	s_cbranch_execnz .LBB126_881
.LBB126_861:
	s_or_b64 exec, exec, s[38:39]
	s_and_saveexec_b64 s[38:39], s[0:1]
	s_cbranch_execz .LBB126_863
.LBB126_862:
	v_lshlrev_b32_e32 v3, 24, v4
	v_and_b32_e32 v4, 0xffff, v4
	v_and_b32_e32 v5, 3, v4
	v_ffbh_u32_e32 v7, v5
	v_min_u32_e32 v7, 32, v7
	v_subrev_u32_e32 v8, 29, v7
	v_bfe_u32 v6, v4, 2, 5
	v_lshlrev_b32_e32 v4, v8, v4
	v_sub_u32_e32 v7, 30, v7
	v_and_b32_e32 v4, 3, v4
	v_cmp_eq_u32_e32 vcc, 0, v6
	v_cndmask_b32_e32 v6, v6, v7, vcc
	v_cndmask_b32_e32 v4, v5, v4, vcc
	v_mov_b32_e32 v5, 0x37800000
	v_lshlrev_b32_e32 v4, 21, v4
	v_and_b32_e32 v3, 0x80000000, v3
	v_lshl_add_u32 v5, v6, 23, v5
	v_or3_b32 v3, v3, v5, v4
	v_cvt_f16_f32_e32 v3, v3
.LBB126_863:
	s_or_b64 exec, exec, s[38:39]
	s_mov_b64 s[0:1], 0
	s_branch .LBB126_869
.LBB126_864:
	s_mov_b64 s[38:39], -1
                                        ; implicit-def: $vgpr3
	s_branch .LBB126_875
.LBB126_865:
	s_or_saveexec_b64 s[38:39], s[38:39]
	v_mov_b32_e32 v3, 0x7e00
	s_xor_b64 exec, exec, s[38:39]
	s_cbranch_execz .LBB126_848
.LBB126_866:
	v_cmp_ne_u16_e32 vcc, 0, v4
	s_andn2_b64 s[0:1], s[0:1], exec
	s_and_b64 s[40:41], vcc, exec
	s_or_b64 s[0:1], s[0:1], s[40:41]
	v_mov_b32_e32 v3, v4
	s_or_b64 exec, exec, s[38:39]
	s_and_saveexec_b64 s[38:39], s[0:1]
	s_cbranch_execnz .LBB126_849
	s_branch .LBB126_850
.LBB126_867:
	s_mov_b64 s[0:1], -1
                                        ; implicit-def: $vgpr3
	s_branch .LBB126_872
.LBB126_868:
	s_mov_b64 s[0:1], -1
                                        ; implicit-def: $vgpr3
.LBB126_869:
	s_and_b64 vcc, exec, s[0:1]
	s_cbranch_vccz .LBB126_871
; %bb.870:
	global_load_ubyte v3, v[0:1], off
	s_mov_b32 s0, 0x7f800000
	s_waitcnt vmcnt(0)
	v_lshlrev_b32_e32 v3, 24, v3
	v_and_b32_e32 v4, 0x7f000000, v3
	v_ffbh_u32_e32 v5, v4
	v_min_u32_e32 v5, 32, v5
	v_sub_u32_e64 v5, v5, 4 clamp
	v_lshlrev_b32_e32 v7, v5, v4
	v_lshlrev_b32_e32 v5, 23, v5
	v_lshrrev_b32_e32 v7, 4, v7
	v_add_u32_e32 v6, 0x1000000, v4
	v_sub_u32_e32 v5, v7, v5
	v_ashrrev_i32_e32 v6, 8, v6
	v_add_u32_e32 v5, 0x3c000000, v5
	v_and_or_b32 v5, v6, s0, v5
	v_cmp_ne_u32_e32 vcc, 0, v4
	v_cndmask_b32_e32 v4, 0, v5, vcc
	s_brev_b32 s0, 1
	v_and_or_b32 v3, v3, s0, v4
	v_cvt_f16_f32_e32 v3, v3
.LBB126_871:
	s_mov_b64 s[0:1], 0
.LBB126_872:
	s_andn2_b64 vcc, exec, s[0:1]
	s_cbranch_vccnz .LBB126_874
; %bb.873:
	global_load_ubyte v3, v[0:1], off
	s_movk_i32 s0, 0x7f00
	s_brev_b32 s1, 16
	s_waitcnt vmcnt(0)
	v_lshlrev_b16_e32 v4, 8, v3
	v_lshlrev_b32_e32 v3, 25, v3
	v_lshrrev_b32_e32 v5, 4, v3
	v_and_or_b32 v6, v4, s0, 0.5
	v_or_b32_e32 v5, 0x70000000, v5
	v_add_f32_e32 v6, -0.5, v6
	v_mul_f32_e32 v5, 0x7800000, v5
	v_cmp_gt_u32_e32 vcc, s1, v3
	v_bfe_i32 v4, v4, 0, 16
	v_cndmask_b32_e32 v3, v5, v6, vcc
	s_brev_b32 s0, 1
	v_and_or_b32 v3, v4, s0, v3
	v_cvt_f16_f32_e32 v3, v3
.LBB126_874:
	s_mov_b64 s[38:39], 0
	s_mov_b64 s[0:1], -1
.LBB126_875:
	s_andn2_b64 vcc, exec, s[38:39]
	s_cbranch_vccnz .LBB126_888
; %bb.876:
	s_cmp_gt_i32 s43, 14
	s_cbranch_scc0 .LBB126_879
; %bb.877:
	s_cmp_eq_u32 s43, 15
	s_cbranch_scc0 .LBB126_882
; %bb.878:
	global_load_ushort v3, v[0:1], off
	s_mov_b64 s[0:1], -1
	s_mov_b64 s[36:37], 0
	s_waitcnt vmcnt(0)
	v_lshlrev_b32_e32 v3, 16, v3
	v_cvt_f16_f32_e32 v3, v3
	s_branch .LBB126_883
.LBB126_879:
	s_mov_b64 s[38:39], -1
                                        ; implicit-def: $vgpr3
	s_branch .LBB126_884
.LBB126_880:
	s_or_saveexec_b64 s[38:39], s[38:39]
	v_mov_b32_e32 v3, 0x7e00
	s_xor_b64 exec, exec, s[38:39]
	s_cbranch_execz .LBB126_861
.LBB126_881:
	v_cmp_ne_u16_e32 vcc, 0, v4
	s_andn2_b64 s[0:1], s[0:1], exec
	s_and_b64 s[40:41], vcc, exec
	s_or_b64 s[0:1], s[0:1], s[40:41]
	v_mov_b32_e32 v3, v4
	s_or_b64 exec, exec, s[38:39]
	s_and_saveexec_b64 s[38:39], s[0:1]
	s_cbranch_execnz .LBB126_862
	s_branch .LBB126_863
.LBB126_882:
	s_mov_b64 s[36:37], -1
                                        ; implicit-def: $vgpr3
.LBB126_883:
	s_mov_b64 s[38:39], 0
.LBB126_884:
	s_and_b64 vcc, exec, s[38:39]
	s_cbranch_vccz .LBB126_888
; %bb.885:
	s_cmp_eq_u32 s43, 11
	s_cbranch_scc0 .LBB126_887
; %bb.886:
	global_load_ubyte v3, v[0:1], off
	v_mov_b32_e32 v4, 0x3c00
	s_mov_b64 s[0:1], -1
	s_mov_b64 s[36:37], 0
	s_waitcnt vmcnt(0)
	v_cmp_ne_u16_e32 vcc, 0, v3
	v_cndmask_b32_e32 v3, 0, v4, vcc
	s_branch .LBB126_888
.LBB126_887:
	s_mov_b64 s[36:37], -1
                                        ; implicit-def: $vgpr3
.LBB126_888:
	s_mov_b64 s[38:39], 0
.LBB126_889:
	s_and_b64 vcc, exec, s[38:39]
	s_cbranch_vccz .LBB126_938
; %bb.890:
	s_and_b32 s38, 0xffff, s42
	s_cmp_lt_i32 s38, 5
	s_cbranch_scc1 .LBB126_895
; %bb.891:
	s_cmp_lt_i32 s38, 8
	s_cbranch_scc1 .LBB126_896
; %bb.892:
	s_cmp_lt_i32 s38, 9
	s_cbranch_scc1 .LBB126_897
; %bb.893:
	s_cmp_gt_i32 s38, 9
	s_cbranch_scc0 .LBB126_898
; %bb.894:
	global_load_dwordx2 v[3:4], v[0:1], off
	s_movk_i32 s0, 0x1ff
	s_movk_i32 s1, 0xffe
	v_mov_b32_e32 v5, 0x7c00
	v_mov_b32_e32 v6, 0x7e00
	s_movk_i32 s39, 0x40f
	s_mov_b32 s40, 0x8000
	s_waitcnt vmcnt(0)
	v_and_or_b32 v3, v4, s0, v3
	v_cmp_ne_u32_e32 vcc, 0, v3
	v_lshrrev_b32_e32 v7, 8, v4
	v_bfe_u32 v8, v4, 20, 11
	v_cndmask_b32_e64 v3, 0, 1, vcc
	v_sub_u32_e32 v9, 0x3f1, v8
	v_and_or_b32 v3, v7, s1, v3
	v_add_u32_e32 v8, 0xfffffc10, v8
	v_med3_i32 v7, v9, 0, 13
	v_or_b32_e32 v9, 0x1000, v3
	v_cmp_ne_u32_e32 vcc, 0, v3
	v_lshl_or_b32 v10, v8, 12, v3
	v_cndmask_b32_e32 v3, v5, v6, vcc
	v_lshrrev_b32_e32 v6, v7, v9
	v_lshlrev_b32_e32 v7, v7, v6
	v_cmp_ne_u32_e32 vcc, v7, v9
	v_cndmask_b32_e64 v7, 0, 1, vcc
	v_or_b32_e32 v6, v6, v7
	v_cmp_gt_i32_e32 vcc, 1, v8
	v_cndmask_b32_e32 v6, v10, v6, vcc
	v_and_b32_e32 v7, 7, v6
	v_cmp_lt_i32_e32 vcc, 5, v7
	v_cndmask_b32_e64 v9, 0, 1, vcc
	v_cmp_eq_u32_e32 vcc, 3, v7
	v_cndmask_b32_e64 v7, 0, 1, vcc
	v_lshrrev_b32_e32 v6, 2, v6
	v_or_b32_e32 v7, v7, v9
	v_add_u32_e32 v6, v6, v7
	v_cmp_gt_i32_e32 vcc, 31, v8
	v_cndmask_b32_e32 v5, v5, v6, vcc
	v_cmp_eq_u32_e32 vcc, s39, v8
	v_lshrrev_b32_e32 v4, 16, v4
	v_cndmask_b32_e32 v3, v5, v3, vcc
	v_and_or_b32 v3, v4, s40, v3
	s_mov_b64 s[0:1], 0
	s_branch .LBB126_899
.LBB126_895:
	s_mov_b64 s[0:1], -1
                                        ; implicit-def: $vgpr3
	s_branch .LBB126_917
.LBB126_896:
	s_mov_b64 s[0:1], -1
                                        ; implicit-def: $vgpr3
	s_branch .LBB126_905
.LBB126_897:
	s_mov_b64 s[0:1], -1
                                        ; implicit-def: $vgpr3
	s_branch .LBB126_902
.LBB126_898:
	s_mov_b64 s[0:1], -1
                                        ; implicit-def: $vgpr3
.LBB126_899:
	s_andn2_b64 vcc, exec, s[0:1]
	s_cbranch_vccnz .LBB126_901
; %bb.900:
	global_load_dword v3, v[0:1], off
	s_waitcnt vmcnt(0)
	v_cvt_f16_f32_e32 v3, v3
.LBB126_901:
	s_mov_b64 s[0:1], 0
.LBB126_902:
	s_andn2_b64 vcc, exec, s[0:1]
	s_cbranch_vccnz .LBB126_904
; %bb.903:
	global_load_dword v3, v[0:1], off
.LBB126_904:
	s_mov_b64 s[0:1], 0
.LBB126_905:
	s_andn2_b64 vcc, exec, s[0:1]
	s_cbranch_vccnz .LBB126_916
; %bb.906:
	s_cmp_lt_i32 s38, 6
	s_cbranch_scc1 .LBB126_909
; %bb.907:
	s_cmp_gt_i32 s38, 6
	s_cbranch_scc0 .LBB126_910
; %bb.908:
	global_load_dwordx2 v[3:4], v[0:1], off
	s_movk_i32 s0, 0x1ff
	s_movk_i32 s1, 0xffe
	v_mov_b32_e32 v5, 0x7c00
	v_mov_b32_e32 v6, 0x7e00
	s_movk_i32 s39, 0x40f
	s_mov_b32 s40, 0x8000
	s_waitcnt vmcnt(0)
	v_and_or_b32 v3, v4, s0, v3
	v_cmp_ne_u32_e32 vcc, 0, v3
	v_lshrrev_b32_e32 v7, 8, v4
	v_bfe_u32 v8, v4, 20, 11
	v_cndmask_b32_e64 v3, 0, 1, vcc
	v_sub_u32_e32 v9, 0x3f1, v8
	v_and_or_b32 v3, v7, s1, v3
	v_add_u32_e32 v8, 0xfffffc10, v8
	v_med3_i32 v7, v9, 0, 13
	v_or_b32_e32 v9, 0x1000, v3
	v_cmp_ne_u32_e32 vcc, 0, v3
	v_lshl_or_b32 v10, v8, 12, v3
	v_cndmask_b32_e32 v3, v5, v6, vcc
	v_lshrrev_b32_e32 v6, v7, v9
	v_lshlrev_b32_e32 v7, v7, v6
	v_cmp_ne_u32_e32 vcc, v7, v9
	v_cndmask_b32_e64 v7, 0, 1, vcc
	v_or_b32_e32 v6, v6, v7
	v_cmp_gt_i32_e32 vcc, 1, v8
	v_cndmask_b32_e32 v6, v10, v6, vcc
	v_and_b32_e32 v7, 7, v6
	v_cmp_lt_i32_e32 vcc, 5, v7
	v_cndmask_b32_e64 v9, 0, 1, vcc
	v_cmp_eq_u32_e32 vcc, 3, v7
	v_cndmask_b32_e64 v7, 0, 1, vcc
	v_lshrrev_b32_e32 v6, 2, v6
	v_or_b32_e32 v7, v7, v9
	v_add_u32_e32 v6, v6, v7
	v_cmp_gt_i32_e32 vcc, 31, v8
	v_cndmask_b32_e32 v5, v5, v6, vcc
	v_cmp_eq_u32_e32 vcc, s39, v8
	v_lshrrev_b32_e32 v4, 16, v4
	v_cndmask_b32_e32 v3, v5, v3, vcc
	v_and_or_b32 v3, v4, s40, v3
	s_mov_b64 s[0:1], 0
	s_branch .LBB126_911
.LBB126_909:
	s_mov_b64 s[0:1], -1
                                        ; implicit-def: $vgpr3
	s_branch .LBB126_914
.LBB126_910:
	s_mov_b64 s[0:1], -1
                                        ; implicit-def: $vgpr3
.LBB126_911:
	s_andn2_b64 vcc, exec, s[0:1]
	s_cbranch_vccnz .LBB126_913
; %bb.912:
	global_load_dword v3, v[0:1], off
	s_waitcnt vmcnt(0)
	v_cvt_f16_f32_e32 v3, v3
.LBB126_913:
	s_mov_b64 s[0:1], 0
.LBB126_914:
	s_andn2_b64 vcc, exec, s[0:1]
	s_cbranch_vccnz .LBB126_916
; %bb.915:
	global_load_ushort v3, v[0:1], off
.LBB126_916:
	s_mov_b64 s[0:1], 0
.LBB126_917:
	s_andn2_b64 vcc, exec, s[0:1]
	s_cbranch_vccnz .LBB126_937
; %bb.918:
	s_cmp_lt_i32 s38, 2
	s_cbranch_scc1 .LBB126_922
; %bb.919:
	s_cmp_lt_i32 s38, 3
	s_cbranch_scc1 .LBB126_923
; %bb.920:
	s_cmp_gt_i32 s38, 3
	s_cbranch_scc0 .LBB126_924
; %bb.921:
	global_load_dwordx2 v[3:4], v[0:1], off
	s_mov_b64 s[0:1], 0
	s_waitcnt vmcnt(0)
	v_xor_b32_e32 v6, v3, v4
	v_ffbh_i32_e32 v5, v4
	v_ashrrev_i32_e32 v6, 31, v6
	v_add_u32_e32 v5, -1, v5
	v_add_u32_e32 v6, 32, v6
	v_min_u32_e32 v5, v5, v6
	v_lshlrev_b64 v[3:4], v5, v[3:4]
	v_min_u32_e32 v3, 1, v3
	v_or_b32_e32 v3, v4, v3
	v_cvt_f32_i32_e32 v3, v3
	v_sub_u32_e32 v4, 32, v5
	v_ldexp_f32 v3, v3, v4
	v_cvt_f16_f32_e32 v3, v3
	s_branch .LBB126_925
.LBB126_922:
	s_mov_b64 s[0:1], -1
                                        ; implicit-def: $vgpr3
	s_branch .LBB126_931
.LBB126_923:
	s_mov_b64 s[0:1], -1
                                        ; implicit-def: $vgpr3
	s_branch .LBB126_928
.LBB126_924:
	s_mov_b64 s[0:1], -1
                                        ; implicit-def: $vgpr3
.LBB126_925:
	s_andn2_b64 vcc, exec, s[0:1]
	s_cbranch_vccnz .LBB126_927
; %bb.926:
	global_load_dword v3, v[0:1], off
	s_waitcnt vmcnt(0)
	v_cvt_f32_i32_e32 v3, v3
	v_cvt_f16_f32_e32 v3, v3
.LBB126_927:
	s_mov_b64 s[0:1], 0
.LBB126_928:
	s_andn2_b64 vcc, exec, s[0:1]
	s_cbranch_vccnz .LBB126_930
; %bb.929:
	global_load_ushort v3, v[0:1], off
	s_waitcnt vmcnt(0)
	v_cvt_f16_i16_e32 v3, v3
.LBB126_930:
	s_mov_b64 s[0:1], 0
.LBB126_931:
	s_andn2_b64 vcc, exec, s[0:1]
	s_cbranch_vccnz .LBB126_937
; %bb.932:
	s_cmp_gt_i32 s38, 0
	s_cbranch_scc0 .LBB126_934
; %bb.933:
	global_load_sbyte v3, v[0:1], off
	s_mov_b64 s[0:1], 0
	s_waitcnt vmcnt(0)
	v_cvt_f16_i16_e32 v3, v3
	s_branch .LBB126_935
.LBB126_934:
	s_mov_b64 s[0:1], -1
                                        ; implicit-def: $vgpr3
.LBB126_935:
	s_andn2_b64 vcc, exec, s[0:1]
	s_cbranch_vccnz .LBB126_937
; %bb.936:
	global_load_ubyte v0, v[0:1], off
	s_waitcnt vmcnt(0)
	v_cvt_f16_u16_e32 v3, v0
.LBB126_937:
	s_mov_b64 s[0:1], -1
.LBB126_938:
	s_andn2_b64 vcc, exec, s[0:1]
	s_cbranch_vccnz .LBB126_946
; %bb.939:
	v_mul_lo_u32 v0, v2, s14
	v_mov_b32_e32 v1, s3
	s_and_b32 s44, s54, 0xff
	s_cmp_lt_i32 s44, 11
	v_ashrrev_i32_e32 v4, 31, v0
	v_add_co_u32_e32 v0, vcc, s2, v0
	v_addc_co_u32_e32 v1, vcc, v1, v4, vcc
	s_cbranch_scc1 .LBB126_948
; %bb.940:
	s_and_b32 s45, 0xffff, s44
	s_cmp_gt_i32 s45, 25
	s_cbranch_scc0 .LBB126_949
; %bb.941:
	s_cmp_gt_i32 s45, 28
	s_cbranch_scc0 .LBB126_950
; %bb.942:
	;; [unrolled: 3-line block ×4, first 2 shown]
	s_cmp_eq_u32 s45, 46
	s_mov_b64 s[40:41], 0
	s_cbranch_scc0 .LBB126_955
; %bb.945:
	global_load_dword v4, v[0:1], off
	s_mov_b64 s[0:1], -1
	s_mov_b64 s[38:39], 0
	s_waitcnt vmcnt(0)
	v_lshlrev_b32_e32 v4, 16, v4
	v_cvt_f16_f32_e32 v4, v4
	s_branch .LBB126_956
.LBB126_946:
	s_mov_b64 s[42:43], 0
	s_mov_b64 s[0:1], s[28:29]
	;; [unrolled: 1-line block ×3, first 2 shown]
.LBB126_947:
                                        ; implicit-def: $vgpr2
	s_branch .LBB126_1211
.LBB126_948:
	s_mov_b64 s[40:41], -1
	s_mov_b64 s[0:1], 0
                                        ; implicit-def: $vgpr4
	s_mov_b64 s[38:39], s[26:27]
	s_branch .LBB126_1021
.LBB126_949:
	s_mov_b64 s[40:41], -1
	s_mov_b64 s[0:1], 0
	s_mov_b64 s[38:39], s[26:27]
                                        ; implicit-def: $vgpr4
	s_branch .LBB126_985
.LBB126_950:
	s_mov_b64 s[40:41], -1
	s_mov_b64 s[0:1], 0
	s_mov_b64 s[38:39], s[26:27]
                                        ; implicit-def: $vgpr4
	s_branch .LBB126_966
.LBB126_951:
	s_mov_b64 s[40:41], -1
	s_mov_b64 s[0:1], 0
	s_mov_b64 s[38:39], s[26:27]
                                        ; implicit-def: $vgpr4
	s_branch .LBB126_961
.LBB126_952:
	s_mov_b64 s[40:41], -1
	s_mov_b64 s[0:1], 0
	s_mov_b64 s[38:39], s[26:27]
                                        ; implicit-def: $vgpr4
	s_branch .LBB126_956
.LBB126_953:
	s_andn2_saveexec_b64 s[38:39], s[38:39]
	s_cbranch_execz .LBB126_729
.LBB126_954:
	v_add_f32_e32 v3, 0x42800000, v4
	v_and_b32_e32 v3, 0xff, v3
	v_cmp_ne_u32_e32 vcc, 0, v3
	s_andn2_b64 s[36:37], s[36:37], exec
	s_and_b64 s[42:43], vcc, exec
	s_or_b64 s[36:37], s[36:37], s[42:43]
	s_or_b64 exec, exec, s[38:39]
	v_mov_b32_e32 v5, 0
	s_and_saveexec_b64 s[38:39], s[36:37]
	s_cbranch_execnz .LBB126_730
	s_branch .LBB126_731
.LBB126_955:
	s_mov_b64 s[38:39], -1
                                        ; implicit-def: $vgpr4
	s_mov_b64 s[0:1], 0
.LBB126_956:
	s_and_b64 vcc, exec, s[40:41]
	s_cbranch_vccz .LBB126_960
; %bb.957:
	s_cmp_eq_u32 s45, 44
	s_cbranch_scc0 .LBB126_959
; %bb.958:
	global_load_ubyte v4, v[0:1], off
	s_movk_i32 s38, 0xff
	v_mov_b32_e32 v6, 0x7e00
	s_mov_b64 s[0:1], -1
	s_waitcnt vmcnt(0)
	v_lshlrev_b32_e32 v5, 23, v4
	v_cvt_f16_f32_e32 v5, v5
	v_cmp_ne_u32_e32 vcc, s38, v4
	s_mov_b64 s[38:39], 0
	v_cndmask_b32_e32 v5, v6, v5, vcc
	v_cmp_ne_u32_e32 vcc, 0, v4
	v_cndmask_b32_e32 v4, 0, v5, vcc
	s_branch .LBB126_960
.LBB126_959:
	s_mov_b64 s[38:39], -1
                                        ; implicit-def: $vgpr4
.LBB126_960:
	s_mov_b64 s[40:41], 0
.LBB126_961:
	s_and_b64 vcc, exec, s[40:41]
	s_cbranch_vccz .LBB126_965
; %bb.962:
	s_cmp_eq_u32 s45, 29
	s_cbranch_scc0 .LBB126_964
; %bb.963:
	global_load_dwordx2 v[4:5], v[0:1], off
	s_mov_b64 s[0:1], -1
	s_mov_b64 s[38:39], 0
	s_mov_b64 s[40:41], 0
	s_waitcnt vmcnt(0)
	v_ffbh_u32_e32 v6, v5
	v_min_u32_e32 v6, 32, v6
	v_lshlrev_b64 v[4:5], v6, v[4:5]
	v_min_u32_e32 v4, 1, v4
	v_or_b32_e32 v4, v5, v4
	v_cvt_f32_u32_e32 v4, v4
	v_sub_u32_e32 v5, 32, v6
	v_ldexp_f32 v4, v4, v5
	v_cvt_f16_f32_e32 v4, v4
	s_branch .LBB126_966
.LBB126_964:
	s_mov_b64 s[38:39], -1
                                        ; implicit-def: $vgpr4
.LBB126_965:
	s_mov_b64 s[40:41], 0
.LBB126_966:
	s_and_b64 vcc, exec, s[40:41]
	s_cbranch_vccz .LBB126_984
; %bb.967:
	s_cmp_lt_i32 s45, 27
	s_cbranch_scc1 .LBB126_970
; %bb.968:
	s_cmp_gt_i32 s45, 27
	s_cbranch_scc0 .LBB126_971
; %bb.969:
	global_load_dword v4, v[0:1], off
	s_mov_b64 s[0:1], 0
	s_waitcnt vmcnt(0)
	v_cvt_f32_u32_e32 v4, v4
	v_cvt_f16_f32_e32 v4, v4
	s_branch .LBB126_972
.LBB126_970:
	s_mov_b64 s[0:1], -1
                                        ; implicit-def: $vgpr4
	s_branch .LBB126_975
.LBB126_971:
	s_mov_b64 s[0:1], -1
                                        ; implicit-def: $vgpr4
.LBB126_972:
	s_andn2_b64 vcc, exec, s[0:1]
	s_cbranch_vccnz .LBB126_974
; %bb.973:
	global_load_ushort v4, v[0:1], off
	s_waitcnt vmcnt(0)
	v_cvt_f16_u16_e32 v4, v4
.LBB126_974:
	s_mov_b64 s[0:1], 0
.LBB126_975:
	s_andn2_b64 vcc, exec, s[0:1]
	s_cbranch_vccnz .LBB126_983
; %bb.976:
	global_load_ubyte v5, v[0:1], off
	s_movk_i32 s0, 0x7f
	s_waitcnt vmcnt(0)
	v_cmp_lt_i16_e32 vcc, s0, v5
	s_mov_b64 s[0:1], 0
	s_and_saveexec_b64 s[40:41], vcc
	s_xor_b64 s[40:41], exec, s[40:41]
	s_cbranch_execz .LBB126_997
; %bb.977:
	s_movk_i32 s0, 0x80
	v_cmp_eq_u16_e32 vcc, s0, v5
	s_mov_b64 s[0:1], -1
	s_and_saveexec_b64 s[42:43], vcc
; %bb.978:
	s_xor_b64 s[0:1], exec, -1
; %bb.979:
	s_or_b64 exec, exec, s[42:43]
	s_and_b64 s[0:1], s[0:1], exec
	s_or_saveexec_b64 s[40:41], s[40:41]
	v_mov_b32_e32 v4, 0x7e00
	s_xor_b64 exec, exec, s[40:41]
	s_cbranch_execnz .LBB126_998
.LBB126_980:
	s_or_b64 exec, exec, s[40:41]
	s_and_saveexec_b64 s[40:41], s[0:1]
	s_cbranch_execz .LBB126_982
.LBB126_981:
	v_lshlrev_b32_e32 v4, 24, v5
	v_and_b32_e32 v5, 0xffff, v5
	v_and_b32_e32 v6, 7, v5
	v_ffbh_u32_e32 v8, v6
	v_min_u32_e32 v8, 32, v8
	v_subrev_u32_e32 v9, 28, v8
	v_bfe_u32 v7, v5, 3, 4
	v_lshlrev_b32_e32 v5, v9, v5
	v_sub_u32_e32 v8, 29, v8
	v_and_b32_e32 v5, 7, v5
	v_cmp_eq_u32_e32 vcc, 0, v7
	v_cndmask_b32_e32 v7, v7, v8, vcc
	v_cndmask_b32_e32 v5, v6, v5, vcc
	v_mov_b32_e32 v6, 0x3b800000
	v_lshlrev_b32_e32 v5, 20, v5
	v_and_b32_e32 v4, 0x80000000, v4
	v_lshl_add_u32 v6, v7, 23, v6
	v_or3_b32 v4, v4, v6, v5
	v_cvt_f16_f32_e32 v4, v4
.LBB126_982:
	s_or_b64 exec, exec, s[40:41]
.LBB126_983:
	s_mov_b64 s[0:1], -1
.LBB126_984:
	s_mov_b64 s[40:41], 0
.LBB126_985:
	s_and_b64 vcc, exec, s[40:41]
	s_cbranch_vccz .LBB126_1020
; %bb.986:
	s_cmp_gt_i32 s45, 22
	s_cbranch_scc0 .LBB126_996
; %bb.987:
	s_cmp_lt_i32 s45, 24
	s_cbranch_scc1 .LBB126_999
; %bb.988:
	s_cmp_gt_i32 s45, 24
	s_cbranch_scc0 .LBB126_1000
; %bb.989:
	global_load_ubyte v5, v[0:1], off
	s_movk_i32 s0, 0x7f
	s_waitcnt vmcnt(0)
	v_cmp_lt_i16_e32 vcc, s0, v5
	s_mov_b64 s[0:1], 0
	s_and_saveexec_b64 s[40:41], vcc
	s_xor_b64 s[40:41], exec, s[40:41]
	s_cbranch_execz .LBB126_1012
; %bb.990:
	s_movk_i32 s0, 0x80
	v_cmp_eq_u16_e32 vcc, s0, v5
	s_mov_b64 s[0:1], -1
	s_and_saveexec_b64 s[42:43], vcc
; %bb.991:
	s_xor_b64 s[0:1], exec, -1
; %bb.992:
	s_or_b64 exec, exec, s[42:43]
	s_and_b64 s[0:1], s[0:1], exec
	s_or_saveexec_b64 s[40:41], s[40:41]
	v_mov_b32_e32 v4, 0x7e00
	s_xor_b64 exec, exec, s[40:41]
	s_cbranch_execnz .LBB126_1013
.LBB126_993:
	s_or_b64 exec, exec, s[40:41]
	s_and_saveexec_b64 s[40:41], s[0:1]
	s_cbranch_execz .LBB126_995
.LBB126_994:
	v_lshlrev_b32_e32 v4, 24, v5
	v_and_b32_e32 v5, 0xffff, v5
	v_and_b32_e32 v6, 3, v5
	v_ffbh_u32_e32 v8, v6
	v_min_u32_e32 v8, 32, v8
	v_subrev_u32_e32 v9, 29, v8
	v_bfe_u32 v7, v5, 2, 5
	v_lshlrev_b32_e32 v5, v9, v5
	v_sub_u32_e32 v8, 30, v8
	v_and_b32_e32 v5, 3, v5
	v_cmp_eq_u32_e32 vcc, 0, v7
	v_cndmask_b32_e32 v7, v7, v8, vcc
	v_cndmask_b32_e32 v5, v6, v5, vcc
	v_mov_b32_e32 v6, 0x37800000
	v_lshlrev_b32_e32 v5, 21, v5
	v_and_b32_e32 v4, 0x80000000, v4
	v_lshl_add_u32 v6, v7, 23, v6
	v_or3_b32 v4, v4, v6, v5
	v_cvt_f16_f32_e32 v4, v4
.LBB126_995:
	s_or_b64 exec, exec, s[40:41]
	s_mov_b64 s[0:1], 0
	s_branch .LBB126_1001
.LBB126_996:
	s_mov_b64 s[40:41], -1
                                        ; implicit-def: $vgpr4
	s_branch .LBB126_1007
.LBB126_997:
	s_or_saveexec_b64 s[40:41], s[40:41]
	v_mov_b32_e32 v4, 0x7e00
	s_xor_b64 exec, exec, s[40:41]
	s_cbranch_execz .LBB126_980
.LBB126_998:
	v_cmp_ne_u16_e32 vcc, 0, v5
	s_andn2_b64 s[0:1], s[0:1], exec
	s_and_b64 s[42:43], vcc, exec
	s_or_b64 s[0:1], s[0:1], s[42:43]
	v_mov_b32_e32 v4, v5
	s_or_b64 exec, exec, s[40:41]
	s_and_saveexec_b64 s[40:41], s[0:1]
	s_cbranch_execnz .LBB126_981
	s_branch .LBB126_982
.LBB126_999:
	s_mov_b64 s[0:1], -1
                                        ; implicit-def: $vgpr4
	s_branch .LBB126_1004
.LBB126_1000:
	s_mov_b64 s[0:1], -1
                                        ; implicit-def: $vgpr4
.LBB126_1001:
	s_and_b64 vcc, exec, s[0:1]
	s_cbranch_vccz .LBB126_1003
; %bb.1002:
	global_load_ubyte v4, v[0:1], off
	s_mov_b32 s0, 0x7f800000
	s_waitcnt vmcnt(0)
	v_lshlrev_b32_e32 v4, 24, v4
	v_and_b32_e32 v5, 0x7f000000, v4
	v_ffbh_u32_e32 v6, v5
	v_min_u32_e32 v6, 32, v6
	v_sub_u32_e64 v6, v6, 4 clamp
	v_lshlrev_b32_e32 v8, v6, v5
	v_lshlrev_b32_e32 v6, 23, v6
	v_lshrrev_b32_e32 v8, 4, v8
	v_add_u32_e32 v7, 0x1000000, v5
	v_sub_u32_e32 v6, v8, v6
	v_ashrrev_i32_e32 v7, 8, v7
	v_add_u32_e32 v6, 0x3c000000, v6
	v_and_or_b32 v6, v7, s0, v6
	v_cmp_ne_u32_e32 vcc, 0, v5
	v_cndmask_b32_e32 v5, 0, v6, vcc
	s_brev_b32 s0, 1
	v_and_or_b32 v4, v4, s0, v5
	v_cvt_f16_f32_e32 v4, v4
.LBB126_1003:
	s_mov_b64 s[0:1], 0
.LBB126_1004:
	s_andn2_b64 vcc, exec, s[0:1]
	s_cbranch_vccnz .LBB126_1006
; %bb.1005:
	global_load_ubyte v4, v[0:1], off
	s_movk_i32 s0, 0x7f00
	s_brev_b32 s1, 16
	s_waitcnt vmcnt(0)
	v_lshlrev_b16_e32 v5, 8, v4
	v_lshlrev_b32_e32 v4, 25, v4
	v_lshrrev_b32_e32 v6, 4, v4
	v_and_or_b32 v7, v5, s0, 0.5
	v_or_b32_e32 v6, 0x70000000, v6
	v_add_f32_e32 v7, -0.5, v7
	v_mul_f32_e32 v6, 0x7800000, v6
	v_cmp_gt_u32_e32 vcc, s1, v4
	v_bfe_i32 v5, v5, 0, 16
	v_cndmask_b32_e32 v4, v6, v7, vcc
	s_brev_b32 s0, 1
	v_and_or_b32 v4, v5, s0, v4
	v_cvt_f16_f32_e32 v4, v4
.LBB126_1006:
	s_mov_b64 s[40:41], 0
	s_mov_b64 s[0:1], -1
.LBB126_1007:
	s_andn2_b64 vcc, exec, s[40:41]
	s_cbranch_vccnz .LBB126_1020
; %bb.1008:
	s_cmp_gt_i32 s45, 14
	s_cbranch_scc0 .LBB126_1011
; %bb.1009:
	s_cmp_eq_u32 s45, 15
	s_cbranch_scc0 .LBB126_1014
; %bb.1010:
	global_load_ushort v4, v[0:1], off
	s_mov_b64 s[0:1], -1
	s_mov_b64 s[38:39], 0
	s_waitcnt vmcnt(0)
	v_lshlrev_b32_e32 v4, 16, v4
	v_cvt_f16_f32_e32 v4, v4
	s_branch .LBB126_1015
.LBB126_1011:
	s_mov_b64 s[40:41], -1
                                        ; implicit-def: $vgpr4
	s_branch .LBB126_1016
.LBB126_1012:
	s_or_saveexec_b64 s[40:41], s[40:41]
	v_mov_b32_e32 v4, 0x7e00
	s_xor_b64 exec, exec, s[40:41]
	s_cbranch_execz .LBB126_993
.LBB126_1013:
	v_cmp_ne_u16_e32 vcc, 0, v5
	s_andn2_b64 s[0:1], s[0:1], exec
	s_and_b64 s[42:43], vcc, exec
	s_or_b64 s[0:1], s[0:1], s[42:43]
	v_mov_b32_e32 v4, v5
	s_or_b64 exec, exec, s[40:41]
	s_and_saveexec_b64 s[40:41], s[0:1]
	s_cbranch_execnz .LBB126_994
	s_branch .LBB126_995
.LBB126_1014:
	s_mov_b64 s[38:39], -1
                                        ; implicit-def: $vgpr4
.LBB126_1015:
	s_mov_b64 s[40:41], 0
.LBB126_1016:
	s_and_b64 vcc, exec, s[40:41]
	s_cbranch_vccz .LBB126_1020
; %bb.1017:
	s_cmp_eq_u32 s45, 11
	s_cbranch_scc0 .LBB126_1019
; %bb.1018:
	global_load_ubyte v4, v[0:1], off
	v_mov_b32_e32 v5, 0x3c00
	s_mov_b64 s[0:1], -1
	s_mov_b64 s[38:39], 0
	s_waitcnt vmcnt(0)
	v_cmp_ne_u16_e32 vcc, 0, v4
	v_cndmask_b32_e32 v4, 0, v5, vcc
	s_branch .LBB126_1020
.LBB126_1019:
	s_mov_b64 s[38:39], -1
                                        ; implicit-def: $vgpr4
.LBB126_1020:
	s_mov_b64 s[40:41], 0
.LBB126_1021:
	s_and_b64 vcc, exec, s[40:41]
	s_cbranch_vccz .LBB126_1070
; %bb.1022:
	s_and_b32 s40, 0xffff, s44
	s_cmp_lt_i32 s40, 5
	s_cbranch_scc1 .LBB126_1027
; %bb.1023:
	s_cmp_lt_i32 s40, 8
	s_cbranch_scc1 .LBB126_1028
; %bb.1024:
	;; [unrolled: 3-line block ×3, first 2 shown]
	s_cmp_gt_i32 s40, 9
	s_cbranch_scc0 .LBB126_1030
; %bb.1026:
	global_load_dwordx2 v[4:5], v[0:1], off
	s_movk_i32 s0, 0x1ff
	s_movk_i32 s1, 0xffe
	v_mov_b32_e32 v6, 0x7c00
	v_mov_b32_e32 v7, 0x7e00
	s_movk_i32 s41, 0x40f
	s_mov_b32 s42, 0x8000
	s_waitcnt vmcnt(0)
	v_and_or_b32 v4, v5, s0, v4
	v_cmp_ne_u32_e32 vcc, 0, v4
	v_lshrrev_b32_e32 v8, 8, v5
	v_bfe_u32 v9, v5, 20, 11
	v_cndmask_b32_e64 v4, 0, 1, vcc
	v_sub_u32_e32 v10, 0x3f1, v9
	v_and_or_b32 v4, v8, s1, v4
	v_add_u32_e32 v9, 0xfffffc10, v9
	v_med3_i32 v8, v10, 0, 13
	v_or_b32_e32 v10, 0x1000, v4
	v_cmp_ne_u32_e32 vcc, 0, v4
	v_lshl_or_b32 v11, v9, 12, v4
	v_cndmask_b32_e32 v4, v6, v7, vcc
	v_lshrrev_b32_e32 v7, v8, v10
	v_lshlrev_b32_e32 v8, v8, v7
	v_cmp_ne_u32_e32 vcc, v8, v10
	v_cndmask_b32_e64 v8, 0, 1, vcc
	v_or_b32_e32 v7, v7, v8
	v_cmp_gt_i32_e32 vcc, 1, v9
	v_cndmask_b32_e32 v7, v11, v7, vcc
	v_and_b32_e32 v8, 7, v7
	v_cmp_lt_i32_e32 vcc, 5, v8
	v_cndmask_b32_e64 v10, 0, 1, vcc
	v_cmp_eq_u32_e32 vcc, 3, v8
	v_cndmask_b32_e64 v8, 0, 1, vcc
	v_lshrrev_b32_e32 v7, 2, v7
	v_or_b32_e32 v8, v8, v10
	v_add_u32_e32 v7, v7, v8
	v_cmp_gt_i32_e32 vcc, 31, v9
	v_cndmask_b32_e32 v6, v6, v7, vcc
	v_cmp_eq_u32_e32 vcc, s41, v9
	v_lshrrev_b32_e32 v5, 16, v5
	v_cndmask_b32_e32 v4, v6, v4, vcc
	v_and_or_b32 v4, v5, s42, v4
	s_mov_b64 s[0:1], 0
	s_branch .LBB126_1031
.LBB126_1027:
	s_mov_b64 s[0:1], -1
                                        ; implicit-def: $vgpr4
	s_branch .LBB126_1049
.LBB126_1028:
	s_mov_b64 s[0:1], -1
                                        ; implicit-def: $vgpr4
	s_branch .LBB126_1037
.LBB126_1029:
	s_mov_b64 s[0:1], -1
                                        ; implicit-def: $vgpr4
	s_branch .LBB126_1034
.LBB126_1030:
	s_mov_b64 s[0:1], -1
                                        ; implicit-def: $vgpr4
.LBB126_1031:
	s_andn2_b64 vcc, exec, s[0:1]
	s_cbranch_vccnz .LBB126_1033
; %bb.1032:
	global_load_dword v4, v[0:1], off
	s_waitcnt vmcnt(0)
	v_cvt_f16_f32_e32 v4, v4
.LBB126_1033:
	s_mov_b64 s[0:1], 0
.LBB126_1034:
	s_andn2_b64 vcc, exec, s[0:1]
	s_cbranch_vccnz .LBB126_1036
; %bb.1035:
	global_load_dword v4, v[0:1], off
.LBB126_1036:
	s_mov_b64 s[0:1], 0
.LBB126_1037:
	s_andn2_b64 vcc, exec, s[0:1]
	s_cbranch_vccnz .LBB126_1048
; %bb.1038:
	s_cmp_lt_i32 s40, 6
	s_cbranch_scc1 .LBB126_1041
; %bb.1039:
	s_cmp_gt_i32 s40, 6
	s_cbranch_scc0 .LBB126_1042
; %bb.1040:
	global_load_dwordx2 v[4:5], v[0:1], off
	s_movk_i32 s0, 0x1ff
	s_movk_i32 s1, 0xffe
	v_mov_b32_e32 v6, 0x7c00
	v_mov_b32_e32 v7, 0x7e00
	s_movk_i32 s41, 0x40f
	s_mov_b32 s42, 0x8000
	s_waitcnt vmcnt(0)
	v_and_or_b32 v4, v5, s0, v4
	v_cmp_ne_u32_e32 vcc, 0, v4
	v_lshrrev_b32_e32 v8, 8, v5
	v_bfe_u32 v9, v5, 20, 11
	v_cndmask_b32_e64 v4, 0, 1, vcc
	v_sub_u32_e32 v10, 0x3f1, v9
	v_and_or_b32 v4, v8, s1, v4
	v_add_u32_e32 v9, 0xfffffc10, v9
	v_med3_i32 v8, v10, 0, 13
	v_or_b32_e32 v10, 0x1000, v4
	v_cmp_ne_u32_e32 vcc, 0, v4
	v_lshl_or_b32 v11, v9, 12, v4
	v_cndmask_b32_e32 v4, v6, v7, vcc
	v_lshrrev_b32_e32 v7, v8, v10
	v_lshlrev_b32_e32 v8, v8, v7
	v_cmp_ne_u32_e32 vcc, v8, v10
	v_cndmask_b32_e64 v8, 0, 1, vcc
	v_or_b32_e32 v7, v7, v8
	v_cmp_gt_i32_e32 vcc, 1, v9
	v_cndmask_b32_e32 v7, v11, v7, vcc
	v_and_b32_e32 v8, 7, v7
	v_cmp_lt_i32_e32 vcc, 5, v8
	v_cndmask_b32_e64 v10, 0, 1, vcc
	v_cmp_eq_u32_e32 vcc, 3, v8
	v_cndmask_b32_e64 v8, 0, 1, vcc
	v_lshrrev_b32_e32 v7, 2, v7
	v_or_b32_e32 v8, v8, v10
	v_add_u32_e32 v7, v7, v8
	v_cmp_gt_i32_e32 vcc, 31, v9
	v_cndmask_b32_e32 v6, v6, v7, vcc
	v_cmp_eq_u32_e32 vcc, s41, v9
	v_lshrrev_b32_e32 v5, 16, v5
	v_cndmask_b32_e32 v4, v6, v4, vcc
	v_and_or_b32 v4, v5, s42, v4
	s_mov_b64 s[0:1], 0
	s_branch .LBB126_1043
.LBB126_1041:
	s_mov_b64 s[0:1], -1
                                        ; implicit-def: $vgpr4
	s_branch .LBB126_1046
.LBB126_1042:
	s_mov_b64 s[0:1], -1
                                        ; implicit-def: $vgpr4
.LBB126_1043:
	s_andn2_b64 vcc, exec, s[0:1]
	s_cbranch_vccnz .LBB126_1045
; %bb.1044:
	global_load_dword v4, v[0:1], off
	s_waitcnt vmcnt(0)
	v_cvt_f16_f32_e32 v4, v4
.LBB126_1045:
	s_mov_b64 s[0:1], 0
.LBB126_1046:
	s_andn2_b64 vcc, exec, s[0:1]
	s_cbranch_vccnz .LBB126_1048
; %bb.1047:
	global_load_ushort v4, v[0:1], off
.LBB126_1048:
	s_mov_b64 s[0:1], 0
.LBB126_1049:
	s_andn2_b64 vcc, exec, s[0:1]
	s_cbranch_vccnz .LBB126_1069
; %bb.1050:
	s_cmp_lt_i32 s40, 2
	s_cbranch_scc1 .LBB126_1054
; %bb.1051:
	s_cmp_lt_i32 s40, 3
	s_cbranch_scc1 .LBB126_1055
; %bb.1052:
	s_cmp_gt_i32 s40, 3
	s_cbranch_scc0 .LBB126_1056
; %bb.1053:
	global_load_dwordx2 v[4:5], v[0:1], off
	s_mov_b64 s[0:1], 0
	s_waitcnt vmcnt(0)
	v_xor_b32_e32 v7, v4, v5
	v_ffbh_i32_e32 v6, v5
	v_ashrrev_i32_e32 v7, 31, v7
	v_add_u32_e32 v6, -1, v6
	v_add_u32_e32 v7, 32, v7
	v_min_u32_e32 v6, v6, v7
	v_lshlrev_b64 v[4:5], v6, v[4:5]
	v_min_u32_e32 v4, 1, v4
	v_or_b32_e32 v4, v5, v4
	v_cvt_f32_i32_e32 v4, v4
	v_sub_u32_e32 v5, 32, v6
	v_ldexp_f32 v4, v4, v5
	v_cvt_f16_f32_e32 v4, v4
	s_branch .LBB126_1057
.LBB126_1054:
	s_mov_b64 s[0:1], -1
                                        ; implicit-def: $vgpr4
	s_branch .LBB126_1063
.LBB126_1055:
	s_mov_b64 s[0:1], -1
                                        ; implicit-def: $vgpr4
	s_branch .LBB126_1060
.LBB126_1056:
	s_mov_b64 s[0:1], -1
                                        ; implicit-def: $vgpr4
.LBB126_1057:
	s_andn2_b64 vcc, exec, s[0:1]
	s_cbranch_vccnz .LBB126_1059
; %bb.1058:
	global_load_dword v4, v[0:1], off
	s_waitcnt vmcnt(0)
	v_cvt_f32_i32_e32 v4, v4
	v_cvt_f16_f32_e32 v4, v4
.LBB126_1059:
	s_mov_b64 s[0:1], 0
.LBB126_1060:
	s_andn2_b64 vcc, exec, s[0:1]
	s_cbranch_vccnz .LBB126_1062
; %bb.1061:
	global_load_ushort v4, v[0:1], off
	s_waitcnt vmcnt(0)
	v_cvt_f16_i16_e32 v4, v4
.LBB126_1062:
	s_mov_b64 s[0:1], 0
.LBB126_1063:
	s_andn2_b64 vcc, exec, s[0:1]
	s_cbranch_vccnz .LBB126_1069
; %bb.1064:
	s_cmp_gt_i32 s40, 0
	s_cbranch_scc0 .LBB126_1066
; %bb.1065:
	global_load_sbyte v4, v[0:1], off
	s_mov_b64 s[0:1], 0
	s_waitcnt vmcnt(0)
	v_cvt_f16_i16_e32 v4, v4
	s_branch .LBB126_1067
.LBB126_1066:
	s_mov_b64 s[0:1], -1
                                        ; implicit-def: $vgpr4
.LBB126_1067:
	s_andn2_b64 vcc, exec, s[0:1]
	s_cbranch_vccnz .LBB126_1069
; %bb.1068:
	global_load_ubyte v0, v[0:1], off
	s_waitcnt vmcnt(0)
	v_cvt_f16_u16_e32 v4, v0
.LBB126_1069:
	s_mov_b64 s[0:1], -1
.LBB126_1070:
	s_andn2_b64 vcc, exec, s[0:1]
	s_cbranch_vccnz .LBB126_1075
; %bb.1071:
	s_cmp_lt_i32 s15, 1
	s_mov_b64 s[0:1], 0
	s_cbranch_scc1 .LBB126_1076
; %bb.1072:
	s_cmp_gt_i32 s15, 1
	s_cbranch_scc0 .LBB126_1077
; %bb.1073:
	s_cmp_eq_u32 s15, 2
	s_cbranch_scc0 .LBB126_1078
; %bb.1074:
	s_waitcnt vmcnt(0)
	v_cmp_le_f16_e64 s[40:41], v3, v4
	s_mov_b64 s[42:43], 0
	s_branch .LBB126_1079
.LBB126_1075:
	s_mov_b64 s[42:43], 0
                                        ; implicit-def: $vgpr2
	s_mov_b64 s[0:1], s[28:29]
	s_branch .LBB126_1211
.LBB126_1076:
	s_mov_b64 s[44:45], -1
                                        ; implicit-def: $sgpr40_sgpr41
	s_mov_b64 s[42:43], 0
	s_branch .LBB126_1083
.LBB126_1077:
	s_mov_b64 s[44:45], -1
	s_mov_b64 s[42:43], 0
                                        ; implicit-def: $sgpr40_sgpr41
	s_branch .LBB126_1080
.LBB126_1078:
	s_mov_b64 s[42:43], -1
                                        ; implicit-def: $sgpr40_sgpr41
.LBB126_1079:
	s_mov_b64 s[44:45], 0
.LBB126_1080:
	s_and_b64 vcc, exec, s[44:45]
	s_cbranch_vccz .LBB126_1082
; %bb.1081:
	s_waitcnt vmcnt(0)
	v_cmp_gt_f16_e32 vcc, v3, v4
	s_andn2_b64 s[40:41], s[40:41], exec
	s_and_b64 s[44:45], vcc, exec
	s_or_b64 s[40:41], s[40:41], s[44:45]
.LBB126_1082:
	s_mov_b64 s[44:45], 0
.LBB126_1083:
	s_and_b64 vcc, exec, s[44:45]
	s_cbranch_vccz .LBB126_1094
; %bb.1084:
	s_cmp_lg_u32 s15, 0
	s_mov_b64 s[0:1], -1
	s_cselect_b64 s[42:43], -1, 0
	s_andn2_b64 vcc, exec, s[42:43]
	s_cbranch_vccz .LBB126_1095
.LBB126_1085:
	s_andn2_b64 vcc, exec, s[0:1]
	s_cbranch_vccnz .LBB126_1087
.LBB126_1086:
	s_waitcnt vmcnt(0)
	v_cmp_ge_f16_e32 vcc, v3, v4
	s_andn2_b64 s[0:1], s[40:41], exec
	s_and_b64 s[40:41], vcc, exec
	s_or_b64 s[40:41], s[0:1], s[40:41]
.LBB126_1087:
	v_mul_lo_u32 v0, v2, s12
	v_mov_b32_e32 v1, s9
	s_and_b32 s49, s33, 0xff
	s_cmp_lt_i32 s49, 11
	s_waitcnt vmcnt(0)
	v_ashrrev_i32_e32 v3, 31, v0
	v_add_co_u32_e32 v0, vcc, s8, v0
	v_addc_co_u32_e32 v1, vcc, v1, v3, vcc
	s_cbranch_scc1 .LBB126_1096
; %bb.1088:
	s_and_b32 s50, 0xffff, s49
	s_cmp_gt_i32 s50, 25
	s_cbranch_scc0 .LBB126_1097
; %bb.1089:
	s_cmp_gt_i32 s50, 28
	s_cbranch_scc0 .LBB126_1098
; %bb.1090:
	;; [unrolled: 3-line block ×4, first 2 shown]
	s_mov_b64 s[44:45], 0
	s_mov_b64 s[0:1], -1
	s_cmp_eq_u32 s50, 46
	s_mov_b64 s[42:43], 0
	s_cbranch_scc0 .LBB126_1101
; %bb.1093:
	v_cndmask_b32_e64 v3, 0, 1.0, s[40:41]
	v_bfe_u32 v4, v3, 16, 1
	s_movk_i32 s0, 0x7fff
	v_add3_u32 v3, v3, v4, s0
	v_lshrrev_b32_e32 v3, 16, v3
	global_store_dword v[0:1], v3, off
	s_mov_b64 s[42:43], -1
	s_mov_b64 s[0:1], 0
	s_branch .LBB126_1101
.LBB126_1094:
	s_andn2_b64 vcc, exec, s[42:43]
	s_cbranch_vccnz .LBB126_1085
.LBB126_1095:
	s_waitcnt vmcnt(0)
	v_cmp_lt_f16_e32 vcc, v3, v4
	s_andn2_b64 s[40:41], s[40:41], exec
	s_and_b64 s[42:43], vcc, exec
	s_or_b64 s[40:41], s[40:41], s[42:43]
	s_cbranch_execz .LBB126_1086
	s_branch .LBB126_1087
.LBB126_1096:
	s_mov_b64 s[44:45], -1
	s_mov_b64 s[42:43], 0
	s_mov_b64 s[0:1], s[28:29]
	s_branch .LBB126_1170
.LBB126_1097:
	s_mov_b64 s[44:45], -1
	s_mov_b64 s[42:43], 0
	s_mov_b64 s[0:1], s[28:29]
	s_branch .LBB126_1128
.LBB126_1098:
	s_mov_b64 s[44:45], -1
	s_mov_b64 s[42:43], 0
	s_mov_b64 s[0:1], s[28:29]
	s_branch .LBB126_1111
.LBB126_1099:
	s_mov_b64 s[44:45], -1
	s_mov_b64 s[42:43], 0
	s_mov_b64 s[0:1], s[28:29]
	s_branch .LBB126_1107
.LBB126_1100:
	s_mov_b64 s[44:45], -1
	s_mov_b64 s[42:43], 0
	s_mov_b64 s[0:1], s[28:29]
.LBB126_1101:
	s_and_b64 vcc, exec, s[44:45]
	s_cbranch_vccz .LBB126_1106
; %bb.1102:
	s_cmp_eq_u32 s50, 44
	s_mov_b64 s[0:1], -1
	s_cbranch_scc0 .LBB126_1106
; %bb.1103:
	v_cndmask_b32_e64 v4, 0, 1.0, s[40:41]
	v_lshrrev_b32_e32 v3, 23, v4
	s_movk_i32 s0, 0xff
	v_cmp_ne_u32_e32 vcc, s0, v3
	v_mov_b32_e32 v5, 0xff
	s_and_saveexec_b64 s[42:43], vcc
; %bb.1104:
	s_mov_b32 s0, 0x3fffff
	v_and_b32_e32 v5, 0x400000, v4
	v_and_or_b32 v4, v4, s0, v3
	v_cmp_ne_u32_e32 vcc, 0, v5
	v_cmp_ne_u32_e64 s[0:1], 0, v4
	s_and_b64 s[0:1], vcc, s[0:1]
	v_cndmask_b32_e64 v4, 0, 1, s[0:1]
	v_add_u32_e32 v5, v3, v4
; %bb.1105:
	s_or_b64 exec, exec, s[42:43]
	s_mov_b64 s[42:43], -1
	s_mov_b64 s[0:1], 0
	global_store_byte v[0:1], v5, off
.LBB126_1106:
	s_mov_b64 s[44:45], 0
.LBB126_1107:
	s_and_b64 vcc, exec, s[44:45]
	s_cbranch_vccz .LBB126_1110
; %bb.1108:
	s_cmp_eq_u32 s50, 29
	s_mov_b64 s[0:1], -1
	s_cbranch_scc0 .LBB126_1110
; %bb.1109:
	s_mov_b32 s0, 0
	v_cndmask_b32_e64 v3, 0, 1, s[40:41]
	v_mov_b32_e32 v4, s0
	global_store_dwordx2 v[0:1], v[3:4], off
	s_mov_b64 s[42:43], -1
	s_mov_b64 s[0:1], 0
.LBB126_1110:
	s_mov_b64 s[44:45], 0
.LBB126_1111:
	s_and_b64 vcc, exec, s[44:45]
	s_cbranch_vccz .LBB126_1127
; %bb.1112:
	s_cmp_lt_i32 s50, 27
	s_mov_b64 s[42:43], -1
	s_cbranch_scc1 .LBB126_1118
; %bb.1113:
	s_cmp_gt_i32 s50, 27
	s_cbranch_scc0 .LBB126_1115
; %bb.1114:
	v_cndmask_b32_e64 v3, 0, 1, s[40:41]
	s_mov_b64 s[42:43], 0
	global_store_dword v[0:1], v3, off
.LBB126_1115:
	s_andn2_b64 vcc, exec, s[42:43]
	s_cbranch_vccnz .LBB126_1117
; %bb.1116:
	v_cndmask_b32_e64 v3, 0, 1, s[40:41]
	global_store_short v[0:1], v3, off
.LBB126_1117:
	s_mov_b64 s[42:43], 0
.LBB126_1118:
	s_andn2_b64 vcc, exec, s[42:43]
	s_cbranch_vccnz .LBB126_1126
; %bb.1119:
	v_cndmask_b32_e64 v4, 0, 1.0, s[40:41]
	s_mov_b32 s42, 0x43800000
	v_cmp_gt_u32_e32 vcc, s42, v4
	v_mov_b32_e32 v5, 0x80
	s_and_saveexec_b64 s[42:43], vcc
	s_cbranch_execz .LBB126_1125
; %bb.1120:
	s_mov_b32 s44, 0x3bffffff
	v_cmp_lt_u32_e32 vcc, s44, v4
	s_mov_b64 s[44:45], 0
                                        ; implicit-def: $vgpr3
	s_and_saveexec_b64 s[46:47], vcc
	s_xor_b64 s[46:47], exec, s[46:47]
	s_cbranch_execz .LBB126_1227
; %bb.1121:
	v_bfe_u32 v3, v4, 20, 1
	s_mov_b32 s51, 0x487ffff
	v_add3_u32 v3, v4, v3, s51
	s_mov_b64 s[44:45], exec
	v_lshrrev_b32_e32 v3, 20, v3
                                        ; implicit-def: $vgpr4
	s_andn2_saveexec_b64 s[46:47], s[46:47]
	s_cbranch_execnz .LBB126_1228
.LBB126_1122:
	s_or_b64 exec, exec, s[46:47]
	v_mov_b32_e32 v5, 0
	s_and_saveexec_b64 s[46:47], s[44:45]
.LBB126_1123:
	v_mov_b32_e32 v5, v3
.LBB126_1124:
	s_or_b64 exec, exec, s[46:47]
.LBB126_1125:
	s_or_b64 exec, exec, s[42:43]
	global_store_byte v[0:1], v5, off
.LBB126_1126:
	s_mov_b64 s[42:43], -1
.LBB126_1127:
	s_mov_b64 s[44:45], 0
.LBB126_1128:
	s_and_b64 vcc, exec, s[44:45]
	s_cbranch_vccz .LBB126_1169
; %bb.1129:
	s_cmp_gt_i32 s50, 22
	s_mov_b64 s[44:45], -1
	s_cbranch_scc0 .LBB126_1161
; %bb.1130:
	s_cmp_lt_i32 s50, 24
	s_mov_b64 s[42:43], -1
	s_cbranch_scc1 .LBB126_1150
; %bb.1131:
	s_cmp_gt_i32 s50, 24
	s_cbranch_scc0 .LBB126_1139
; %bb.1132:
	v_cndmask_b32_e64 v4, 0, 1.0, s[40:41]
	s_mov_b32 s42, 0x47800000
	v_cmp_gt_u32_e32 vcc, s42, v4
	v_mov_b32_e32 v5, 0x80
	s_and_saveexec_b64 s[42:43], vcc
	s_cbranch_execz .LBB126_1138
; %bb.1133:
	s_mov_b32 s44, 0x37ffffff
	v_cmp_lt_u32_e32 vcc, s44, v4
	s_mov_b64 s[44:45], 0
                                        ; implicit-def: $vgpr3
	s_and_saveexec_b64 s[46:47], vcc
	s_xor_b64 s[46:47], exec, s[46:47]
	s_cbranch_execz .LBB126_2299
; %bb.1134:
	v_bfe_u32 v3, v4, 21, 1
	s_mov_b32 s51, 0x88fffff
	v_add3_u32 v3, v4, v3, s51
	s_mov_b64 s[44:45], exec
	v_lshrrev_b32_e32 v3, 21, v3
                                        ; implicit-def: $vgpr4
	s_andn2_saveexec_b64 s[46:47], s[46:47]
	s_cbranch_execnz .LBB126_2300
.LBB126_1135:
	s_or_b64 exec, exec, s[46:47]
	v_mov_b32_e32 v5, 0
	s_and_saveexec_b64 s[46:47], s[44:45]
.LBB126_1136:
	v_mov_b32_e32 v5, v3
.LBB126_1137:
	s_or_b64 exec, exec, s[46:47]
.LBB126_1138:
	s_or_b64 exec, exec, s[42:43]
	s_mov_b64 s[42:43], 0
	global_store_byte v[0:1], v5, off
.LBB126_1139:
	s_and_b64 vcc, exec, s[42:43]
	s_cbranch_vccz .LBB126_1149
; %bb.1140:
	v_cndmask_b32_e64 v3, 0, 1.0, s[40:41]
	s_mov_b32 s42, 0x43f00000
	v_cmp_gt_u32_e32 vcc, s42, v3
                                        ; implicit-def: $vgpr4
	s_and_saveexec_b64 s[42:43], vcc
	s_xor_b64 s[42:43], exec, s[42:43]
	s_cbranch_execz .LBB126_1146
; %bb.1141:
	s_mov_b32 s44, 0x3c7fffff
	v_cmp_lt_u32_e32 vcc, s44, v3
                                        ; implicit-def: $vgpr4
	s_and_saveexec_b64 s[44:45], vcc
	s_xor_b64 s[44:45], exec, s[44:45]
; %bb.1142:
	v_bfe_u32 v4, v3, 20, 1
	s_mov_b32 s46, 0x407ffff
	v_add3_u32 v3, v3, v4, s46
	v_lshrrev_b32_e32 v4, 20, v3
	v_and_b32_e32 v3, 0xff00000, v3
	s_mov_b32 s46, 0x7f00000
	v_mov_b32_e32 v5, 0x7e
	v_cmp_ne_u32_e32 vcc, s46, v3
	v_cndmask_b32_e32 v4, v5, v4, vcc
                                        ; implicit-def: $vgpr3
; %bb.1143:
	s_andn2_saveexec_b64 s[44:45], s[44:45]
; %bb.1144:
	v_add_f32_e32 v4, 0x46800000, v3
; %bb.1145:
	s_or_b64 exec, exec, s[44:45]
                                        ; implicit-def: $vgpr3
.LBB126_1146:
	s_andn2_saveexec_b64 s[42:43], s[42:43]
; %bb.1147:
	s_mov_b32 s44, 0x7f800000
	v_mov_b32_e32 v4, 0x7e
	v_mov_b32_e32 v5, 0x7f
	v_cmp_lt_u32_e32 vcc, s44, v3
	v_cndmask_b32_e32 v4, v4, v5, vcc
; %bb.1148:
	s_or_b64 exec, exec, s[42:43]
	global_store_byte v[0:1], v4, off
.LBB126_1149:
	s_mov_b64 s[42:43], 0
.LBB126_1150:
	s_andn2_b64 vcc, exec, s[42:43]
	s_cbranch_vccnz .LBB126_1160
; %bb.1151:
	v_cndmask_b32_e64 v3, 0, 1.0, s[40:41]
	s_mov_b32 s42, 0x47800000
	v_cmp_gt_u32_e32 vcc, s42, v3
                                        ; implicit-def: $vgpr4
	s_and_saveexec_b64 s[42:43], vcc
	s_xor_b64 s[42:43], exec, s[42:43]
	s_cbranch_execz .LBB126_1157
; %bb.1152:
	s_mov_b32 s44, 0x387fffff
	v_cmp_lt_u32_e32 vcc, s44, v3
                                        ; implicit-def: $vgpr4
	s_and_saveexec_b64 s[44:45], vcc
	s_xor_b64 s[44:45], exec, s[44:45]
; %bb.1153:
	v_bfe_u32 v4, v3, 21, 1
	s_mov_b32 s46, 0x80fffff
	v_add3_u32 v3, v3, v4, s46
	v_lshrrev_b32_e32 v4, 21, v3
                                        ; implicit-def: $vgpr3
; %bb.1154:
	s_andn2_saveexec_b64 s[44:45], s[44:45]
; %bb.1155:
	v_add_f32_e32 v4, 0x43000000, v3
; %bb.1156:
	s_or_b64 exec, exec, s[44:45]
                                        ; implicit-def: $vgpr3
.LBB126_1157:
	s_andn2_saveexec_b64 s[42:43], s[42:43]
; %bb.1158:
	s_mov_b32 s44, 0x7f800000
	v_mov_b32_e32 v4, 0x7c
	v_mov_b32_e32 v5, 0x7f
	v_cmp_lt_u32_e32 vcc, s44, v3
	v_cndmask_b32_e32 v4, v4, v5, vcc
; %bb.1159:
	s_or_b64 exec, exec, s[42:43]
	global_store_byte v[0:1], v4, off
.LBB126_1160:
	s_mov_b64 s[44:45], 0
	s_mov_b64 s[42:43], -1
.LBB126_1161:
	s_andn2_b64 vcc, exec, s[44:45]
	s_cbranch_vccnz .LBB126_1169
; %bb.1162:
	s_cmp_gt_i32 s50, 14
	s_mov_b64 s[44:45], -1
	s_cbranch_scc0 .LBB126_1166
; %bb.1163:
	s_cmp_eq_u32 s50, 15
	s_mov_b64 s[0:1], -1
	s_cbranch_scc0 .LBB126_1165
; %bb.1164:
	v_cndmask_b32_e64 v3, 0, 1.0, s[40:41]
	v_bfe_u32 v4, v3, 16, 1
	s_movk_i32 s0, 0x7fff
	v_add3_u32 v3, v3, v4, s0
	global_store_short_d16_hi v[0:1], v3, off
	s_mov_b64 s[42:43], -1
	s_mov_b64 s[0:1], 0
.LBB126_1165:
	s_mov_b64 s[44:45], 0
.LBB126_1166:
	s_and_b64 vcc, exec, s[44:45]
	s_cbranch_vccz .LBB126_1169
; %bb.1167:
	s_cmp_eq_u32 s50, 11
	s_mov_b64 s[0:1], -1
	s_cbranch_scc0 .LBB126_1169
; %bb.1168:
	v_cndmask_b32_e64 v3, 0, 1, s[40:41]
	s_mov_b64 s[42:43], -1
	s_mov_b64 s[0:1], 0
	global_store_byte v[0:1], v3, off
.LBB126_1169:
	s_mov_b64 s[44:45], 0
.LBB126_1170:
	s_and_b64 vcc, exec, s[44:45]
	s_cbranch_vccz .LBB126_1209
; %bb.1171:
	s_and_b32 s44, 0xffff, s49
	s_cmp_lt_i32 s44, 5
	s_mov_b64 s[42:43], -1
	s_cbranch_scc1 .LBB126_1192
; %bb.1172:
	s_cmp_lt_i32 s44, 8
	s_cbranch_scc1 .LBB126_1182
; %bb.1173:
	s_cmp_lt_i32 s44, 9
	s_cbranch_scc1 .LBB126_1179
; %bb.1174:
	s_cmp_gt_i32 s44, 9
	s_cbranch_scc0 .LBB126_1176
; %bb.1175:
	v_cndmask_b32_e64 v3, 0, 1, s[40:41]
	v_cvt_f64_u32_e32 v[3:4], v3
	v_mov_b32_e32 v5, 0
	v_mov_b32_e32 v6, v5
	s_mov_b64 s[42:43], 0
	global_store_dwordx4 v[0:1], v[3:6], off
.LBB126_1176:
	s_andn2_b64 vcc, exec, s[42:43]
	s_cbranch_vccnz .LBB126_1178
; %bb.1177:
	v_cndmask_b32_e64 v3, 0, 1.0, s[40:41]
	v_mov_b32_e32 v4, 0
	global_store_dwordx2 v[0:1], v[3:4], off
.LBB126_1178:
	s_mov_b64 s[42:43], 0
.LBB126_1179:
	s_andn2_b64 vcc, exec, s[42:43]
	s_cbranch_vccnz .LBB126_1181
; %bb.1180:
	v_cndmask_b32_e64 v3, 0, 1.0, s[40:41]
	v_cvt_f16_f32_e32 v3, v3
	global_store_dword v[0:1], v3, off
.LBB126_1181:
	s_mov_b64 s[42:43], 0
.LBB126_1182:
	s_andn2_b64 vcc, exec, s[42:43]
	s_cbranch_vccnz .LBB126_1191
; %bb.1183:
	s_cmp_lt_i32 s44, 6
	s_mov_b64 s[42:43], -1
	s_cbranch_scc1 .LBB126_1189
; %bb.1184:
	s_cmp_gt_i32 s44, 6
	s_cbranch_scc0 .LBB126_1186
; %bb.1185:
	v_cndmask_b32_e64 v3, 0, 1, s[40:41]
	v_cvt_f64_u32_e32 v[3:4], v3
	s_mov_b64 s[42:43], 0
	global_store_dwordx2 v[0:1], v[3:4], off
.LBB126_1186:
	s_andn2_b64 vcc, exec, s[42:43]
	s_cbranch_vccnz .LBB126_1188
; %bb.1187:
	v_cndmask_b32_e64 v3, 0, 1.0, s[40:41]
	global_store_dword v[0:1], v3, off
.LBB126_1188:
	s_mov_b64 s[42:43], 0
.LBB126_1189:
	s_andn2_b64 vcc, exec, s[42:43]
	s_cbranch_vccnz .LBB126_1191
; %bb.1190:
	v_cndmask_b32_e64 v3, 0, 1.0, s[40:41]
	v_cvt_f16_f32_e32 v3, v3
	global_store_short v[0:1], v3, off
.LBB126_1191:
	s_mov_b64 s[42:43], 0
.LBB126_1192:
	s_andn2_b64 vcc, exec, s[42:43]
	s_cbranch_vccnz .LBB126_1208
; %bb.1193:
	s_cmp_lt_i32 s44, 2
	s_mov_b64 s[42:43], -1
	s_cbranch_scc1 .LBB126_1203
; %bb.1194:
	s_cmp_lt_i32 s44, 3
	s_cbranch_scc1 .LBB126_1200
; %bb.1195:
	s_cmp_gt_i32 s44, 3
	s_cbranch_scc0 .LBB126_1197
; %bb.1196:
	s_mov_b32 s42, 0
	v_cndmask_b32_e64 v3, 0, 1, s[40:41]
	v_mov_b32_e32 v4, s42
	s_mov_b64 s[42:43], 0
	global_store_dwordx2 v[0:1], v[3:4], off
.LBB126_1197:
	s_andn2_b64 vcc, exec, s[42:43]
	s_cbranch_vccnz .LBB126_1199
; %bb.1198:
	v_cndmask_b32_e64 v3, 0, 1, s[40:41]
	global_store_dword v[0:1], v3, off
.LBB126_1199:
	s_mov_b64 s[42:43], 0
.LBB126_1200:
	s_andn2_b64 vcc, exec, s[42:43]
	s_cbranch_vccnz .LBB126_1202
; %bb.1201:
	v_cndmask_b32_e64 v3, 0, 1, s[40:41]
	global_store_short v[0:1], v3, off
.LBB126_1202:
	s_mov_b64 s[42:43], 0
.LBB126_1203:
	s_andn2_b64 vcc, exec, s[42:43]
	s_cbranch_vccnz .LBB126_1208
; %bb.1204:
	s_mov_b64 s[42:43], -1
	s_cmp_gt_i32 s44, 0
	v_cndmask_b32_e64 v3, 0, 1, s[40:41]
	s_cbranch_scc0 .LBB126_1206
; %bb.1205:
	s_mov_b64 s[42:43], 0
	global_store_byte v[0:1], v3, off
.LBB126_1206:
	s_andn2_b64 vcc, exec, s[42:43]
	s_cbranch_vccnz .LBB126_1208
; %bb.1207:
	global_store_byte v[0:1], v3, off
.LBB126_1208:
	s_mov_b64 s[42:43], -1
.LBB126_1209:
	s_andn2_b64 vcc, exec, s[42:43]
	s_cbranch_vccnz .LBB126_1222
; %bb.1210:
	v_add_u32_e32 v2, 0x80, v2
	s_mov_b64 s[42:43], -1
.LBB126_1211:
	s_andn2_b64 s[40:41], s[28:29], exec
	s_and_b64 s[0:1], s[0:1], exec
	s_or_b64 s[40:41], s[40:41], s[0:1]
	s_andn2_b64 s[0:1], s[26:27], exec
	s_and_b64 s[38:39], s[38:39], exec
	s_or_b64 s[38:39], s[0:1], s[38:39]
	;; [unrolled: 3-line block ×3, first 2 shown]
	s_orn2_b64 s[46:47], s[42:43], exec
.LBB126_1212:
	s_or_b64 exec, exec, s[34:35]
	s_mov_b64 s[42:43], 0
	s_mov_b64 s[36:37], 0
	;; [unrolled: 1-line block ×3, first 2 shown]
                                        ; implicit-def: $sgpr56
                                        ; implicit-def: $vgpr0_vgpr1
                                        ; implicit-def: $vgpr3
	s_and_saveexec_b64 s[34:35], s[46:47]
	s_cbranch_execz .LBB126_1296
; %bb.1213:
	v_cmp_gt_i32_e32 vcc, s48, v2
	s_mov_b64 s[46:47], 0
	s_mov_b64 s[48:49], s[0:1]
	;; [unrolled: 1-line block ×4, first 2 shown]
                                        ; implicit-def: $sgpr56
                                        ; implicit-def: $vgpr0_vgpr1
                                        ; implicit-def: $vgpr3
	s_and_saveexec_b64 s[36:37], vcc
	s_cbranch_execz .LBB126_1295
; %bb.1214:
	v_mul_lo_u32 v0, v2, s13
	v_mov_b32_e32 v1, s11
	s_and_b32 s56, s55, 0xff
	s_cmp_lt_i32 s56, 11
	s_waitcnt vmcnt(0)
	v_ashrrev_i32_e32 v3, 31, v0
	v_add_co_u32_e32 v0, vcc, s10, v0
	v_addc_co_u32_e32 v1, vcc, v1, v3, vcc
	s_cbranch_scc1 .LBB126_1221
; %bb.1215:
	s_and_b32 s52, 0xffff, s56
	s_cmp_gt_i32 s52, 25
	s_cbranch_scc0 .LBB126_1223
; %bb.1216:
	s_cmp_gt_i32 s52, 28
	s_cbranch_scc0 .LBB126_1224
; %bb.1217:
	;; [unrolled: 3-line block ×4, first 2 shown]
	s_cmp_eq_u32 s52, 46
	s_mov_b64 s[48:49], 0
	s_cbranch_scc0 .LBB126_1229
; %bb.1220:
	global_load_dword v3, v[0:1], off
	s_mov_b64 s[46:47], -1
	s_waitcnt vmcnt(0)
	v_lshlrev_b32_e32 v3, 16, v3
	v_cvt_f16_f32_e32 v3, v3
	s_branch .LBB126_1231
.LBB126_1221:
	s_mov_b64 s[48:49], -1
                                        ; implicit-def: $vgpr3
	s_mov_b64 s[42:43], s[0:1]
	s_branch .LBB126_1294
.LBB126_1222:
	s_mov_b64 s[42:43], 0
	s_branch .LBB126_947
.LBB126_1223:
	s_mov_b64 s[48:49], -1
	s_mov_b64 s[42:43], s[0:1]
                                        ; implicit-def: $vgpr3
	s_branch .LBB126_1260
.LBB126_1224:
	s_mov_b64 s[48:49], -1
	s_mov_b64 s[42:43], s[0:1]
                                        ; implicit-def: $vgpr3
	s_branch .LBB126_1241
.LBB126_1225:
	s_mov_b64 s[48:49], -1
	s_mov_b64 s[42:43], s[0:1]
                                        ; implicit-def: $vgpr3
	s_branch .LBB126_1236
.LBB126_1226:
	s_mov_b64 s[48:49], -1
	s_mov_b64 s[42:43], s[0:1]
	s_branch .LBB126_1230
.LBB126_1227:
	s_andn2_saveexec_b64 s[46:47], s[46:47]
	s_cbranch_execz .LBB126_1122
.LBB126_1228:
	v_add_f32_e32 v3, 0x46000000, v4
	v_and_b32_e32 v3, 0xff, v3
	v_cmp_ne_u32_e32 vcc, 0, v3
	s_andn2_b64 s[44:45], s[44:45], exec
	s_and_b64 s[52:53], vcc, exec
	s_or_b64 s[44:45], s[44:45], s[52:53]
	s_or_b64 exec, exec, s[46:47]
	v_mov_b32_e32 v5, 0
	s_and_saveexec_b64 s[46:47], s[44:45]
	s_cbranch_execnz .LBB126_1123
	s_branch .LBB126_1124
.LBB126_1229:
	s_mov_b64 s[42:43], -1
.LBB126_1230:
                                        ; implicit-def: $vgpr3
.LBB126_1231:
	s_and_b64 vcc, exec, s[48:49]
	s_cbranch_vccz .LBB126_1235
; %bb.1232:
	s_cmp_eq_u32 s52, 44
	s_cbranch_scc0 .LBB126_1234
; %bb.1233:
	global_load_ubyte v3, v[0:1], off
	s_movk_i32 s46, 0xff
	v_mov_b32_e32 v5, 0x7e00
	s_mov_b64 s[42:43], 0
	s_waitcnt vmcnt(0)
	v_lshlrev_b32_e32 v4, 23, v3
	v_cvt_f16_f32_e32 v4, v4
	v_cmp_ne_u32_e32 vcc, s46, v3
	s_mov_b64 s[46:47], -1
	v_cndmask_b32_e32 v4, v5, v4, vcc
	v_cmp_ne_u32_e32 vcc, 0, v3
	v_cndmask_b32_e32 v3, 0, v4, vcc
	s_branch .LBB126_1235
.LBB126_1234:
	s_mov_b64 s[42:43], -1
                                        ; implicit-def: $vgpr3
.LBB126_1235:
	s_mov_b64 s[48:49], 0
.LBB126_1236:
	s_and_b64 vcc, exec, s[48:49]
	s_cbranch_vccz .LBB126_1240
; %bb.1237:
	s_cmp_eq_u32 s52, 29
	s_cbranch_scc0 .LBB126_1239
; %bb.1238:
	global_load_dwordx2 v[3:4], v[0:1], off
	s_mov_b64 s[42:43], 0
	s_mov_b64 s[46:47], -1
	s_mov_b64 s[48:49], 0
	s_waitcnt vmcnt(0)
	v_ffbh_u32_e32 v5, v4
	v_min_u32_e32 v5, 32, v5
	v_lshlrev_b64 v[3:4], v5, v[3:4]
	v_min_u32_e32 v3, 1, v3
	v_or_b32_e32 v3, v4, v3
	v_cvt_f32_u32_e32 v3, v3
	v_sub_u32_e32 v4, 32, v5
	v_ldexp_f32 v3, v3, v4
	v_cvt_f16_f32_e32 v3, v3
	s_branch .LBB126_1241
.LBB126_1239:
	s_mov_b64 s[42:43], -1
                                        ; implicit-def: $vgpr3
.LBB126_1240:
	s_mov_b64 s[48:49], 0
.LBB126_1241:
	s_and_b64 vcc, exec, s[48:49]
	s_cbranch_vccz .LBB126_1259
; %bb.1242:
	s_cmp_lt_i32 s52, 27
	s_cbranch_scc1 .LBB126_1245
; %bb.1243:
	s_cmp_gt_i32 s52, 27
	s_cbranch_scc0 .LBB126_1246
; %bb.1244:
	global_load_dword v3, v[0:1], off
	s_mov_b64 s[46:47], 0
	s_waitcnt vmcnt(0)
	v_cvt_f32_u32_e32 v3, v3
	v_cvt_f16_f32_e32 v3, v3
	s_branch .LBB126_1247
.LBB126_1245:
	s_mov_b64 s[46:47], -1
                                        ; implicit-def: $vgpr3
	s_branch .LBB126_1250
.LBB126_1246:
	s_mov_b64 s[46:47], -1
                                        ; implicit-def: $vgpr3
.LBB126_1247:
	s_andn2_b64 vcc, exec, s[46:47]
	s_cbranch_vccnz .LBB126_1249
; %bb.1248:
	global_load_ushort v3, v[0:1], off
	s_waitcnt vmcnt(0)
	v_cvt_f16_u16_e32 v3, v3
.LBB126_1249:
	s_mov_b64 s[46:47], 0
.LBB126_1250:
	s_andn2_b64 vcc, exec, s[46:47]
	s_cbranch_vccnz .LBB126_1258
; %bb.1251:
	global_load_ubyte v4, v[0:1], off
	s_movk_i32 s46, 0x7f
	s_waitcnt vmcnt(0)
	v_cmp_lt_i16_e32 vcc, s46, v4
	s_mov_b64 s[46:47], 0
	s_and_saveexec_b64 s[48:49], vcc
	s_xor_b64 s[48:49], exec, s[48:49]
	s_cbranch_execz .LBB126_1272
; %bb.1252:
	s_movk_i32 s46, 0x80
	v_cmp_eq_u16_e32 vcc, s46, v4
	s_mov_b64 s[46:47], -1
	s_and_saveexec_b64 s[50:51], vcc
; %bb.1253:
	s_xor_b64 s[46:47], exec, -1
; %bb.1254:
	s_or_b64 exec, exec, s[50:51]
	s_and_b64 s[46:47], s[46:47], exec
	s_or_saveexec_b64 s[48:49], s[48:49]
	v_mov_b32_e32 v3, 0x7e00
	s_xor_b64 exec, exec, s[48:49]
	s_cbranch_execnz .LBB126_1273
.LBB126_1255:
	s_or_b64 exec, exec, s[48:49]
	s_and_saveexec_b64 s[48:49], s[46:47]
	s_cbranch_execz .LBB126_1257
.LBB126_1256:
	v_lshlrev_b32_e32 v3, 24, v4
	v_and_b32_e32 v4, 0xffff, v4
	v_and_b32_e32 v5, 7, v4
	v_ffbh_u32_e32 v7, v5
	v_min_u32_e32 v7, 32, v7
	v_subrev_u32_e32 v8, 28, v7
	v_bfe_u32 v6, v4, 3, 4
	v_lshlrev_b32_e32 v4, v8, v4
	v_sub_u32_e32 v7, 29, v7
	v_and_b32_e32 v4, 7, v4
	v_cmp_eq_u32_e32 vcc, 0, v6
	v_cndmask_b32_e32 v6, v6, v7, vcc
	v_cndmask_b32_e32 v4, v5, v4, vcc
	v_mov_b32_e32 v5, 0x3b800000
	v_lshlrev_b32_e32 v4, 20, v4
	v_and_b32_e32 v3, 0x80000000, v3
	v_lshl_add_u32 v5, v6, 23, v5
	v_or3_b32 v3, v3, v5, v4
	v_cvt_f16_f32_e32 v3, v3
.LBB126_1257:
	s_or_b64 exec, exec, s[48:49]
.LBB126_1258:
	s_mov_b64 s[46:47], -1
.LBB126_1259:
	s_mov_b64 s[48:49], 0
.LBB126_1260:
	s_and_b64 vcc, exec, s[48:49]
	s_cbranch_vccz .LBB126_1293
; %bb.1261:
	s_cmp_gt_i32 s52, 22
	s_cbranch_scc0 .LBB126_1271
; %bb.1262:
	s_cmp_lt_i32 s52, 24
	s_cbranch_scc1 .LBB126_1274
; %bb.1263:
	s_cmp_gt_i32 s52, 24
	s_cbranch_scc0 .LBB126_1275
; %bb.1264:
	global_load_ubyte v4, v[0:1], off
	s_movk_i32 s44, 0x7f
	s_waitcnt vmcnt(0)
	v_cmp_lt_i16_e32 vcc, s44, v4
	s_mov_b64 s[44:45], 0
	s_and_saveexec_b64 s[46:47], vcc
	s_xor_b64 s[46:47], exec, s[46:47]
	s_cbranch_execz .LBB126_1287
; %bb.1265:
	s_movk_i32 s44, 0x80
	v_cmp_eq_u16_e32 vcc, s44, v4
	s_mov_b64 s[44:45], -1
	s_and_saveexec_b64 s[48:49], vcc
; %bb.1266:
	s_xor_b64 s[44:45], exec, -1
; %bb.1267:
	s_or_b64 exec, exec, s[48:49]
	s_and_b64 s[44:45], s[44:45], exec
	s_or_saveexec_b64 s[46:47], s[46:47]
	v_mov_b32_e32 v3, 0x7e00
	s_xor_b64 exec, exec, s[46:47]
	s_cbranch_execnz .LBB126_1288
.LBB126_1268:
	s_or_b64 exec, exec, s[46:47]
	s_and_saveexec_b64 s[46:47], s[44:45]
	s_cbranch_execz .LBB126_1270
.LBB126_1269:
	v_lshlrev_b32_e32 v3, 24, v4
	v_and_b32_e32 v4, 0xffff, v4
	v_and_b32_e32 v5, 3, v4
	v_ffbh_u32_e32 v7, v5
	v_min_u32_e32 v7, 32, v7
	v_subrev_u32_e32 v8, 29, v7
	v_bfe_u32 v6, v4, 2, 5
	v_lshlrev_b32_e32 v4, v8, v4
	v_sub_u32_e32 v7, 30, v7
	v_and_b32_e32 v4, 3, v4
	v_cmp_eq_u32_e32 vcc, 0, v6
	v_cndmask_b32_e32 v6, v6, v7, vcc
	v_cndmask_b32_e32 v4, v5, v4, vcc
	v_mov_b32_e32 v5, 0x37800000
	v_lshlrev_b32_e32 v4, 21, v4
	v_and_b32_e32 v3, 0x80000000, v3
	v_lshl_add_u32 v5, v6, 23, v5
	v_or3_b32 v3, v3, v5, v4
	v_cvt_f16_f32_e32 v3, v3
.LBB126_1270:
	s_or_b64 exec, exec, s[46:47]
	s_mov_b64 s[44:45], 0
	s_branch .LBB126_1276
.LBB126_1271:
	s_mov_b64 s[44:45], -1
                                        ; implicit-def: $vgpr3
	s_branch .LBB126_1282
.LBB126_1272:
	s_or_saveexec_b64 s[48:49], s[48:49]
	v_mov_b32_e32 v3, 0x7e00
	s_xor_b64 exec, exec, s[48:49]
	s_cbranch_execz .LBB126_1255
.LBB126_1273:
	v_cmp_ne_u16_e32 vcc, 0, v4
	s_andn2_b64 s[46:47], s[46:47], exec
	s_and_b64 s[50:51], vcc, exec
	s_or_b64 s[46:47], s[46:47], s[50:51]
	v_mov_b32_e32 v3, v4
	s_or_b64 exec, exec, s[48:49]
	s_and_saveexec_b64 s[48:49], s[46:47]
	s_cbranch_execnz .LBB126_1256
	s_branch .LBB126_1257
.LBB126_1274:
	s_mov_b64 s[44:45], -1
                                        ; implicit-def: $vgpr3
	s_branch .LBB126_1279
.LBB126_1275:
	s_mov_b64 s[44:45], -1
                                        ; implicit-def: $vgpr3
.LBB126_1276:
	s_and_b64 vcc, exec, s[44:45]
	s_cbranch_vccz .LBB126_1278
; %bb.1277:
	global_load_ubyte v3, v[0:1], off
	s_mov_b32 s44, 0x7f800000
	s_waitcnt vmcnt(0)
	v_lshlrev_b32_e32 v3, 24, v3
	v_and_b32_e32 v4, 0x7f000000, v3
	v_ffbh_u32_e32 v5, v4
	v_min_u32_e32 v5, 32, v5
	v_sub_u32_e64 v5, v5, 4 clamp
	v_lshlrev_b32_e32 v7, v5, v4
	v_lshlrev_b32_e32 v5, 23, v5
	v_lshrrev_b32_e32 v7, 4, v7
	v_add_u32_e32 v6, 0x1000000, v4
	v_sub_u32_e32 v5, v7, v5
	v_ashrrev_i32_e32 v6, 8, v6
	v_add_u32_e32 v5, 0x3c000000, v5
	v_and_or_b32 v5, v6, s44, v5
	v_cmp_ne_u32_e32 vcc, 0, v4
	v_cndmask_b32_e32 v4, 0, v5, vcc
	s_brev_b32 s44, 1
	v_and_or_b32 v3, v3, s44, v4
	v_cvt_f16_f32_e32 v3, v3
.LBB126_1278:
	s_mov_b64 s[44:45], 0
.LBB126_1279:
	s_andn2_b64 vcc, exec, s[44:45]
	s_cbranch_vccnz .LBB126_1281
; %bb.1280:
	global_load_ubyte v3, v[0:1], off
	s_movk_i32 s44, 0x7f00
	s_brev_b32 s45, 16
	s_waitcnt vmcnt(0)
	v_lshlrev_b16_e32 v4, 8, v3
	v_lshlrev_b32_e32 v3, 25, v3
	v_lshrrev_b32_e32 v5, 4, v3
	v_and_or_b32 v6, v4, s44, 0.5
	v_or_b32_e32 v5, 0x70000000, v5
	v_add_f32_e32 v6, -0.5, v6
	v_mul_f32_e32 v5, 0x7800000, v5
	v_cmp_gt_u32_e32 vcc, s45, v3
	v_bfe_i32 v4, v4, 0, 16
	v_cndmask_b32_e32 v3, v5, v6, vcc
	s_brev_b32 s44, 1
	v_and_or_b32 v3, v4, s44, v3
	v_cvt_f16_f32_e32 v3, v3
.LBB126_1281:
	s_mov_b64 s[44:45], 0
	s_mov_b64 s[46:47], -1
.LBB126_1282:
	s_andn2_b64 vcc, exec, s[44:45]
	s_mov_b64 s[44:45], 0
	s_cbranch_vccnz .LBB126_1293
; %bb.1283:
	s_cmp_gt_i32 s52, 14
	s_cbranch_scc0 .LBB126_1286
; %bb.1284:
	s_cmp_eq_u32 s52, 15
	s_cbranch_scc0 .LBB126_1289
; %bb.1285:
	global_load_ushort v3, v[0:1], off
	s_mov_b64 s[42:43], 0
	s_mov_b64 s[46:47], -1
	s_waitcnt vmcnt(0)
	v_lshlrev_b32_e32 v3, 16, v3
	v_cvt_f16_f32_e32 v3, v3
	s_branch .LBB126_1290
.LBB126_1286:
	s_mov_b64 s[48:49], -1
                                        ; implicit-def: $vgpr3
	s_branch .LBB126_1291
.LBB126_1287:
	s_or_saveexec_b64 s[46:47], s[46:47]
	v_mov_b32_e32 v3, 0x7e00
	s_xor_b64 exec, exec, s[46:47]
	s_cbranch_execz .LBB126_1268
.LBB126_1288:
	v_cmp_ne_u16_e32 vcc, 0, v4
	s_andn2_b64 s[44:45], s[44:45], exec
	s_and_b64 s[48:49], vcc, exec
	s_or_b64 s[44:45], s[44:45], s[48:49]
	v_mov_b32_e32 v3, v4
	s_or_b64 exec, exec, s[46:47]
	s_and_saveexec_b64 s[46:47], s[44:45]
	s_cbranch_execnz .LBB126_1269
	s_branch .LBB126_1270
.LBB126_1289:
	s_mov_b64 s[42:43], -1
                                        ; implicit-def: $vgpr3
.LBB126_1290:
	s_mov_b64 s[48:49], 0
.LBB126_1291:
	s_and_b64 vcc, exec, s[48:49]
	s_cbranch_vccz .LBB126_1293
; %bb.1292:
	s_cmp_lg_u32 s52, 11
	s_cselect_b64 s[48:49], -1, 0
	s_andn2_b64 s[42:43], s[42:43], exec
	s_and_b64 s[48:49], s[48:49], exec
	s_mov_b64 s[44:45], -1
	s_or_b64 s[42:43], s[42:43], s[48:49]
.LBB126_1293:
	s_mov_b64 s[48:49], 0
.LBB126_1294:
	s_and_b64 s[52:53], s[46:47], exec
	s_and_b64 s[46:47], s[44:45], exec
	s_andn2_b64 s[44:45], s[0:1], exec
	s_and_b64 s[42:43], s[42:43], exec
	s_and_b64 s[50:51], s[48:49], exec
	s_or_b64 s[48:49], s[44:45], s[42:43]
.LBB126_1295:
	s_or_b64 exec, exec, s[36:37]
	s_and_b64 s[42:43], s[46:47], exec
	s_andn2_b64 s[0:1], s[0:1], exec
	s_and_b64 s[46:47], s[48:49], exec
	s_and_b64 s[44:45], s[52:53], exec
	;; [unrolled: 1-line block ×3, first 2 shown]
	s_or_b64 s[0:1], s[0:1], s[46:47]
.LBB126_1296:
	s_or_b64 exec, exec, s[34:35]
	s_andn2_b64 s[28:29], s[28:29], exec
	s_and_b64 s[34:35], s[40:41], exec
	s_or_b64 s[28:29], s[28:29], s[34:35]
	s_andn2_b64 s[26:27], s[26:27], exec
	s_and_b64 s[34:35], s[38:39], exec
	s_andn2_b64 s[24:25], s[24:25], exec
	s_and_b64 s[0:1], s[0:1], exec
	s_or_b64 s[26:27], s[26:27], s[34:35]
	s_and_b64 s[38:39], s[44:45], exec
	s_and_b64 s[36:37], s[36:37], exec
	;; [unrolled: 1-line block ×3, first 2 shown]
	s_or_b64 s[24:25], s[24:25], s[0:1]
.LBB126_1297:
	s_or_b64 exec, exec, s[30:31]
	s_andn2_b64 s[0:1], s[16:17], exec
	s_and_b64 s[16:17], s[28:29], exec
	s_or_b64 s[16:17], s[0:1], s[16:17]
	s_andn2_b64 s[0:1], s[18:19], exec
	s_and_b64 s[18:19], s[26:27], exec
	s_or_b64 s[18:19], s[0:1], s[18:19]
	s_andn2_b64 s[0:1], s[20:21], exec
	s_and_b64 s[20:21], s[24:25], exec
	s_and_b64 s[28:29], s[38:39], exec
	;; [unrolled: 1-line block ×4, first 2 shown]
	s_or_b64 s[20:21], s[0:1], s[20:21]
	s_or_b64 exec, exec, s[22:23]
	s_mov_b64 s[22:23], 0
	s_and_saveexec_b64 s[0:1], s[20:21]
	s_cbranch_execz .LBB126_409
.LBB126_1298:
	s_mov_b64 s[22:23], exec
	s_andn2_b64 s[26:27], s[26:27], exec
	s_trap 2
	s_or_b64 exec, exec, s[0:1]
	s_and_saveexec_b64 s[0:1], s[26:27]
	s_xor_b64 s[0:1], exec, s[0:1]
	s_cbranch_execnz .LBB126_410
.LBB126_1299:
	s_or_b64 exec, exec, s[0:1]
	s_and_saveexec_b64 s[0:1], s[30:31]
	s_cbranch_execz .LBB126_1345
.LBB126_1300:
	s_sext_i32_i16 s20, s56
	s_cmp_lt_i32 s20, 5
	s_cbranch_scc1 .LBB126_1305
; %bb.1301:
	s_cmp_lt_i32 s20, 8
	s_cbranch_scc1 .LBB126_1306
; %bb.1302:
	s_cmp_lt_i32 s20, 9
	s_cbranch_scc1 .LBB126_1307
; %bb.1303:
	s_cmp_gt_i32 s20, 9
	s_cbranch_scc0 .LBB126_1308
; %bb.1304:
	global_load_dwordx2 v[3:4], v[0:1], off
	s_movk_i32 s20, 0x1ff
	s_movk_i32 s21, 0xffe
	v_mov_b32_e32 v5, 0x7c00
	v_mov_b32_e32 v6, 0x7e00
	s_movk_i32 s24, 0x40f
	s_mov_b32 s25, 0x8000
	s_waitcnt vmcnt(0)
	v_and_or_b32 v3, v4, s20, v3
	v_cmp_ne_u32_e32 vcc, 0, v3
	v_lshrrev_b32_e32 v7, 8, v4
	v_bfe_u32 v8, v4, 20, 11
	v_cndmask_b32_e64 v3, 0, 1, vcc
	v_sub_u32_e32 v9, 0x3f1, v8
	v_and_or_b32 v3, v7, s21, v3
	v_add_u32_e32 v8, 0xfffffc10, v8
	v_med3_i32 v7, v9, 0, 13
	v_or_b32_e32 v9, 0x1000, v3
	v_cmp_ne_u32_e32 vcc, 0, v3
	v_lshl_or_b32 v10, v8, 12, v3
	v_cndmask_b32_e32 v3, v5, v6, vcc
	v_lshrrev_b32_e32 v6, v7, v9
	v_lshlrev_b32_e32 v7, v7, v6
	v_cmp_ne_u32_e32 vcc, v7, v9
	v_cndmask_b32_e64 v7, 0, 1, vcc
	v_or_b32_e32 v6, v6, v7
	v_cmp_gt_i32_e32 vcc, 1, v8
	v_cndmask_b32_e32 v6, v10, v6, vcc
	v_and_b32_e32 v7, 7, v6
	v_cmp_lt_i32_e32 vcc, 5, v7
	v_cndmask_b32_e64 v9, 0, 1, vcc
	v_cmp_eq_u32_e32 vcc, 3, v7
	v_cndmask_b32_e64 v7, 0, 1, vcc
	v_lshrrev_b32_e32 v6, 2, v6
	v_or_b32_e32 v7, v7, v9
	v_add_u32_e32 v6, v6, v7
	v_cmp_gt_i32_e32 vcc, 31, v8
	v_cndmask_b32_e32 v5, v5, v6, vcc
	v_cmp_eq_u32_e32 vcc, s24, v8
	v_lshrrev_b32_e32 v4, 16, v4
	v_cndmask_b32_e32 v3, v5, v3, vcc
	v_and_or_b32 v3, v4, s25, v3
	s_mov_b64 s[20:21], 0
	s_branch .LBB126_1309
.LBB126_1305:
                                        ; implicit-def: $vgpr3
	s_branch .LBB126_1326
.LBB126_1306:
                                        ; implicit-def: $vgpr3
	s_branch .LBB126_1315
.LBB126_1307:
	s_mov_b64 s[20:21], -1
                                        ; implicit-def: $vgpr3
	s_branch .LBB126_1312
.LBB126_1308:
	s_mov_b64 s[20:21], -1
                                        ; implicit-def: $vgpr3
.LBB126_1309:
	s_andn2_b64 vcc, exec, s[20:21]
	s_cbranch_vccnz .LBB126_1311
; %bb.1310:
	global_load_dword v3, v[0:1], off
	s_waitcnt vmcnt(0)
	v_cvt_f16_f32_e32 v3, v3
.LBB126_1311:
	s_mov_b64 s[20:21], 0
.LBB126_1312:
	s_andn2_b64 vcc, exec, s[20:21]
	s_cbranch_vccnz .LBB126_1314
; %bb.1313:
	global_load_dword v3, v[0:1], off
.LBB126_1314:
	s_cbranch_execnz .LBB126_1325
.LBB126_1315:
	s_sext_i32_i16 s20, s56
	s_cmp_lt_i32 s20, 6
	s_cbranch_scc1 .LBB126_1318
; %bb.1316:
	s_cmp_gt_i32 s20, 6
	s_cbranch_scc0 .LBB126_1319
; %bb.1317:
	global_load_dwordx2 v[3:4], v[0:1], off
	s_movk_i32 s20, 0x1ff
	s_movk_i32 s21, 0xffe
	v_mov_b32_e32 v5, 0x7c00
	v_mov_b32_e32 v6, 0x7e00
	s_movk_i32 s24, 0x40f
	s_mov_b32 s25, 0x8000
	s_waitcnt vmcnt(0)
	v_and_or_b32 v3, v4, s20, v3
	v_cmp_ne_u32_e32 vcc, 0, v3
	v_lshrrev_b32_e32 v7, 8, v4
	v_bfe_u32 v8, v4, 20, 11
	v_cndmask_b32_e64 v3, 0, 1, vcc
	v_sub_u32_e32 v9, 0x3f1, v8
	v_and_or_b32 v3, v7, s21, v3
	v_add_u32_e32 v8, 0xfffffc10, v8
	v_med3_i32 v7, v9, 0, 13
	v_or_b32_e32 v9, 0x1000, v3
	v_cmp_ne_u32_e32 vcc, 0, v3
	v_lshl_or_b32 v10, v8, 12, v3
	v_cndmask_b32_e32 v3, v5, v6, vcc
	v_lshrrev_b32_e32 v6, v7, v9
	v_lshlrev_b32_e32 v7, v7, v6
	v_cmp_ne_u32_e32 vcc, v7, v9
	v_cndmask_b32_e64 v7, 0, 1, vcc
	v_or_b32_e32 v6, v6, v7
	v_cmp_gt_i32_e32 vcc, 1, v8
	v_cndmask_b32_e32 v6, v10, v6, vcc
	v_and_b32_e32 v7, 7, v6
	v_cmp_lt_i32_e32 vcc, 5, v7
	v_cndmask_b32_e64 v9, 0, 1, vcc
	v_cmp_eq_u32_e32 vcc, 3, v7
	v_cndmask_b32_e64 v7, 0, 1, vcc
	v_lshrrev_b32_e32 v6, 2, v6
	v_or_b32_e32 v7, v7, v9
	v_add_u32_e32 v6, v6, v7
	v_cmp_gt_i32_e32 vcc, 31, v8
	v_cndmask_b32_e32 v5, v5, v6, vcc
	v_cmp_eq_u32_e32 vcc, s24, v8
	v_lshrrev_b32_e32 v4, 16, v4
	v_cndmask_b32_e32 v3, v5, v3, vcc
	v_and_or_b32 v3, v4, s25, v3
	s_mov_b64 s[20:21], 0
	s_branch .LBB126_1320
.LBB126_1318:
	s_mov_b64 s[20:21], -1
                                        ; implicit-def: $vgpr3
	s_branch .LBB126_1323
.LBB126_1319:
	s_mov_b64 s[20:21], -1
                                        ; implicit-def: $vgpr3
.LBB126_1320:
	s_andn2_b64 vcc, exec, s[20:21]
	s_cbranch_vccnz .LBB126_1322
; %bb.1321:
	global_load_dword v3, v[0:1], off
	s_waitcnt vmcnt(0)
	v_cvt_f16_f32_e32 v3, v3
.LBB126_1322:
	s_mov_b64 s[20:21], 0
.LBB126_1323:
	s_andn2_b64 vcc, exec, s[20:21]
	s_cbranch_vccnz .LBB126_1325
; %bb.1324:
	global_load_ushort v3, v[0:1], off
.LBB126_1325:
	s_cbranch_execnz .LBB126_1344
.LBB126_1326:
	s_sext_i32_i16 s20, s56
	s_cmp_lt_i32 s20, 2
	s_cbranch_scc1 .LBB126_1330
; %bb.1327:
	s_cmp_lt_i32 s20, 3
	s_cbranch_scc1 .LBB126_1331
; %bb.1328:
	s_cmp_gt_i32 s20, 3
	s_cbranch_scc0 .LBB126_1332
; %bb.1329:
	global_load_dwordx2 v[3:4], v[0:1], off
	s_mov_b64 s[20:21], 0
	s_waitcnt vmcnt(0)
	v_xor_b32_e32 v6, v3, v4
	v_ffbh_i32_e32 v5, v4
	v_ashrrev_i32_e32 v6, 31, v6
	v_add_u32_e32 v5, -1, v5
	v_add_u32_e32 v6, 32, v6
	v_min_u32_e32 v5, v5, v6
	v_lshlrev_b64 v[3:4], v5, v[3:4]
	v_min_u32_e32 v3, 1, v3
	v_or_b32_e32 v3, v4, v3
	v_cvt_f32_i32_e32 v3, v3
	v_sub_u32_e32 v4, 32, v5
	v_ldexp_f32 v3, v3, v4
	v_cvt_f16_f32_e32 v3, v3
	s_branch .LBB126_1333
.LBB126_1330:
                                        ; implicit-def: $vgpr3
	s_branch .LBB126_1339
.LBB126_1331:
	s_mov_b64 s[20:21], -1
                                        ; implicit-def: $vgpr3
	s_branch .LBB126_1336
.LBB126_1332:
	s_mov_b64 s[20:21], -1
                                        ; implicit-def: $vgpr3
.LBB126_1333:
	s_andn2_b64 vcc, exec, s[20:21]
	s_cbranch_vccnz .LBB126_1335
; %bb.1334:
	global_load_dword v3, v[0:1], off
	s_waitcnt vmcnt(0)
	v_cvt_f32_i32_e32 v3, v3
	v_cvt_f16_f32_e32 v3, v3
.LBB126_1335:
	s_mov_b64 s[20:21], 0
.LBB126_1336:
	s_andn2_b64 vcc, exec, s[20:21]
	s_cbranch_vccnz .LBB126_1338
; %bb.1337:
	global_load_ushort v3, v[0:1], off
	s_waitcnt vmcnt(0)
	v_cvt_f16_i16_e32 v3, v3
.LBB126_1338:
	s_cbranch_execnz .LBB126_1344
.LBB126_1339:
	s_sext_i32_i16 s20, s56
	s_cmp_gt_i32 s20, 0
	s_cbranch_scc0 .LBB126_1341
; %bb.1340:
	global_load_sbyte v3, v[0:1], off
	s_mov_b64 s[20:21], 0
	s_waitcnt vmcnt(0)
	v_cvt_f16_i16_e32 v3, v3
	s_branch .LBB126_1342
.LBB126_1341:
	s_mov_b64 s[20:21], -1
                                        ; implicit-def: $vgpr3
.LBB126_1342:
	s_andn2_b64 vcc, exec, s[20:21]
	s_cbranch_vccnz .LBB126_1344
; %bb.1343:
	global_load_ubyte v0, v[0:1], off
	s_waitcnt vmcnt(0)
	v_cvt_f16_u16_e32 v3, v0
.LBB126_1344:
	s_or_b64 s[28:29], s[28:29], exec
.LBB126_1345:
	s_or_b64 exec, exec, s[0:1]
	s_mov_b64 s[26:27], 0
	s_mov_b64 s[30:31], 0
	;; [unrolled: 1-line block ×3, first 2 shown]
                                        ; implicit-def: $sgpr34
                                        ; implicit-def: $vgpr0_vgpr1
                                        ; implicit-def: $vgpr4
	s_and_saveexec_b64 s[0:1], s[28:29]
	s_cbranch_execz .LBB126_1353
; %bb.1346:
	v_mul_lo_u32 v0, v2, s14
	v_mov_b32_e32 v1, s3
	s_and_b32 s34, s54, 0xff
	s_cmp_lt_i32 s34, 11
	s_waitcnt vmcnt(0)
	v_ashrrev_i32_e32 v4, 31, v0
	v_add_co_u32_e32 v0, vcc, s2, v0
	v_addc_co_u32_e32 v1, vcc, v1, v4, vcc
	s_cbranch_scc1 .LBB126_1356
; %bb.1347:
	s_and_b32 s35, 0xffff, s34
	s_cmp_gt_i32 s35, 25
	s_cbranch_scc0 .LBB126_1357
; %bb.1348:
	s_cmp_gt_i32 s35, 28
	s_cbranch_scc0 .LBB126_1358
; %bb.1349:
	;; [unrolled: 3-line block ×4, first 2 shown]
	s_cmp_eq_u32 s35, 46
	s_mov_b64 s[28:29], 0
	s_cbranch_scc0 .LBB126_1361
; %bb.1352:
	global_load_dword v4, v[0:1], off
	s_mov_b64 s[20:21], 0
	s_mov_b64 s[24:25], -1
	s_waitcnt vmcnt(0)
	v_lshlrev_b32_e32 v4, 16, v4
	v_cvt_f16_f32_e32 v4, v4
	s_branch .LBB126_1363
.LBB126_1353:
	s_or_b64 exec, exec, s[0:1]
	s_and_saveexec_b64 s[0:1], s[18:19]
	s_cbranch_execnz .LBB126_1426
.LBB126_1354:
	s_or_b64 exec, exec, s[0:1]
	s_and_saveexec_b64 s[0:1], s[26:27]
	s_xor_b64 s[0:1], exec, s[0:1]
	s_cbranch_execz .LBB126_1427
.LBB126_1355:
	global_load_ubyte v4, v[0:1], off
	v_mov_b32_e32 v5, 0x3c00
	s_or_b64 s[24:25], s[24:25], exec
	s_waitcnt vmcnt(0)
	v_cmp_ne_u16_e32 vcc, 0, v4
	v_cndmask_b32_e32 v4, 0, v5, vcc
	s_or_b64 exec, exec, s[0:1]
	s_and_saveexec_b64 s[0:1], s[30:31]
	s_cbranch_execz .LBB126_1473
	s_branch .LBB126_1428
.LBB126_1356:
	s_mov_b64 s[28:29], -1
                                        ; implicit-def: $vgpr4
	s_mov_b64 s[20:21], s[18:19]
	s_branch .LBB126_1425
.LBB126_1357:
	s_mov_b64 s[20:21], s[18:19]
                                        ; implicit-def: $vgpr4
	s_cbranch_execnz .LBB126_1392
	s_branch .LBB126_1424
.LBB126_1358:
	s_mov_b64 s[28:29], -1
	s_mov_b64 s[20:21], s[18:19]
                                        ; implicit-def: $vgpr4
	s_branch .LBB126_1373
.LBB126_1359:
	s_mov_b64 s[28:29], -1
	s_mov_b64 s[20:21], s[18:19]
                                        ; implicit-def: $vgpr4
	s_branch .LBB126_1368
.LBB126_1360:
	s_mov_b64 s[28:29], -1
	s_mov_b64 s[20:21], s[18:19]
	s_branch .LBB126_1362
.LBB126_1361:
	s_mov_b64 s[20:21], -1
.LBB126_1362:
                                        ; implicit-def: $vgpr4
.LBB126_1363:
	s_and_b64 vcc, exec, s[28:29]
	s_cbranch_vccz .LBB126_1367
; %bb.1364:
	s_cmp_eq_u32 s35, 44
	s_cbranch_scc0 .LBB126_1366
; %bb.1365:
	global_load_ubyte v4, v[0:1], off
	s_movk_i32 s24, 0xff
	v_mov_b32_e32 v6, 0x7e00
	s_mov_b64 s[20:21], 0
	s_waitcnt vmcnt(0)
	v_lshlrev_b32_e32 v5, 23, v4
	v_cvt_f16_f32_e32 v5, v5
	v_cmp_ne_u32_e32 vcc, s24, v4
	s_mov_b64 s[24:25], -1
	v_cndmask_b32_e32 v5, v6, v5, vcc
	v_cmp_ne_u32_e32 vcc, 0, v4
	v_cndmask_b32_e32 v4, 0, v5, vcc
	s_branch .LBB126_1367
.LBB126_1366:
	s_mov_b64 s[20:21], -1
                                        ; implicit-def: $vgpr4
.LBB126_1367:
	s_mov_b64 s[28:29], 0
.LBB126_1368:
	s_and_b64 vcc, exec, s[28:29]
	s_cbranch_vccz .LBB126_1372
; %bb.1369:
	s_cmp_eq_u32 s35, 29
	s_cbranch_scc0 .LBB126_1371
; %bb.1370:
	global_load_dwordx2 v[4:5], v[0:1], off
	s_mov_b64 s[20:21], 0
	s_mov_b64 s[24:25], -1
	s_mov_b64 s[28:29], 0
	s_waitcnt vmcnt(0)
	v_ffbh_u32_e32 v6, v5
	v_min_u32_e32 v6, 32, v6
	v_lshlrev_b64 v[4:5], v6, v[4:5]
	v_min_u32_e32 v4, 1, v4
	v_or_b32_e32 v4, v5, v4
	v_cvt_f32_u32_e32 v4, v4
	v_sub_u32_e32 v5, 32, v6
	v_ldexp_f32 v4, v4, v5
	v_cvt_f16_f32_e32 v4, v4
	s_branch .LBB126_1373
.LBB126_1371:
	s_mov_b64 s[20:21], -1
                                        ; implicit-def: $vgpr4
.LBB126_1372:
	s_mov_b64 s[28:29], 0
.LBB126_1373:
	s_and_b64 vcc, exec, s[28:29]
	s_cbranch_vccz .LBB126_1391
; %bb.1374:
	s_cmp_lt_i32 s35, 27
	s_cbranch_scc1 .LBB126_1377
; %bb.1375:
	s_cmp_gt_i32 s35, 27
	s_cbranch_scc0 .LBB126_1378
; %bb.1376:
	global_load_dword v4, v[0:1], off
	s_mov_b64 s[24:25], 0
	s_waitcnt vmcnt(0)
	v_cvt_f32_u32_e32 v4, v4
	v_cvt_f16_f32_e32 v4, v4
	s_branch .LBB126_1379
.LBB126_1377:
	s_mov_b64 s[24:25], -1
                                        ; implicit-def: $vgpr4
	s_branch .LBB126_1382
.LBB126_1378:
	s_mov_b64 s[24:25], -1
                                        ; implicit-def: $vgpr4
.LBB126_1379:
	s_andn2_b64 vcc, exec, s[24:25]
	s_cbranch_vccnz .LBB126_1381
; %bb.1380:
	global_load_ushort v4, v[0:1], off
	s_waitcnt vmcnt(0)
	v_cvt_f16_u16_e32 v4, v4
.LBB126_1381:
	s_mov_b64 s[24:25], 0
.LBB126_1382:
	s_andn2_b64 vcc, exec, s[24:25]
	s_cbranch_vccnz .LBB126_1390
; %bb.1383:
	global_load_ubyte v5, v[0:1], off
	s_movk_i32 s24, 0x7f
	s_waitcnt vmcnt(0)
	v_cmp_lt_i16_e32 vcc, s24, v5
	s_mov_b64 s[24:25], 0
	s_and_saveexec_b64 s[28:29], vcc
	s_xor_b64 s[28:29], exec, s[28:29]
	s_cbranch_execz .LBB126_1403
; %bb.1384:
	s_movk_i32 s24, 0x80
	v_cmp_eq_u16_e32 vcc, s24, v5
	s_mov_b64 s[24:25], -1
	s_and_saveexec_b64 s[30:31], vcc
; %bb.1385:
	s_xor_b64 s[24:25], exec, -1
; %bb.1386:
	s_or_b64 exec, exec, s[30:31]
	s_and_b64 s[24:25], s[24:25], exec
	s_or_saveexec_b64 s[28:29], s[28:29]
	v_mov_b32_e32 v4, 0x7e00
	s_xor_b64 exec, exec, s[28:29]
	s_cbranch_execnz .LBB126_1404
.LBB126_1387:
	s_or_b64 exec, exec, s[28:29]
	s_and_saveexec_b64 s[28:29], s[24:25]
	s_cbranch_execz .LBB126_1389
.LBB126_1388:
	v_lshlrev_b32_e32 v4, 24, v5
	v_and_b32_e32 v5, 0xffff, v5
	v_and_b32_e32 v6, 7, v5
	v_ffbh_u32_e32 v8, v6
	v_min_u32_e32 v8, 32, v8
	v_subrev_u32_e32 v9, 28, v8
	v_bfe_u32 v7, v5, 3, 4
	v_lshlrev_b32_e32 v5, v9, v5
	v_sub_u32_e32 v8, 29, v8
	v_and_b32_e32 v5, 7, v5
	v_cmp_eq_u32_e32 vcc, 0, v7
	v_cndmask_b32_e32 v7, v7, v8, vcc
	v_cndmask_b32_e32 v5, v6, v5, vcc
	v_mov_b32_e32 v6, 0x3b800000
	v_lshlrev_b32_e32 v5, 20, v5
	v_and_b32_e32 v4, 0x80000000, v4
	v_lshl_add_u32 v6, v7, 23, v6
	v_or3_b32 v4, v4, v6, v5
	v_cvt_f16_f32_e32 v4, v4
.LBB126_1389:
	s_or_b64 exec, exec, s[28:29]
.LBB126_1390:
	s_mov_b64 s[24:25], -1
.LBB126_1391:
	s_branch .LBB126_1424
.LBB126_1392:
	s_cmp_gt_i32 s35, 22
	s_cbranch_scc0 .LBB126_1402
; %bb.1393:
	s_cmp_lt_i32 s35, 24
	s_cbranch_scc1 .LBB126_1405
; %bb.1394:
	s_cmp_gt_i32 s35, 24
	s_cbranch_scc0 .LBB126_1406
; %bb.1395:
	global_load_ubyte v5, v[0:1], off
	s_movk_i32 s24, 0x7f
	s_waitcnt vmcnt(0)
	v_cmp_lt_i16_e32 vcc, s24, v5
	s_mov_b64 s[24:25], 0
	s_and_saveexec_b64 s[26:27], vcc
	s_xor_b64 s[26:27], exec, s[26:27]
	s_cbranch_execz .LBB126_1418
; %bb.1396:
	s_movk_i32 s24, 0x80
	v_cmp_eq_u16_e32 vcc, s24, v5
	s_mov_b64 s[24:25], -1
	s_and_saveexec_b64 s[28:29], vcc
; %bb.1397:
	s_xor_b64 s[24:25], exec, -1
; %bb.1398:
	s_or_b64 exec, exec, s[28:29]
	s_and_b64 s[24:25], s[24:25], exec
	s_or_saveexec_b64 s[26:27], s[26:27]
	v_mov_b32_e32 v4, 0x7e00
	s_xor_b64 exec, exec, s[26:27]
	s_cbranch_execnz .LBB126_1419
.LBB126_1399:
	s_or_b64 exec, exec, s[26:27]
	s_and_saveexec_b64 s[26:27], s[24:25]
	s_cbranch_execz .LBB126_1401
.LBB126_1400:
	v_lshlrev_b32_e32 v4, 24, v5
	v_and_b32_e32 v5, 0xffff, v5
	v_and_b32_e32 v6, 3, v5
	v_ffbh_u32_e32 v8, v6
	v_min_u32_e32 v8, 32, v8
	v_subrev_u32_e32 v9, 29, v8
	v_bfe_u32 v7, v5, 2, 5
	v_lshlrev_b32_e32 v5, v9, v5
	v_sub_u32_e32 v8, 30, v8
	v_and_b32_e32 v5, 3, v5
	v_cmp_eq_u32_e32 vcc, 0, v7
	v_cndmask_b32_e32 v7, v7, v8, vcc
	v_cndmask_b32_e32 v5, v6, v5, vcc
	v_mov_b32_e32 v6, 0x37800000
	v_lshlrev_b32_e32 v5, 21, v5
	v_and_b32_e32 v4, 0x80000000, v4
	v_lshl_add_u32 v6, v7, 23, v6
	v_or3_b32 v4, v4, v6, v5
	v_cvt_f16_f32_e32 v4, v4
.LBB126_1401:
	s_or_b64 exec, exec, s[26:27]
	s_mov_b64 s[24:25], 0
	s_branch .LBB126_1407
.LBB126_1402:
	s_mov_b64 s[26:27], -1
                                        ; implicit-def: $vgpr4
	s_branch .LBB126_1413
.LBB126_1403:
	s_or_saveexec_b64 s[28:29], s[28:29]
	v_mov_b32_e32 v4, 0x7e00
	s_xor_b64 exec, exec, s[28:29]
	s_cbranch_execz .LBB126_1387
.LBB126_1404:
	v_cmp_ne_u16_e32 vcc, 0, v5
	s_andn2_b64 s[24:25], s[24:25], exec
	s_and_b64 s[30:31], vcc, exec
	s_or_b64 s[24:25], s[24:25], s[30:31]
	v_mov_b32_e32 v4, v5
	s_or_b64 exec, exec, s[28:29]
	s_and_saveexec_b64 s[28:29], s[24:25]
	s_cbranch_execnz .LBB126_1388
	s_branch .LBB126_1389
.LBB126_1405:
	s_mov_b64 s[24:25], -1
                                        ; implicit-def: $vgpr4
	s_branch .LBB126_1410
.LBB126_1406:
	s_mov_b64 s[24:25], -1
                                        ; implicit-def: $vgpr4
.LBB126_1407:
	s_and_b64 vcc, exec, s[24:25]
	s_cbranch_vccz .LBB126_1409
; %bb.1408:
	global_load_ubyte v4, v[0:1], off
	s_mov_b32 s24, 0x7f800000
	s_waitcnt vmcnt(0)
	v_lshlrev_b32_e32 v4, 24, v4
	v_and_b32_e32 v5, 0x7f000000, v4
	v_ffbh_u32_e32 v6, v5
	v_min_u32_e32 v6, 32, v6
	v_sub_u32_e64 v6, v6, 4 clamp
	v_lshlrev_b32_e32 v8, v6, v5
	v_lshlrev_b32_e32 v6, 23, v6
	v_lshrrev_b32_e32 v8, 4, v8
	v_add_u32_e32 v7, 0x1000000, v5
	v_sub_u32_e32 v6, v8, v6
	v_ashrrev_i32_e32 v7, 8, v7
	v_add_u32_e32 v6, 0x3c000000, v6
	v_and_or_b32 v6, v7, s24, v6
	v_cmp_ne_u32_e32 vcc, 0, v5
	v_cndmask_b32_e32 v5, 0, v6, vcc
	s_brev_b32 s24, 1
	v_and_or_b32 v4, v4, s24, v5
	v_cvt_f16_f32_e32 v4, v4
.LBB126_1409:
	s_mov_b64 s[24:25], 0
.LBB126_1410:
	s_andn2_b64 vcc, exec, s[24:25]
	s_cbranch_vccnz .LBB126_1412
; %bb.1411:
	global_load_ubyte v4, v[0:1], off
	s_movk_i32 s24, 0x7f00
	s_brev_b32 s25, 16
	s_waitcnt vmcnt(0)
	v_lshlrev_b16_e32 v5, 8, v4
	v_lshlrev_b32_e32 v4, 25, v4
	v_lshrrev_b32_e32 v6, 4, v4
	v_and_or_b32 v7, v5, s24, 0.5
	v_or_b32_e32 v6, 0x70000000, v6
	v_add_f32_e32 v7, -0.5, v7
	v_mul_f32_e32 v6, 0x7800000, v6
	v_cmp_gt_u32_e32 vcc, s25, v4
	v_bfe_i32 v5, v5, 0, 16
	v_cndmask_b32_e32 v4, v6, v7, vcc
	s_brev_b32 s24, 1
	v_and_or_b32 v4, v5, s24, v4
	v_cvt_f16_f32_e32 v4, v4
.LBB126_1412:
	s_mov_b64 s[26:27], 0
	s_mov_b64 s[24:25], -1
.LBB126_1413:
	s_andn2_b64 vcc, exec, s[26:27]
	s_mov_b64 s[26:27], 0
	s_cbranch_vccnz .LBB126_1424
; %bb.1414:
	s_cmp_gt_i32 s35, 14
	s_cbranch_scc0 .LBB126_1417
; %bb.1415:
	s_cmp_eq_u32 s35, 15
	s_cbranch_scc0 .LBB126_1420
; %bb.1416:
	global_load_ushort v4, v[0:1], off
	s_mov_b64 s[20:21], 0
	s_mov_b64 s[24:25], -1
	s_waitcnt vmcnt(0)
	v_lshlrev_b32_e32 v4, 16, v4
	v_cvt_f16_f32_e32 v4, v4
	s_branch .LBB126_1421
.LBB126_1417:
	s_mov_b64 s[28:29], -1
                                        ; implicit-def: $vgpr4
	s_branch .LBB126_1422
.LBB126_1418:
	s_or_saveexec_b64 s[26:27], s[26:27]
	v_mov_b32_e32 v4, 0x7e00
	s_xor_b64 exec, exec, s[26:27]
	s_cbranch_execz .LBB126_1399
.LBB126_1419:
	v_cmp_ne_u16_e32 vcc, 0, v5
	s_andn2_b64 s[24:25], s[24:25], exec
	s_and_b64 s[28:29], vcc, exec
	s_or_b64 s[24:25], s[24:25], s[28:29]
	v_mov_b32_e32 v4, v5
	s_or_b64 exec, exec, s[26:27]
	s_and_saveexec_b64 s[26:27], s[24:25]
	s_cbranch_execnz .LBB126_1400
	s_branch .LBB126_1401
.LBB126_1420:
	s_mov_b64 s[20:21], -1
                                        ; implicit-def: $vgpr4
.LBB126_1421:
	s_mov_b64 s[28:29], 0
.LBB126_1422:
	s_and_b64 vcc, exec, s[28:29]
	s_cbranch_vccz .LBB126_1424
; %bb.1423:
	s_cmp_lg_u32 s35, 11
	s_cselect_b64 s[28:29], -1, 0
	s_andn2_b64 s[20:21], s[20:21], exec
	s_and_b64 s[28:29], s[28:29], exec
	s_mov_b64 s[26:27], -1
	s_or_b64 s[20:21], s[20:21], s[28:29]
.LBB126_1424:
	s_mov_b64 s[28:29], 0
.LBB126_1425:
	s_andn2_b64 s[18:19], s[18:19], exec
	s_and_b64 s[20:21], s[20:21], exec
	s_and_b64 s[24:25], s[24:25], exec
	s_and_b64 s[30:31], s[28:29], exec
	s_and_b64 s[26:27], s[26:27], exec
	s_or_b64 s[18:19], s[18:19], s[20:21]
	s_or_b64 exec, exec, s[0:1]
	s_and_saveexec_b64 s[0:1], s[18:19]
	s_cbranch_execz .LBB126_1354
.LBB126_1426:
	s_or_b64 s[22:23], s[22:23], exec
	s_andn2_b64 s[26:27], s[26:27], exec
	s_trap 2
	s_or_b64 exec, exec, s[0:1]
	s_and_saveexec_b64 s[0:1], s[26:27]
	s_xor_b64 s[0:1], exec, s[0:1]
	s_cbranch_execnz .LBB126_1355
.LBB126_1427:
	s_or_b64 exec, exec, s[0:1]
	s_and_saveexec_b64 s[0:1], s[30:31]
	s_cbranch_execz .LBB126_1473
.LBB126_1428:
	s_sext_i32_i16 s18, s34
	s_cmp_lt_i32 s18, 5
	s_cbranch_scc1 .LBB126_1433
; %bb.1429:
	s_cmp_lt_i32 s18, 8
	s_cbranch_scc1 .LBB126_1434
; %bb.1430:
	;; [unrolled: 3-line block ×3, first 2 shown]
	s_cmp_gt_i32 s18, 9
	s_cbranch_scc0 .LBB126_1436
; %bb.1432:
	global_load_dwordx2 v[4:5], v[0:1], off
	s_movk_i32 s18, 0x1ff
	s_movk_i32 s19, 0xffe
	v_mov_b32_e32 v6, 0x7c00
	v_mov_b32_e32 v7, 0x7e00
	s_movk_i32 s20, 0x40f
	s_mov_b32 s21, 0x8000
	s_waitcnt vmcnt(0)
	v_and_or_b32 v4, v5, s18, v4
	v_cmp_ne_u32_e32 vcc, 0, v4
	v_lshrrev_b32_e32 v8, 8, v5
	v_bfe_u32 v9, v5, 20, 11
	v_cndmask_b32_e64 v4, 0, 1, vcc
	v_sub_u32_e32 v10, 0x3f1, v9
	v_and_or_b32 v4, v8, s19, v4
	v_add_u32_e32 v9, 0xfffffc10, v9
	v_med3_i32 v8, v10, 0, 13
	v_or_b32_e32 v10, 0x1000, v4
	v_cmp_ne_u32_e32 vcc, 0, v4
	v_lshl_or_b32 v11, v9, 12, v4
	v_cndmask_b32_e32 v4, v6, v7, vcc
	v_lshrrev_b32_e32 v7, v8, v10
	v_lshlrev_b32_e32 v8, v8, v7
	v_cmp_ne_u32_e32 vcc, v8, v10
	v_cndmask_b32_e64 v8, 0, 1, vcc
	v_or_b32_e32 v7, v7, v8
	v_cmp_gt_i32_e32 vcc, 1, v9
	v_cndmask_b32_e32 v7, v11, v7, vcc
	v_and_b32_e32 v8, 7, v7
	v_cmp_lt_i32_e32 vcc, 5, v8
	v_cndmask_b32_e64 v10, 0, 1, vcc
	v_cmp_eq_u32_e32 vcc, 3, v8
	v_cndmask_b32_e64 v8, 0, 1, vcc
	v_lshrrev_b32_e32 v7, 2, v7
	v_or_b32_e32 v8, v8, v10
	v_add_u32_e32 v7, v7, v8
	v_cmp_gt_i32_e32 vcc, 31, v9
	v_cndmask_b32_e32 v6, v6, v7, vcc
	v_cmp_eq_u32_e32 vcc, s20, v9
	v_lshrrev_b32_e32 v5, 16, v5
	v_cndmask_b32_e32 v4, v6, v4, vcc
	v_and_or_b32 v4, v5, s21, v4
	s_mov_b64 s[18:19], 0
	s_branch .LBB126_1437
.LBB126_1433:
                                        ; implicit-def: $vgpr4
	s_branch .LBB126_1454
.LBB126_1434:
                                        ; implicit-def: $vgpr4
	s_branch .LBB126_1443
.LBB126_1435:
	s_mov_b64 s[18:19], -1
                                        ; implicit-def: $vgpr4
	s_branch .LBB126_1440
.LBB126_1436:
	s_mov_b64 s[18:19], -1
                                        ; implicit-def: $vgpr4
.LBB126_1437:
	s_andn2_b64 vcc, exec, s[18:19]
	s_cbranch_vccnz .LBB126_1439
; %bb.1438:
	global_load_dword v4, v[0:1], off
	s_waitcnt vmcnt(0)
	v_cvt_f16_f32_e32 v4, v4
.LBB126_1439:
	s_mov_b64 s[18:19], 0
.LBB126_1440:
	s_andn2_b64 vcc, exec, s[18:19]
	s_cbranch_vccnz .LBB126_1442
; %bb.1441:
	global_load_dword v4, v[0:1], off
.LBB126_1442:
	s_cbranch_execnz .LBB126_1453
.LBB126_1443:
	s_sext_i32_i16 s18, s34
	s_cmp_lt_i32 s18, 6
	s_cbranch_scc1 .LBB126_1446
; %bb.1444:
	s_cmp_gt_i32 s18, 6
	s_cbranch_scc0 .LBB126_1447
; %bb.1445:
	global_load_dwordx2 v[4:5], v[0:1], off
	s_movk_i32 s18, 0x1ff
	s_movk_i32 s19, 0xffe
	v_mov_b32_e32 v6, 0x7c00
	v_mov_b32_e32 v7, 0x7e00
	s_movk_i32 s20, 0x40f
	s_mov_b32 s21, 0x8000
	s_waitcnt vmcnt(0)
	v_and_or_b32 v4, v5, s18, v4
	v_cmp_ne_u32_e32 vcc, 0, v4
	v_lshrrev_b32_e32 v8, 8, v5
	v_bfe_u32 v9, v5, 20, 11
	v_cndmask_b32_e64 v4, 0, 1, vcc
	v_sub_u32_e32 v10, 0x3f1, v9
	v_and_or_b32 v4, v8, s19, v4
	v_add_u32_e32 v9, 0xfffffc10, v9
	v_med3_i32 v8, v10, 0, 13
	v_or_b32_e32 v10, 0x1000, v4
	v_cmp_ne_u32_e32 vcc, 0, v4
	v_lshl_or_b32 v11, v9, 12, v4
	v_cndmask_b32_e32 v4, v6, v7, vcc
	v_lshrrev_b32_e32 v7, v8, v10
	v_lshlrev_b32_e32 v8, v8, v7
	v_cmp_ne_u32_e32 vcc, v8, v10
	v_cndmask_b32_e64 v8, 0, 1, vcc
	v_or_b32_e32 v7, v7, v8
	v_cmp_gt_i32_e32 vcc, 1, v9
	v_cndmask_b32_e32 v7, v11, v7, vcc
	v_and_b32_e32 v8, 7, v7
	v_cmp_lt_i32_e32 vcc, 5, v8
	v_cndmask_b32_e64 v10, 0, 1, vcc
	v_cmp_eq_u32_e32 vcc, 3, v8
	v_cndmask_b32_e64 v8, 0, 1, vcc
	v_lshrrev_b32_e32 v7, 2, v7
	v_or_b32_e32 v8, v8, v10
	v_add_u32_e32 v7, v7, v8
	v_cmp_gt_i32_e32 vcc, 31, v9
	v_cndmask_b32_e32 v6, v6, v7, vcc
	v_cmp_eq_u32_e32 vcc, s20, v9
	v_lshrrev_b32_e32 v5, 16, v5
	v_cndmask_b32_e32 v4, v6, v4, vcc
	v_and_or_b32 v4, v5, s21, v4
	s_mov_b64 s[18:19], 0
	s_branch .LBB126_1448
.LBB126_1446:
	s_mov_b64 s[18:19], -1
                                        ; implicit-def: $vgpr4
	s_branch .LBB126_1451
.LBB126_1447:
	s_mov_b64 s[18:19], -1
                                        ; implicit-def: $vgpr4
.LBB126_1448:
	s_andn2_b64 vcc, exec, s[18:19]
	s_cbranch_vccnz .LBB126_1450
; %bb.1449:
	global_load_dword v4, v[0:1], off
	s_waitcnt vmcnt(0)
	v_cvt_f16_f32_e32 v4, v4
.LBB126_1450:
	s_mov_b64 s[18:19], 0
.LBB126_1451:
	s_andn2_b64 vcc, exec, s[18:19]
	s_cbranch_vccnz .LBB126_1453
; %bb.1452:
	global_load_ushort v4, v[0:1], off
.LBB126_1453:
	s_cbranch_execnz .LBB126_1472
.LBB126_1454:
	s_sext_i32_i16 s18, s34
	s_cmp_lt_i32 s18, 2
	s_cbranch_scc1 .LBB126_1458
; %bb.1455:
	s_cmp_lt_i32 s18, 3
	s_cbranch_scc1 .LBB126_1459
; %bb.1456:
	s_cmp_gt_i32 s18, 3
	s_cbranch_scc0 .LBB126_1460
; %bb.1457:
	global_load_dwordx2 v[4:5], v[0:1], off
	s_mov_b64 s[18:19], 0
	s_waitcnt vmcnt(0)
	v_xor_b32_e32 v7, v4, v5
	v_ffbh_i32_e32 v6, v5
	v_ashrrev_i32_e32 v7, 31, v7
	v_add_u32_e32 v6, -1, v6
	v_add_u32_e32 v7, 32, v7
	v_min_u32_e32 v6, v6, v7
	v_lshlrev_b64 v[4:5], v6, v[4:5]
	v_min_u32_e32 v4, 1, v4
	v_or_b32_e32 v4, v5, v4
	v_cvt_f32_i32_e32 v4, v4
	v_sub_u32_e32 v5, 32, v6
	v_ldexp_f32 v4, v4, v5
	v_cvt_f16_f32_e32 v4, v4
	s_branch .LBB126_1461
.LBB126_1458:
                                        ; implicit-def: $vgpr4
	s_branch .LBB126_1467
.LBB126_1459:
	s_mov_b64 s[18:19], -1
                                        ; implicit-def: $vgpr4
	s_branch .LBB126_1464
.LBB126_1460:
	s_mov_b64 s[18:19], -1
                                        ; implicit-def: $vgpr4
.LBB126_1461:
	s_andn2_b64 vcc, exec, s[18:19]
	s_cbranch_vccnz .LBB126_1463
; %bb.1462:
	global_load_dword v4, v[0:1], off
	s_waitcnt vmcnt(0)
	v_cvt_f32_i32_e32 v4, v4
	v_cvt_f16_f32_e32 v4, v4
.LBB126_1463:
	s_mov_b64 s[18:19], 0
.LBB126_1464:
	s_andn2_b64 vcc, exec, s[18:19]
	s_cbranch_vccnz .LBB126_1466
; %bb.1465:
	global_load_ushort v4, v[0:1], off
	s_waitcnt vmcnt(0)
	v_cvt_f16_i16_e32 v4, v4
.LBB126_1466:
	s_cbranch_execnz .LBB126_1472
.LBB126_1467:
	s_sext_i32_i16 s18, s34
	s_cmp_gt_i32 s18, 0
	s_cbranch_scc0 .LBB126_1469
; %bb.1468:
	global_load_sbyte v4, v[0:1], off
	s_mov_b64 s[18:19], 0
	s_waitcnt vmcnt(0)
	v_cvt_f16_i16_e32 v4, v4
	s_branch .LBB126_1470
.LBB126_1469:
	s_mov_b64 s[18:19], -1
                                        ; implicit-def: $vgpr4
.LBB126_1470:
	s_andn2_b64 vcc, exec, s[18:19]
	s_cbranch_vccnz .LBB126_1472
; %bb.1471:
	global_load_ubyte v0, v[0:1], off
	s_waitcnt vmcnt(0)
	v_cvt_f16_u16_e32 v4, v0
.LBB126_1472:
	s_or_b64 s[24:25], s[24:25], exec
.LBB126_1473:
	s_or_b64 exec, exec, s[0:1]
	s_mov_b64 s[28:29], 0
	s_mov_b64 s[26:27], 0
                                        ; implicit-def: $sgpr18_sgpr19
                                        ; implicit-def: $sgpr34
                                        ; implicit-def: $vgpr0_vgpr1
	s_and_saveexec_b64 s[20:21], s[24:25]
	s_cbranch_execz .LBB126_1478
; %bb.1474:
	s_cmp_lt_i32 s15, 1
	s_mov_b64 s[0:1], 0
	s_cbranch_scc1 .LBB126_1481
; %bb.1475:
	s_cmp_gt_i32 s15, 1
	s_cbranch_scc0 .LBB126_1482
; %bb.1476:
	s_cmp_eq_u32 s15, 2
	s_cbranch_scc0 .LBB126_1483
; %bb.1477:
	s_waitcnt vmcnt(0)
	v_cmp_le_f16_e64 s[18:19], v3, v4
	s_mov_b64 s[24:25], 0
	s_branch .LBB126_1485
.LBB126_1478:
	s_or_b64 exec, exec, s[20:21]
	s_and_saveexec_b64 s[0:1], s[16:17]
	s_cbranch_execnz .LBB126_1570
.LBB126_1479:
	s_or_b64 exec, exec, s[0:1]
	s_and_saveexec_b64 s[0:1], s[28:29]
	s_xor_b64 s[0:1], exec, s[0:1]
	s_cbranch_execz .LBB126_1571
.LBB126_1480:
	v_cndmask_b32_e64 v2, 0, 1, s[18:19]
	global_store_byte v[0:1], v2, off
	s_or_b64 exec, exec, s[0:1]
	s_and_saveexec_b64 s[0:1], s[26:27]
	s_xor_b64 s[0:1], exec, s[0:1]
	s_cbranch_execz .LBB126_1609
	s_branch .LBB126_1572
.LBB126_1481:
                                        ; implicit-def: $sgpr18_sgpr19
	s_mov_b64 s[24:25], 0
	s_cbranch_execnz .LBB126_1488
	s_branch .LBB126_1489
.LBB126_1482:
	s_mov_b64 s[26:27], -1
	s_mov_b64 s[24:25], 0
	s_branch .LBB126_1484
.LBB126_1483:
	s_mov_b64 s[24:25], -1
.LBB126_1484:
                                        ; implicit-def: $sgpr18_sgpr19
.LBB126_1485:
	s_and_b64 vcc, exec, s[26:27]
	s_cbranch_vccz .LBB126_1487
; %bb.1486:
	s_waitcnt vmcnt(0)
	v_cmp_gt_f16_e32 vcc, v3, v4
	s_andn2_b64 s[18:19], s[18:19], exec
	s_and_b64 s[26:27], vcc, exec
	s_or_b64 s[18:19], s[18:19], s[26:27]
.LBB126_1487:
	s_branch .LBB126_1489
.LBB126_1488:
	s_cmp_lg_u32 s15, 0
	s_mov_b64 s[0:1], -1
	s_cselect_b64 s[24:25], -1, 0
.LBB126_1489:
	s_andn2_b64 vcc, exec, s[24:25]
	s_cbranch_vccnz .LBB126_1491
; %bb.1490:
	s_waitcnt vmcnt(0)
	v_cmp_lt_f16_e32 vcc, v3, v4
	s_andn2_b64 s[18:19], s[18:19], exec
	s_and_b64 s[24:25], vcc, exec
	s_or_b64 s[18:19], s[18:19], s[24:25]
	s_cbranch_execz .LBB126_1492
	s_branch .LBB126_1493
.LBB126_1491:
	s_andn2_b64 vcc, exec, s[0:1]
	s_cbranch_vccnz .LBB126_1493
.LBB126_1492:
	s_waitcnt vmcnt(0)
	v_cmp_ge_f16_e32 vcc, v3, v4
	s_andn2_b64 s[0:1], s[18:19], exec
	s_and_b64 s[18:19], vcc, exec
	s_or_b64 s[18:19], s[0:1], s[18:19]
.LBB126_1493:
	v_mul_lo_u32 v0, v2, s12
	v_mov_b32_e32 v1, s9
	s_and_b32 s34, s33, 0xff
	s_cmp_lt_i32 s34, 11
	v_ashrrev_i32_e32 v2, 31, v0
	v_add_co_u32_e32 v0, vcc, s8, v0
	v_addc_co_u32_e32 v1, vcc, v1, v2, vcc
	s_cbranch_scc1 .LBB126_1567
; %bb.1494:
	s_and_b32 s35, 0xffff, s34
	s_mov_b64 s[26:27], -1
	s_cmp_gt_i32 s35, 25
	s_mov_b64 s[0:1], s[16:17]
	s_cbranch_scc0 .LBB126_1527
; %bb.1495:
	s_mov_b64 s[24:25], -1
	s_cmp_gt_i32 s35, 28
	s_mov_b64 s[0:1], s[16:17]
	s_cbranch_scc0 .LBB126_1511
; %bb.1496:
	s_cmp_gt_i32 s35, 43
	s_mov_b64 s[0:1], s[16:17]
	s_cbranch_scc0 .LBB126_1507
; %bb.1497:
	;; [unrolled: 4-line block ×3, first 2 shown]
	s_cmp_eq_u32 s35, 46
	s_mov_b64 s[0:1], -1
	s_cbranch_scc0 .LBB126_1500
; %bb.1499:
	v_cndmask_b32_e64 v2, 0, 1.0, s[18:19]
	s_waitcnt vmcnt(0)
	v_bfe_u32 v3, v2, 16, 1
	s_movk_i32 s0, 0x7fff
	v_add3_u32 v2, v2, v3, s0
	v_lshrrev_b32_e32 v2, 16, v2
	global_store_dword v[0:1], v2, off
	s_mov_b64 s[0:1], 0
.LBB126_1500:
	s_mov_b64 s[24:25], 0
.LBB126_1501:
	s_and_b64 vcc, exec, s[24:25]
	s_cbranch_vccz .LBB126_1506
; %bb.1502:
	s_cmp_eq_u32 s35, 44
	s_mov_b64 s[0:1], -1
	s_cbranch_scc0 .LBB126_1506
; %bb.1503:
	s_waitcnt vmcnt(0)
	v_cndmask_b32_e64 v3, 0, 1.0, s[18:19]
	v_lshrrev_b32_e32 v2, 23, v3
	s_movk_i32 s0, 0xff
	v_cmp_ne_u32_e32 vcc, s0, v2
	v_mov_b32_e32 v4, 0xff
	s_and_saveexec_b64 s[24:25], vcc
; %bb.1504:
	s_mov_b32 s0, 0x3fffff
	v_and_b32_e32 v4, 0x400000, v3
	v_and_or_b32 v3, v3, s0, v2
	v_cmp_ne_u32_e32 vcc, 0, v4
	v_cmp_ne_u32_e64 s[0:1], 0, v3
	s_and_b64 s[0:1], vcc, s[0:1]
	v_cndmask_b32_e64 v3, 0, 1, s[0:1]
	v_add_u32_e32 v4, v2, v3
; %bb.1505:
	s_or_b64 exec, exec, s[24:25]
	s_mov_b64 s[0:1], 0
	global_store_byte v[0:1], v4, off
.LBB126_1506:
	s_mov_b64 s[24:25], 0
.LBB126_1507:
	s_and_b64 vcc, exec, s[24:25]
	s_cbranch_vccz .LBB126_1510
; %bb.1508:
	s_cmp_eq_u32 s35, 29
	s_mov_b64 s[0:1], -1
	s_cbranch_scc0 .LBB126_1510
; %bb.1509:
	s_mov_b32 s0, 0
	v_cndmask_b32_e64 v2, 0, 1, s[18:19]
	s_waitcnt vmcnt(0)
	v_mov_b32_e32 v3, s0
	global_store_dwordx2 v[0:1], v[2:3], off
	s_mov_b64 s[0:1], 0
.LBB126_1510:
	s_mov_b64 s[24:25], 0
.LBB126_1511:
	s_and_b64 vcc, exec, s[24:25]
	s_cbranch_vccz .LBB126_1526
; %bb.1512:
	s_cmp_lt_i32 s35, 27
	s_mov_b64 s[24:25], -1
	s_cbranch_scc1 .LBB126_1518
; %bb.1513:
	s_cmp_gt_i32 s35, 27
	v_cndmask_b32_e64 v2, 0, 1, s[18:19]
	s_cbranch_scc0 .LBB126_1515
; %bb.1514:
	s_mov_b64 s[24:25], 0
	global_store_dword v[0:1], v2, off
.LBB126_1515:
	s_andn2_b64 vcc, exec, s[24:25]
	s_cbranch_vccnz .LBB126_1517
; %bb.1516:
	global_store_short v[0:1], v2, off
.LBB126_1517:
	s_mov_b64 s[24:25], 0
.LBB126_1518:
	s_andn2_b64 vcc, exec, s[24:25]
	s_cbranch_vccnz .LBB126_1526
; %bb.1519:
	s_waitcnt vmcnt(0)
	v_cndmask_b32_e64 v3, 0, 1.0, s[18:19]
	s_mov_b32 s24, 0x43800000
	v_cmp_gt_u32_e32 vcc, s24, v3
	v_mov_b32_e32 v4, 0x80
	s_and_saveexec_b64 s[24:25], vcc
	s_cbranch_execz .LBB126_1525
; %bb.1520:
	s_mov_b32 s26, 0x3bffffff
	v_cmp_lt_u32_e32 vcc, s26, v3
	s_mov_b64 s[26:27], 0
                                        ; implicit-def: $vgpr2
	s_and_saveexec_b64 s[28:29], vcc
	s_xor_b64 s[28:29], exec, s[28:29]
	s_cbranch_execz .LBB126_1624
; %bb.1521:
	v_bfe_u32 v2, v3, 20, 1
	s_mov_b32 s30, 0x487ffff
	v_add3_u32 v2, v3, v2, s30
	s_mov_b64 s[26:27], exec
	v_lshrrev_b32_e32 v2, 20, v2
                                        ; implicit-def: $vgpr3
	s_andn2_saveexec_b64 s[28:29], s[28:29]
	s_cbranch_execnz .LBB126_1625
.LBB126_1522:
	s_or_b64 exec, exec, s[28:29]
	v_mov_b32_e32 v4, 0
	s_and_saveexec_b64 s[28:29], s[26:27]
.LBB126_1523:
	v_mov_b32_e32 v4, v2
.LBB126_1524:
	s_or_b64 exec, exec, s[28:29]
.LBB126_1525:
	s_or_b64 exec, exec, s[24:25]
	global_store_byte v[0:1], v4, off
.LBB126_1526:
	s_mov_b64 s[26:27], 0
.LBB126_1527:
	s_mov_b64 s[24:25], 0
	s_and_b64 vcc, exec, s[26:27]
	s_cbranch_vccz .LBB126_1568
; %bb.1528:
	s_cmp_gt_i32 s35, 22
	s_mov_b64 s[26:27], -1
	s_cbranch_scc0 .LBB126_1560
; %bb.1529:
	s_cmp_lt_i32 s35, 24
	s_cbranch_scc1 .LBB126_1549
; %bb.1530:
	s_cmp_gt_i32 s35, 24
	s_cbranch_scc0 .LBB126_1538
; %bb.1531:
	s_waitcnt vmcnt(0)
	v_cndmask_b32_e64 v3, 0, 1.0, s[18:19]
	s_mov_b32 s26, 0x47800000
	v_cmp_gt_u32_e32 vcc, s26, v3
	v_mov_b32_e32 v4, 0x80
	s_and_saveexec_b64 s[26:27], vcc
	s_cbranch_execz .LBB126_1537
; %bb.1532:
	s_mov_b32 s28, 0x37ffffff
	v_cmp_lt_u32_e32 vcc, s28, v3
	s_mov_b64 s[28:29], 0
                                        ; implicit-def: $vgpr2
	s_and_saveexec_b64 s[30:31], vcc
	s_xor_b64 s[30:31], exec, s[30:31]
	s_cbranch_execz .LBB126_1749
; %bb.1533:
	v_bfe_u32 v2, v3, 21, 1
	s_mov_b32 s36, 0x88fffff
	v_add3_u32 v2, v3, v2, s36
	s_mov_b64 s[28:29], exec
	v_lshrrev_b32_e32 v2, 21, v2
                                        ; implicit-def: $vgpr3
	s_andn2_saveexec_b64 s[30:31], s[30:31]
	s_cbranch_execnz .LBB126_1750
.LBB126_1534:
	s_or_b64 exec, exec, s[30:31]
	v_mov_b32_e32 v4, 0
	s_and_saveexec_b64 s[30:31], s[28:29]
.LBB126_1535:
	v_mov_b32_e32 v4, v2
.LBB126_1536:
	s_or_b64 exec, exec, s[30:31]
.LBB126_1537:
	s_or_b64 exec, exec, s[26:27]
	s_mov_b64 s[26:27], 0
	global_store_byte v[0:1], v4, off
.LBB126_1538:
	s_and_b64 vcc, exec, s[26:27]
	s_cbranch_vccz .LBB126_1548
; %bb.1539:
	v_cndmask_b32_e64 v2, 0, 1.0, s[18:19]
	s_mov_b32 s26, 0x43f00000
	v_cmp_gt_u32_e32 vcc, s26, v2
                                        ; implicit-def: $vgpr3
	s_and_saveexec_b64 s[26:27], vcc
	s_xor_b64 s[26:27], exec, s[26:27]
	s_cbranch_execz .LBB126_1545
; %bb.1540:
	s_mov_b32 s28, 0x3c7fffff
	v_cmp_lt_u32_e32 vcc, s28, v2
                                        ; implicit-def: $vgpr3
	s_and_saveexec_b64 s[28:29], vcc
	s_xor_b64 s[28:29], exec, s[28:29]
	s_cbranch_execz .LBB126_1542
; %bb.1541:
	s_waitcnt vmcnt(0)
	v_bfe_u32 v3, v2, 20, 1
	s_mov_b32 s30, 0x407ffff
	v_add3_u32 v2, v2, v3, s30
	v_lshrrev_b32_e32 v3, 20, v2
	v_and_b32_e32 v2, 0xff00000, v2
	s_mov_b32 s30, 0x7f00000
	v_mov_b32_e32 v4, 0x7e
	v_cmp_ne_u32_e32 vcc, s30, v2
	v_cndmask_b32_e32 v3, v4, v3, vcc
                                        ; implicit-def: $vgpr2
.LBB126_1542:
	s_andn2_saveexec_b64 s[28:29], s[28:29]
	s_cbranch_execz .LBB126_1544
; %bb.1543:
	s_waitcnt vmcnt(0)
	v_add_f32_e32 v3, 0x46800000, v2
.LBB126_1544:
	s_or_b64 exec, exec, s[28:29]
                                        ; implicit-def: $vgpr2
.LBB126_1545:
	s_andn2_saveexec_b64 s[26:27], s[26:27]
	s_cbranch_execz .LBB126_1547
; %bb.1546:
	s_mov_b32 s28, 0x7f800000
	s_waitcnt vmcnt(0)
	v_mov_b32_e32 v3, 0x7e
	v_mov_b32_e32 v4, 0x7f
	v_cmp_lt_u32_e32 vcc, s28, v2
	v_cndmask_b32_e32 v3, v3, v4, vcc
.LBB126_1547:
	s_or_b64 exec, exec, s[26:27]
	s_waitcnt vmcnt(0)
	global_store_byte v[0:1], v3, off
.LBB126_1548:
	s_mov_b64 s[26:27], 0
.LBB126_1549:
	s_andn2_b64 vcc, exec, s[26:27]
	s_cbranch_vccnz .LBB126_1559
; %bb.1550:
	v_cndmask_b32_e64 v2, 0, 1.0, s[18:19]
	s_mov_b32 s26, 0x47800000
	v_cmp_gt_u32_e32 vcc, s26, v2
                                        ; implicit-def: $vgpr3
	s_and_saveexec_b64 s[26:27], vcc
	s_xor_b64 s[26:27], exec, s[26:27]
	s_cbranch_execz .LBB126_1556
; %bb.1551:
	s_mov_b32 s28, 0x387fffff
	v_cmp_lt_u32_e32 vcc, s28, v2
                                        ; implicit-def: $vgpr3
	s_and_saveexec_b64 s[28:29], vcc
	s_xor_b64 s[28:29], exec, s[28:29]
	s_cbranch_execz .LBB126_1553
; %bb.1552:
	s_waitcnt vmcnt(0)
	v_bfe_u32 v3, v2, 21, 1
	s_mov_b32 s30, 0x80fffff
	v_add3_u32 v2, v2, v3, s30
	v_lshrrev_b32_e32 v3, 21, v2
                                        ; implicit-def: $vgpr2
.LBB126_1553:
	s_andn2_saveexec_b64 s[28:29], s[28:29]
	s_cbranch_execz .LBB126_1555
; %bb.1554:
	s_waitcnt vmcnt(0)
	v_add_f32_e32 v3, 0x43000000, v2
.LBB126_1555:
	s_or_b64 exec, exec, s[28:29]
                                        ; implicit-def: $vgpr2
.LBB126_1556:
	s_andn2_saveexec_b64 s[26:27], s[26:27]
	s_cbranch_execz .LBB126_1558
; %bb.1557:
	s_mov_b32 s28, 0x7f800000
	s_waitcnt vmcnt(0)
	v_mov_b32_e32 v3, 0x7c
	v_mov_b32_e32 v4, 0x7f
	v_cmp_lt_u32_e32 vcc, s28, v2
	v_cndmask_b32_e32 v3, v3, v4, vcc
.LBB126_1558:
	s_or_b64 exec, exec, s[26:27]
	s_waitcnt vmcnt(0)
	global_store_byte v[0:1], v3, off
.LBB126_1559:
	s_mov_b64 s[26:27], 0
.LBB126_1560:
	s_andn2_b64 vcc, exec, s[26:27]
	s_mov_b64 s[28:29], 0
	s_cbranch_vccnz .LBB126_1569
; %bb.1561:
	s_cmp_gt_i32 s35, 14
	s_mov_b64 s[26:27], -1
	s_cbranch_scc0 .LBB126_1565
; %bb.1562:
	s_cmp_eq_u32 s35, 15
	s_mov_b64 s[0:1], -1
	s_cbranch_scc0 .LBB126_1564
; %bb.1563:
	v_cndmask_b32_e64 v2, 0, 1.0, s[18:19]
	s_waitcnt vmcnt(0)
	v_bfe_u32 v3, v2, 16, 1
	s_movk_i32 s0, 0x7fff
	v_add3_u32 v2, v2, v3, s0
	global_store_short_d16_hi v[0:1], v2, off
	s_mov_b64 s[0:1], 0
.LBB126_1564:
	s_mov_b64 s[26:27], 0
.LBB126_1565:
	s_and_b64 vcc, exec, s[26:27]
	s_cbranch_vccz .LBB126_1569
; %bb.1566:
	s_cmp_lg_u32 s35, 11
	s_cselect_b64 s[26:27], -1, 0
	s_andn2_b64 s[0:1], s[0:1], exec
	s_and_b64 s[26:27], s[26:27], exec
	s_mov_b64 s[28:29], -1
	s_or_b64 s[0:1], s[0:1], s[26:27]
	s_branch .LBB126_1569
.LBB126_1567:
	s_mov_b64 s[24:25], -1
	s_mov_b64 s[0:1], s[16:17]
	s_branch .LBB126_1569
.LBB126_1568:
	s_mov_b64 s[28:29], 0
.LBB126_1569:
	s_andn2_b64 s[16:17], s[16:17], exec
	s_and_b64 s[0:1], s[0:1], exec
	s_and_b64 s[26:27], s[24:25], exec
	s_and_b64 s[28:29], s[28:29], exec
	s_or_b64 s[16:17], s[16:17], s[0:1]
	s_or_b64 exec, exec, s[20:21]
	s_and_saveexec_b64 s[0:1], s[16:17]
	s_cbranch_execz .LBB126_1479
.LBB126_1570:
	s_or_b64 s[22:23], s[22:23], exec
	s_andn2_b64 s[28:29], s[28:29], exec
	s_trap 2
	s_or_b64 exec, exec, s[0:1]
	s_and_saveexec_b64 s[0:1], s[28:29]
	s_xor_b64 s[0:1], exec, s[0:1]
	s_cbranch_execnz .LBB126_1480
.LBB126_1571:
	s_or_b64 exec, exec, s[0:1]
	s_and_saveexec_b64 s[0:1], s[26:27]
	s_xor_b64 s[0:1], exec, s[0:1]
	s_cbranch_execz .LBB126_1609
.LBB126_1572:
	s_sext_i32_i16 s20, s34
	s_cmp_lt_i32 s20, 5
	s_mov_b64 s[16:17], -1
	s_cbranch_scc1 .LBB126_1593
; %bb.1573:
	s_cmp_lt_i32 s20, 8
	s_cbranch_scc1 .LBB126_1583
; %bb.1574:
	s_cmp_lt_i32 s20, 9
	s_cbranch_scc1 .LBB126_1580
; %bb.1575:
	s_cmp_gt_i32 s20, 9
	s_cbranch_scc0 .LBB126_1577
; %bb.1576:
	v_cndmask_b32_e64 v2, 0, 1, s[18:19]
	s_waitcnt vmcnt(0)
	v_cvt_f64_u32_e32 v[2:3], v2
	v_mov_b32_e32 v4, 0
	v_mov_b32_e32 v5, v4
	s_mov_b64 s[16:17], 0
	global_store_dwordx4 v[0:1], v[2:5], off
.LBB126_1577:
	s_andn2_b64 vcc, exec, s[16:17]
	s_cbranch_vccnz .LBB126_1579
; %bb.1578:
	v_cndmask_b32_e64 v2, 0, 1.0, s[18:19]
	s_waitcnt vmcnt(0)
	v_mov_b32_e32 v3, 0
	global_store_dwordx2 v[0:1], v[2:3], off
.LBB126_1579:
	s_mov_b64 s[16:17], 0
.LBB126_1580:
	s_andn2_b64 vcc, exec, s[16:17]
	s_cbranch_vccnz .LBB126_1582
; %bb.1581:
	v_cndmask_b32_e64 v2, 0, 1.0, s[18:19]
	v_cvt_f16_f32_e32 v2, v2
	global_store_dword v[0:1], v2, off
.LBB126_1582:
	s_mov_b64 s[16:17], 0
.LBB126_1583:
	s_andn2_b64 vcc, exec, s[16:17]
	s_cbranch_vccnz .LBB126_1592
; %bb.1584:
	s_sext_i32_i16 s20, s34
	s_cmp_lt_i32 s20, 6
	s_mov_b64 s[16:17], -1
	s_cbranch_scc1 .LBB126_1590
; %bb.1585:
	s_cmp_gt_i32 s20, 6
	s_cbranch_scc0 .LBB126_1587
; %bb.1586:
	v_cndmask_b32_e64 v2, 0, 1, s[18:19]
	s_waitcnt vmcnt(0)
	v_cvt_f64_u32_e32 v[2:3], v2
	s_mov_b64 s[16:17], 0
	global_store_dwordx2 v[0:1], v[2:3], off
.LBB126_1587:
	s_andn2_b64 vcc, exec, s[16:17]
	s_cbranch_vccnz .LBB126_1589
; %bb.1588:
	v_cndmask_b32_e64 v2, 0, 1.0, s[18:19]
	global_store_dword v[0:1], v2, off
.LBB126_1589:
	s_mov_b64 s[16:17], 0
.LBB126_1590:
	s_andn2_b64 vcc, exec, s[16:17]
	s_cbranch_vccnz .LBB126_1592
; %bb.1591:
	v_cndmask_b32_e64 v2, 0, 1.0, s[18:19]
	v_cvt_f16_f32_e32 v2, v2
	global_store_short v[0:1], v2, off
.LBB126_1592:
	s_mov_b64 s[16:17], 0
.LBB126_1593:
	s_andn2_b64 vcc, exec, s[16:17]
	s_cbranch_vccnz .LBB126_1609
; %bb.1594:
	s_sext_i32_i16 s20, s34
	s_cmp_lt_i32 s20, 2
	s_mov_b64 s[16:17], -1
	s_cbranch_scc1 .LBB126_1604
; %bb.1595:
	s_cmp_lt_i32 s20, 3
	s_cbranch_scc1 .LBB126_1601
; %bb.1596:
	s_cmp_gt_i32 s20, 3
	s_cbranch_scc0 .LBB126_1598
; %bb.1597:
	s_mov_b32 s16, 0
	v_cndmask_b32_e64 v2, 0, 1, s[18:19]
	s_waitcnt vmcnt(0)
	v_mov_b32_e32 v3, s16
	s_mov_b64 s[16:17], 0
	global_store_dwordx2 v[0:1], v[2:3], off
.LBB126_1598:
	s_andn2_b64 vcc, exec, s[16:17]
	s_cbranch_vccnz .LBB126_1600
; %bb.1599:
	v_cndmask_b32_e64 v2, 0, 1, s[18:19]
	global_store_dword v[0:1], v2, off
.LBB126_1600:
	s_mov_b64 s[16:17], 0
.LBB126_1601:
	s_andn2_b64 vcc, exec, s[16:17]
	s_cbranch_vccnz .LBB126_1603
; %bb.1602:
	v_cndmask_b32_e64 v2, 0, 1, s[18:19]
	global_store_short v[0:1], v2, off
.LBB126_1603:
	s_mov_b64 s[16:17], 0
.LBB126_1604:
	s_andn2_b64 vcc, exec, s[16:17]
	s_cbranch_vccnz .LBB126_1609
; %bb.1605:
	s_sext_i32_i16 s20, s34
	s_mov_b64 s[16:17], -1
	s_cmp_gt_i32 s20, 0
	v_cndmask_b32_e64 v2, 0, 1, s[18:19]
	s_cbranch_scc0 .LBB126_1607
; %bb.1606:
	s_mov_b64 s[16:17], 0
	global_store_byte v[0:1], v2, off
.LBB126_1607:
	s_andn2_b64 vcc, exec, s[16:17]
	s_cbranch_vccnz .LBB126_1609
; %bb.1608:
	global_store_byte v[0:1], v2, off
.LBB126_1609:
	s_or_b64 exec, exec, s[0:1]
	s_and_b64 s[16:17], s[22:23], exec
                                        ; implicit-def: $vgpr2
.LBB126_1610:
	s_or_saveexec_b64 s[6:7], s[6:7]
	s_mov_b64 s[0:1], 0
                                        ; implicit-def: $sgpr24_sgpr25
                                        ; implicit-def: $sgpr28
                                        ; implicit-def: $vgpr0_vgpr1
	s_xor_b64 exec, exec, s[6:7]
	s_cbranch_execz .LBB126_2702
; %bb.1611:
	s_waitcnt vmcnt(0)
	v_mul_lo_u32 v3, s13, v2
	v_mov_b32_e32 v1, s11
	s_and_b32 s30, s55, 0xff
	s_cmp_lt_i32 s30, 11
	v_ashrrev_i32_e32 v4, 31, v3
	v_add_co_u32_e32 v0, vcc, s10, v3
	v_addc_co_u32_e32 v1, vcc, v1, v4, vcc
	s_cbranch_scc1 .LBB126_1618
; %bb.1612:
	s_and_b32 s24, 0xffff, s30
	s_cmp_gt_i32 s24, 25
	s_cbranch_scc0 .LBB126_1620
; %bb.1613:
	s_cmp_gt_i32 s24, 28
	s_cbranch_scc0 .LBB126_1621
; %bb.1614:
	;; [unrolled: 3-line block ×4, first 2 shown]
	s_cmp_eq_u32 s24, 46
	s_mov_b64 s[18:19], 0
	s_cbranch_scc0 .LBB126_1626
; %bb.1617:
	global_load_dword v4, v[0:1], off
	s_mov_b64 s[20:21], -1
	s_waitcnt vmcnt(0)
	v_lshlrev_b32_e32 v4, 16, v4
	v_cvt_f16_f32_e32 v5, v4
	s_branch .LBB126_1627
.LBB126_1618:
	s_mov_b64 s[20:21], 0
                                        ; implicit-def: $vgpr5
	s_mov_b64 s[18:19], s[16:17]
	s_cbranch_execnz .LBB126_1690
.LBB126_1619:
	s_andn2_b64 vcc, exec, s[20:21]
	s_cbranch_vccz .LBB126_1735
	s_branch .LBB126_2699
.LBB126_1620:
	s_mov_b64 s[20:21], 0
                                        ; implicit-def: $vgpr5
	s_cbranch_execnz .LBB126_1655
	s_branch .LBB126_1686
.LBB126_1621:
	s_mov_b64 s[18:19], -1
	s_mov_b64 s[20:21], 0
                                        ; implicit-def: $vgpr5
	s_branch .LBB126_1636
.LBB126_1622:
	s_mov_b64 s[20:21], 0
                                        ; implicit-def: $vgpr5
	s_cbranch_execnz .LBB126_1632
	s_branch .LBB126_1635
.LBB126_1623:
	s_mov_b64 s[18:19], -1
	s_mov_b64 s[20:21], 0
                                        ; implicit-def: $vgpr5
	s_branch .LBB126_1627
.LBB126_1624:
	s_andn2_saveexec_b64 s[28:29], s[28:29]
	s_cbranch_execz .LBB126_1522
.LBB126_1625:
	v_add_f32_e32 v2, 0x46000000, v3
	v_and_b32_e32 v2, 0xff, v2
	v_cmp_ne_u32_e32 vcc, 0, v2
	s_andn2_b64 s[26:27], s[26:27], exec
	s_and_b64 s[30:31], vcc, exec
	s_or_b64 s[26:27], s[26:27], s[30:31]
	s_or_b64 exec, exec, s[28:29]
	v_mov_b32_e32 v4, 0
	s_and_saveexec_b64 s[28:29], s[26:27]
	s_cbranch_execnz .LBB126_1523
	s_branch .LBB126_1524
.LBB126_1626:
	s_mov_b64 s[0:1], -1
                                        ; implicit-def: $vgpr5
	s_mov_b64 s[20:21], 0
.LBB126_1627:
	s_and_b64 vcc, exec, s[18:19]
	s_cbranch_vccz .LBB126_1630
; %bb.1628:
	s_cmp_eq_u32 s24, 44
	s_cbranch_scc0 .LBB126_1631
; %bb.1629:
	global_load_ubyte v4, v[0:1], off
	s_movk_i32 s18, 0xff
	v_mov_b32_e32 v6, 0x7e00
	s_mov_b64 s[0:1], 0
	s_mov_b64 s[20:21], -1
	s_waitcnt vmcnt(0)
	v_lshlrev_b32_e32 v5, 23, v4
	v_cvt_f16_f32_e32 v5, v5
	v_cmp_ne_u32_e32 vcc, s18, v4
	v_cndmask_b32_e32 v5, v6, v5, vcc
	v_cmp_ne_u32_e32 vcc, 0, v4
	v_cndmask_b32_e32 v5, 0, v5, vcc
.LBB126_1630:
	s_branch .LBB126_1635
.LBB126_1631:
	s_mov_b64 s[0:1], -1
                                        ; implicit-def: $vgpr5
	s_branch .LBB126_1635
.LBB126_1632:
	s_cmp_eq_u32 s24, 29
	s_cbranch_scc0 .LBB126_1634
; %bb.1633:
	global_load_dwordx2 v[4:5], v[0:1], off
	s_mov_b64 s[0:1], 0
	s_mov_b64 s[20:21], -1
	s_mov_b64 s[18:19], 0
	s_waitcnt vmcnt(0)
	v_ffbh_u32_e32 v6, v5
	v_min_u32_e32 v6, 32, v6
	v_lshlrev_b64 v[4:5], v6, v[4:5]
	v_min_u32_e32 v4, 1, v4
	v_or_b32_e32 v4, v5, v4
	v_cvt_f32_u32_e32 v4, v4
	v_sub_u32_e32 v5, 32, v6
	v_ldexp_f32 v4, v4, v5
	v_cvt_f16_f32_e32 v5, v4
	s_branch .LBB126_1636
.LBB126_1634:
	s_mov_b64 s[0:1], -1
                                        ; implicit-def: $vgpr5
.LBB126_1635:
	s_mov_b64 s[18:19], 0
.LBB126_1636:
	s_and_b64 vcc, exec, s[18:19]
	s_cbranch_vccz .LBB126_1654
; %bb.1637:
	s_cmp_lt_i32 s24, 27
	s_cbranch_scc1 .LBB126_1640
; %bb.1638:
	s_cmp_gt_i32 s24, 27
	s_cbranch_scc0 .LBB126_1641
; %bb.1639:
	global_load_dword v4, v[0:1], off
	s_mov_b64 s[18:19], 0
	s_waitcnt vmcnt(0)
	v_cvt_f32_u32_e32 v4, v4
	v_cvt_f16_f32_e32 v5, v4
	s_branch .LBB126_1642
.LBB126_1640:
	s_mov_b64 s[18:19], -1
                                        ; implicit-def: $vgpr5
	s_branch .LBB126_1645
.LBB126_1641:
	s_mov_b64 s[18:19], -1
                                        ; implicit-def: $vgpr5
.LBB126_1642:
	s_andn2_b64 vcc, exec, s[18:19]
	s_cbranch_vccnz .LBB126_1644
; %bb.1643:
	global_load_ushort v4, v[0:1], off
	s_waitcnt vmcnt(0)
	v_cvt_f16_u16_e32 v5, v4
.LBB126_1644:
	s_mov_b64 s[18:19], 0
.LBB126_1645:
	s_andn2_b64 vcc, exec, s[18:19]
	s_cbranch_vccnz .LBB126_1653
; %bb.1646:
	global_load_ubyte v4, v[0:1], off
	s_movk_i32 s18, 0x7f
	s_waitcnt vmcnt(0)
	v_cmp_lt_i16_e32 vcc, s18, v4
	s_mov_b64 s[18:19], 0
	s_and_saveexec_b64 s[20:21], vcc
	s_xor_b64 s[20:21], exec, s[20:21]
	s_cbranch_execz .LBB126_1666
; %bb.1647:
	s_movk_i32 s18, 0x80
	v_cmp_eq_u16_e32 vcc, s18, v4
	s_mov_b64 s[18:19], -1
	s_and_saveexec_b64 s[22:23], vcc
; %bb.1648:
	s_xor_b64 s[18:19], exec, -1
; %bb.1649:
	s_or_b64 exec, exec, s[22:23]
	s_and_b64 s[18:19], s[18:19], exec
	s_or_saveexec_b64 s[20:21], s[20:21]
	v_mov_b32_e32 v5, 0x7e00
	s_xor_b64 exec, exec, s[20:21]
	s_cbranch_execnz .LBB126_1667
.LBB126_1650:
	s_or_b64 exec, exec, s[20:21]
	s_and_saveexec_b64 s[20:21], s[18:19]
	s_cbranch_execz .LBB126_1652
.LBB126_1651:
	v_lshlrev_b32_e32 v5, 24, v4
	v_and_b32_e32 v4, 0xffff, v4
	v_and_b32_e32 v6, 7, v4
	v_ffbh_u32_e32 v8, v6
	v_min_u32_e32 v8, 32, v8
	v_subrev_u32_e32 v9, 28, v8
	v_bfe_u32 v7, v4, 3, 4
	v_lshlrev_b32_e32 v4, v9, v4
	v_sub_u32_e32 v8, 29, v8
	v_and_b32_e32 v4, 7, v4
	v_cmp_eq_u32_e32 vcc, 0, v7
	v_cndmask_b32_e32 v7, v7, v8, vcc
	v_cndmask_b32_e32 v4, v6, v4, vcc
	v_mov_b32_e32 v6, 0x3b800000
	v_lshlrev_b32_e32 v4, 20, v4
	v_and_b32_e32 v5, 0x80000000, v5
	v_lshl_add_u32 v6, v7, 23, v6
	v_or3_b32 v4, v5, v6, v4
	v_cvt_f16_f32_e32 v5, v4
.LBB126_1652:
	s_or_b64 exec, exec, s[20:21]
.LBB126_1653:
	s_mov_b64 s[20:21], -1
.LBB126_1654:
	s_branch .LBB126_1686
.LBB126_1655:
	s_cmp_gt_i32 s24, 22
	s_cbranch_scc0 .LBB126_1665
; %bb.1656:
	s_cmp_lt_i32 s24, 24
	s_cbranch_scc1 .LBB126_1668
; %bb.1657:
	s_cmp_gt_i32 s24, 24
	s_cbranch_scc0 .LBB126_1669
; %bb.1658:
	global_load_ubyte v4, v[0:1], off
	s_movk_i32 s4, 0x7f
	s_waitcnt vmcnt(0)
	v_cmp_lt_i16_e32 vcc, s4, v4
	s_mov_b64 s[4:5], 0
	s_and_saveexec_b64 s[18:19], vcc
	s_xor_b64 s[18:19], exec, s[18:19]
	s_cbranch_execz .LBB126_1680
; %bb.1659:
	s_movk_i32 s4, 0x80
	v_cmp_eq_u16_e32 vcc, s4, v4
	s_mov_b64 s[4:5], -1
	s_and_saveexec_b64 s[20:21], vcc
; %bb.1660:
	s_xor_b64 s[4:5], exec, -1
; %bb.1661:
	s_or_b64 exec, exec, s[20:21]
	s_and_b64 s[4:5], s[4:5], exec
	s_or_saveexec_b64 s[18:19], s[18:19]
	v_mov_b32_e32 v5, 0x7e00
	s_xor_b64 exec, exec, s[18:19]
	s_cbranch_execnz .LBB126_1681
.LBB126_1662:
	s_or_b64 exec, exec, s[18:19]
	s_and_saveexec_b64 s[18:19], s[4:5]
	s_cbranch_execz .LBB126_1664
.LBB126_1663:
	v_lshlrev_b32_e32 v5, 24, v4
	v_and_b32_e32 v4, 0xffff, v4
	v_and_b32_e32 v6, 3, v4
	v_ffbh_u32_e32 v8, v6
	v_min_u32_e32 v8, 32, v8
	v_subrev_u32_e32 v9, 29, v8
	v_bfe_u32 v7, v4, 2, 5
	v_lshlrev_b32_e32 v4, v9, v4
	v_sub_u32_e32 v8, 30, v8
	v_and_b32_e32 v4, 3, v4
	v_cmp_eq_u32_e32 vcc, 0, v7
	v_cndmask_b32_e32 v7, v7, v8, vcc
	v_cndmask_b32_e32 v4, v6, v4, vcc
	v_mov_b32_e32 v6, 0x37800000
	v_lshlrev_b32_e32 v4, 21, v4
	v_and_b32_e32 v5, 0x80000000, v5
	v_lshl_add_u32 v6, v7, 23, v6
	v_or3_b32 v4, v5, v6, v4
	v_cvt_f16_f32_e32 v5, v4
.LBB126_1664:
	s_or_b64 exec, exec, s[18:19]
	s_mov_b64 s[4:5], 0
	s_branch .LBB126_1670
.LBB126_1665:
                                        ; implicit-def: $vgpr5
	s_mov_b64 s[4:5], 0
	s_branch .LBB126_1676
.LBB126_1666:
	s_or_saveexec_b64 s[20:21], s[20:21]
	v_mov_b32_e32 v5, 0x7e00
	s_xor_b64 exec, exec, s[20:21]
	s_cbranch_execz .LBB126_1650
.LBB126_1667:
	v_cmp_ne_u16_e32 vcc, 0, v4
	s_andn2_b64 s[18:19], s[18:19], exec
	s_and_b64 s[22:23], vcc, exec
	s_or_b64 s[18:19], s[18:19], s[22:23]
	v_mov_b32_e32 v5, v4
	s_or_b64 exec, exec, s[20:21]
	s_and_saveexec_b64 s[20:21], s[18:19]
	s_cbranch_execnz .LBB126_1651
	s_branch .LBB126_1652
.LBB126_1668:
	s_mov_b64 s[4:5], -1
                                        ; implicit-def: $vgpr5
	s_branch .LBB126_1673
.LBB126_1669:
	s_mov_b64 s[4:5], -1
                                        ; implicit-def: $vgpr5
.LBB126_1670:
	s_and_b64 vcc, exec, s[4:5]
	s_cbranch_vccz .LBB126_1672
; %bb.1671:
	global_load_ubyte v4, v[0:1], off
	s_mov_b32 s4, 0x7f800000
	s_waitcnt vmcnt(0)
	v_lshlrev_b32_e32 v4, 24, v4
	v_and_b32_e32 v5, 0x7f000000, v4
	v_ffbh_u32_e32 v6, v5
	v_min_u32_e32 v6, 32, v6
	v_sub_u32_e64 v6, v6, 4 clamp
	v_lshlrev_b32_e32 v8, v6, v5
	v_lshlrev_b32_e32 v6, 23, v6
	v_lshrrev_b32_e32 v8, 4, v8
	v_add_u32_e32 v7, 0x1000000, v5
	v_sub_u32_e32 v6, v8, v6
	v_ashrrev_i32_e32 v7, 8, v7
	v_add_u32_e32 v6, 0x3c000000, v6
	v_and_or_b32 v6, v7, s4, v6
	v_cmp_ne_u32_e32 vcc, 0, v5
	v_cndmask_b32_e32 v5, 0, v6, vcc
	s_brev_b32 s4, 1
	v_and_or_b32 v4, v4, s4, v5
	v_cvt_f16_f32_e32 v5, v4
.LBB126_1672:
	s_mov_b64 s[4:5], 0
.LBB126_1673:
	s_andn2_b64 vcc, exec, s[4:5]
	s_cbranch_vccnz .LBB126_1675
; %bb.1674:
	global_load_ubyte v4, v[0:1], off
	s_movk_i32 s4, 0x7f00
	s_brev_b32 s5, 16
	s_waitcnt vmcnt(0)
	v_lshlrev_b16_e32 v5, 8, v4
	v_lshlrev_b32_e32 v4, 25, v4
	v_lshrrev_b32_e32 v6, 4, v4
	v_and_or_b32 v7, v5, s4, 0.5
	v_or_b32_e32 v6, 0x70000000, v6
	v_add_f32_e32 v7, -0.5, v7
	v_mul_f32_e32 v6, 0x7800000, v6
	v_cmp_gt_u32_e32 vcc, s5, v4
	v_bfe_i32 v5, v5, 0, 16
	v_cndmask_b32_e32 v4, v6, v7, vcc
	s_brev_b32 s4, 1
	v_and_or_b32 v4, v5, s4, v4
	v_cvt_f16_f32_e32 v5, v4
.LBB126_1675:
	s_mov_b64 s[20:21], -1
	s_mov_b64 s[4:5], 0
	s_cbranch_execnz .LBB126_1686
.LBB126_1676:
	s_cmp_gt_i32 s24, 14
	s_cbranch_scc0 .LBB126_1679
; %bb.1677:
	s_cmp_eq_u32 s24, 15
	s_cbranch_scc0 .LBB126_1682
; %bb.1678:
	global_load_ushort v4, v[0:1], off
	s_mov_b64 s[0:1], 0
	s_mov_b64 s[20:21], -1
	s_waitcnt vmcnt(0)
	v_lshlrev_b32_e32 v4, 16, v4
	v_cvt_f16_f32_e32 v5, v4
	s_branch .LBB126_1683
.LBB126_1679:
	s_mov_b64 s[18:19], -1
                                        ; implicit-def: $vgpr5
	s_branch .LBB126_1684
.LBB126_1680:
	s_or_saveexec_b64 s[18:19], s[18:19]
	v_mov_b32_e32 v5, 0x7e00
	s_xor_b64 exec, exec, s[18:19]
	s_cbranch_execz .LBB126_1662
.LBB126_1681:
	v_cmp_ne_u16_e32 vcc, 0, v4
	s_andn2_b64 s[4:5], s[4:5], exec
	s_and_b64 s[20:21], vcc, exec
	s_or_b64 s[4:5], s[4:5], s[20:21]
	v_mov_b32_e32 v5, v4
	s_or_b64 exec, exec, s[18:19]
	s_and_saveexec_b64 s[18:19], s[4:5]
	s_cbranch_execnz .LBB126_1663
	s_branch .LBB126_1664
.LBB126_1682:
	s_mov_b64 s[0:1], -1
                                        ; implicit-def: $vgpr5
.LBB126_1683:
	s_mov_b64 s[18:19], 0
.LBB126_1684:
	s_and_b64 vcc, exec, s[18:19]
	s_cbranch_vccz .LBB126_1686
; %bb.1685:
	s_cmp_lg_u32 s24, 11
	s_mov_b64 s[4:5], -1
	s_cselect_b64 s[0:1], -1, 0
.LBB126_1686:
	s_and_b64 vcc, exec, s[0:1]
	s_mov_b64 s[18:19], s[16:17]
	s_cbranch_vccnz .LBB126_1747
; %bb.1687:
	s_andn2_b64 vcc, exec, s[4:5]
	s_cbranch_vccnz .LBB126_1689
.LBB126_1688:
	global_load_ubyte v4, v[0:1], off
	v_mov_b32_e32 v5, 0x3c00
	s_mov_b64 s[20:21], -1
	s_waitcnt vmcnt(0)
	v_cmp_ne_u16_e32 vcc, 0, v4
	v_cndmask_b32_e32 v5, 0, v5, vcc
.LBB126_1689:
	s_branch .LBB126_1619
.LBB126_1690:
	s_and_b32 s4, 0xffff, s30
	s_cmp_lt_i32 s4, 5
	s_cbranch_scc1 .LBB126_1695
; %bb.1691:
	s_cmp_lt_i32 s4, 8
	s_cbranch_scc1 .LBB126_1696
; %bb.1692:
	;; [unrolled: 3-line block ×3, first 2 shown]
	s_cmp_gt_i32 s4, 9
	s_cbranch_scc0 .LBB126_1698
; %bb.1694:
	global_load_dwordx2 v[4:5], v[0:1], off
	s_movk_i32 s0, 0x1ff
	s_movk_i32 s1, 0xffe
	v_mov_b32_e32 v6, 0x7c00
	v_mov_b32_e32 v7, 0x7e00
	s_movk_i32 s5, 0x40f
	s_mov_b32 s20, 0x8000
	s_waitcnt vmcnt(0)
	v_and_or_b32 v4, v5, s0, v4
	v_cmp_ne_u32_e32 vcc, 0, v4
	v_lshrrev_b32_e32 v8, 8, v5
	v_bfe_u32 v9, v5, 20, 11
	v_cndmask_b32_e64 v4, 0, 1, vcc
	v_sub_u32_e32 v10, 0x3f1, v9
	v_and_or_b32 v4, v8, s1, v4
	v_add_u32_e32 v9, 0xfffffc10, v9
	v_med3_i32 v8, v10, 0, 13
	v_or_b32_e32 v10, 0x1000, v4
	v_cmp_ne_u32_e32 vcc, 0, v4
	v_lshl_or_b32 v11, v9, 12, v4
	v_cndmask_b32_e32 v4, v6, v7, vcc
	v_lshrrev_b32_e32 v7, v8, v10
	v_lshlrev_b32_e32 v8, v8, v7
	v_cmp_ne_u32_e32 vcc, v8, v10
	v_cndmask_b32_e64 v8, 0, 1, vcc
	v_or_b32_e32 v7, v7, v8
	v_cmp_gt_i32_e32 vcc, 1, v9
	v_cndmask_b32_e32 v7, v11, v7, vcc
	v_and_b32_e32 v8, 7, v7
	v_cmp_lt_i32_e32 vcc, 5, v8
	v_cndmask_b32_e64 v10, 0, 1, vcc
	v_cmp_eq_u32_e32 vcc, 3, v8
	v_cndmask_b32_e64 v8, 0, 1, vcc
	v_lshrrev_b32_e32 v7, 2, v7
	v_or_b32_e32 v8, v8, v10
	v_add_u32_e32 v7, v7, v8
	v_cmp_gt_i32_e32 vcc, 31, v9
	v_cndmask_b32_e32 v6, v6, v7, vcc
	v_cmp_eq_u32_e32 vcc, s5, v9
	v_lshrrev_b32_e32 v5, 16, v5
	v_cndmask_b32_e32 v4, v6, v4, vcc
	v_and_or_b32 v5, v5, s20, v4
	s_mov_b64 s[0:1], 0
	s_branch .LBB126_1699
.LBB126_1695:
                                        ; implicit-def: $vgpr5
	s_branch .LBB126_1716
.LBB126_1696:
                                        ; implicit-def: $vgpr5
	s_branch .LBB126_1705
.LBB126_1697:
	s_mov_b64 s[0:1], -1
                                        ; implicit-def: $vgpr5
	s_branch .LBB126_1702
.LBB126_1698:
	s_mov_b64 s[0:1], -1
                                        ; implicit-def: $vgpr5
.LBB126_1699:
	s_andn2_b64 vcc, exec, s[0:1]
	s_cbranch_vccnz .LBB126_1701
; %bb.1700:
	global_load_dword v4, v[0:1], off
	s_waitcnt vmcnt(0)
	v_cvt_f16_f32_e32 v5, v4
.LBB126_1701:
	s_mov_b64 s[0:1], 0
.LBB126_1702:
	s_andn2_b64 vcc, exec, s[0:1]
	s_cbranch_vccnz .LBB126_1704
; %bb.1703:
	global_load_dword v5, v[0:1], off
.LBB126_1704:
	s_cbranch_execnz .LBB126_1715
.LBB126_1705:
	s_cmp_lt_i32 s4, 6
	s_cbranch_scc1 .LBB126_1708
; %bb.1706:
	s_cmp_gt_i32 s4, 6
	s_cbranch_scc0 .LBB126_1709
; %bb.1707:
	global_load_dwordx2 v[4:5], v[0:1], off
	s_movk_i32 s0, 0x1ff
	s_movk_i32 s1, 0xffe
	v_mov_b32_e32 v6, 0x7c00
	v_mov_b32_e32 v7, 0x7e00
	s_movk_i32 s5, 0x40f
	s_mov_b32 s20, 0x8000
	s_waitcnt vmcnt(0)
	v_and_or_b32 v4, v5, s0, v4
	v_cmp_ne_u32_e32 vcc, 0, v4
	v_lshrrev_b32_e32 v8, 8, v5
	v_bfe_u32 v9, v5, 20, 11
	v_cndmask_b32_e64 v4, 0, 1, vcc
	v_sub_u32_e32 v10, 0x3f1, v9
	v_and_or_b32 v4, v8, s1, v4
	v_add_u32_e32 v9, 0xfffffc10, v9
	v_med3_i32 v8, v10, 0, 13
	v_or_b32_e32 v10, 0x1000, v4
	v_cmp_ne_u32_e32 vcc, 0, v4
	v_lshl_or_b32 v11, v9, 12, v4
	v_cndmask_b32_e32 v4, v6, v7, vcc
	v_lshrrev_b32_e32 v7, v8, v10
	v_lshlrev_b32_e32 v8, v8, v7
	v_cmp_ne_u32_e32 vcc, v8, v10
	v_cndmask_b32_e64 v8, 0, 1, vcc
	v_or_b32_e32 v7, v7, v8
	v_cmp_gt_i32_e32 vcc, 1, v9
	v_cndmask_b32_e32 v7, v11, v7, vcc
	v_and_b32_e32 v8, 7, v7
	v_cmp_lt_i32_e32 vcc, 5, v8
	v_cndmask_b32_e64 v10, 0, 1, vcc
	v_cmp_eq_u32_e32 vcc, 3, v8
	v_cndmask_b32_e64 v8, 0, 1, vcc
	v_lshrrev_b32_e32 v7, 2, v7
	v_or_b32_e32 v8, v8, v10
	v_add_u32_e32 v7, v7, v8
	v_cmp_gt_i32_e32 vcc, 31, v9
	v_cndmask_b32_e32 v6, v6, v7, vcc
	v_cmp_eq_u32_e32 vcc, s5, v9
	v_lshrrev_b32_e32 v5, 16, v5
	v_cndmask_b32_e32 v4, v6, v4, vcc
	v_and_or_b32 v5, v5, s20, v4
	s_mov_b64 s[0:1], 0
	s_branch .LBB126_1710
.LBB126_1708:
	s_mov_b64 s[0:1], -1
                                        ; implicit-def: $vgpr5
	s_branch .LBB126_1713
.LBB126_1709:
	s_mov_b64 s[0:1], -1
                                        ; implicit-def: $vgpr5
.LBB126_1710:
	s_andn2_b64 vcc, exec, s[0:1]
	s_cbranch_vccnz .LBB126_1712
; %bb.1711:
	global_load_dword v4, v[0:1], off
	s_waitcnt vmcnt(0)
	v_cvt_f16_f32_e32 v5, v4
.LBB126_1712:
	s_mov_b64 s[0:1], 0
.LBB126_1713:
	s_andn2_b64 vcc, exec, s[0:1]
	s_cbranch_vccnz .LBB126_1715
; %bb.1714:
	global_load_ushort v5, v[0:1], off
.LBB126_1715:
	s_cbranch_execnz .LBB126_1734
.LBB126_1716:
	s_cmp_lt_i32 s4, 2
	s_cbranch_scc1 .LBB126_1720
; %bb.1717:
	s_cmp_lt_i32 s4, 3
	s_cbranch_scc1 .LBB126_1721
; %bb.1718:
	s_cmp_gt_i32 s4, 3
	s_cbranch_scc0 .LBB126_1722
; %bb.1719:
	global_load_dwordx2 v[4:5], v[0:1], off
	s_mov_b64 s[0:1], 0
	s_waitcnt vmcnt(0)
	v_xor_b32_e32 v7, v4, v5
	v_ffbh_i32_e32 v6, v5
	v_ashrrev_i32_e32 v7, 31, v7
	v_add_u32_e32 v6, -1, v6
	v_add_u32_e32 v7, 32, v7
	v_min_u32_e32 v6, v6, v7
	v_lshlrev_b64 v[4:5], v6, v[4:5]
	v_min_u32_e32 v4, 1, v4
	v_or_b32_e32 v4, v5, v4
	v_cvt_f32_i32_e32 v4, v4
	v_sub_u32_e32 v5, 32, v6
	v_ldexp_f32 v4, v4, v5
	v_cvt_f16_f32_e32 v5, v4
	s_branch .LBB126_1723
.LBB126_1720:
                                        ; implicit-def: $vgpr5
	s_branch .LBB126_1729
.LBB126_1721:
	s_mov_b64 s[0:1], -1
                                        ; implicit-def: $vgpr5
	s_branch .LBB126_1726
.LBB126_1722:
	s_mov_b64 s[0:1], -1
                                        ; implicit-def: $vgpr5
.LBB126_1723:
	s_andn2_b64 vcc, exec, s[0:1]
	s_cbranch_vccnz .LBB126_1725
; %bb.1724:
	global_load_dword v4, v[0:1], off
	s_waitcnt vmcnt(0)
	v_cvt_f32_i32_e32 v4, v4
	v_cvt_f16_f32_e32 v5, v4
.LBB126_1725:
	s_mov_b64 s[0:1], 0
.LBB126_1726:
	s_andn2_b64 vcc, exec, s[0:1]
	s_cbranch_vccnz .LBB126_1728
; %bb.1727:
	global_load_ushort v4, v[0:1], off
	s_waitcnt vmcnt(0)
	v_cvt_f16_i16_e32 v5, v4
.LBB126_1728:
	s_cbranch_execnz .LBB126_1734
.LBB126_1729:
	s_cmp_gt_i32 s4, 0
	s_cbranch_scc0 .LBB126_1731
; %bb.1730:
	global_load_sbyte v4, v[0:1], off
	s_mov_b64 s[0:1], 0
	s_waitcnt vmcnt(0)
	v_cvt_f16_i16_e32 v5, v4
	s_branch .LBB126_1732
.LBB126_1731:
	s_mov_b64 s[0:1], -1
                                        ; implicit-def: $vgpr5
.LBB126_1732:
	s_andn2_b64 vcc, exec, s[0:1]
	s_cbranch_vccnz .LBB126_1734
; %bb.1733:
	global_load_ubyte v0, v[0:1], off
	s_waitcnt vmcnt(0)
	v_cvt_f16_u16_e32 v5, v0
.LBB126_1734:
.LBB126_1735:
	v_mul_lo_u32 v4, s14, v2
	v_mov_b32_e32 v1, s3
	s_and_b32 s31, s54, 0xff
	s_cmp_lt_i32 s31, 11
	v_ashrrev_i32_e32 v6, 31, v4
	v_add_co_u32_e32 v0, vcc, s2, v4
	v_addc_co_u32_e32 v1, vcc, v1, v6, vcc
	s_cbranch_scc1 .LBB126_1742
; %bb.1736:
	s_and_b32 s26, 0xffff, s31
	s_cmp_gt_i32 s26, 25
	s_mov_b64 s[4:5], 0
	s_cbranch_scc0 .LBB126_1744
; %bb.1737:
	s_cmp_gt_i32 s26, 28
	s_cbranch_scc0 .LBB126_1745
; %bb.1738:
	s_cmp_gt_i32 s26, 43
	s_cbranch_scc0 .LBB126_1746
; %bb.1739:
	s_cmp_gt_i32 s26, 45
	s_cbranch_scc0 .LBB126_1748
; %bb.1740:
	s_cmp_eq_u32 s26, 46
	s_mov_b64 s[22:23], 0
	s_cbranch_scc0 .LBB126_1751
; %bb.1741:
	global_load_dword v6, v[0:1], off
	s_mov_b64 s[0:1], 0
	s_mov_b64 s[20:21], -1
	s_waitcnt vmcnt(0)
	v_lshlrev_b32_e32 v6, 16, v6
	v_cvt_f16_f32_e32 v6, v6
	s_branch .LBB126_1752
.LBB126_1742:
	s_mov_b64 s[20:21], 0
                                        ; implicit-def: $vgpr6
	s_cbranch_execnz .LBB126_1817
.LBB126_1743:
	s_andn2_b64 vcc, exec, s[20:21]
	s_cbranch_vccnz .LBB126_2699
	s_branch .LBB126_1864
.LBB126_1744:
	s_mov_b64 s[20:21], 0
	s_mov_b64 s[0:1], 0
                                        ; implicit-def: $vgpr6
	s_cbranch_execnz .LBB126_1781
	s_branch .LBB126_1813
.LBB126_1745:
	s_mov_b64 s[22:23], -1
	s_mov_b64 s[20:21], 0
	s_mov_b64 s[0:1], 0
                                        ; implicit-def: $vgpr6
	s_branch .LBB126_1762
.LBB126_1746:
	s_mov_b64 s[22:23], -1
	s_mov_b64 s[20:21], 0
	s_mov_b64 s[0:1], 0
                                        ; implicit-def: $vgpr6
	s_branch .LBB126_1757
.LBB126_1747:
	s_or_b64 s[18:19], s[16:17], exec
	s_trap 2
	s_cbranch_execz .LBB126_1688
	s_branch .LBB126_1689
.LBB126_1748:
	s_mov_b64 s[22:23], -1
	s_mov_b64 s[20:21], 0
	s_mov_b64 s[0:1], 0
                                        ; implicit-def: $vgpr6
	s_branch .LBB126_1752
.LBB126_1749:
	s_andn2_saveexec_b64 s[30:31], s[30:31]
	s_cbranch_execz .LBB126_1534
.LBB126_1750:
	v_add_f32_e32 v2, 0x42800000, v3
	v_and_b32_e32 v2, 0xff, v2
	v_cmp_ne_u32_e32 vcc, 0, v2
	s_andn2_b64 s[28:29], s[28:29], exec
	s_and_b64 s[36:37], vcc, exec
	s_or_b64 s[28:29], s[28:29], s[36:37]
	s_or_b64 exec, exec, s[30:31]
	v_mov_b32_e32 v4, 0
	s_and_saveexec_b64 s[30:31], s[28:29]
	s_cbranch_execnz .LBB126_1535
	s_branch .LBB126_1536
.LBB126_1751:
	s_mov_b64 s[0:1], -1
                                        ; implicit-def: $vgpr6
	s_mov_b64 s[20:21], 0
.LBB126_1752:
	s_and_b64 vcc, exec, s[22:23]
	s_cbranch_vccz .LBB126_1756
; %bb.1753:
	s_cmp_eq_u32 s26, 44
	s_cbranch_scc0 .LBB126_1755
; %bb.1754:
	global_load_ubyte v6, v[0:1], off
	s_movk_i32 s20, 0xff
	v_mov_b32_e32 v8, 0x7e00
	s_mov_b64 s[0:1], 0
	s_waitcnt vmcnt(0)
	v_lshlrev_b32_e32 v7, 23, v6
	v_cvt_f16_f32_e32 v7, v7
	v_cmp_ne_u32_e32 vcc, s20, v6
	s_mov_b64 s[20:21], -1
	v_cndmask_b32_e32 v7, v8, v7, vcc
	v_cmp_ne_u32_e32 vcc, 0, v6
	v_cndmask_b32_e32 v6, 0, v7, vcc
	s_branch .LBB126_1756
.LBB126_1755:
	s_mov_b64 s[0:1], -1
                                        ; implicit-def: $vgpr6
.LBB126_1756:
	s_mov_b64 s[22:23], 0
.LBB126_1757:
	s_and_b64 vcc, exec, s[22:23]
	s_cbranch_vccz .LBB126_1761
; %bb.1758:
	s_cmp_eq_u32 s26, 29
	s_cbranch_scc0 .LBB126_1760
; %bb.1759:
	global_load_dwordx2 v[6:7], v[0:1], off
	s_mov_b64 s[0:1], 0
	s_mov_b64 s[20:21], -1
	s_mov_b64 s[22:23], 0
	s_waitcnt vmcnt(0)
	v_ffbh_u32_e32 v8, v7
	v_min_u32_e32 v8, 32, v8
	v_lshlrev_b64 v[6:7], v8, v[6:7]
	v_min_u32_e32 v6, 1, v6
	v_or_b32_e32 v6, v7, v6
	v_cvt_f32_u32_e32 v6, v6
	v_sub_u32_e32 v7, 32, v8
	v_ldexp_f32 v6, v6, v7
	v_cvt_f16_f32_e32 v6, v6
	s_branch .LBB126_1762
.LBB126_1760:
	s_mov_b64 s[0:1], -1
                                        ; implicit-def: $vgpr6
.LBB126_1761:
	s_mov_b64 s[22:23], 0
.LBB126_1762:
	s_and_b64 vcc, exec, s[22:23]
	s_cbranch_vccz .LBB126_1780
; %bb.1763:
	s_cmp_lt_i32 s26, 27
	s_cbranch_scc1 .LBB126_1766
; %bb.1764:
	s_cmp_gt_i32 s26, 27
	s_cbranch_scc0 .LBB126_1767
; %bb.1765:
	global_load_dword v6, v[0:1], off
	s_mov_b64 s[20:21], 0
	s_waitcnt vmcnt(0)
	v_cvt_f32_u32_e32 v6, v6
	v_cvt_f16_f32_e32 v6, v6
	s_branch .LBB126_1768
.LBB126_1766:
	s_mov_b64 s[20:21], -1
                                        ; implicit-def: $vgpr6
	s_branch .LBB126_1771
.LBB126_1767:
	s_mov_b64 s[20:21], -1
                                        ; implicit-def: $vgpr6
.LBB126_1768:
	s_andn2_b64 vcc, exec, s[20:21]
	s_cbranch_vccnz .LBB126_1770
; %bb.1769:
	global_load_ushort v6, v[0:1], off
	s_waitcnt vmcnt(0)
	v_cvt_f16_u16_e32 v6, v6
.LBB126_1770:
	s_mov_b64 s[20:21], 0
.LBB126_1771:
	s_andn2_b64 vcc, exec, s[20:21]
	s_cbranch_vccnz .LBB126_1779
; %bb.1772:
	global_load_ubyte v7, v[0:1], off
	s_movk_i32 s20, 0x7f
	s_waitcnt vmcnt(0)
	v_cmp_lt_i16_e32 vcc, s20, v7
	s_mov_b64 s[20:21], 0
	s_and_saveexec_b64 s[22:23], vcc
	s_xor_b64 s[22:23], exec, s[22:23]
	s_cbranch_execz .LBB126_1792
; %bb.1773:
	s_movk_i32 s20, 0x80
	v_cmp_eq_u16_e32 vcc, s20, v7
	s_mov_b64 s[20:21], -1
	s_and_saveexec_b64 s[24:25], vcc
; %bb.1774:
	s_xor_b64 s[20:21], exec, -1
; %bb.1775:
	s_or_b64 exec, exec, s[24:25]
	s_and_b64 s[20:21], s[20:21], exec
	s_or_saveexec_b64 s[22:23], s[22:23]
	v_mov_b32_e32 v6, 0x7e00
	s_xor_b64 exec, exec, s[22:23]
	s_cbranch_execnz .LBB126_1793
.LBB126_1776:
	s_or_b64 exec, exec, s[22:23]
	s_and_saveexec_b64 s[22:23], s[20:21]
	s_cbranch_execz .LBB126_1778
.LBB126_1777:
	v_lshlrev_b32_e32 v6, 24, v7
	v_and_b32_e32 v7, 0xffff, v7
	v_and_b32_e32 v8, 7, v7
	v_ffbh_u32_e32 v10, v8
	v_min_u32_e32 v10, 32, v10
	v_subrev_u32_e32 v11, 28, v10
	v_bfe_u32 v9, v7, 3, 4
	v_lshlrev_b32_e32 v7, v11, v7
	v_sub_u32_e32 v10, 29, v10
	v_and_b32_e32 v7, 7, v7
	v_cmp_eq_u32_e32 vcc, 0, v9
	v_cndmask_b32_e32 v9, v9, v10, vcc
	v_cndmask_b32_e32 v7, v8, v7, vcc
	v_mov_b32_e32 v8, 0x3b800000
	v_lshlrev_b32_e32 v7, 20, v7
	v_and_b32_e32 v6, 0x80000000, v6
	v_lshl_add_u32 v8, v9, 23, v8
	v_or3_b32 v6, v6, v8, v7
	v_cvt_f16_f32_e32 v6, v6
.LBB126_1778:
	s_or_b64 exec, exec, s[22:23]
.LBB126_1779:
	s_mov_b64 s[20:21], -1
.LBB126_1780:
	s_branch .LBB126_1813
.LBB126_1781:
	s_cmp_gt_i32 s26, 22
	s_cbranch_scc0 .LBB126_1791
; %bb.1782:
	s_cmp_lt_i32 s26, 24
	s_cbranch_scc1 .LBB126_1794
; %bb.1783:
	s_cmp_gt_i32 s26, 24
	s_cbranch_scc0 .LBB126_1795
; %bb.1784:
	global_load_ubyte v7, v[0:1], off
	s_movk_i32 s4, 0x7f
	s_waitcnt vmcnt(0)
	v_cmp_lt_i16_e32 vcc, s4, v7
	s_mov_b64 s[4:5], 0
	s_and_saveexec_b64 s[20:21], vcc
	s_xor_b64 s[20:21], exec, s[20:21]
	s_cbranch_execz .LBB126_1807
; %bb.1785:
	s_movk_i32 s4, 0x80
	v_cmp_eq_u16_e32 vcc, s4, v7
	s_mov_b64 s[4:5], -1
	s_and_saveexec_b64 s[22:23], vcc
; %bb.1786:
	s_xor_b64 s[4:5], exec, -1
; %bb.1787:
	s_or_b64 exec, exec, s[22:23]
	s_and_b64 s[4:5], s[4:5], exec
	s_or_saveexec_b64 s[20:21], s[20:21]
	v_mov_b32_e32 v6, 0x7e00
	s_xor_b64 exec, exec, s[20:21]
	s_cbranch_execnz .LBB126_1808
.LBB126_1788:
	s_or_b64 exec, exec, s[20:21]
	s_and_saveexec_b64 s[20:21], s[4:5]
	s_cbranch_execz .LBB126_1790
.LBB126_1789:
	v_lshlrev_b32_e32 v6, 24, v7
	v_and_b32_e32 v7, 0xffff, v7
	v_and_b32_e32 v8, 3, v7
	v_ffbh_u32_e32 v10, v8
	v_min_u32_e32 v10, 32, v10
	v_subrev_u32_e32 v11, 29, v10
	v_bfe_u32 v9, v7, 2, 5
	v_lshlrev_b32_e32 v7, v11, v7
	v_sub_u32_e32 v10, 30, v10
	v_and_b32_e32 v7, 3, v7
	v_cmp_eq_u32_e32 vcc, 0, v9
	v_cndmask_b32_e32 v9, v9, v10, vcc
	v_cndmask_b32_e32 v7, v8, v7, vcc
	v_mov_b32_e32 v8, 0x37800000
	v_lshlrev_b32_e32 v7, 21, v7
	v_and_b32_e32 v6, 0x80000000, v6
	v_lshl_add_u32 v8, v9, 23, v8
	v_or3_b32 v6, v6, v8, v7
	v_cvt_f16_f32_e32 v6, v6
.LBB126_1790:
	s_or_b64 exec, exec, s[20:21]
	s_mov_b64 s[4:5], 0
	s_branch .LBB126_1796
.LBB126_1791:
	s_mov_b64 s[4:5], -1
                                        ; implicit-def: $vgpr6
	s_branch .LBB126_1802
.LBB126_1792:
	s_or_saveexec_b64 s[22:23], s[22:23]
	v_mov_b32_e32 v6, 0x7e00
	s_xor_b64 exec, exec, s[22:23]
	s_cbranch_execz .LBB126_1776
.LBB126_1793:
	v_cmp_ne_u16_e32 vcc, 0, v7
	s_andn2_b64 s[20:21], s[20:21], exec
	s_and_b64 s[24:25], vcc, exec
	s_or_b64 s[20:21], s[20:21], s[24:25]
	v_mov_b32_e32 v6, v7
	s_or_b64 exec, exec, s[22:23]
	s_and_saveexec_b64 s[22:23], s[20:21]
	s_cbranch_execnz .LBB126_1777
	s_branch .LBB126_1778
.LBB126_1794:
	s_mov_b64 s[4:5], -1
                                        ; implicit-def: $vgpr6
	s_branch .LBB126_1799
.LBB126_1795:
	s_mov_b64 s[4:5], -1
                                        ; implicit-def: $vgpr6
.LBB126_1796:
	s_and_b64 vcc, exec, s[4:5]
	s_cbranch_vccz .LBB126_1798
; %bb.1797:
	global_load_ubyte v6, v[0:1], off
	s_mov_b32 s4, 0x7f800000
	s_waitcnt vmcnt(0)
	v_lshlrev_b32_e32 v6, 24, v6
	v_and_b32_e32 v7, 0x7f000000, v6
	v_ffbh_u32_e32 v8, v7
	v_min_u32_e32 v8, 32, v8
	v_sub_u32_e64 v8, v8, 4 clamp
	v_lshlrev_b32_e32 v10, v8, v7
	v_lshlrev_b32_e32 v8, 23, v8
	v_lshrrev_b32_e32 v10, 4, v10
	v_add_u32_e32 v9, 0x1000000, v7
	v_sub_u32_e32 v8, v10, v8
	v_ashrrev_i32_e32 v9, 8, v9
	v_add_u32_e32 v8, 0x3c000000, v8
	v_and_or_b32 v8, v9, s4, v8
	v_cmp_ne_u32_e32 vcc, 0, v7
	v_cndmask_b32_e32 v7, 0, v8, vcc
	s_brev_b32 s4, 1
	v_and_or_b32 v6, v6, s4, v7
	v_cvt_f16_f32_e32 v6, v6
.LBB126_1798:
	s_mov_b64 s[4:5], 0
.LBB126_1799:
	s_andn2_b64 vcc, exec, s[4:5]
	s_cbranch_vccnz .LBB126_1801
; %bb.1800:
	global_load_ubyte v6, v[0:1], off
	s_movk_i32 s4, 0x7f00
	s_brev_b32 s5, 16
	s_waitcnt vmcnt(0)
	v_lshlrev_b16_e32 v7, 8, v6
	v_lshlrev_b32_e32 v6, 25, v6
	v_lshrrev_b32_e32 v8, 4, v6
	v_and_or_b32 v9, v7, s4, 0.5
	v_or_b32_e32 v8, 0x70000000, v8
	v_add_f32_e32 v9, -0.5, v9
	v_mul_f32_e32 v8, 0x7800000, v8
	v_cmp_gt_u32_e32 vcc, s5, v6
	v_bfe_i32 v7, v7, 0, 16
	v_cndmask_b32_e32 v6, v8, v9, vcc
	s_brev_b32 s4, 1
	v_and_or_b32 v6, v7, s4, v6
	v_cvt_f16_f32_e32 v6, v6
.LBB126_1801:
	s_mov_b64 s[4:5], 0
	s_mov_b64 s[20:21], -1
.LBB126_1802:
	s_andn2_b64 vcc, exec, s[4:5]
	s_mov_b64 s[4:5], 0
	s_cbranch_vccnz .LBB126_1813
; %bb.1803:
	s_cmp_gt_i32 s26, 14
	s_cbranch_scc0 .LBB126_1806
; %bb.1804:
	s_cmp_eq_u32 s26, 15
	s_cbranch_scc0 .LBB126_1809
; %bb.1805:
	global_load_ushort v6, v[0:1], off
	s_mov_b64 s[0:1], 0
	s_mov_b64 s[20:21], -1
	s_waitcnt vmcnt(0)
	v_lshlrev_b32_e32 v6, 16, v6
	v_cvt_f16_f32_e32 v6, v6
	s_branch .LBB126_1810
.LBB126_1806:
	s_mov_b64 s[22:23], -1
                                        ; implicit-def: $vgpr6
	s_branch .LBB126_1811
.LBB126_1807:
	s_or_saveexec_b64 s[20:21], s[20:21]
	v_mov_b32_e32 v6, 0x7e00
	s_xor_b64 exec, exec, s[20:21]
	s_cbranch_execz .LBB126_1788
.LBB126_1808:
	v_cmp_ne_u16_e32 vcc, 0, v7
	s_andn2_b64 s[4:5], s[4:5], exec
	s_and_b64 s[22:23], vcc, exec
	s_or_b64 s[4:5], s[4:5], s[22:23]
	v_mov_b32_e32 v6, v7
	s_or_b64 exec, exec, s[20:21]
	s_and_saveexec_b64 s[20:21], s[4:5]
	s_cbranch_execnz .LBB126_1789
	s_branch .LBB126_1790
.LBB126_1809:
	s_mov_b64 s[0:1], -1
                                        ; implicit-def: $vgpr6
.LBB126_1810:
	s_mov_b64 s[22:23], 0
.LBB126_1811:
	s_and_b64 vcc, exec, s[22:23]
	s_cbranch_vccz .LBB126_1813
; %bb.1812:
	s_cmp_lg_u32 s26, 11
	s_mov_b64 s[4:5], -1
	s_cselect_b64 s[0:1], -1, 0
.LBB126_1813:
	s_and_b64 vcc, exec, s[0:1]
	s_cbranch_vccnz .LBB126_1892
; %bb.1814:
	s_andn2_b64 vcc, exec, s[4:5]
	s_cbranch_vccnz .LBB126_1816
.LBB126_1815:
	global_load_ubyte v6, v[0:1], off
	v_mov_b32_e32 v7, 0x3c00
	s_mov_b64 s[20:21], -1
	s_waitcnt vmcnt(0)
	v_cmp_ne_u16_e32 vcc, 0, v6
	v_cndmask_b32_e32 v6, 0, v7, vcc
.LBB126_1816:
	s_branch .LBB126_1743
.LBB126_1817:
	s_and_b32 s4, 0xffff, s31
	s_cmp_lt_i32 s4, 5
	s_cbranch_scc1 .LBB126_1822
; %bb.1818:
	s_cmp_lt_i32 s4, 8
	s_cbranch_scc1 .LBB126_1823
; %bb.1819:
	;; [unrolled: 3-line block ×3, first 2 shown]
	s_cmp_gt_i32 s4, 9
	s_cbranch_scc0 .LBB126_1825
; %bb.1821:
	global_load_dwordx2 v[6:7], v[0:1], off
	s_movk_i32 s0, 0x1ff
	s_movk_i32 s1, 0xffe
	v_mov_b32_e32 v8, 0x7c00
	v_mov_b32_e32 v9, 0x7e00
	s_movk_i32 s5, 0x40f
	s_mov_b32 s20, 0x8000
	s_waitcnt vmcnt(0)
	v_and_or_b32 v6, v7, s0, v6
	v_cmp_ne_u32_e32 vcc, 0, v6
	v_lshrrev_b32_e32 v10, 8, v7
	v_bfe_u32 v11, v7, 20, 11
	v_cndmask_b32_e64 v6, 0, 1, vcc
	v_sub_u32_e32 v12, 0x3f1, v11
	v_and_or_b32 v6, v10, s1, v6
	v_add_u32_e32 v11, 0xfffffc10, v11
	v_med3_i32 v10, v12, 0, 13
	v_or_b32_e32 v12, 0x1000, v6
	v_cmp_ne_u32_e32 vcc, 0, v6
	v_lshl_or_b32 v13, v11, 12, v6
	v_cndmask_b32_e32 v6, v8, v9, vcc
	v_lshrrev_b32_e32 v9, v10, v12
	v_lshlrev_b32_e32 v10, v10, v9
	v_cmp_ne_u32_e32 vcc, v10, v12
	v_cndmask_b32_e64 v10, 0, 1, vcc
	v_or_b32_e32 v9, v9, v10
	v_cmp_gt_i32_e32 vcc, 1, v11
	v_cndmask_b32_e32 v9, v13, v9, vcc
	v_and_b32_e32 v10, 7, v9
	v_cmp_lt_i32_e32 vcc, 5, v10
	v_cndmask_b32_e64 v12, 0, 1, vcc
	v_cmp_eq_u32_e32 vcc, 3, v10
	v_cndmask_b32_e64 v10, 0, 1, vcc
	v_lshrrev_b32_e32 v9, 2, v9
	v_or_b32_e32 v10, v10, v12
	v_add_u32_e32 v9, v9, v10
	v_cmp_gt_i32_e32 vcc, 31, v11
	v_cndmask_b32_e32 v8, v8, v9, vcc
	v_cmp_eq_u32_e32 vcc, s5, v11
	v_lshrrev_b32_e32 v7, 16, v7
	v_cndmask_b32_e32 v6, v8, v6, vcc
	v_and_or_b32 v6, v7, s20, v6
	s_mov_b64 s[0:1], 0
	s_branch .LBB126_1826
.LBB126_1822:
                                        ; implicit-def: $vgpr6
	s_branch .LBB126_1844
.LBB126_1823:
	s_mov_b64 s[0:1], -1
                                        ; implicit-def: $vgpr6
	s_branch .LBB126_1832
.LBB126_1824:
	s_mov_b64 s[0:1], -1
                                        ; implicit-def: $vgpr6
	s_branch .LBB126_1829
.LBB126_1825:
	s_mov_b64 s[0:1], -1
                                        ; implicit-def: $vgpr6
.LBB126_1826:
	s_andn2_b64 vcc, exec, s[0:1]
	s_cbranch_vccnz .LBB126_1828
; %bb.1827:
	global_load_dword v6, v[0:1], off
	s_waitcnt vmcnt(0)
	v_cvt_f16_f32_e32 v6, v6
.LBB126_1828:
	s_mov_b64 s[0:1], 0
.LBB126_1829:
	s_andn2_b64 vcc, exec, s[0:1]
	s_cbranch_vccnz .LBB126_1831
; %bb.1830:
	global_load_dword v6, v[0:1], off
.LBB126_1831:
	s_mov_b64 s[0:1], 0
.LBB126_1832:
	s_andn2_b64 vcc, exec, s[0:1]
	s_cbranch_vccnz .LBB126_1843
; %bb.1833:
	s_cmp_lt_i32 s4, 6
	s_cbranch_scc1 .LBB126_1836
; %bb.1834:
	s_cmp_gt_i32 s4, 6
	s_cbranch_scc0 .LBB126_1837
; %bb.1835:
	global_load_dwordx2 v[6:7], v[0:1], off
	s_movk_i32 s0, 0x1ff
	s_movk_i32 s1, 0xffe
	v_mov_b32_e32 v8, 0x7c00
	v_mov_b32_e32 v9, 0x7e00
	s_movk_i32 s5, 0x40f
	s_mov_b32 s20, 0x8000
	s_waitcnt vmcnt(0)
	v_and_or_b32 v6, v7, s0, v6
	v_cmp_ne_u32_e32 vcc, 0, v6
	v_lshrrev_b32_e32 v10, 8, v7
	v_bfe_u32 v11, v7, 20, 11
	v_cndmask_b32_e64 v6, 0, 1, vcc
	v_sub_u32_e32 v12, 0x3f1, v11
	v_and_or_b32 v6, v10, s1, v6
	v_add_u32_e32 v11, 0xfffffc10, v11
	v_med3_i32 v10, v12, 0, 13
	v_or_b32_e32 v12, 0x1000, v6
	v_cmp_ne_u32_e32 vcc, 0, v6
	v_lshl_or_b32 v13, v11, 12, v6
	v_cndmask_b32_e32 v6, v8, v9, vcc
	v_lshrrev_b32_e32 v9, v10, v12
	v_lshlrev_b32_e32 v10, v10, v9
	v_cmp_ne_u32_e32 vcc, v10, v12
	v_cndmask_b32_e64 v10, 0, 1, vcc
	v_or_b32_e32 v9, v9, v10
	v_cmp_gt_i32_e32 vcc, 1, v11
	v_cndmask_b32_e32 v9, v13, v9, vcc
	v_and_b32_e32 v10, 7, v9
	v_cmp_lt_i32_e32 vcc, 5, v10
	v_cndmask_b32_e64 v12, 0, 1, vcc
	v_cmp_eq_u32_e32 vcc, 3, v10
	v_cndmask_b32_e64 v10, 0, 1, vcc
	v_lshrrev_b32_e32 v9, 2, v9
	v_or_b32_e32 v10, v10, v12
	v_add_u32_e32 v9, v9, v10
	v_cmp_gt_i32_e32 vcc, 31, v11
	v_cndmask_b32_e32 v8, v8, v9, vcc
	v_cmp_eq_u32_e32 vcc, s5, v11
	v_lshrrev_b32_e32 v7, 16, v7
	v_cndmask_b32_e32 v6, v8, v6, vcc
	v_and_or_b32 v6, v7, s20, v6
	s_mov_b64 s[0:1], 0
	s_branch .LBB126_1838
.LBB126_1836:
	s_mov_b64 s[0:1], -1
                                        ; implicit-def: $vgpr6
	s_branch .LBB126_1841
.LBB126_1837:
	s_mov_b64 s[0:1], -1
                                        ; implicit-def: $vgpr6
.LBB126_1838:
	s_andn2_b64 vcc, exec, s[0:1]
	s_cbranch_vccnz .LBB126_1840
; %bb.1839:
	global_load_dword v6, v[0:1], off
	s_waitcnt vmcnt(0)
	v_cvt_f16_f32_e32 v6, v6
.LBB126_1840:
	s_mov_b64 s[0:1], 0
.LBB126_1841:
	s_andn2_b64 vcc, exec, s[0:1]
	s_cbranch_vccnz .LBB126_1843
; %bb.1842:
	global_load_ushort v6, v[0:1], off
.LBB126_1843:
	s_cbranch_execnz .LBB126_1863
.LBB126_1844:
	s_cmp_lt_i32 s4, 2
	s_cbranch_scc1 .LBB126_1848
; %bb.1845:
	s_cmp_lt_i32 s4, 3
	s_cbranch_scc1 .LBB126_1849
; %bb.1846:
	s_cmp_gt_i32 s4, 3
	s_cbranch_scc0 .LBB126_1850
; %bb.1847:
	global_load_dwordx2 v[6:7], v[0:1], off
	s_mov_b64 s[0:1], 0
	s_waitcnt vmcnt(0)
	v_xor_b32_e32 v9, v6, v7
	v_ffbh_i32_e32 v8, v7
	v_ashrrev_i32_e32 v9, 31, v9
	v_add_u32_e32 v8, -1, v8
	v_add_u32_e32 v9, 32, v9
	v_min_u32_e32 v8, v8, v9
	v_lshlrev_b64 v[6:7], v8, v[6:7]
	v_min_u32_e32 v6, 1, v6
	v_or_b32_e32 v6, v7, v6
	v_cvt_f32_i32_e32 v6, v6
	v_sub_u32_e32 v7, 32, v8
	v_ldexp_f32 v6, v6, v7
	v_cvt_f16_f32_e32 v6, v6
	s_branch .LBB126_1851
.LBB126_1848:
	s_mov_b64 s[0:1], -1
                                        ; implicit-def: $vgpr6
	s_branch .LBB126_1857
.LBB126_1849:
	s_mov_b64 s[0:1], -1
                                        ; implicit-def: $vgpr6
	s_branch .LBB126_1854
.LBB126_1850:
	s_mov_b64 s[0:1], -1
                                        ; implicit-def: $vgpr6
.LBB126_1851:
	s_andn2_b64 vcc, exec, s[0:1]
	s_cbranch_vccnz .LBB126_1853
; %bb.1852:
	global_load_dword v6, v[0:1], off
	s_waitcnt vmcnt(0)
	v_cvt_f32_i32_e32 v6, v6
	v_cvt_f16_f32_e32 v6, v6
.LBB126_1853:
	s_mov_b64 s[0:1], 0
.LBB126_1854:
	s_andn2_b64 vcc, exec, s[0:1]
	s_cbranch_vccnz .LBB126_1856
; %bb.1855:
	global_load_ushort v6, v[0:1], off
	s_waitcnt vmcnt(0)
	v_cvt_f16_i16_e32 v6, v6
.LBB126_1856:
	s_mov_b64 s[0:1], 0
.LBB126_1857:
	s_andn2_b64 vcc, exec, s[0:1]
	s_cbranch_vccnz .LBB126_1863
; %bb.1858:
	s_cmp_gt_i32 s4, 0
	s_cbranch_scc0 .LBB126_1860
; %bb.1859:
	global_load_sbyte v6, v[0:1], off
	s_mov_b64 s[0:1], 0
	s_waitcnt vmcnt(0)
	v_cvt_f16_i16_e32 v6, v6
	s_branch .LBB126_1861
.LBB126_1860:
	s_mov_b64 s[0:1], -1
                                        ; implicit-def: $vgpr6
.LBB126_1861:
	s_andn2_b64 vcc, exec, s[0:1]
	s_cbranch_vccnz .LBB126_1863
; %bb.1862:
	global_load_ubyte v0, v[0:1], off
	s_waitcnt vmcnt(0)
	v_cvt_f16_u16_e32 v6, v0
.LBB126_1863:
.LBB126_1864:
	s_cmp_lt_i32 s15, 1
	s_mov_b64 s[0:1], 0
	s_cbranch_scc1 .LBB126_1868
; %bb.1865:
	s_cmp_gt_i32 s15, 1
	s_cbranch_scc0 .LBB126_1869
; %bb.1866:
	s_cmp_eq_u32 s15, 2
	s_cbranch_scc0 .LBB126_1870
; %bb.1867:
	s_waitcnt vmcnt(0)
	v_cmp_le_f16_e64 s[4:5], v5, v6
	s_mov_b64 s[20:21], 0
	s_branch .LBB126_1871
.LBB126_1868:
                                        ; implicit-def: $sgpr4_sgpr5
	s_mov_b64 s[20:21], 0
	s_cbranch_execnz .LBB126_1875
	s_branch .LBB126_1876
.LBB126_1869:
	s_mov_b64 s[22:23], -1
	s_mov_b64 s[20:21], 0
                                        ; implicit-def: $sgpr4_sgpr5
	s_branch .LBB126_1872
.LBB126_1870:
	s_mov_b64 s[20:21], -1
                                        ; implicit-def: $sgpr4_sgpr5
.LBB126_1871:
	s_mov_b64 s[22:23], 0
.LBB126_1872:
	s_and_b64 vcc, exec, s[22:23]
	s_cbranch_vccz .LBB126_1874
; %bb.1873:
	s_waitcnt vmcnt(0)
	v_cmp_gt_f16_e32 vcc, v5, v6
	s_andn2_b64 s[4:5], s[4:5], exec
	s_and_b64 s[22:23], vcc, exec
	s_or_b64 s[4:5], s[4:5], s[22:23]
.LBB126_1874:
	s_branch .LBB126_1876
.LBB126_1875:
	s_cmp_lg_u32 s15, 0
	s_mov_b64 s[0:1], -1
	s_cselect_b64 s[20:21], -1, 0
.LBB126_1876:
	s_andn2_b64 vcc, exec, s[20:21]
	s_cbranch_vccnz .LBB126_1878
; %bb.1877:
	s_waitcnt vmcnt(0)
	v_cmp_lt_f16_e32 vcc, v5, v6
	s_andn2_b64 s[4:5], s[4:5], exec
	s_and_b64 s[20:21], vcc, exec
	s_or_b64 s[4:5], s[4:5], s[20:21]
	s_cbranch_execz .LBB126_1879
	s_branch .LBB126_1880
.LBB126_1878:
	s_andn2_b64 vcc, exec, s[0:1]
	s_cbranch_vccnz .LBB126_1880
.LBB126_1879:
	s_waitcnt vmcnt(0)
	v_cmp_ge_f16_e32 vcc, v5, v6
	s_andn2_b64 s[0:1], s[4:5], exec
	s_and_b64 s[4:5], vcc, exec
	s_or_b64 s[4:5], s[0:1], s[4:5]
.LBB126_1880:
	s_lshl_b32 s13, s13, 7
	v_add_u32_e32 v3, s13, v3
	v_ashrrev_i32_e32 v1, 31, v3
	s_waitcnt vmcnt(0)
	v_mov_b32_e32 v5, s11
	v_add_co_u32_e32 v0, vcc, s10, v3
	s_cmp_lt_i32 s30, 11
	v_addc_co_u32_e32 v1, vcc, v5, v1, vcc
	s_cbranch_scc1 .LBB126_1887
; %bb.1881:
	s_and_b32 s28, 0xffff, s30
	s_cmp_gt_i32 s28, 25
	s_mov_b64 s[20:21], 0
	s_cbranch_scc0 .LBB126_1889
; %bb.1882:
	s_cmp_gt_i32 s28, 28
	s_cbranch_scc0 .LBB126_1890
; %bb.1883:
	s_cmp_gt_i32 s28, 43
	;; [unrolled: 3-line block ×3, first 2 shown]
	s_cbranch_scc0 .LBB126_1893
; %bb.1885:
	s_cmp_eq_u32 s28, 46
	s_mov_b64 s[24:25], 0
	s_cbranch_scc0 .LBB126_1894
; %bb.1886:
	global_load_dword v5, v[0:1], off
	s_mov_b64 s[0:1], 0
	s_mov_b64 s[22:23], -1
	s_waitcnt vmcnt(0)
	v_lshlrev_b32_e32 v5, 16, v5
	v_cvt_f16_f32_e32 v5, v5
	s_branch .LBB126_1895
.LBB126_1887:
	s_mov_b64 s[22:23], 0
                                        ; implicit-def: $vgpr5
	s_cbranch_execnz .LBB126_1961
.LBB126_1888:
	s_andn2_b64 vcc, exec, s[22:23]
	s_cbranch_vccnz .LBB126_2699
	s_branch .LBB126_2009
.LBB126_1889:
	s_mov_b64 s[24:25], -1
	s_mov_b64 s[22:23], 0
	s_mov_b64 s[0:1], 0
                                        ; implicit-def: $vgpr5
	s_branch .LBB126_1924
.LBB126_1890:
	s_mov_b64 s[24:25], -1
	s_mov_b64 s[22:23], 0
	s_mov_b64 s[0:1], 0
                                        ; implicit-def: $vgpr5
	s_branch .LBB126_1905
.LBB126_1891:
	s_mov_b64 s[24:25], -1
	s_mov_b64 s[22:23], 0
	s_mov_b64 s[0:1], 0
                                        ; implicit-def: $vgpr5
	s_branch .LBB126_1900
.LBB126_1892:
	s_trap 2
	s_or_b64 s[18:19], s[18:19], exec
	s_cbranch_execz .LBB126_1815
	s_branch .LBB126_1816
.LBB126_1893:
	s_mov_b64 s[24:25], -1
	s_mov_b64 s[22:23], 0
	s_mov_b64 s[0:1], 0
                                        ; implicit-def: $vgpr5
	s_branch .LBB126_1895
.LBB126_1894:
	s_mov_b64 s[0:1], -1
                                        ; implicit-def: $vgpr5
	s_mov_b64 s[22:23], 0
.LBB126_1895:
	s_and_b64 vcc, exec, s[24:25]
	s_cbranch_vccz .LBB126_1899
; %bb.1896:
	s_cmp_eq_u32 s28, 44
	s_cbranch_scc0 .LBB126_1898
; %bb.1897:
	global_load_ubyte v5, v[0:1], off
	s_movk_i32 s22, 0xff
	v_mov_b32_e32 v7, 0x7e00
	s_mov_b64 s[0:1], 0
	s_waitcnt vmcnt(0)
	v_lshlrev_b32_e32 v6, 23, v5
	v_cvt_f16_f32_e32 v6, v6
	v_cmp_ne_u32_e32 vcc, s22, v5
	s_mov_b64 s[22:23], -1
	v_cndmask_b32_e32 v6, v7, v6, vcc
	v_cmp_ne_u32_e32 vcc, 0, v5
	v_cndmask_b32_e32 v5, 0, v6, vcc
	s_branch .LBB126_1899
.LBB126_1898:
	s_mov_b64 s[0:1], -1
                                        ; implicit-def: $vgpr5
.LBB126_1899:
	s_mov_b64 s[24:25], 0
.LBB126_1900:
	s_and_b64 vcc, exec, s[24:25]
	s_cbranch_vccz .LBB126_1904
; %bb.1901:
	s_cmp_eq_u32 s28, 29
	s_cbranch_scc0 .LBB126_1903
; %bb.1902:
	global_load_dwordx2 v[5:6], v[0:1], off
	s_mov_b64 s[0:1], 0
	s_mov_b64 s[22:23], -1
	s_mov_b64 s[24:25], 0
	s_waitcnt vmcnt(0)
	v_ffbh_u32_e32 v7, v6
	v_min_u32_e32 v7, 32, v7
	v_lshlrev_b64 v[5:6], v7, v[5:6]
	v_min_u32_e32 v5, 1, v5
	v_or_b32_e32 v5, v6, v5
	v_cvt_f32_u32_e32 v5, v5
	v_sub_u32_e32 v6, 32, v7
	v_ldexp_f32 v5, v5, v6
	v_cvt_f16_f32_e32 v5, v5
	s_branch .LBB126_1905
.LBB126_1903:
	s_mov_b64 s[0:1], -1
                                        ; implicit-def: $vgpr5
.LBB126_1904:
	s_mov_b64 s[24:25], 0
.LBB126_1905:
	s_and_b64 vcc, exec, s[24:25]
	s_cbranch_vccz .LBB126_1923
; %bb.1906:
	s_cmp_lt_i32 s28, 27
	s_cbranch_scc1 .LBB126_1909
; %bb.1907:
	s_cmp_gt_i32 s28, 27
	s_cbranch_scc0 .LBB126_1910
; %bb.1908:
	global_load_dword v5, v[0:1], off
	s_mov_b64 s[22:23], 0
	s_waitcnt vmcnt(0)
	v_cvt_f32_u32_e32 v5, v5
	v_cvt_f16_f32_e32 v5, v5
	s_branch .LBB126_1911
.LBB126_1909:
	s_mov_b64 s[22:23], -1
                                        ; implicit-def: $vgpr5
	s_branch .LBB126_1914
.LBB126_1910:
	s_mov_b64 s[22:23], -1
                                        ; implicit-def: $vgpr5
.LBB126_1911:
	s_andn2_b64 vcc, exec, s[22:23]
	s_cbranch_vccnz .LBB126_1913
; %bb.1912:
	global_load_ushort v5, v[0:1], off
	s_waitcnt vmcnt(0)
	v_cvt_f16_u16_e32 v5, v5
.LBB126_1913:
	s_mov_b64 s[22:23], 0
.LBB126_1914:
	s_andn2_b64 vcc, exec, s[22:23]
	s_cbranch_vccnz .LBB126_1922
; %bb.1915:
	global_load_ubyte v6, v[0:1], off
	s_movk_i32 s22, 0x7f
	s_waitcnt vmcnt(0)
	v_cmp_lt_i16_e32 vcc, s22, v6
	s_mov_b64 s[22:23], 0
	s_and_saveexec_b64 s[24:25], vcc
	s_xor_b64 s[24:25], exec, s[24:25]
	s_cbranch_execz .LBB126_1936
; %bb.1916:
	s_movk_i32 s22, 0x80
	v_cmp_eq_u16_e32 vcc, s22, v6
	s_mov_b64 s[22:23], -1
	s_and_saveexec_b64 s[26:27], vcc
; %bb.1917:
	s_xor_b64 s[22:23], exec, -1
; %bb.1918:
	s_or_b64 exec, exec, s[26:27]
	s_and_b64 s[22:23], s[22:23], exec
	s_or_saveexec_b64 s[24:25], s[24:25]
	v_mov_b32_e32 v5, 0x7e00
	s_xor_b64 exec, exec, s[24:25]
	s_cbranch_execnz .LBB126_1937
.LBB126_1919:
	s_or_b64 exec, exec, s[24:25]
	s_and_saveexec_b64 s[24:25], s[22:23]
	s_cbranch_execz .LBB126_1921
.LBB126_1920:
	v_lshlrev_b32_e32 v5, 24, v6
	v_and_b32_e32 v6, 0xffff, v6
	v_and_b32_e32 v7, 7, v6
	v_ffbh_u32_e32 v9, v7
	v_min_u32_e32 v9, 32, v9
	v_subrev_u32_e32 v10, 28, v9
	v_bfe_u32 v8, v6, 3, 4
	v_lshlrev_b32_e32 v6, v10, v6
	v_sub_u32_e32 v9, 29, v9
	v_and_b32_e32 v6, 7, v6
	v_cmp_eq_u32_e32 vcc, 0, v8
	v_cndmask_b32_e32 v8, v8, v9, vcc
	v_cndmask_b32_e32 v6, v7, v6, vcc
	v_mov_b32_e32 v7, 0x3b800000
	v_lshlrev_b32_e32 v6, 20, v6
	v_and_b32_e32 v5, 0x80000000, v5
	v_lshl_add_u32 v7, v8, 23, v7
	v_or3_b32 v5, v5, v7, v6
	v_cvt_f16_f32_e32 v5, v5
.LBB126_1921:
	s_or_b64 exec, exec, s[24:25]
.LBB126_1922:
	s_mov_b64 s[22:23], -1
.LBB126_1923:
	s_mov_b64 s[24:25], 0
.LBB126_1924:
	s_and_b64 vcc, exec, s[24:25]
	s_cbranch_vccz .LBB126_1957
; %bb.1925:
	s_cmp_gt_i32 s28, 22
	s_cbranch_scc0 .LBB126_1935
; %bb.1926:
	s_cmp_lt_i32 s28, 24
	s_cbranch_scc1 .LBB126_1938
; %bb.1927:
	s_cmp_gt_i32 s28, 24
	s_cbranch_scc0 .LBB126_1939
; %bb.1928:
	global_load_ubyte v6, v[0:1], off
	s_movk_i32 s20, 0x7f
	s_waitcnt vmcnt(0)
	v_cmp_lt_i16_e32 vcc, s20, v6
	s_mov_b64 s[20:21], 0
	s_and_saveexec_b64 s[22:23], vcc
	s_xor_b64 s[22:23], exec, s[22:23]
	s_cbranch_execz .LBB126_1951
; %bb.1929:
	s_movk_i32 s20, 0x80
	v_cmp_eq_u16_e32 vcc, s20, v6
	s_mov_b64 s[20:21], -1
	s_and_saveexec_b64 s[24:25], vcc
; %bb.1930:
	s_xor_b64 s[20:21], exec, -1
; %bb.1931:
	s_or_b64 exec, exec, s[24:25]
	s_and_b64 s[20:21], s[20:21], exec
	s_or_saveexec_b64 s[22:23], s[22:23]
	v_mov_b32_e32 v5, 0x7e00
	s_xor_b64 exec, exec, s[22:23]
	s_cbranch_execnz .LBB126_1952
.LBB126_1932:
	s_or_b64 exec, exec, s[22:23]
	s_and_saveexec_b64 s[22:23], s[20:21]
	s_cbranch_execz .LBB126_1934
.LBB126_1933:
	v_lshlrev_b32_e32 v5, 24, v6
	v_and_b32_e32 v6, 0xffff, v6
	v_and_b32_e32 v7, 3, v6
	v_ffbh_u32_e32 v9, v7
	v_min_u32_e32 v9, 32, v9
	v_subrev_u32_e32 v10, 29, v9
	v_bfe_u32 v8, v6, 2, 5
	v_lshlrev_b32_e32 v6, v10, v6
	v_sub_u32_e32 v9, 30, v9
	v_and_b32_e32 v6, 3, v6
	v_cmp_eq_u32_e32 vcc, 0, v8
	v_cndmask_b32_e32 v8, v8, v9, vcc
	v_cndmask_b32_e32 v6, v7, v6, vcc
	v_mov_b32_e32 v7, 0x37800000
	v_lshlrev_b32_e32 v6, 21, v6
	v_and_b32_e32 v5, 0x80000000, v5
	v_lshl_add_u32 v7, v8, 23, v7
	v_or3_b32 v5, v5, v7, v6
	v_cvt_f16_f32_e32 v5, v5
.LBB126_1934:
	s_or_b64 exec, exec, s[22:23]
	s_mov_b64 s[20:21], 0
	s_branch .LBB126_1940
.LBB126_1935:
	s_mov_b64 s[20:21], -1
                                        ; implicit-def: $vgpr5
	s_branch .LBB126_1946
.LBB126_1936:
	s_or_saveexec_b64 s[24:25], s[24:25]
	v_mov_b32_e32 v5, 0x7e00
	s_xor_b64 exec, exec, s[24:25]
	s_cbranch_execz .LBB126_1919
.LBB126_1937:
	v_cmp_ne_u16_e32 vcc, 0, v6
	s_andn2_b64 s[22:23], s[22:23], exec
	s_and_b64 s[26:27], vcc, exec
	s_or_b64 s[22:23], s[22:23], s[26:27]
	v_mov_b32_e32 v5, v6
	s_or_b64 exec, exec, s[24:25]
	s_and_saveexec_b64 s[24:25], s[22:23]
	s_cbranch_execnz .LBB126_1920
	s_branch .LBB126_1921
.LBB126_1938:
	s_mov_b64 s[20:21], -1
                                        ; implicit-def: $vgpr5
	s_branch .LBB126_1943
.LBB126_1939:
	s_mov_b64 s[20:21], -1
                                        ; implicit-def: $vgpr5
.LBB126_1940:
	s_and_b64 vcc, exec, s[20:21]
	s_cbranch_vccz .LBB126_1942
; %bb.1941:
	global_load_ubyte v5, v[0:1], off
	s_mov_b32 s20, 0x7f800000
	s_waitcnt vmcnt(0)
	v_lshlrev_b32_e32 v5, 24, v5
	v_and_b32_e32 v6, 0x7f000000, v5
	v_ffbh_u32_e32 v7, v6
	v_min_u32_e32 v7, 32, v7
	v_sub_u32_e64 v7, v7, 4 clamp
	v_lshlrev_b32_e32 v9, v7, v6
	v_lshlrev_b32_e32 v7, 23, v7
	v_lshrrev_b32_e32 v9, 4, v9
	v_add_u32_e32 v8, 0x1000000, v6
	v_sub_u32_e32 v7, v9, v7
	v_ashrrev_i32_e32 v8, 8, v8
	v_add_u32_e32 v7, 0x3c000000, v7
	v_and_or_b32 v7, v8, s20, v7
	v_cmp_ne_u32_e32 vcc, 0, v6
	v_cndmask_b32_e32 v6, 0, v7, vcc
	s_brev_b32 s20, 1
	v_and_or_b32 v5, v5, s20, v6
	v_cvt_f16_f32_e32 v5, v5
.LBB126_1942:
	s_mov_b64 s[20:21], 0
.LBB126_1943:
	s_andn2_b64 vcc, exec, s[20:21]
	s_cbranch_vccnz .LBB126_1945
; %bb.1944:
	global_load_ubyte v5, v[0:1], off
	s_movk_i32 s20, 0x7f00
	s_brev_b32 s21, 16
	s_waitcnt vmcnt(0)
	v_lshlrev_b16_e32 v6, 8, v5
	v_lshlrev_b32_e32 v5, 25, v5
	v_lshrrev_b32_e32 v7, 4, v5
	v_and_or_b32 v8, v6, s20, 0.5
	v_or_b32_e32 v7, 0x70000000, v7
	v_add_f32_e32 v8, -0.5, v8
	v_mul_f32_e32 v7, 0x7800000, v7
	v_cmp_gt_u32_e32 vcc, s21, v5
	v_bfe_i32 v6, v6, 0, 16
	v_cndmask_b32_e32 v5, v7, v8, vcc
	s_brev_b32 s20, 1
	v_and_or_b32 v5, v6, s20, v5
	v_cvt_f16_f32_e32 v5, v5
.LBB126_1945:
	s_mov_b64 s[20:21], 0
	s_mov_b64 s[22:23], -1
.LBB126_1946:
	s_andn2_b64 vcc, exec, s[20:21]
	s_mov_b64 s[20:21], 0
	s_cbranch_vccnz .LBB126_1957
; %bb.1947:
	s_cmp_gt_i32 s28, 14
	s_cbranch_scc0 .LBB126_1950
; %bb.1948:
	s_cmp_eq_u32 s28, 15
	s_cbranch_scc0 .LBB126_1953
; %bb.1949:
	global_load_ushort v5, v[0:1], off
	s_mov_b64 s[0:1], 0
	s_mov_b64 s[22:23], -1
	s_waitcnt vmcnt(0)
	v_lshlrev_b32_e32 v5, 16, v5
	v_cvt_f16_f32_e32 v5, v5
	s_branch .LBB126_1954
.LBB126_1950:
	s_mov_b64 s[24:25], -1
                                        ; implicit-def: $vgpr5
	s_branch .LBB126_1955
.LBB126_1951:
	s_or_saveexec_b64 s[22:23], s[22:23]
	v_mov_b32_e32 v5, 0x7e00
	s_xor_b64 exec, exec, s[22:23]
	s_cbranch_execz .LBB126_1932
.LBB126_1952:
	v_cmp_ne_u16_e32 vcc, 0, v6
	s_andn2_b64 s[20:21], s[20:21], exec
	s_and_b64 s[24:25], vcc, exec
	s_or_b64 s[20:21], s[20:21], s[24:25]
	v_mov_b32_e32 v5, v6
	s_or_b64 exec, exec, s[22:23]
	s_and_saveexec_b64 s[22:23], s[20:21]
	s_cbranch_execnz .LBB126_1933
	s_branch .LBB126_1934
.LBB126_1953:
	s_mov_b64 s[0:1], -1
                                        ; implicit-def: $vgpr5
.LBB126_1954:
	s_mov_b64 s[24:25], 0
.LBB126_1955:
	s_and_b64 vcc, exec, s[24:25]
	s_cbranch_vccz .LBB126_1957
; %bb.1956:
	s_cmp_lg_u32 s28, 11
	s_mov_b64 s[20:21], -1
	s_cselect_b64 s[0:1], -1, 0
.LBB126_1957:
	s_and_b64 vcc, exec, s[0:1]
	s_cbranch_vccnz .LBB126_2020
; %bb.1958:
	s_andn2_b64 vcc, exec, s[20:21]
	s_cbranch_vccnz .LBB126_1960
.LBB126_1959:
	global_load_ubyte v5, v[0:1], off
	v_mov_b32_e32 v6, 0x3c00
	s_mov_b64 s[22:23], -1
	s_waitcnt vmcnt(0)
	v_cmp_ne_u16_e32 vcc, 0, v5
	v_cndmask_b32_e32 v5, 0, v6, vcc
.LBB126_1960:
	s_branch .LBB126_1888
.LBB126_1961:
	s_and_b32 s20, 0xffff, s30
	s_cmp_lt_i32 s20, 5
	s_cbranch_scc1 .LBB126_1966
; %bb.1962:
	s_cmp_lt_i32 s20, 8
	s_cbranch_scc1 .LBB126_1967
; %bb.1963:
	;; [unrolled: 3-line block ×3, first 2 shown]
	s_cmp_gt_i32 s20, 9
	s_cbranch_scc0 .LBB126_1969
; %bb.1965:
	global_load_dwordx2 v[5:6], v[0:1], off
	s_movk_i32 s0, 0x1ff
	s_movk_i32 s1, 0xffe
	v_mov_b32_e32 v7, 0x7c00
	v_mov_b32_e32 v8, 0x7e00
	s_movk_i32 s21, 0x40f
	s_mov_b32 s22, 0x8000
	s_waitcnt vmcnt(0)
	v_and_or_b32 v5, v6, s0, v5
	v_cmp_ne_u32_e32 vcc, 0, v5
	v_lshrrev_b32_e32 v9, 8, v6
	v_bfe_u32 v10, v6, 20, 11
	v_cndmask_b32_e64 v5, 0, 1, vcc
	v_sub_u32_e32 v11, 0x3f1, v10
	v_and_or_b32 v5, v9, s1, v5
	v_add_u32_e32 v10, 0xfffffc10, v10
	v_med3_i32 v9, v11, 0, 13
	v_or_b32_e32 v11, 0x1000, v5
	v_cmp_ne_u32_e32 vcc, 0, v5
	v_lshl_or_b32 v12, v10, 12, v5
	v_cndmask_b32_e32 v5, v7, v8, vcc
	v_lshrrev_b32_e32 v8, v9, v11
	v_lshlrev_b32_e32 v9, v9, v8
	v_cmp_ne_u32_e32 vcc, v9, v11
	v_cndmask_b32_e64 v9, 0, 1, vcc
	v_or_b32_e32 v8, v8, v9
	v_cmp_gt_i32_e32 vcc, 1, v10
	v_cndmask_b32_e32 v8, v12, v8, vcc
	v_and_b32_e32 v9, 7, v8
	v_cmp_lt_i32_e32 vcc, 5, v9
	v_cndmask_b32_e64 v11, 0, 1, vcc
	v_cmp_eq_u32_e32 vcc, 3, v9
	v_cndmask_b32_e64 v9, 0, 1, vcc
	v_lshrrev_b32_e32 v8, 2, v8
	v_or_b32_e32 v9, v9, v11
	v_add_u32_e32 v8, v8, v9
	v_cmp_gt_i32_e32 vcc, 31, v10
	v_cndmask_b32_e32 v7, v7, v8, vcc
	v_cmp_eq_u32_e32 vcc, s21, v10
	v_lshrrev_b32_e32 v6, 16, v6
	v_cndmask_b32_e32 v5, v7, v5, vcc
	v_and_or_b32 v5, v6, s22, v5
	s_mov_b64 s[0:1], 0
	s_branch .LBB126_1970
.LBB126_1966:
	s_mov_b64 s[0:1], -1
                                        ; implicit-def: $vgpr5
	s_branch .LBB126_1988
.LBB126_1967:
	s_mov_b64 s[0:1], -1
                                        ; implicit-def: $vgpr5
	s_branch .LBB126_1976
.LBB126_1968:
	s_mov_b64 s[0:1], -1
                                        ; implicit-def: $vgpr5
	s_branch .LBB126_1973
.LBB126_1969:
	s_mov_b64 s[0:1], -1
                                        ; implicit-def: $vgpr5
.LBB126_1970:
	s_andn2_b64 vcc, exec, s[0:1]
	s_cbranch_vccnz .LBB126_1972
; %bb.1971:
	global_load_dword v5, v[0:1], off
	s_waitcnt vmcnt(0)
	v_cvt_f16_f32_e32 v5, v5
.LBB126_1972:
	s_mov_b64 s[0:1], 0
.LBB126_1973:
	s_andn2_b64 vcc, exec, s[0:1]
	s_cbranch_vccnz .LBB126_1975
; %bb.1974:
	global_load_dword v5, v[0:1], off
.LBB126_1975:
	s_mov_b64 s[0:1], 0
.LBB126_1976:
	s_andn2_b64 vcc, exec, s[0:1]
	s_cbranch_vccnz .LBB126_1987
; %bb.1977:
	s_cmp_lt_i32 s20, 6
	s_cbranch_scc1 .LBB126_1980
; %bb.1978:
	s_cmp_gt_i32 s20, 6
	s_cbranch_scc0 .LBB126_1981
; %bb.1979:
	global_load_dwordx2 v[5:6], v[0:1], off
	s_movk_i32 s0, 0x1ff
	s_movk_i32 s1, 0xffe
	v_mov_b32_e32 v7, 0x7c00
	v_mov_b32_e32 v8, 0x7e00
	s_movk_i32 s21, 0x40f
	s_mov_b32 s22, 0x8000
	s_waitcnt vmcnt(0)
	v_and_or_b32 v5, v6, s0, v5
	v_cmp_ne_u32_e32 vcc, 0, v5
	v_lshrrev_b32_e32 v9, 8, v6
	v_bfe_u32 v10, v6, 20, 11
	v_cndmask_b32_e64 v5, 0, 1, vcc
	v_sub_u32_e32 v11, 0x3f1, v10
	v_and_or_b32 v5, v9, s1, v5
	v_add_u32_e32 v10, 0xfffffc10, v10
	v_med3_i32 v9, v11, 0, 13
	v_or_b32_e32 v11, 0x1000, v5
	v_cmp_ne_u32_e32 vcc, 0, v5
	v_lshl_or_b32 v12, v10, 12, v5
	v_cndmask_b32_e32 v5, v7, v8, vcc
	v_lshrrev_b32_e32 v8, v9, v11
	v_lshlrev_b32_e32 v9, v9, v8
	v_cmp_ne_u32_e32 vcc, v9, v11
	v_cndmask_b32_e64 v9, 0, 1, vcc
	v_or_b32_e32 v8, v8, v9
	v_cmp_gt_i32_e32 vcc, 1, v10
	v_cndmask_b32_e32 v8, v12, v8, vcc
	v_and_b32_e32 v9, 7, v8
	v_cmp_lt_i32_e32 vcc, 5, v9
	v_cndmask_b32_e64 v11, 0, 1, vcc
	v_cmp_eq_u32_e32 vcc, 3, v9
	v_cndmask_b32_e64 v9, 0, 1, vcc
	v_lshrrev_b32_e32 v8, 2, v8
	v_or_b32_e32 v9, v9, v11
	v_add_u32_e32 v8, v8, v9
	v_cmp_gt_i32_e32 vcc, 31, v10
	v_cndmask_b32_e32 v7, v7, v8, vcc
	v_cmp_eq_u32_e32 vcc, s21, v10
	v_lshrrev_b32_e32 v6, 16, v6
	v_cndmask_b32_e32 v5, v7, v5, vcc
	v_and_or_b32 v5, v6, s22, v5
	s_mov_b64 s[0:1], 0
	s_branch .LBB126_1982
.LBB126_1980:
	s_mov_b64 s[0:1], -1
                                        ; implicit-def: $vgpr5
	s_branch .LBB126_1985
.LBB126_1981:
	s_mov_b64 s[0:1], -1
                                        ; implicit-def: $vgpr5
.LBB126_1982:
	s_andn2_b64 vcc, exec, s[0:1]
	s_cbranch_vccnz .LBB126_1984
; %bb.1983:
	global_load_dword v5, v[0:1], off
	s_waitcnt vmcnt(0)
	v_cvt_f16_f32_e32 v5, v5
.LBB126_1984:
	s_mov_b64 s[0:1], 0
.LBB126_1985:
	s_andn2_b64 vcc, exec, s[0:1]
	s_cbranch_vccnz .LBB126_1987
; %bb.1986:
	global_load_ushort v5, v[0:1], off
.LBB126_1987:
	s_mov_b64 s[0:1], 0
.LBB126_1988:
	s_andn2_b64 vcc, exec, s[0:1]
	s_cbranch_vccnz .LBB126_2008
; %bb.1989:
	s_cmp_lt_i32 s20, 2
	s_cbranch_scc1 .LBB126_1993
; %bb.1990:
	s_cmp_lt_i32 s20, 3
	s_cbranch_scc1 .LBB126_1994
; %bb.1991:
	s_cmp_gt_i32 s20, 3
	s_cbranch_scc0 .LBB126_1995
; %bb.1992:
	global_load_dwordx2 v[5:6], v[0:1], off
	s_mov_b64 s[0:1], 0
	s_waitcnt vmcnt(0)
	v_xor_b32_e32 v8, v5, v6
	v_ffbh_i32_e32 v7, v6
	v_ashrrev_i32_e32 v8, 31, v8
	v_add_u32_e32 v7, -1, v7
	v_add_u32_e32 v8, 32, v8
	v_min_u32_e32 v7, v7, v8
	v_lshlrev_b64 v[5:6], v7, v[5:6]
	v_min_u32_e32 v5, 1, v5
	v_or_b32_e32 v5, v6, v5
	v_cvt_f32_i32_e32 v5, v5
	v_sub_u32_e32 v6, 32, v7
	v_ldexp_f32 v5, v5, v6
	v_cvt_f16_f32_e32 v5, v5
	s_branch .LBB126_1996
.LBB126_1993:
	s_mov_b64 s[0:1], -1
                                        ; implicit-def: $vgpr5
	s_branch .LBB126_2002
.LBB126_1994:
	s_mov_b64 s[0:1], -1
                                        ; implicit-def: $vgpr5
	s_branch .LBB126_1999
.LBB126_1995:
	s_mov_b64 s[0:1], -1
                                        ; implicit-def: $vgpr5
.LBB126_1996:
	s_andn2_b64 vcc, exec, s[0:1]
	s_cbranch_vccnz .LBB126_1998
; %bb.1997:
	global_load_dword v5, v[0:1], off
	s_waitcnt vmcnt(0)
	v_cvt_f32_i32_e32 v5, v5
	v_cvt_f16_f32_e32 v5, v5
.LBB126_1998:
	s_mov_b64 s[0:1], 0
.LBB126_1999:
	s_andn2_b64 vcc, exec, s[0:1]
	s_cbranch_vccnz .LBB126_2001
; %bb.2000:
	global_load_ushort v5, v[0:1], off
	s_waitcnt vmcnt(0)
	v_cvt_f16_i16_e32 v5, v5
.LBB126_2001:
	s_mov_b64 s[0:1], 0
.LBB126_2002:
	s_andn2_b64 vcc, exec, s[0:1]
	s_cbranch_vccnz .LBB126_2008
; %bb.2003:
	s_cmp_gt_i32 s20, 0
	s_cbranch_scc0 .LBB126_2005
; %bb.2004:
	global_load_sbyte v5, v[0:1], off
	s_mov_b64 s[0:1], 0
	s_waitcnt vmcnt(0)
	v_cvt_f16_i16_e32 v5, v5
	s_branch .LBB126_2006
.LBB126_2005:
	s_mov_b64 s[0:1], -1
                                        ; implicit-def: $vgpr5
.LBB126_2006:
	s_andn2_b64 vcc, exec, s[0:1]
	s_cbranch_vccnz .LBB126_2008
; %bb.2007:
	global_load_ubyte v0, v[0:1], off
	s_waitcnt vmcnt(0)
	v_cvt_f16_u16_e32 v5, v0
.LBB126_2008:
.LBB126_2009:
	s_lshl_b32 s14, s14, 7
	v_add_u32_e32 v4, s14, v4
	v_ashrrev_i32_e32 v1, 31, v4
	v_mov_b32_e32 v6, s3
	v_add_co_u32_e32 v0, vcc, s2, v4
	s_cmp_lt_i32 s31, 11
	v_addc_co_u32_e32 v1, vcc, v6, v1, vcc
	s_cbranch_scc1 .LBB126_2016
; %bb.2010:
	s_and_b32 s28, 0xffff, s31
	s_cmp_gt_i32 s28, 25
	s_mov_b64 s[20:21], 0
	s_cbranch_scc0 .LBB126_2017
; %bb.2011:
	s_cmp_gt_i32 s28, 28
	s_cbranch_scc0 .LBB126_2018
; %bb.2012:
	s_cmp_gt_i32 s28, 43
	;; [unrolled: 3-line block ×3, first 2 shown]
	s_cbranch_scc0 .LBB126_2021
; %bb.2014:
	s_cmp_eq_u32 s28, 46
	s_mov_b64 s[24:25], 0
	s_cbranch_scc0 .LBB126_2022
; %bb.2015:
	global_load_dword v6, v[0:1], off
	s_mov_b64 s[0:1], 0
	s_mov_b64 s[22:23], -1
	s_waitcnt vmcnt(0)
	v_lshlrev_b32_e32 v6, 16, v6
	v_cvt_f16_f32_e32 v6, v6
	s_branch .LBB126_2023
.LBB126_2016:
	s_mov_b64 s[0:1], -1
	s_mov_b64 s[22:23], 0
                                        ; implicit-def: $vgpr6
	s_branch .LBB126_2089
.LBB126_2017:
	s_mov_b64 s[24:25], -1
	s_mov_b64 s[22:23], 0
	s_mov_b64 s[0:1], 0
                                        ; implicit-def: $vgpr6
	s_branch .LBB126_2052
.LBB126_2018:
	s_mov_b64 s[24:25], -1
	s_mov_b64 s[22:23], 0
	s_mov_b64 s[0:1], 0
                                        ; implicit-def: $vgpr6
	s_branch .LBB126_2033
.LBB126_2019:
	s_mov_b64 s[24:25], -1
	s_mov_b64 s[22:23], 0
	s_mov_b64 s[0:1], 0
                                        ; implicit-def: $vgpr6
	s_branch .LBB126_2028
.LBB126_2020:
	s_trap 2
	s_or_b64 s[18:19], s[18:19], exec
	s_cbranch_execz .LBB126_1959
	s_branch .LBB126_1960
.LBB126_2021:
	s_mov_b64 s[24:25], -1
	s_mov_b64 s[22:23], 0
	s_mov_b64 s[0:1], 0
                                        ; implicit-def: $vgpr6
	s_branch .LBB126_2023
.LBB126_2022:
	s_mov_b64 s[0:1], -1
                                        ; implicit-def: $vgpr6
	s_mov_b64 s[22:23], 0
.LBB126_2023:
	s_and_b64 vcc, exec, s[24:25]
	s_cbranch_vccz .LBB126_2027
; %bb.2024:
	s_cmp_eq_u32 s28, 44
	s_cbranch_scc0 .LBB126_2026
; %bb.2025:
	global_load_ubyte v6, v[0:1], off
	s_movk_i32 s22, 0xff
	v_mov_b32_e32 v8, 0x7e00
	s_mov_b64 s[0:1], 0
	s_waitcnt vmcnt(0)
	v_lshlrev_b32_e32 v7, 23, v6
	v_cvt_f16_f32_e32 v7, v7
	v_cmp_ne_u32_e32 vcc, s22, v6
	s_mov_b64 s[22:23], -1
	v_cndmask_b32_e32 v7, v8, v7, vcc
	v_cmp_ne_u32_e32 vcc, 0, v6
	v_cndmask_b32_e32 v6, 0, v7, vcc
	s_branch .LBB126_2027
.LBB126_2026:
	s_mov_b64 s[0:1], -1
                                        ; implicit-def: $vgpr6
.LBB126_2027:
	s_mov_b64 s[24:25], 0
.LBB126_2028:
	s_and_b64 vcc, exec, s[24:25]
	s_cbranch_vccz .LBB126_2032
; %bb.2029:
	s_cmp_eq_u32 s28, 29
	s_cbranch_scc0 .LBB126_2031
; %bb.2030:
	global_load_dwordx2 v[6:7], v[0:1], off
	s_mov_b64 s[0:1], 0
	s_mov_b64 s[22:23], -1
	s_mov_b64 s[24:25], 0
	s_waitcnt vmcnt(0)
	v_ffbh_u32_e32 v8, v7
	v_min_u32_e32 v8, 32, v8
	v_lshlrev_b64 v[6:7], v8, v[6:7]
	v_min_u32_e32 v6, 1, v6
	v_or_b32_e32 v6, v7, v6
	v_cvt_f32_u32_e32 v6, v6
	v_sub_u32_e32 v7, 32, v8
	v_ldexp_f32 v6, v6, v7
	v_cvt_f16_f32_e32 v6, v6
	s_branch .LBB126_2033
.LBB126_2031:
	s_mov_b64 s[0:1], -1
                                        ; implicit-def: $vgpr6
.LBB126_2032:
	s_mov_b64 s[24:25], 0
.LBB126_2033:
	s_and_b64 vcc, exec, s[24:25]
	s_cbranch_vccz .LBB126_2051
; %bb.2034:
	s_cmp_lt_i32 s28, 27
	s_cbranch_scc1 .LBB126_2037
; %bb.2035:
	s_cmp_gt_i32 s28, 27
	s_cbranch_scc0 .LBB126_2038
; %bb.2036:
	global_load_dword v6, v[0:1], off
	s_mov_b64 s[22:23], 0
	s_waitcnt vmcnt(0)
	v_cvt_f32_u32_e32 v6, v6
	v_cvt_f16_f32_e32 v6, v6
	s_branch .LBB126_2039
.LBB126_2037:
	s_mov_b64 s[22:23], -1
                                        ; implicit-def: $vgpr6
	s_branch .LBB126_2042
.LBB126_2038:
	s_mov_b64 s[22:23], -1
                                        ; implicit-def: $vgpr6
.LBB126_2039:
	s_andn2_b64 vcc, exec, s[22:23]
	s_cbranch_vccnz .LBB126_2041
; %bb.2040:
	global_load_ushort v6, v[0:1], off
	s_waitcnt vmcnt(0)
	v_cvt_f16_u16_e32 v6, v6
.LBB126_2041:
	s_mov_b64 s[22:23], 0
.LBB126_2042:
	s_andn2_b64 vcc, exec, s[22:23]
	s_cbranch_vccnz .LBB126_2050
; %bb.2043:
	global_load_ubyte v7, v[0:1], off
	s_movk_i32 s22, 0x7f
	s_waitcnt vmcnt(0)
	v_cmp_lt_i16_e32 vcc, s22, v7
	s_mov_b64 s[22:23], 0
	s_and_saveexec_b64 s[24:25], vcc
	s_xor_b64 s[24:25], exec, s[24:25]
	s_cbranch_execz .LBB126_2064
; %bb.2044:
	s_movk_i32 s22, 0x80
	v_cmp_eq_u16_e32 vcc, s22, v7
	s_mov_b64 s[22:23], -1
	s_and_saveexec_b64 s[26:27], vcc
; %bb.2045:
	s_xor_b64 s[22:23], exec, -1
; %bb.2046:
	s_or_b64 exec, exec, s[26:27]
	s_and_b64 s[22:23], s[22:23], exec
	s_or_saveexec_b64 s[24:25], s[24:25]
	v_mov_b32_e32 v6, 0x7e00
	s_xor_b64 exec, exec, s[24:25]
	s_cbranch_execnz .LBB126_2065
.LBB126_2047:
	s_or_b64 exec, exec, s[24:25]
	s_and_saveexec_b64 s[24:25], s[22:23]
	s_cbranch_execz .LBB126_2049
.LBB126_2048:
	v_lshlrev_b32_e32 v6, 24, v7
	v_and_b32_e32 v7, 0xffff, v7
	v_and_b32_e32 v8, 7, v7
	v_ffbh_u32_e32 v10, v8
	v_min_u32_e32 v10, 32, v10
	v_subrev_u32_e32 v11, 28, v10
	v_bfe_u32 v9, v7, 3, 4
	v_lshlrev_b32_e32 v7, v11, v7
	v_sub_u32_e32 v10, 29, v10
	v_and_b32_e32 v7, 7, v7
	v_cmp_eq_u32_e32 vcc, 0, v9
	v_cndmask_b32_e32 v9, v9, v10, vcc
	v_cndmask_b32_e32 v7, v8, v7, vcc
	v_mov_b32_e32 v8, 0x3b800000
	v_lshlrev_b32_e32 v7, 20, v7
	v_and_b32_e32 v6, 0x80000000, v6
	v_lshl_add_u32 v8, v9, 23, v8
	v_or3_b32 v6, v6, v8, v7
	v_cvt_f16_f32_e32 v6, v6
.LBB126_2049:
	s_or_b64 exec, exec, s[24:25]
.LBB126_2050:
	s_mov_b64 s[22:23], -1
.LBB126_2051:
	s_mov_b64 s[24:25], 0
.LBB126_2052:
	s_and_b64 vcc, exec, s[24:25]
	s_cbranch_vccz .LBB126_2085
; %bb.2053:
	s_cmp_gt_i32 s28, 22
	s_cbranch_scc0 .LBB126_2063
; %bb.2054:
	s_cmp_lt_i32 s28, 24
	s_cbranch_scc1 .LBB126_2066
; %bb.2055:
	s_cmp_gt_i32 s28, 24
	s_cbranch_scc0 .LBB126_2067
; %bb.2056:
	global_load_ubyte v7, v[0:1], off
	s_movk_i32 s20, 0x7f
	s_waitcnt vmcnt(0)
	v_cmp_lt_i16_e32 vcc, s20, v7
	s_mov_b64 s[20:21], 0
	s_and_saveexec_b64 s[22:23], vcc
	s_xor_b64 s[22:23], exec, s[22:23]
	s_cbranch_execz .LBB126_2079
; %bb.2057:
	s_movk_i32 s20, 0x80
	v_cmp_eq_u16_e32 vcc, s20, v7
	s_mov_b64 s[20:21], -1
	s_and_saveexec_b64 s[24:25], vcc
; %bb.2058:
	s_xor_b64 s[20:21], exec, -1
; %bb.2059:
	s_or_b64 exec, exec, s[24:25]
	s_and_b64 s[20:21], s[20:21], exec
	s_or_saveexec_b64 s[22:23], s[22:23]
	v_mov_b32_e32 v6, 0x7e00
	s_xor_b64 exec, exec, s[22:23]
	s_cbranch_execnz .LBB126_2080
.LBB126_2060:
	s_or_b64 exec, exec, s[22:23]
	s_and_saveexec_b64 s[22:23], s[20:21]
	s_cbranch_execz .LBB126_2062
.LBB126_2061:
	v_lshlrev_b32_e32 v6, 24, v7
	v_and_b32_e32 v7, 0xffff, v7
	v_and_b32_e32 v8, 3, v7
	v_ffbh_u32_e32 v10, v8
	v_min_u32_e32 v10, 32, v10
	v_subrev_u32_e32 v11, 29, v10
	v_bfe_u32 v9, v7, 2, 5
	v_lshlrev_b32_e32 v7, v11, v7
	v_sub_u32_e32 v10, 30, v10
	v_and_b32_e32 v7, 3, v7
	v_cmp_eq_u32_e32 vcc, 0, v9
	v_cndmask_b32_e32 v9, v9, v10, vcc
	v_cndmask_b32_e32 v7, v8, v7, vcc
	v_mov_b32_e32 v8, 0x37800000
	v_lshlrev_b32_e32 v7, 21, v7
	v_and_b32_e32 v6, 0x80000000, v6
	v_lshl_add_u32 v8, v9, 23, v8
	v_or3_b32 v6, v6, v8, v7
	v_cvt_f16_f32_e32 v6, v6
.LBB126_2062:
	s_or_b64 exec, exec, s[22:23]
	s_mov_b64 s[20:21], 0
	s_branch .LBB126_2068
.LBB126_2063:
	s_mov_b64 s[20:21], -1
                                        ; implicit-def: $vgpr6
	s_branch .LBB126_2074
.LBB126_2064:
	s_or_saveexec_b64 s[24:25], s[24:25]
	v_mov_b32_e32 v6, 0x7e00
	s_xor_b64 exec, exec, s[24:25]
	s_cbranch_execz .LBB126_2047
.LBB126_2065:
	v_cmp_ne_u16_e32 vcc, 0, v7
	s_andn2_b64 s[22:23], s[22:23], exec
	s_and_b64 s[26:27], vcc, exec
	s_or_b64 s[22:23], s[22:23], s[26:27]
	v_mov_b32_e32 v6, v7
	s_or_b64 exec, exec, s[24:25]
	s_and_saveexec_b64 s[24:25], s[22:23]
	s_cbranch_execnz .LBB126_2048
	s_branch .LBB126_2049
.LBB126_2066:
	s_mov_b64 s[20:21], -1
                                        ; implicit-def: $vgpr6
	s_branch .LBB126_2071
.LBB126_2067:
	s_mov_b64 s[20:21], -1
                                        ; implicit-def: $vgpr6
.LBB126_2068:
	s_and_b64 vcc, exec, s[20:21]
	s_cbranch_vccz .LBB126_2070
; %bb.2069:
	global_load_ubyte v6, v[0:1], off
	s_mov_b32 s20, 0x7f800000
	s_waitcnt vmcnt(0)
	v_lshlrev_b32_e32 v6, 24, v6
	v_and_b32_e32 v7, 0x7f000000, v6
	v_ffbh_u32_e32 v8, v7
	v_min_u32_e32 v8, 32, v8
	v_sub_u32_e64 v8, v8, 4 clamp
	v_lshlrev_b32_e32 v10, v8, v7
	v_lshlrev_b32_e32 v8, 23, v8
	v_lshrrev_b32_e32 v10, 4, v10
	v_add_u32_e32 v9, 0x1000000, v7
	v_sub_u32_e32 v8, v10, v8
	v_ashrrev_i32_e32 v9, 8, v9
	v_add_u32_e32 v8, 0x3c000000, v8
	v_and_or_b32 v8, v9, s20, v8
	v_cmp_ne_u32_e32 vcc, 0, v7
	v_cndmask_b32_e32 v7, 0, v8, vcc
	s_brev_b32 s20, 1
	v_and_or_b32 v6, v6, s20, v7
	v_cvt_f16_f32_e32 v6, v6
.LBB126_2070:
	s_mov_b64 s[20:21], 0
.LBB126_2071:
	s_andn2_b64 vcc, exec, s[20:21]
	s_cbranch_vccnz .LBB126_2073
; %bb.2072:
	global_load_ubyte v6, v[0:1], off
	s_movk_i32 s20, 0x7f00
	s_brev_b32 s21, 16
	s_waitcnt vmcnt(0)
	v_lshlrev_b16_e32 v7, 8, v6
	v_lshlrev_b32_e32 v6, 25, v6
	v_lshrrev_b32_e32 v8, 4, v6
	v_and_or_b32 v9, v7, s20, 0.5
	v_or_b32_e32 v8, 0x70000000, v8
	v_add_f32_e32 v9, -0.5, v9
	v_mul_f32_e32 v8, 0x7800000, v8
	v_cmp_gt_u32_e32 vcc, s21, v6
	v_bfe_i32 v7, v7, 0, 16
	v_cndmask_b32_e32 v6, v8, v9, vcc
	s_brev_b32 s20, 1
	v_and_or_b32 v6, v7, s20, v6
	v_cvt_f16_f32_e32 v6, v6
.LBB126_2073:
	s_mov_b64 s[20:21], 0
	s_mov_b64 s[22:23], -1
.LBB126_2074:
	s_andn2_b64 vcc, exec, s[20:21]
	s_mov_b64 s[20:21], 0
	s_cbranch_vccnz .LBB126_2085
; %bb.2075:
	s_cmp_gt_i32 s28, 14
	s_cbranch_scc0 .LBB126_2078
; %bb.2076:
	s_cmp_eq_u32 s28, 15
	s_cbranch_scc0 .LBB126_2081
; %bb.2077:
	global_load_ushort v6, v[0:1], off
	s_mov_b64 s[0:1], 0
	s_mov_b64 s[22:23], -1
	s_waitcnt vmcnt(0)
	v_lshlrev_b32_e32 v6, 16, v6
	v_cvt_f16_f32_e32 v6, v6
	s_branch .LBB126_2082
.LBB126_2078:
	s_mov_b64 s[24:25], -1
                                        ; implicit-def: $vgpr6
	s_branch .LBB126_2083
.LBB126_2079:
	s_or_saveexec_b64 s[22:23], s[22:23]
	v_mov_b32_e32 v6, 0x7e00
	s_xor_b64 exec, exec, s[22:23]
	s_cbranch_execz .LBB126_2060
.LBB126_2080:
	v_cmp_ne_u16_e32 vcc, 0, v7
	s_andn2_b64 s[20:21], s[20:21], exec
	s_and_b64 s[24:25], vcc, exec
	s_or_b64 s[20:21], s[20:21], s[24:25]
	v_mov_b32_e32 v6, v7
	s_or_b64 exec, exec, s[22:23]
	s_and_saveexec_b64 s[22:23], s[20:21]
	s_cbranch_execnz .LBB126_2061
	s_branch .LBB126_2062
.LBB126_2081:
	s_mov_b64 s[0:1], -1
                                        ; implicit-def: $vgpr6
.LBB126_2082:
	s_mov_b64 s[24:25], 0
.LBB126_2083:
	s_and_b64 vcc, exec, s[24:25]
	s_cbranch_vccz .LBB126_2085
; %bb.2084:
	s_cmp_lg_u32 s28, 11
	s_mov_b64 s[20:21], -1
	s_cselect_b64 s[0:1], -1, 0
.LBB126_2085:
	s_and_b64 vcc, exec, s[0:1]
	s_cbranch_vccnz .LBB126_2167
; %bb.2086:
	s_andn2_b64 vcc, exec, s[20:21]
	s_cbranch_vccnz .LBB126_2088
.LBB126_2087:
	global_load_ubyte v6, v[0:1], off
	v_mov_b32_e32 v7, 0x3c00
	s_mov_b64 s[22:23], -1
	s_waitcnt vmcnt(0)
	v_cmp_ne_u16_e32 vcc, 0, v6
	v_cndmask_b32_e32 v6, 0, v7, vcc
.LBB126_2088:
	s_mov_b64 s[0:1], 0
.LBB126_2089:
	s_and_b64 vcc, exec, s[0:1]
	s_cbranch_vccz .LBB126_2138
; %bb.2090:
	s_and_b32 s20, 0xffff, s31
	s_cmp_lt_i32 s20, 5
	s_cbranch_scc1 .LBB126_2095
; %bb.2091:
	s_cmp_lt_i32 s20, 8
	s_cbranch_scc1 .LBB126_2096
; %bb.2092:
	;; [unrolled: 3-line block ×3, first 2 shown]
	s_cmp_gt_i32 s20, 9
	s_cbranch_scc0 .LBB126_2098
; %bb.2094:
	global_load_dwordx2 v[6:7], v[0:1], off
	s_movk_i32 s0, 0x1ff
	s_movk_i32 s1, 0xffe
	v_mov_b32_e32 v8, 0x7c00
	v_mov_b32_e32 v9, 0x7e00
	s_movk_i32 s21, 0x40f
	s_mov_b32 s22, 0x8000
	s_waitcnt vmcnt(0)
	v_and_or_b32 v6, v7, s0, v6
	v_cmp_ne_u32_e32 vcc, 0, v6
	v_lshrrev_b32_e32 v10, 8, v7
	v_bfe_u32 v11, v7, 20, 11
	v_cndmask_b32_e64 v6, 0, 1, vcc
	v_sub_u32_e32 v12, 0x3f1, v11
	v_and_or_b32 v6, v10, s1, v6
	v_add_u32_e32 v11, 0xfffffc10, v11
	v_med3_i32 v10, v12, 0, 13
	v_or_b32_e32 v12, 0x1000, v6
	v_cmp_ne_u32_e32 vcc, 0, v6
	v_lshl_or_b32 v13, v11, 12, v6
	v_cndmask_b32_e32 v6, v8, v9, vcc
	v_lshrrev_b32_e32 v9, v10, v12
	v_lshlrev_b32_e32 v10, v10, v9
	v_cmp_ne_u32_e32 vcc, v10, v12
	v_cndmask_b32_e64 v10, 0, 1, vcc
	v_or_b32_e32 v9, v9, v10
	v_cmp_gt_i32_e32 vcc, 1, v11
	v_cndmask_b32_e32 v9, v13, v9, vcc
	v_and_b32_e32 v10, 7, v9
	v_cmp_lt_i32_e32 vcc, 5, v10
	v_cndmask_b32_e64 v12, 0, 1, vcc
	v_cmp_eq_u32_e32 vcc, 3, v10
	v_cndmask_b32_e64 v10, 0, 1, vcc
	v_lshrrev_b32_e32 v9, 2, v9
	v_or_b32_e32 v10, v10, v12
	v_add_u32_e32 v9, v9, v10
	v_cmp_gt_i32_e32 vcc, 31, v11
	v_cndmask_b32_e32 v8, v8, v9, vcc
	v_cmp_eq_u32_e32 vcc, s21, v11
	v_lshrrev_b32_e32 v7, 16, v7
	v_cndmask_b32_e32 v6, v8, v6, vcc
	v_and_or_b32 v6, v7, s22, v6
	s_mov_b64 s[0:1], 0
	s_branch .LBB126_2099
.LBB126_2095:
	s_mov_b64 s[0:1], -1
                                        ; implicit-def: $vgpr6
	s_branch .LBB126_2117
.LBB126_2096:
	s_mov_b64 s[0:1], -1
                                        ; implicit-def: $vgpr6
	s_branch .LBB126_2105
.LBB126_2097:
	s_mov_b64 s[0:1], -1
                                        ; implicit-def: $vgpr6
	s_branch .LBB126_2102
.LBB126_2098:
	s_mov_b64 s[0:1], -1
                                        ; implicit-def: $vgpr6
.LBB126_2099:
	s_andn2_b64 vcc, exec, s[0:1]
	s_cbranch_vccnz .LBB126_2101
; %bb.2100:
	global_load_dword v6, v[0:1], off
	s_waitcnt vmcnt(0)
	v_cvt_f16_f32_e32 v6, v6
.LBB126_2101:
	s_mov_b64 s[0:1], 0
.LBB126_2102:
	s_andn2_b64 vcc, exec, s[0:1]
	s_cbranch_vccnz .LBB126_2104
; %bb.2103:
	global_load_dword v6, v[0:1], off
.LBB126_2104:
	s_mov_b64 s[0:1], 0
.LBB126_2105:
	s_andn2_b64 vcc, exec, s[0:1]
	s_cbranch_vccnz .LBB126_2116
; %bb.2106:
	s_cmp_lt_i32 s20, 6
	s_cbranch_scc1 .LBB126_2109
; %bb.2107:
	s_cmp_gt_i32 s20, 6
	s_cbranch_scc0 .LBB126_2110
; %bb.2108:
	global_load_dwordx2 v[6:7], v[0:1], off
	s_movk_i32 s0, 0x1ff
	s_movk_i32 s1, 0xffe
	v_mov_b32_e32 v8, 0x7c00
	v_mov_b32_e32 v9, 0x7e00
	s_movk_i32 s21, 0x40f
	s_mov_b32 s22, 0x8000
	s_waitcnt vmcnt(0)
	v_and_or_b32 v6, v7, s0, v6
	v_cmp_ne_u32_e32 vcc, 0, v6
	v_lshrrev_b32_e32 v10, 8, v7
	v_bfe_u32 v11, v7, 20, 11
	v_cndmask_b32_e64 v6, 0, 1, vcc
	v_sub_u32_e32 v12, 0x3f1, v11
	v_and_or_b32 v6, v10, s1, v6
	v_add_u32_e32 v11, 0xfffffc10, v11
	v_med3_i32 v10, v12, 0, 13
	v_or_b32_e32 v12, 0x1000, v6
	v_cmp_ne_u32_e32 vcc, 0, v6
	v_lshl_or_b32 v13, v11, 12, v6
	v_cndmask_b32_e32 v6, v8, v9, vcc
	v_lshrrev_b32_e32 v9, v10, v12
	v_lshlrev_b32_e32 v10, v10, v9
	v_cmp_ne_u32_e32 vcc, v10, v12
	v_cndmask_b32_e64 v10, 0, 1, vcc
	v_or_b32_e32 v9, v9, v10
	v_cmp_gt_i32_e32 vcc, 1, v11
	v_cndmask_b32_e32 v9, v13, v9, vcc
	v_and_b32_e32 v10, 7, v9
	v_cmp_lt_i32_e32 vcc, 5, v10
	v_cndmask_b32_e64 v12, 0, 1, vcc
	v_cmp_eq_u32_e32 vcc, 3, v10
	v_cndmask_b32_e64 v10, 0, 1, vcc
	v_lshrrev_b32_e32 v9, 2, v9
	v_or_b32_e32 v10, v10, v12
	v_add_u32_e32 v9, v9, v10
	v_cmp_gt_i32_e32 vcc, 31, v11
	v_cndmask_b32_e32 v8, v8, v9, vcc
	v_cmp_eq_u32_e32 vcc, s21, v11
	v_lshrrev_b32_e32 v7, 16, v7
	v_cndmask_b32_e32 v6, v8, v6, vcc
	v_and_or_b32 v6, v7, s22, v6
	s_mov_b64 s[0:1], 0
	s_branch .LBB126_2111
.LBB126_2109:
	s_mov_b64 s[0:1], -1
                                        ; implicit-def: $vgpr6
	s_branch .LBB126_2114
.LBB126_2110:
	s_mov_b64 s[0:1], -1
                                        ; implicit-def: $vgpr6
.LBB126_2111:
	s_andn2_b64 vcc, exec, s[0:1]
	s_cbranch_vccnz .LBB126_2113
; %bb.2112:
	global_load_dword v6, v[0:1], off
	s_waitcnt vmcnt(0)
	v_cvt_f16_f32_e32 v6, v6
.LBB126_2113:
	s_mov_b64 s[0:1], 0
.LBB126_2114:
	s_andn2_b64 vcc, exec, s[0:1]
	s_cbranch_vccnz .LBB126_2116
; %bb.2115:
	global_load_ushort v6, v[0:1], off
.LBB126_2116:
	s_mov_b64 s[0:1], 0
.LBB126_2117:
	s_andn2_b64 vcc, exec, s[0:1]
	s_cbranch_vccnz .LBB126_2137
; %bb.2118:
	s_cmp_lt_i32 s20, 2
	s_cbranch_scc1 .LBB126_2122
; %bb.2119:
	s_cmp_lt_i32 s20, 3
	s_cbranch_scc1 .LBB126_2123
; %bb.2120:
	s_cmp_gt_i32 s20, 3
	s_cbranch_scc0 .LBB126_2124
; %bb.2121:
	global_load_dwordx2 v[6:7], v[0:1], off
	s_mov_b64 s[0:1], 0
	s_waitcnt vmcnt(0)
	v_xor_b32_e32 v9, v6, v7
	v_ffbh_i32_e32 v8, v7
	v_ashrrev_i32_e32 v9, 31, v9
	v_add_u32_e32 v8, -1, v8
	v_add_u32_e32 v9, 32, v9
	v_min_u32_e32 v8, v8, v9
	v_lshlrev_b64 v[6:7], v8, v[6:7]
	v_min_u32_e32 v6, 1, v6
	v_or_b32_e32 v6, v7, v6
	v_cvt_f32_i32_e32 v6, v6
	v_sub_u32_e32 v7, 32, v8
	v_ldexp_f32 v6, v6, v7
	v_cvt_f16_f32_e32 v6, v6
	s_branch .LBB126_2125
.LBB126_2122:
	s_mov_b64 s[0:1], -1
                                        ; implicit-def: $vgpr6
	s_branch .LBB126_2131
.LBB126_2123:
	s_mov_b64 s[0:1], -1
                                        ; implicit-def: $vgpr6
	s_branch .LBB126_2128
.LBB126_2124:
	s_mov_b64 s[0:1], -1
                                        ; implicit-def: $vgpr6
.LBB126_2125:
	s_andn2_b64 vcc, exec, s[0:1]
	s_cbranch_vccnz .LBB126_2127
; %bb.2126:
	global_load_dword v6, v[0:1], off
	s_waitcnt vmcnt(0)
	v_cvt_f32_i32_e32 v6, v6
	v_cvt_f16_f32_e32 v6, v6
.LBB126_2127:
	s_mov_b64 s[0:1], 0
.LBB126_2128:
	s_andn2_b64 vcc, exec, s[0:1]
	s_cbranch_vccnz .LBB126_2130
; %bb.2129:
	global_load_ushort v6, v[0:1], off
	s_waitcnt vmcnt(0)
	v_cvt_f16_i16_e32 v6, v6
.LBB126_2130:
	s_mov_b64 s[0:1], 0
.LBB126_2131:
	s_andn2_b64 vcc, exec, s[0:1]
	s_cbranch_vccnz .LBB126_2137
; %bb.2132:
	s_cmp_gt_i32 s20, 0
	s_cbranch_scc0 .LBB126_2134
; %bb.2133:
	global_load_sbyte v6, v[0:1], off
	s_mov_b64 s[0:1], 0
	s_waitcnt vmcnt(0)
	v_cvt_f16_i16_e32 v6, v6
	s_branch .LBB126_2135
.LBB126_2134:
	s_mov_b64 s[0:1], -1
                                        ; implicit-def: $vgpr6
.LBB126_2135:
	s_andn2_b64 vcc, exec, s[0:1]
	s_cbranch_vccnz .LBB126_2137
; %bb.2136:
	global_load_ubyte v0, v[0:1], off
	s_waitcnt vmcnt(0)
	v_cvt_f16_u16_e32 v6, v0
.LBB126_2137:
	s_mov_b64 s[22:23], -1
.LBB126_2138:
	s_andn2_b64 vcc, exec, s[22:23]
	s_cbranch_vccnz .LBB126_2699
; %bb.2139:
	s_cmp_lt_i32 s15, 1
	s_mov_b64 s[0:1], 0
	s_cbranch_scc1 .LBB126_2143
; %bb.2140:
	s_cmp_gt_i32 s15, 1
	s_cbranch_scc0 .LBB126_2144
; %bb.2141:
	s_cmp_eq_u32 s15, 2
	s_cbranch_scc0 .LBB126_2145
; %bb.2142:
	s_waitcnt vmcnt(0)
	v_cmp_le_f16_e64 s[20:21], v5, v6
	s_mov_b64 s[22:23], 0
	s_branch .LBB126_2146
.LBB126_2143:
	s_mov_b64 s[24:25], -1
                                        ; implicit-def: $sgpr20_sgpr21
	s_mov_b64 s[22:23], 0
	s_branch .LBB126_2150
.LBB126_2144:
	s_mov_b64 s[24:25], -1
	s_mov_b64 s[22:23], 0
                                        ; implicit-def: $sgpr20_sgpr21
	s_branch .LBB126_2147
.LBB126_2145:
	s_mov_b64 s[22:23], -1
                                        ; implicit-def: $sgpr20_sgpr21
.LBB126_2146:
	s_mov_b64 s[24:25], 0
.LBB126_2147:
	s_and_b64 vcc, exec, s[24:25]
	s_cbranch_vccz .LBB126_2149
; %bb.2148:
	s_waitcnt vmcnt(0)
	v_cmp_gt_f16_e32 vcc, v5, v6
	s_andn2_b64 s[20:21], s[20:21], exec
	s_and_b64 s[24:25], vcc, exec
	s_or_b64 s[20:21], s[20:21], s[24:25]
.LBB126_2149:
	s_mov_b64 s[24:25], 0
.LBB126_2150:
	s_and_b64 vcc, exec, s[24:25]
	s_cbranch_vccz .LBB126_2161
; %bb.2151:
	s_cmp_lg_u32 s15, 0
	s_mov_b64 s[0:1], -1
	s_cselect_b64 s[22:23], -1, 0
	s_andn2_b64 vcc, exec, s[22:23]
	s_cbranch_vccz .LBB126_2162
.LBB126_2152:
	s_andn2_b64 vcc, exec, s[0:1]
	s_cbranch_vccnz .LBB126_2154
.LBB126_2153:
	s_waitcnt vmcnt(0)
	v_cmp_ge_f16_e32 vcc, v5, v6
	s_andn2_b64 s[0:1], s[20:21], exec
	s_and_b64 s[20:21], vcc, exec
	s_or_b64 s[20:21], s[0:1], s[20:21]
.LBB126_2154:
	v_add_u32_e32 v3, s13, v3
	v_ashrrev_i32_e32 v1, 31, v3
	s_waitcnt vmcnt(0)
	v_mov_b32_e32 v5, s11
	v_add_co_u32_e32 v0, vcc, s10, v3
	s_cmp_lt_i32 s30, 11
	v_addc_co_u32_e32 v1, vcc, v5, v1, vcc
	s_cbranch_scc1 .LBB126_2163
; %bb.2155:
	s_and_b32 s34, 0xffff, s30
	s_cmp_gt_i32 s34, 25
	s_mov_b64 s[22:23], 0
	s_cbranch_scc0 .LBB126_2164
; %bb.2156:
	s_cmp_gt_i32 s34, 28
	s_cbranch_scc0 .LBB126_2165
; %bb.2157:
	s_cmp_gt_i32 s34, 43
	;; [unrolled: 3-line block ×3, first 2 shown]
	s_cbranch_scc0 .LBB126_2168
; %bb.2159:
	s_cmp_eq_u32 s34, 46
	s_mov_b64 s[26:27], 0
	s_cbranch_scc0 .LBB126_2169
; %bb.2160:
	global_load_dword v5, v[0:1], off
	s_mov_b64 s[0:1], 0
	s_mov_b64 s[24:25], -1
	s_waitcnt vmcnt(0)
	v_lshlrev_b32_e32 v5, 16, v5
	v_cvt_f16_f32_e32 v5, v5
	s_branch .LBB126_2170
.LBB126_2161:
	s_andn2_b64 vcc, exec, s[22:23]
	s_cbranch_vccnz .LBB126_2152
.LBB126_2162:
	s_waitcnt vmcnt(0)
	v_cmp_lt_f16_e32 vcc, v5, v6
	s_andn2_b64 s[20:21], s[20:21], exec
	s_and_b64 s[22:23], vcc, exec
	s_or_b64 s[20:21], s[20:21], s[22:23]
	s_cbranch_execz .LBB126_2153
	s_branch .LBB126_2154
.LBB126_2163:
	s_mov_b64 s[0:1], -1
	s_mov_b64 s[24:25], 0
                                        ; implicit-def: $vgpr5
	s_branch .LBB126_2236
.LBB126_2164:
	s_mov_b64 s[26:27], -1
	s_mov_b64 s[24:25], 0
	s_mov_b64 s[0:1], 0
                                        ; implicit-def: $vgpr5
	s_branch .LBB126_2199
.LBB126_2165:
	s_mov_b64 s[26:27], -1
	s_mov_b64 s[24:25], 0
	s_mov_b64 s[0:1], 0
                                        ; implicit-def: $vgpr5
	s_branch .LBB126_2180
.LBB126_2166:
	s_mov_b64 s[26:27], -1
	s_mov_b64 s[24:25], 0
	s_mov_b64 s[0:1], 0
                                        ; implicit-def: $vgpr5
	s_branch .LBB126_2175
.LBB126_2167:
	s_trap 2
	s_or_b64 s[18:19], s[18:19], exec
	s_cbranch_execz .LBB126_2087
	s_branch .LBB126_2088
.LBB126_2168:
	s_mov_b64 s[26:27], -1
	s_mov_b64 s[24:25], 0
	s_mov_b64 s[0:1], 0
                                        ; implicit-def: $vgpr5
	s_branch .LBB126_2170
.LBB126_2169:
	s_mov_b64 s[0:1], -1
                                        ; implicit-def: $vgpr5
	s_mov_b64 s[24:25], 0
.LBB126_2170:
	s_and_b64 vcc, exec, s[26:27]
	s_cbranch_vccz .LBB126_2174
; %bb.2171:
	s_cmp_eq_u32 s34, 44
	s_cbranch_scc0 .LBB126_2173
; %bb.2172:
	global_load_ubyte v5, v[0:1], off
	s_movk_i32 s24, 0xff
	v_mov_b32_e32 v7, 0x7e00
	s_mov_b64 s[0:1], 0
	s_waitcnt vmcnt(0)
	v_lshlrev_b32_e32 v6, 23, v5
	v_cvt_f16_f32_e32 v6, v6
	v_cmp_ne_u32_e32 vcc, s24, v5
	s_mov_b64 s[24:25], -1
	v_cndmask_b32_e32 v6, v7, v6, vcc
	v_cmp_ne_u32_e32 vcc, 0, v5
	v_cndmask_b32_e32 v5, 0, v6, vcc
	s_branch .LBB126_2174
.LBB126_2173:
	s_mov_b64 s[0:1], -1
                                        ; implicit-def: $vgpr5
.LBB126_2174:
	s_mov_b64 s[26:27], 0
.LBB126_2175:
	s_and_b64 vcc, exec, s[26:27]
	s_cbranch_vccz .LBB126_2179
; %bb.2176:
	s_cmp_eq_u32 s34, 29
	s_cbranch_scc0 .LBB126_2178
; %bb.2177:
	global_load_dwordx2 v[5:6], v[0:1], off
	s_mov_b64 s[0:1], 0
	s_mov_b64 s[24:25], -1
	s_mov_b64 s[26:27], 0
	s_waitcnt vmcnt(0)
	v_ffbh_u32_e32 v7, v6
	v_min_u32_e32 v7, 32, v7
	v_lshlrev_b64 v[5:6], v7, v[5:6]
	v_min_u32_e32 v5, 1, v5
	v_or_b32_e32 v5, v6, v5
	v_cvt_f32_u32_e32 v5, v5
	v_sub_u32_e32 v6, 32, v7
	v_ldexp_f32 v5, v5, v6
	v_cvt_f16_f32_e32 v5, v5
	s_branch .LBB126_2180
.LBB126_2178:
	s_mov_b64 s[0:1], -1
                                        ; implicit-def: $vgpr5
.LBB126_2179:
	s_mov_b64 s[26:27], 0
.LBB126_2180:
	s_and_b64 vcc, exec, s[26:27]
	s_cbranch_vccz .LBB126_2198
; %bb.2181:
	s_cmp_lt_i32 s34, 27
	s_cbranch_scc1 .LBB126_2184
; %bb.2182:
	s_cmp_gt_i32 s34, 27
	s_cbranch_scc0 .LBB126_2185
; %bb.2183:
	global_load_dword v5, v[0:1], off
	s_mov_b64 s[24:25], 0
	s_waitcnt vmcnt(0)
	v_cvt_f32_u32_e32 v5, v5
	v_cvt_f16_f32_e32 v5, v5
	s_branch .LBB126_2186
.LBB126_2184:
	s_mov_b64 s[24:25], -1
                                        ; implicit-def: $vgpr5
	s_branch .LBB126_2189
.LBB126_2185:
	s_mov_b64 s[24:25], -1
                                        ; implicit-def: $vgpr5
.LBB126_2186:
	s_andn2_b64 vcc, exec, s[24:25]
	s_cbranch_vccnz .LBB126_2188
; %bb.2187:
	global_load_ushort v5, v[0:1], off
	s_waitcnt vmcnt(0)
	v_cvt_f16_u16_e32 v5, v5
.LBB126_2188:
	s_mov_b64 s[24:25], 0
.LBB126_2189:
	s_andn2_b64 vcc, exec, s[24:25]
	s_cbranch_vccnz .LBB126_2197
; %bb.2190:
	global_load_ubyte v6, v[0:1], off
	s_movk_i32 s24, 0x7f
	s_waitcnt vmcnt(0)
	v_cmp_lt_i16_e32 vcc, s24, v6
	s_mov_b64 s[24:25], 0
	s_and_saveexec_b64 s[26:27], vcc
	s_xor_b64 s[26:27], exec, s[26:27]
	s_cbranch_execz .LBB126_2211
; %bb.2191:
	s_movk_i32 s24, 0x80
	v_cmp_eq_u16_e32 vcc, s24, v6
	s_mov_b64 s[24:25], -1
	s_and_saveexec_b64 s[28:29], vcc
; %bb.2192:
	s_xor_b64 s[24:25], exec, -1
; %bb.2193:
	s_or_b64 exec, exec, s[28:29]
	s_and_b64 s[24:25], s[24:25], exec
	s_or_saveexec_b64 s[26:27], s[26:27]
	v_mov_b32_e32 v5, 0x7e00
	s_xor_b64 exec, exec, s[26:27]
	s_cbranch_execnz .LBB126_2212
.LBB126_2194:
	s_or_b64 exec, exec, s[26:27]
	s_and_saveexec_b64 s[26:27], s[24:25]
	s_cbranch_execz .LBB126_2196
.LBB126_2195:
	v_lshlrev_b32_e32 v5, 24, v6
	v_and_b32_e32 v6, 0xffff, v6
	v_and_b32_e32 v7, 7, v6
	v_ffbh_u32_e32 v9, v7
	v_min_u32_e32 v9, 32, v9
	v_subrev_u32_e32 v10, 28, v9
	v_bfe_u32 v8, v6, 3, 4
	v_lshlrev_b32_e32 v6, v10, v6
	v_sub_u32_e32 v9, 29, v9
	v_and_b32_e32 v6, 7, v6
	v_cmp_eq_u32_e32 vcc, 0, v8
	v_cndmask_b32_e32 v8, v8, v9, vcc
	v_cndmask_b32_e32 v6, v7, v6, vcc
	v_mov_b32_e32 v7, 0x3b800000
	v_lshlrev_b32_e32 v6, 20, v6
	v_and_b32_e32 v5, 0x80000000, v5
	v_lshl_add_u32 v7, v8, 23, v7
	v_or3_b32 v5, v5, v7, v6
	v_cvt_f16_f32_e32 v5, v5
.LBB126_2196:
	s_or_b64 exec, exec, s[26:27]
.LBB126_2197:
	s_mov_b64 s[24:25], -1
.LBB126_2198:
	s_mov_b64 s[26:27], 0
.LBB126_2199:
	s_and_b64 vcc, exec, s[26:27]
	s_cbranch_vccz .LBB126_2232
; %bb.2200:
	s_cmp_gt_i32 s34, 22
	s_cbranch_scc0 .LBB126_2210
; %bb.2201:
	s_cmp_lt_i32 s34, 24
	s_cbranch_scc1 .LBB126_2213
; %bb.2202:
	s_cmp_gt_i32 s34, 24
	s_cbranch_scc0 .LBB126_2214
; %bb.2203:
	global_load_ubyte v6, v[0:1], off
	s_movk_i32 s22, 0x7f
	s_waitcnt vmcnt(0)
	v_cmp_lt_i16_e32 vcc, s22, v6
	s_mov_b64 s[22:23], 0
	s_and_saveexec_b64 s[24:25], vcc
	s_xor_b64 s[24:25], exec, s[24:25]
	s_cbranch_execz .LBB126_2226
; %bb.2204:
	s_movk_i32 s22, 0x80
	v_cmp_eq_u16_e32 vcc, s22, v6
	s_mov_b64 s[22:23], -1
	s_and_saveexec_b64 s[26:27], vcc
; %bb.2205:
	s_xor_b64 s[22:23], exec, -1
; %bb.2206:
	s_or_b64 exec, exec, s[26:27]
	s_and_b64 s[22:23], s[22:23], exec
	s_or_saveexec_b64 s[24:25], s[24:25]
	v_mov_b32_e32 v5, 0x7e00
	s_xor_b64 exec, exec, s[24:25]
	s_cbranch_execnz .LBB126_2227
.LBB126_2207:
	s_or_b64 exec, exec, s[24:25]
	s_and_saveexec_b64 s[24:25], s[22:23]
	s_cbranch_execz .LBB126_2209
.LBB126_2208:
	v_lshlrev_b32_e32 v5, 24, v6
	v_and_b32_e32 v6, 0xffff, v6
	v_and_b32_e32 v7, 3, v6
	v_ffbh_u32_e32 v9, v7
	v_min_u32_e32 v9, 32, v9
	v_subrev_u32_e32 v10, 29, v9
	v_bfe_u32 v8, v6, 2, 5
	v_lshlrev_b32_e32 v6, v10, v6
	v_sub_u32_e32 v9, 30, v9
	v_and_b32_e32 v6, 3, v6
	v_cmp_eq_u32_e32 vcc, 0, v8
	v_cndmask_b32_e32 v8, v8, v9, vcc
	v_cndmask_b32_e32 v6, v7, v6, vcc
	v_mov_b32_e32 v7, 0x37800000
	v_lshlrev_b32_e32 v6, 21, v6
	v_and_b32_e32 v5, 0x80000000, v5
	v_lshl_add_u32 v7, v8, 23, v7
	v_or3_b32 v5, v5, v7, v6
	v_cvt_f16_f32_e32 v5, v5
.LBB126_2209:
	s_or_b64 exec, exec, s[24:25]
	s_mov_b64 s[22:23], 0
	s_branch .LBB126_2215
.LBB126_2210:
	s_mov_b64 s[22:23], -1
                                        ; implicit-def: $vgpr5
	s_branch .LBB126_2221
.LBB126_2211:
	s_or_saveexec_b64 s[26:27], s[26:27]
	v_mov_b32_e32 v5, 0x7e00
	s_xor_b64 exec, exec, s[26:27]
	s_cbranch_execz .LBB126_2194
.LBB126_2212:
	v_cmp_ne_u16_e32 vcc, 0, v6
	s_andn2_b64 s[24:25], s[24:25], exec
	s_and_b64 s[28:29], vcc, exec
	s_or_b64 s[24:25], s[24:25], s[28:29]
	v_mov_b32_e32 v5, v6
	s_or_b64 exec, exec, s[26:27]
	s_and_saveexec_b64 s[26:27], s[24:25]
	s_cbranch_execnz .LBB126_2195
	s_branch .LBB126_2196
.LBB126_2213:
	s_mov_b64 s[22:23], -1
                                        ; implicit-def: $vgpr5
	s_branch .LBB126_2218
.LBB126_2214:
	s_mov_b64 s[22:23], -1
                                        ; implicit-def: $vgpr5
.LBB126_2215:
	s_and_b64 vcc, exec, s[22:23]
	s_cbranch_vccz .LBB126_2217
; %bb.2216:
	global_load_ubyte v5, v[0:1], off
	s_mov_b32 s22, 0x7f800000
	s_waitcnt vmcnt(0)
	v_lshlrev_b32_e32 v5, 24, v5
	v_and_b32_e32 v6, 0x7f000000, v5
	v_ffbh_u32_e32 v7, v6
	v_min_u32_e32 v7, 32, v7
	v_sub_u32_e64 v7, v7, 4 clamp
	v_lshlrev_b32_e32 v9, v7, v6
	v_lshlrev_b32_e32 v7, 23, v7
	v_lshrrev_b32_e32 v9, 4, v9
	v_add_u32_e32 v8, 0x1000000, v6
	v_sub_u32_e32 v7, v9, v7
	v_ashrrev_i32_e32 v8, 8, v8
	v_add_u32_e32 v7, 0x3c000000, v7
	v_and_or_b32 v7, v8, s22, v7
	v_cmp_ne_u32_e32 vcc, 0, v6
	v_cndmask_b32_e32 v6, 0, v7, vcc
	s_brev_b32 s22, 1
	v_and_or_b32 v5, v5, s22, v6
	v_cvt_f16_f32_e32 v5, v5
.LBB126_2217:
	s_mov_b64 s[22:23], 0
.LBB126_2218:
	s_andn2_b64 vcc, exec, s[22:23]
	s_cbranch_vccnz .LBB126_2220
; %bb.2219:
	global_load_ubyte v5, v[0:1], off
	s_movk_i32 s22, 0x7f00
	s_brev_b32 s23, 16
	s_waitcnt vmcnt(0)
	v_lshlrev_b16_e32 v6, 8, v5
	v_lshlrev_b32_e32 v5, 25, v5
	v_lshrrev_b32_e32 v7, 4, v5
	v_and_or_b32 v8, v6, s22, 0.5
	v_or_b32_e32 v7, 0x70000000, v7
	v_add_f32_e32 v8, -0.5, v8
	v_mul_f32_e32 v7, 0x7800000, v7
	v_cmp_gt_u32_e32 vcc, s23, v5
	v_bfe_i32 v6, v6, 0, 16
	v_cndmask_b32_e32 v5, v7, v8, vcc
	s_brev_b32 s22, 1
	v_and_or_b32 v5, v6, s22, v5
	v_cvt_f16_f32_e32 v5, v5
.LBB126_2220:
	s_mov_b64 s[22:23], 0
	s_mov_b64 s[24:25], -1
.LBB126_2221:
	s_andn2_b64 vcc, exec, s[22:23]
	s_mov_b64 s[22:23], 0
	s_cbranch_vccnz .LBB126_2232
; %bb.2222:
	s_cmp_gt_i32 s34, 14
	s_cbranch_scc0 .LBB126_2225
; %bb.2223:
	s_cmp_eq_u32 s34, 15
	s_cbranch_scc0 .LBB126_2228
; %bb.2224:
	global_load_ushort v5, v[0:1], off
	s_mov_b64 s[0:1], 0
	s_mov_b64 s[24:25], -1
	s_waitcnt vmcnt(0)
	v_lshlrev_b32_e32 v5, 16, v5
	v_cvt_f16_f32_e32 v5, v5
	s_branch .LBB126_2229
.LBB126_2225:
	s_mov_b64 s[26:27], -1
                                        ; implicit-def: $vgpr5
	s_branch .LBB126_2230
.LBB126_2226:
	s_or_saveexec_b64 s[24:25], s[24:25]
	v_mov_b32_e32 v5, 0x7e00
	s_xor_b64 exec, exec, s[24:25]
	s_cbranch_execz .LBB126_2207
.LBB126_2227:
	v_cmp_ne_u16_e32 vcc, 0, v6
	s_andn2_b64 s[22:23], s[22:23], exec
	s_and_b64 s[26:27], vcc, exec
	s_or_b64 s[22:23], s[22:23], s[26:27]
	v_mov_b32_e32 v5, v6
	s_or_b64 exec, exec, s[24:25]
	s_and_saveexec_b64 s[24:25], s[22:23]
	s_cbranch_execnz .LBB126_2208
	s_branch .LBB126_2209
.LBB126_2228:
	s_mov_b64 s[0:1], -1
                                        ; implicit-def: $vgpr5
.LBB126_2229:
	s_mov_b64 s[26:27], 0
.LBB126_2230:
	s_and_b64 vcc, exec, s[26:27]
	s_cbranch_vccz .LBB126_2232
; %bb.2231:
	s_cmp_lg_u32 s34, 11
	s_mov_b64 s[22:23], -1
	s_cselect_b64 s[0:1], -1, 0
.LBB126_2232:
	s_and_b64 vcc, exec, s[0:1]
	s_cbranch_vccnz .LBB126_2297
; %bb.2233:
	s_andn2_b64 vcc, exec, s[22:23]
	s_cbranch_vccnz .LBB126_2235
.LBB126_2234:
	global_load_ubyte v5, v[0:1], off
	v_mov_b32_e32 v6, 0x3c00
	s_mov_b64 s[24:25], -1
	s_waitcnt vmcnt(0)
	v_cmp_ne_u16_e32 vcc, 0, v5
	v_cndmask_b32_e32 v5, 0, v6, vcc
.LBB126_2235:
	s_mov_b64 s[0:1], 0
.LBB126_2236:
	s_and_b64 vcc, exec, s[0:1]
	s_cbranch_vccz .LBB126_2285
; %bb.2237:
	s_and_b32 s22, 0xffff, s30
	s_cmp_lt_i32 s22, 5
	s_cbranch_scc1 .LBB126_2242
; %bb.2238:
	s_cmp_lt_i32 s22, 8
	s_cbranch_scc1 .LBB126_2243
; %bb.2239:
	;; [unrolled: 3-line block ×3, first 2 shown]
	s_cmp_gt_i32 s22, 9
	s_cbranch_scc0 .LBB126_2245
; %bb.2241:
	global_load_dwordx2 v[5:6], v[0:1], off
	s_movk_i32 s0, 0x1ff
	s_movk_i32 s1, 0xffe
	v_mov_b32_e32 v7, 0x7c00
	v_mov_b32_e32 v8, 0x7e00
	s_movk_i32 s23, 0x40f
	s_mov_b32 s24, 0x8000
	s_waitcnt vmcnt(0)
	v_and_or_b32 v5, v6, s0, v5
	v_cmp_ne_u32_e32 vcc, 0, v5
	v_lshrrev_b32_e32 v9, 8, v6
	v_bfe_u32 v10, v6, 20, 11
	v_cndmask_b32_e64 v5, 0, 1, vcc
	v_sub_u32_e32 v11, 0x3f1, v10
	v_and_or_b32 v5, v9, s1, v5
	v_add_u32_e32 v10, 0xfffffc10, v10
	v_med3_i32 v9, v11, 0, 13
	v_or_b32_e32 v11, 0x1000, v5
	v_cmp_ne_u32_e32 vcc, 0, v5
	v_lshl_or_b32 v12, v10, 12, v5
	v_cndmask_b32_e32 v5, v7, v8, vcc
	v_lshrrev_b32_e32 v8, v9, v11
	v_lshlrev_b32_e32 v9, v9, v8
	v_cmp_ne_u32_e32 vcc, v9, v11
	v_cndmask_b32_e64 v9, 0, 1, vcc
	v_or_b32_e32 v8, v8, v9
	v_cmp_gt_i32_e32 vcc, 1, v10
	v_cndmask_b32_e32 v8, v12, v8, vcc
	v_and_b32_e32 v9, 7, v8
	v_cmp_lt_i32_e32 vcc, 5, v9
	v_cndmask_b32_e64 v11, 0, 1, vcc
	v_cmp_eq_u32_e32 vcc, 3, v9
	v_cndmask_b32_e64 v9, 0, 1, vcc
	v_lshrrev_b32_e32 v8, 2, v8
	v_or_b32_e32 v9, v9, v11
	v_add_u32_e32 v8, v8, v9
	v_cmp_gt_i32_e32 vcc, 31, v10
	v_cndmask_b32_e32 v7, v7, v8, vcc
	v_cmp_eq_u32_e32 vcc, s23, v10
	v_lshrrev_b32_e32 v6, 16, v6
	v_cndmask_b32_e32 v5, v7, v5, vcc
	v_and_or_b32 v5, v6, s24, v5
	s_mov_b64 s[0:1], 0
	s_branch .LBB126_2246
.LBB126_2242:
	s_mov_b64 s[0:1], -1
                                        ; implicit-def: $vgpr5
	s_branch .LBB126_2264
.LBB126_2243:
	s_mov_b64 s[0:1], -1
                                        ; implicit-def: $vgpr5
	s_branch .LBB126_2252
.LBB126_2244:
	s_mov_b64 s[0:1], -1
                                        ; implicit-def: $vgpr5
	s_branch .LBB126_2249
.LBB126_2245:
	s_mov_b64 s[0:1], -1
                                        ; implicit-def: $vgpr5
.LBB126_2246:
	s_andn2_b64 vcc, exec, s[0:1]
	s_cbranch_vccnz .LBB126_2248
; %bb.2247:
	global_load_dword v5, v[0:1], off
	s_waitcnt vmcnt(0)
	v_cvt_f16_f32_e32 v5, v5
.LBB126_2248:
	s_mov_b64 s[0:1], 0
.LBB126_2249:
	s_andn2_b64 vcc, exec, s[0:1]
	s_cbranch_vccnz .LBB126_2251
; %bb.2250:
	global_load_dword v5, v[0:1], off
.LBB126_2251:
	s_mov_b64 s[0:1], 0
.LBB126_2252:
	s_andn2_b64 vcc, exec, s[0:1]
	s_cbranch_vccnz .LBB126_2263
; %bb.2253:
	s_cmp_lt_i32 s22, 6
	s_cbranch_scc1 .LBB126_2256
; %bb.2254:
	s_cmp_gt_i32 s22, 6
	s_cbranch_scc0 .LBB126_2257
; %bb.2255:
	global_load_dwordx2 v[5:6], v[0:1], off
	s_movk_i32 s0, 0x1ff
	s_movk_i32 s1, 0xffe
	v_mov_b32_e32 v7, 0x7c00
	v_mov_b32_e32 v8, 0x7e00
	s_movk_i32 s23, 0x40f
	s_mov_b32 s24, 0x8000
	s_waitcnt vmcnt(0)
	v_and_or_b32 v5, v6, s0, v5
	v_cmp_ne_u32_e32 vcc, 0, v5
	v_lshrrev_b32_e32 v9, 8, v6
	v_bfe_u32 v10, v6, 20, 11
	v_cndmask_b32_e64 v5, 0, 1, vcc
	v_sub_u32_e32 v11, 0x3f1, v10
	v_and_or_b32 v5, v9, s1, v5
	v_add_u32_e32 v10, 0xfffffc10, v10
	v_med3_i32 v9, v11, 0, 13
	v_or_b32_e32 v11, 0x1000, v5
	v_cmp_ne_u32_e32 vcc, 0, v5
	v_lshl_or_b32 v12, v10, 12, v5
	v_cndmask_b32_e32 v5, v7, v8, vcc
	v_lshrrev_b32_e32 v8, v9, v11
	v_lshlrev_b32_e32 v9, v9, v8
	v_cmp_ne_u32_e32 vcc, v9, v11
	v_cndmask_b32_e64 v9, 0, 1, vcc
	v_or_b32_e32 v8, v8, v9
	v_cmp_gt_i32_e32 vcc, 1, v10
	v_cndmask_b32_e32 v8, v12, v8, vcc
	v_and_b32_e32 v9, 7, v8
	v_cmp_lt_i32_e32 vcc, 5, v9
	v_cndmask_b32_e64 v11, 0, 1, vcc
	v_cmp_eq_u32_e32 vcc, 3, v9
	v_cndmask_b32_e64 v9, 0, 1, vcc
	v_lshrrev_b32_e32 v8, 2, v8
	v_or_b32_e32 v9, v9, v11
	v_add_u32_e32 v8, v8, v9
	v_cmp_gt_i32_e32 vcc, 31, v10
	v_cndmask_b32_e32 v7, v7, v8, vcc
	v_cmp_eq_u32_e32 vcc, s23, v10
	v_lshrrev_b32_e32 v6, 16, v6
	v_cndmask_b32_e32 v5, v7, v5, vcc
	v_and_or_b32 v5, v6, s24, v5
	s_mov_b64 s[0:1], 0
	s_branch .LBB126_2258
.LBB126_2256:
	s_mov_b64 s[0:1], -1
                                        ; implicit-def: $vgpr5
	s_branch .LBB126_2261
.LBB126_2257:
	s_mov_b64 s[0:1], -1
                                        ; implicit-def: $vgpr5
.LBB126_2258:
	s_andn2_b64 vcc, exec, s[0:1]
	s_cbranch_vccnz .LBB126_2260
; %bb.2259:
	global_load_dword v5, v[0:1], off
	s_waitcnt vmcnt(0)
	v_cvt_f16_f32_e32 v5, v5
.LBB126_2260:
	s_mov_b64 s[0:1], 0
.LBB126_2261:
	s_andn2_b64 vcc, exec, s[0:1]
	s_cbranch_vccnz .LBB126_2263
; %bb.2262:
	global_load_ushort v5, v[0:1], off
.LBB126_2263:
	s_mov_b64 s[0:1], 0
.LBB126_2264:
	s_andn2_b64 vcc, exec, s[0:1]
	s_cbranch_vccnz .LBB126_2284
; %bb.2265:
	s_cmp_lt_i32 s22, 2
	s_cbranch_scc1 .LBB126_2269
; %bb.2266:
	s_cmp_lt_i32 s22, 3
	s_cbranch_scc1 .LBB126_2270
; %bb.2267:
	s_cmp_gt_i32 s22, 3
	s_cbranch_scc0 .LBB126_2271
; %bb.2268:
	global_load_dwordx2 v[5:6], v[0:1], off
	s_mov_b64 s[0:1], 0
	s_waitcnt vmcnt(0)
	v_xor_b32_e32 v8, v5, v6
	v_ffbh_i32_e32 v7, v6
	v_ashrrev_i32_e32 v8, 31, v8
	v_add_u32_e32 v7, -1, v7
	v_add_u32_e32 v8, 32, v8
	v_min_u32_e32 v7, v7, v8
	v_lshlrev_b64 v[5:6], v7, v[5:6]
	v_min_u32_e32 v5, 1, v5
	v_or_b32_e32 v5, v6, v5
	v_cvt_f32_i32_e32 v5, v5
	v_sub_u32_e32 v6, 32, v7
	v_ldexp_f32 v5, v5, v6
	v_cvt_f16_f32_e32 v5, v5
	s_branch .LBB126_2272
.LBB126_2269:
	s_mov_b64 s[0:1], -1
                                        ; implicit-def: $vgpr5
	s_branch .LBB126_2278
.LBB126_2270:
	s_mov_b64 s[0:1], -1
                                        ; implicit-def: $vgpr5
	s_branch .LBB126_2275
.LBB126_2271:
	s_mov_b64 s[0:1], -1
                                        ; implicit-def: $vgpr5
.LBB126_2272:
	s_andn2_b64 vcc, exec, s[0:1]
	s_cbranch_vccnz .LBB126_2274
; %bb.2273:
	global_load_dword v5, v[0:1], off
	s_waitcnt vmcnt(0)
	v_cvt_f32_i32_e32 v5, v5
	v_cvt_f16_f32_e32 v5, v5
.LBB126_2274:
	s_mov_b64 s[0:1], 0
.LBB126_2275:
	s_andn2_b64 vcc, exec, s[0:1]
	s_cbranch_vccnz .LBB126_2277
; %bb.2276:
	global_load_ushort v5, v[0:1], off
	s_waitcnt vmcnt(0)
	v_cvt_f16_i16_e32 v5, v5
.LBB126_2277:
	s_mov_b64 s[0:1], 0
.LBB126_2278:
	s_andn2_b64 vcc, exec, s[0:1]
	s_cbranch_vccnz .LBB126_2284
; %bb.2279:
	s_cmp_gt_i32 s22, 0
	s_cbranch_scc0 .LBB126_2281
; %bb.2280:
	global_load_sbyte v5, v[0:1], off
	s_mov_b64 s[0:1], 0
	s_waitcnt vmcnt(0)
	v_cvt_f16_i16_e32 v5, v5
	s_branch .LBB126_2282
.LBB126_2281:
	s_mov_b64 s[0:1], -1
                                        ; implicit-def: $vgpr5
.LBB126_2282:
	s_andn2_b64 vcc, exec, s[0:1]
	s_cbranch_vccnz .LBB126_2284
; %bb.2283:
	global_load_ubyte v0, v[0:1], off
	s_waitcnt vmcnt(0)
	v_cvt_f16_u16_e32 v5, v0
.LBB126_2284:
	s_mov_b64 s[24:25], -1
.LBB126_2285:
	s_andn2_b64 vcc, exec, s[24:25]
	s_cbranch_vccnz .LBB126_2699
; %bb.2286:
	v_add_u32_e32 v4, s14, v4
	v_ashrrev_i32_e32 v1, 31, v4
	v_mov_b32_e32 v6, s3
	v_add_co_u32_e32 v0, vcc, s2, v4
	s_cmp_lt_i32 s31, 11
	v_addc_co_u32_e32 v1, vcc, v6, v1, vcc
	s_cbranch_scc1 .LBB126_2293
; %bb.2287:
	s_and_b32 s34, 0xffff, s31
	s_cmp_gt_i32 s34, 25
	s_mov_b64 s[22:23], 0
	s_cbranch_scc0 .LBB126_2294
; %bb.2288:
	s_cmp_gt_i32 s34, 28
	s_cbranch_scc0 .LBB126_2295
; %bb.2289:
	s_cmp_gt_i32 s34, 43
	;; [unrolled: 3-line block ×3, first 2 shown]
	s_cbranch_scc0 .LBB126_2298
; %bb.2291:
	s_cmp_eq_u32 s34, 46
	s_mov_b64 s[26:27], 0
	s_cbranch_scc0 .LBB126_2301
; %bb.2292:
	global_load_dword v6, v[0:1], off
	s_mov_b64 s[0:1], 0
	s_mov_b64 s[24:25], -1
	s_waitcnt vmcnt(0)
	v_lshlrev_b32_e32 v6, 16, v6
	v_cvt_f16_f32_e32 v6, v6
	s_branch .LBB126_2302
.LBB126_2293:
	s_mov_b64 s[0:1], -1
	s_mov_b64 s[24:25], 0
                                        ; implicit-def: $vgpr6
	s_branch .LBB126_2368
.LBB126_2294:
	s_mov_b64 s[26:27], -1
	s_mov_b64 s[24:25], 0
	s_mov_b64 s[0:1], 0
                                        ; implicit-def: $vgpr6
	s_branch .LBB126_2331
.LBB126_2295:
	s_mov_b64 s[26:27], -1
	s_mov_b64 s[24:25], 0
	s_mov_b64 s[0:1], 0
                                        ; implicit-def: $vgpr6
	s_branch .LBB126_2312
.LBB126_2296:
	s_mov_b64 s[26:27], -1
	s_mov_b64 s[24:25], 0
	s_mov_b64 s[0:1], 0
                                        ; implicit-def: $vgpr6
	s_branch .LBB126_2307
.LBB126_2297:
	s_trap 2
	s_or_b64 s[18:19], s[18:19], exec
	s_cbranch_execz .LBB126_2234
	s_branch .LBB126_2235
.LBB126_2298:
	s_mov_b64 s[26:27], -1
	s_mov_b64 s[24:25], 0
	s_mov_b64 s[0:1], 0
                                        ; implicit-def: $vgpr6
	s_branch .LBB126_2302
.LBB126_2299:
	s_andn2_saveexec_b64 s[46:47], s[46:47]
	s_cbranch_execz .LBB126_1135
.LBB126_2300:
	v_add_f32_e32 v3, 0x42800000, v4
	v_and_b32_e32 v3, 0xff, v3
	v_cmp_ne_u32_e32 vcc, 0, v3
	s_andn2_b64 s[44:45], s[44:45], exec
	s_and_b64 s[52:53], vcc, exec
	s_or_b64 s[44:45], s[44:45], s[52:53]
	s_or_b64 exec, exec, s[46:47]
	v_mov_b32_e32 v5, 0
	s_and_saveexec_b64 s[46:47], s[44:45]
	s_cbranch_execnz .LBB126_1136
	s_branch .LBB126_1137
.LBB126_2301:
	s_mov_b64 s[0:1], -1
                                        ; implicit-def: $vgpr6
	s_mov_b64 s[24:25], 0
.LBB126_2302:
	s_and_b64 vcc, exec, s[26:27]
	s_cbranch_vccz .LBB126_2306
; %bb.2303:
	s_cmp_eq_u32 s34, 44
	s_cbranch_scc0 .LBB126_2305
; %bb.2304:
	global_load_ubyte v6, v[0:1], off
	s_movk_i32 s24, 0xff
	v_mov_b32_e32 v8, 0x7e00
	s_mov_b64 s[0:1], 0
	s_waitcnt vmcnt(0)
	v_lshlrev_b32_e32 v7, 23, v6
	v_cvt_f16_f32_e32 v7, v7
	v_cmp_ne_u32_e32 vcc, s24, v6
	s_mov_b64 s[24:25], -1
	v_cndmask_b32_e32 v7, v8, v7, vcc
	v_cmp_ne_u32_e32 vcc, 0, v6
	v_cndmask_b32_e32 v6, 0, v7, vcc
	s_branch .LBB126_2306
.LBB126_2305:
	s_mov_b64 s[0:1], -1
                                        ; implicit-def: $vgpr6
.LBB126_2306:
	s_mov_b64 s[26:27], 0
.LBB126_2307:
	s_and_b64 vcc, exec, s[26:27]
	s_cbranch_vccz .LBB126_2311
; %bb.2308:
	s_cmp_eq_u32 s34, 29
	s_cbranch_scc0 .LBB126_2310
; %bb.2309:
	global_load_dwordx2 v[6:7], v[0:1], off
	s_mov_b64 s[0:1], 0
	s_mov_b64 s[24:25], -1
	s_mov_b64 s[26:27], 0
	s_waitcnt vmcnt(0)
	v_ffbh_u32_e32 v8, v7
	v_min_u32_e32 v8, 32, v8
	v_lshlrev_b64 v[6:7], v8, v[6:7]
	v_min_u32_e32 v6, 1, v6
	v_or_b32_e32 v6, v7, v6
	v_cvt_f32_u32_e32 v6, v6
	v_sub_u32_e32 v7, 32, v8
	v_ldexp_f32 v6, v6, v7
	v_cvt_f16_f32_e32 v6, v6
	s_branch .LBB126_2312
.LBB126_2310:
	s_mov_b64 s[0:1], -1
                                        ; implicit-def: $vgpr6
.LBB126_2311:
	s_mov_b64 s[26:27], 0
.LBB126_2312:
	s_and_b64 vcc, exec, s[26:27]
	s_cbranch_vccz .LBB126_2330
; %bb.2313:
	s_cmp_lt_i32 s34, 27
	s_cbranch_scc1 .LBB126_2316
; %bb.2314:
	s_cmp_gt_i32 s34, 27
	s_cbranch_scc0 .LBB126_2317
; %bb.2315:
	global_load_dword v6, v[0:1], off
	s_mov_b64 s[24:25], 0
	s_waitcnt vmcnt(0)
	v_cvt_f32_u32_e32 v6, v6
	v_cvt_f16_f32_e32 v6, v6
	s_branch .LBB126_2318
.LBB126_2316:
	s_mov_b64 s[24:25], -1
                                        ; implicit-def: $vgpr6
	s_branch .LBB126_2321
.LBB126_2317:
	s_mov_b64 s[24:25], -1
                                        ; implicit-def: $vgpr6
.LBB126_2318:
	s_andn2_b64 vcc, exec, s[24:25]
	s_cbranch_vccnz .LBB126_2320
; %bb.2319:
	global_load_ushort v6, v[0:1], off
	s_waitcnt vmcnt(0)
	v_cvt_f16_u16_e32 v6, v6
.LBB126_2320:
	s_mov_b64 s[24:25], 0
.LBB126_2321:
	s_andn2_b64 vcc, exec, s[24:25]
	s_cbranch_vccnz .LBB126_2329
; %bb.2322:
	global_load_ubyte v7, v[0:1], off
	s_movk_i32 s24, 0x7f
	s_waitcnt vmcnt(0)
	v_cmp_lt_i16_e32 vcc, s24, v7
	s_mov_b64 s[24:25], 0
	s_and_saveexec_b64 s[26:27], vcc
	s_xor_b64 s[26:27], exec, s[26:27]
	s_cbranch_execz .LBB126_2343
; %bb.2323:
	s_movk_i32 s24, 0x80
	v_cmp_eq_u16_e32 vcc, s24, v7
	s_mov_b64 s[24:25], -1
	s_and_saveexec_b64 s[28:29], vcc
; %bb.2324:
	s_xor_b64 s[24:25], exec, -1
; %bb.2325:
	s_or_b64 exec, exec, s[28:29]
	s_and_b64 s[24:25], s[24:25], exec
	s_or_saveexec_b64 s[26:27], s[26:27]
	v_mov_b32_e32 v6, 0x7e00
	s_xor_b64 exec, exec, s[26:27]
	s_cbranch_execnz .LBB126_2344
.LBB126_2326:
	s_or_b64 exec, exec, s[26:27]
	s_and_saveexec_b64 s[26:27], s[24:25]
	s_cbranch_execz .LBB126_2328
.LBB126_2327:
	v_lshlrev_b32_e32 v6, 24, v7
	v_and_b32_e32 v7, 0xffff, v7
	v_and_b32_e32 v8, 7, v7
	v_ffbh_u32_e32 v10, v8
	v_min_u32_e32 v10, 32, v10
	v_subrev_u32_e32 v11, 28, v10
	v_bfe_u32 v9, v7, 3, 4
	v_lshlrev_b32_e32 v7, v11, v7
	v_sub_u32_e32 v10, 29, v10
	v_and_b32_e32 v7, 7, v7
	v_cmp_eq_u32_e32 vcc, 0, v9
	v_cndmask_b32_e32 v9, v9, v10, vcc
	v_cndmask_b32_e32 v7, v8, v7, vcc
	v_mov_b32_e32 v8, 0x3b800000
	v_lshlrev_b32_e32 v7, 20, v7
	v_and_b32_e32 v6, 0x80000000, v6
	v_lshl_add_u32 v8, v9, 23, v8
	v_or3_b32 v6, v6, v8, v7
	v_cvt_f16_f32_e32 v6, v6
.LBB126_2328:
	s_or_b64 exec, exec, s[26:27]
.LBB126_2329:
	s_mov_b64 s[24:25], -1
.LBB126_2330:
	s_mov_b64 s[26:27], 0
.LBB126_2331:
	s_and_b64 vcc, exec, s[26:27]
	s_cbranch_vccz .LBB126_2364
; %bb.2332:
	s_cmp_gt_i32 s34, 22
	s_cbranch_scc0 .LBB126_2342
; %bb.2333:
	s_cmp_lt_i32 s34, 24
	s_cbranch_scc1 .LBB126_2345
; %bb.2334:
	s_cmp_gt_i32 s34, 24
	s_cbranch_scc0 .LBB126_2346
; %bb.2335:
	global_load_ubyte v7, v[0:1], off
	s_movk_i32 s22, 0x7f
	s_waitcnt vmcnt(0)
	v_cmp_lt_i16_e32 vcc, s22, v7
	s_mov_b64 s[22:23], 0
	s_and_saveexec_b64 s[24:25], vcc
	s_xor_b64 s[24:25], exec, s[24:25]
	s_cbranch_execz .LBB126_2358
; %bb.2336:
	s_movk_i32 s22, 0x80
	v_cmp_eq_u16_e32 vcc, s22, v7
	s_mov_b64 s[22:23], -1
	s_and_saveexec_b64 s[26:27], vcc
; %bb.2337:
	s_xor_b64 s[22:23], exec, -1
; %bb.2338:
	s_or_b64 exec, exec, s[26:27]
	s_and_b64 s[22:23], s[22:23], exec
	s_or_saveexec_b64 s[24:25], s[24:25]
	v_mov_b32_e32 v6, 0x7e00
	s_xor_b64 exec, exec, s[24:25]
	s_cbranch_execnz .LBB126_2359
.LBB126_2339:
	s_or_b64 exec, exec, s[24:25]
	s_and_saveexec_b64 s[24:25], s[22:23]
	s_cbranch_execz .LBB126_2341
.LBB126_2340:
	v_lshlrev_b32_e32 v6, 24, v7
	v_and_b32_e32 v7, 0xffff, v7
	v_and_b32_e32 v8, 3, v7
	v_ffbh_u32_e32 v10, v8
	v_min_u32_e32 v10, 32, v10
	v_subrev_u32_e32 v11, 29, v10
	v_bfe_u32 v9, v7, 2, 5
	v_lshlrev_b32_e32 v7, v11, v7
	v_sub_u32_e32 v10, 30, v10
	v_and_b32_e32 v7, 3, v7
	v_cmp_eq_u32_e32 vcc, 0, v9
	v_cndmask_b32_e32 v9, v9, v10, vcc
	v_cndmask_b32_e32 v7, v8, v7, vcc
	v_mov_b32_e32 v8, 0x37800000
	v_lshlrev_b32_e32 v7, 21, v7
	v_and_b32_e32 v6, 0x80000000, v6
	v_lshl_add_u32 v8, v9, 23, v8
	v_or3_b32 v6, v6, v8, v7
	v_cvt_f16_f32_e32 v6, v6
.LBB126_2341:
	s_or_b64 exec, exec, s[24:25]
	s_mov_b64 s[22:23], 0
	s_branch .LBB126_2347
.LBB126_2342:
	s_mov_b64 s[22:23], -1
                                        ; implicit-def: $vgpr6
	s_branch .LBB126_2353
.LBB126_2343:
	s_or_saveexec_b64 s[26:27], s[26:27]
	v_mov_b32_e32 v6, 0x7e00
	s_xor_b64 exec, exec, s[26:27]
	s_cbranch_execz .LBB126_2326
.LBB126_2344:
	v_cmp_ne_u16_e32 vcc, 0, v7
	s_andn2_b64 s[24:25], s[24:25], exec
	s_and_b64 s[28:29], vcc, exec
	s_or_b64 s[24:25], s[24:25], s[28:29]
	v_mov_b32_e32 v6, v7
	s_or_b64 exec, exec, s[26:27]
	s_and_saveexec_b64 s[26:27], s[24:25]
	s_cbranch_execnz .LBB126_2327
	s_branch .LBB126_2328
.LBB126_2345:
	s_mov_b64 s[22:23], -1
                                        ; implicit-def: $vgpr6
	s_branch .LBB126_2350
.LBB126_2346:
	s_mov_b64 s[22:23], -1
                                        ; implicit-def: $vgpr6
.LBB126_2347:
	s_and_b64 vcc, exec, s[22:23]
	s_cbranch_vccz .LBB126_2349
; %bb.2348:
	global_load_ubyte v6, v[0:1], off
	s_mov_b32 s22, 0x7f800000
	s_waitcnt vmcnt(0)
	v_lshlrev_b32_e32 v6, 24, v6
	v_and_b32_e32 v7, 0x7f000000, v6
	v_ffbh_u32_e32 v8, v7
	v_min_u32_e32 v8, 32, v8
	v_sub_u32_e64 v8, v8, 4 clamp
	v_lshlrev_b32_e32 v10, v8, v7
	v_lshlrev_b32_e32 v8, 23, v8
	v_lshrrev_b32_e32 v10, 4, v10
	v_add_u32_e32 v9, 0x1000000, v7
	v_sub_u32_e32 v8, v10, v8
	v_ashrrev_i32_e32 v9, 8, v9
	v_add_u32_e32 v8, 0x3c000000, v8
	v_and_or_b32 v8, v9, s22, v8
	v_cmp_ne_u32_e32 vcc, 0, v7
	v_cndmask_b32_e32 v7, 0, v8, vcc
	s_brev_b32 s22, 1
	v_and_or_b32 v6, v6, s22, v7
	v_cvt_f16_f32_e32 v6, v6
.LBB126_2349:
	s_mov_b64 s[22:23], 0
.LBB126_2350:
	s_andn2_b64 vcc, exec, s[22:23]
	s_cbranch_vccnz .LBB126_2352
; %bb.2351:
	global_load_ubyte v6, v[0:1], off
	s_movk_i32 s22, 0x7f00
	s_brev_b32 s23, 16
	s_waitcnt vmcnt(0)
	v_lshlrev_b16_e32 v7, 8, v6
	v_lshlrev_b32_e32 v6, 25, v6
	v_lshrrev_b32_e32 v8, 4, v6
	v_and_or_b32 v9, v7, s22, 0.5
	v_or_b32_e32 v8, 0x70000000, v8
	v_add_f32_e32 v9, -0.5, v9
	v_mul_f32_e32 v8, 0x7800000, v8
	v_cmp_gt_u32_e32 vcc, s23, v6
	v_bfe_i32 v7, v7, 0, 16
	v_cndmask_b32_e32 v6, v8, v9, vcc
	s_brev_b32 s22, 1
	v_and_or_b32 v6, v7, s22, v6
	v_cvt_f16_f32_e32 v6, v6
.LBB126_2352:
	s_mov_b64 s[22:23], 0
	s_mov_b64 s[24:25], -1
.LBB126_2353:
	s_andn2_b64 vcc, exec, s[22:23]
	s_mov_b64 s[22:23], 0
	s_cbranch_vccnz .LBB126_2364
; %bb.2354:
	s_cmp_gt_i32 s34, 14
	s_cbranch_scc0 .LBB126_2357
; %bb.2355:
	s_cmp_eq_u32 s34, 15
	s_cbranch_scc0 .LBB126_2360
; %bb.2356:
	global_load_ushort v6, v[0:1], off
	s_mov_b64 s[0:1], 0
	s_mov_b64 s[24:25], -1
	s_waitcnt vmcnt(0)
	v_lshlrev_b32_e32 v6, 16, v6
	v_cvt_f16_f32_e32 v6, v6
	s_branch .LBB126_2361
.LBB126_2357:
	s_mov_b64 s[26:27], -1
                                        ; implicit-def: $vgpr6
	s_branch .LBB126_2362
.LBB126_2358:
	s_or_saveexec_b64 s[24:25], s[24:25]
	v_mov_b32_e32 v6, 0x7e00
	s_xor_b64 exec, exec, s[24:25]
	s_cbranch_execz .LBB126_2339
.LBB126_2359:
	v_cmp_ne_u16_e32 vcc, 0, v7
	s_andn2_b64 s[22:23], s[22:23], exec
	s_and_b64 s[26:27], vcc, exec
	s_or_b64 s[22:23], s[22:23], s[26:27]
	v_mov_b32_e32 v6, v7
	s_or_b64 exec, exec, s[24:25]
	s_and_saveexec_b64 s[24:25], s[22:23]
	s_cbranch_execnz .LBB126_2340
	s_branch .LBB126_2341
.LBB126_2360:
	s_mov_b64 s[0:1], -1
                                        ; implicit-def: $vgpr6
.LBB126_2361:
	s_mov_b64 s[26:27], 0
.LBB126_2362:
	s_and_b64 vcc, exec, s[26:27]
	s_cbranch_vccz .LBB126_2364
; %bb.2363:
	s_cmp_lg_u32 s34, 11
	s_mov_b64 s[22:23], -1
	s_cselect_b64 s[0:1], -1, 0
.LBB126_2364:
	s_and_b64 vcc, exec, s[0:1]
	s_cbranch_vccnz .LBB126_2446
; %bb.2365:
	s_andn2_b64 vcc, exec, s[22:23]
	s_cbranch_vccnz .LBB126_2367
.LBB126_2366:
	global_load_ubyte v6, v[0:1], off
	v_mov_b32_e32 v7, 0x3c00
	s_mov_b64 s[24:25], -1
	s_waitcnt vmcnt(0)
	v_cmp_ne_u16_e32 vcc, 0, v6
	v_cndmask_b32_e32 v6, 0, v7, vcc
.LBB126_2367:
	s_mov_b64 s[0:1], 0
.LBB126_2368:
	s_and_b64 vcc, exec, s[0:1]
	s_cbranch_vccz .LBB126_2417
; %bb.2369:
	s_and_b32 s22, 0xffff, s31
	s_cmp_lt_i32 s22, 5
	s_cbranch_scc1 .LBB126_2374
; %bb.2370:
	s_cmp_lt_i32 s22, 8
	s_cbranch_scc1 .LBB126_2375
; %bb.2371:
	;; [unrolled: 3-line block ×3, first 2 shown]
	s_cmp_gt_i32 s22, 9
	s_cbranch_scc0 .LBB126_2377
; %bb.2373:
	global_load_dwordx2 v[6:7], v[0:1], off
	s_movk_i32 s0, 0x1ff
	s_movk_i32 s1, 0xffe
	v_mov_b32_e32 v8, 0x7c00
	v_mov_b32_e32 v9, 0x7e00
	s_movk_i32 s23, 0x40f
	s_mov_b32 s24, 0x8000
	s_waitcnt vmcnt(0)
	v_and_or_b32 v6, v7, s0, v6
	v_cmp_ne_u32_e32 vcc, 0, v6
	v_lshrrev_b32_e32 v10, 8, v7
	v_bfe_u32 v11, v7, 20, 11
	v_cndmask_b32_e64 v6, 0, 1, vcc
	v_sub_u32_e32 v12, 0x3f1, v11
	v_and_or_b32 v6, v10, s1, v6
	v_add_u32_e32 v11, 0xfffffc10, v11
	v_med3_i32 v10, v12, 0, 13
	v_or_b32_e32 v12, 0x1000, v6
	v_cmp_ne_u32_e32 vcc, 0, v6
	v_lshl_or_b32 v13, v11, 12, v6
	v_cndmask_b32_e32 v6, v8, v9, vcc
	v_lshrrev_b32_e32 v9, v10, v12
	v_lshlrev_b32_e32 v10, v10, v9
	v_cmp_ne_u32_e32 vcc, v10, v12
	v_cndmask_b32_e64 v10, 0, 1, vcc
	v_or_b32_e32 v9, v9, v10
	v_cmp_gt_i32_e32 vcc, 1, v11
	v_cndmask_b32_e32 v9, v13, v9, vcc
	v_and_b32_e32 v10, 7, v9
	v_cmp_lt_i32_e32 vcc, 5, v10
	v_cndmask_b32_e64 v12, 0, 1, vcc
	v_cmp_eq_u32_e32 vcc, 3, v10
	v_cndmask_b32_e64 v10, 0, 1, vcc
	v_lshrrev_b32_e32 v9, 2, v9
	v_or_b32_e32 v10, v10, v12
	v_add_u32_e32 v9, v9, v10
	v_cmp_gt_i32_e32 vcc, 31, v11
	v_cndmask_b32_e32 v8, v8, v9, vcc
	v_cmp_eq_u32_e32 vcc, s23, v11
	v_lshrrev_b32_e32 v7, 16, v7
	v_cndmask_b32_e32 v6, v8, v6, vcc
	v_and_or_b32 v6, v7, s24, v6
	s_mov_b64 s[0:1], 0
	s_branch .LBB126_2378
.LBB126_2374:
	s_mov_b64 s[0:1], -1
                                        ; implicit-def: $vgpr6
	s_branch .LBB126_2396
.LBB126_2375:
	s_mov_b64 s[0:1], -1
                                        ; implicit-def: $vgpr6
	s_branch .LBB126_2384
.LBB126_2376:
	s_mov_b64 s[0:1], -1
                                        ; implicit-def: $vgpr6
	s_branch .LBB126_2381
.LBB126_2377:
	s_mov_b64 s[0:1], -1
                                        ; implicit-def: $vgpr6
.LBB126_2378:
	s_andn2_b64 vcc, exec, s[0:1]
	s_cbranch_vccnz .LBB126_2380
; %bb.2379:
	global_load_dword v6, v[0:1], off
	s_waitcnt vmcnt(0)
	v_cvt_f16_f32_e32 v6, v6
.LBB126_2380:
	s_mov_b64 s[0:1], 0
.LBB126_2381:
	s_andn2_b64 vcc, exec, s[0:1]
	s_cbranch_vccnz .LBB126_2383
; %bb.2382:
	global_load_dword v6, v[0:1], off
.LBB126_2383:
	s_mov_b64 s[0:1], 0
.LBB126_2384:
	s_andn2_b64 vcc, exec, s[0:1]
	s_cbranch_vccnz .LBB126_2395
; %bb.2385:
	s_cmp_lt_i32 s22, 6
	s_cbranch_scc1 .LBB126_2388
; %bb.2386:
	s_cmp_gt_i32 s22, 6
	s_cbranch_scc0 .LBB126_2389
; %bb.2387:
	global_load_dwordx2 v[6:7], v[0:1], off
	s_movk_i32 s0, 0x1ff
	s_movk_i32 s1, 0xffe
	v_mov_b32_e32 v8, 0x7c00
	v_mov_b32_e32 v9, 0x7e00
	s_movk_i32 s23, 0x40f
	s_mov_b32 s24, 0x8000
	s_waitcnt vmcnt(0)
	v_and_or_b32 v6, v7, s0, v6
	v_cmp_ne_u32_e32 vcc, 0, v6
	v_lshrrev_b32_e32 v10, 8, v7
	v_bfe_u32 v11, v7, 20, 11
	v_cndmask_b32_e64 v6, 0, 1, vcc
	v_sub_u32_e32 v12, 0x3f1, v11
	v_and_or_b32 v6, v10, s1, v6
	v_add_u32_e32 v11, 0xfffffc10, v11
	v_med3_i32 v10, v12, 0, 13
	v_or_b32_e32 v12, 0x1000, v6
	v_cmp_ne_u32_e32 vcc, 0, v6
	v_lshl_or_b32 v13, v11, 12, v6
	v_cndmask_b32_e32 v6, v8, v9, vcc
	v_lshrrev_b32_e32 v9, v10, v12
	v_lshlrev_b32_e32 v10, v10, v9
	v_cmp_ne_u32_e32 vcc, v10, v12
	v_cndmask_b32_e64 v10, 0, 1, vcc
	v_or_b32_e32 v9, v9, v10
	v_cmp_gt_i32_e32 vcc, 1, v11
	v_cndmask_b32_e32 v9, v13, v9, vcc
	v_and_b32_e32 v10, 7, v9
	v_cmp_lt_i32_e32 vcc, 5, v10
	v_cndmask_b32_e64 v12, 0, 1, vcc
	v_cmp_eq_u32_e32 vcc, 3, v10
	v_cndmask_b32_e64 v10, 0, 1, vcc
	v_lshrrev_b32_e32 v9, 2, v9
	v_or_b32_e32 v10, v10, v12
	v_add_u32_e32 v9, v9, v10
	v_cmp_gt_i32_e32 vcc, 31, v11
	v_cndmask_b32_e32 v8, v8, v9, vcc
	v_cmp_eq_u32_e32 vcc, s23, v11
	v_lshrrev_b32_e32 v7, 16, v7
	v_cndmask_b32_e32 v6, v8, v6, vcc
	v_and_or_b32 v6, v7, s24, v6
	s_mov_b64 s[0:1], 0
	s_branch .LBB126_2390
.LBB126_2388:
	s_mov_b64 s[0:1], -1
                                        ; implicit-def: $vgpr6
	s_branch .LBB126_2393
.LBB126_2389:
	s_mov_b64 s[0:1], -1
                                        ; implicit-def: $vgpr6
.LBB126_2390:
	s_andn2_b64 vcc, exec, s[0:1]
	s_cbranch_vccnz .LBB126_2392
; %bb.2391:
	global_load_dword v6, v[0:1], off
	s_waitcnt vmcnt(0)
	v_cvt_f16_f32_e32 v6, v6
.LBB126_2392:
	s_mov_b64 s[0:1], 0
.LBB126_2393:
	s_andn2_b64 vcc, exec, s[0:1]
	s_cbranch_vccnz .LBB126_2395
; %bb.2394:
	global_load_ushort v6, v[0:1], off
.LBB126_2395:
	s_mov_b64 s[0:1], 0
.LBB126_2396:
	s_andn2_b64 vcc, exec, s[0:1]
	s_cbranch_vccnz .LBB126_2416
; %bb.2397:
	s_cmp_lt_i32 s22, 2
	s_cbranch_scc1 .LBB126_2401
; %bb.2398:
	s_cmp_lt_i32 s22, 3
	s_cbranch_scc1 .LBB126_2402
; %bb.2399:
	s_cmp_gt_i32 s22, 3
	s_cbranch_scc0 .LBB126_2403
; %bb.2400:
	global_load_dwordx2 v[6:7], v[0:1], off
	s_mov_b64 s[0:1], 0
	s_waitcnt vmcnt(0)
	v_xor_b32_e32 v9, v6, v7
	v_ffbh_i32_e32 v8, v7
	v_ashrrev_i32_e32 v9, 31, v9
	v_add_u32_e32 v8, -1, v8
	v_add_u32_e32 v9, 32, v9
	v_min_u32_e32 v8, v8, v9
	v_lshlrev_b64 v[6:7], v8, v[6:7]
	v_min_u32_e32 v6, 1, v6
	v_or_b32_e32 v6, v7, v6
	v_cvt_f32_i32_e32 v6, v6
	v_sub_u32_e32 v7, 32, v8
	v_ldexp_f32 v6, v6, v7
	v_cvt_f16_f32_e32 v6, v6
	s_branch .LBB126_2404
.LBB126_2401:
	s_mov_b64 s[0:1], -1
                                        ; implicit-def: $vgpr6
	s_branch .LBB126_2410
.LBB126_2402:
	s_mov_b64 s[0:1], -1
                                        ; implicit-def: $vgpr6
	s_branch .LBB126_2407
.LBB126_2403:
	s_mov_b64 s[0:1], -1
                                        ; implicit-def: $vgpr6
.LBB126_2404:
	s_andn2_b64 vcc, exec, s[0:1]
	s_cbranch_vccnz .LBB126_2406
; %bb.2405:
	global_load_dword v6, v[0:1], off
	s_waitcnt vmcnt(0)
	v_cvt_f32_i32_e32 v6, v6
	v_cvt_f16_f32_e32 v6, v6
.LBB126_2406:
	s_mov_b64 s[0:1], 0
.LBB126_2407:
	s_andn2_b64 vcc, exec, s[0:1]
	s_cbranch_vccnz .LBB126_2409
; %bb.2408:
	global_load_ushort v6, v[0:1], off
	s_waitcnt vmcnt(0)
	v_cvt_f16_i16_e32 v6, v6
.LBB126_2409:
	s_mov_b64 s[0:1], 0
.LBB126_2410:
	s_andn2_b64 vcc, exec, s[0:1]
	s_cbranch_vccnz .LBB126_2416
; %bb.2411:
	s_cmp_gt_i32 s22, 0
	s_cbranch_scc0 .LBB126_2413
; %bb.2412:
	global_load_sbyte v6, v[0:1], off
	s_mov_b64 s[0:1], 0
	s_waitcnt vmcnt(0)
	v_cvt_f16_i16_e32 v6, v6
	s_branch .LBB126_2414
.LBB126_2413:
	s_mov_b64 s[0:1], -1
                                        ; implicit-def: $vgpr6
.LBB126_2414:
	s_andn2_b64 vcc, exec, s[0:1]
	s_cbranch_vccnz .LBB126_2416
; %bb.2415:
	global_load_ubyte v0, v[0:1], off
	s_waitcnt vmcnt(0)
	v_cvt_f16_u16_e32 v6, v0
.LBB126_2416:
	s_mov_b64 s[24:25], -1
.LBB126_2417:
	s_andn2_b64 vcc, exec, s[24:25]
	s_cbranch_vccnz .LBB126_2699
; %bb.2418:
	s_cmp_lt_i32 s15, 1
	s_mov_b64 s[0:1], 0
	s_cbranch_scc1 .LBB126_2422
; %bb.2419:
	s_cmp_gt_i32 s15, 1
	s_cbranch_scc0 .LBB126_2423
; %bb.2420:
	s_cmp_eq_u32 s15, 2
	s_cbranch_scc0 .LBB126_2424
; %bb.2421:
	s_waitcnt vmcnt(0)
	v_cmp_le_f16_e64 s[22:23], v5, v6
	s_mov_b64 s[24:25], 0
	s_branch .LBB126_2425
.LBB126_2422:
	s_mov_b64 s[26:27], -1
                                        ; implicit-def: $sgpr22_sgpr23
	s_mov_b64 s[24:25], 0
	s_branch .LBB126_2429
.LBB126_2423:
	s_mov_b64 s[26:27], -1
	s_mov_b64 s[24:25], 0
                                        ; implicit-def: $sgpr22_sgpr23
	s_branch .LBB126_2426
.LBB126_2424:
	s_mov_b64 s[24:25], -1
                                        ; implicit-def: $sgpr22_sgpr23
.LBB126_2425:
	s_mov_b64 s[26:27], 0
.LBB126_2426:
	s_and_b64 vcc, exec, s[26:27]
	s_cbranch_vccz .LBB126_2428
; %bb.2427:
	s_waitcnt vmcnt(0)
	v_cmp_gt_f16_e32 vcc, v5, v6
	s_andn2_b64 s[22:23], s[22:23], exec
	s_and_b64 s[26:27], vcc, exec
	s_or_b64 s[22:23], s[22:23], s[26:27]
.LBB126_2428:
	s_mov_b64 s[26:27], 0
.LBB126_2429:
	s_and_b64 vcc, exec, s[26:27]
	s_cbranch_vccz .LBB126_2440
; %bb.2430:
	s_cmp_lg_u32 s15, 0
	s_mov_b64 s[0:1], -1
	s_cselect_b64 s[24:25], -1, 0
	s_andn2_b64 vcc, exec, s[24:25]
	s_cbranch_vccz .LBB126_2441
.LBB126_2431:
	s_andn2_b64 vcc, exec, s[0:1]
	s_cbranch_vccnz .LBB126_2433
.LBB126_2432:
	s_waitcnt vmcnt(0)
	v_cmp_ge_f16_e32 vcc, v5, v6
	s_andn2_b64 s[0:1], s[22:23], exec
	s_and_b64 s[22:23], vcc, exec
	s_or_b64 s[22:23], s[0:1], s[22:23]
.LBB126_2433:
	v_add_u32_e32 v0, s13, v3
	v_ashrrev_i32_e32 v1, 31, v0
	v_mov_b32_e32 v3, s11
	v_add_co_u32_e32 v0, vcc, s10, v0
	s_cmp_lt_i32 s30, 11
	v_addc_co_u32_e32 v1, vcc, v3, v1, vcc
	s_cbranch_scc1 .LBB126_2442
; %bb.2434:
	s_and_b32 s13, 0xffff, s30
	s_cmp_gt_i32 s13, 25
	s_mov_b64 s[10:11], 0
	s_cbranch_scc0 .LBB126_2443
; %bb.2435:
	s_cmp_gt_i32 s13, 28
	s_cbranch_scc0 .LBB126_2444
; %bb.2436:
	s_cmp_gt_i32 s13, 43
	;; [unrolled: 3-line block ×3, first 2 shown]
	s_cbranch_scc0 .LBB126_2447
; %bb.2438:
	s_cmp_eq_u32 s13, 46
	s_mov_b64 s[26:27], 0
	s_cbranch_scc0 .LBB126_2448
; %bb.2439:
	global_load_dword v3, v[0:1], off
	s_mov_b64 s[0:1], 0
	s_mov_b64 s[24:25], -1
	s_waitcnt vmcnt(0)
	v_lshlrev_b32_e32 v3, 16, v3
	v_cvt_f16_f32_e32 v3, v3
	s_branch .LBB126_2449
.LBB126_2440:
	s_andn2_b64 vcc, exec, s[24:25]
	s_cbranch_vccnz .LBB126_2431
.LBB126_2441:
	s_waitcnt vmcnt(0)
	v_cmp_lt_f16_e32 vcc, v5, v6
	s_andn2_b64 s[22:23], s[22:23], exec
	s_and_b64 s[24:25], vcc, exec
	s_or_b64 s[22:23], s[22:23], s[24:25]
	s_cbranch_execz .LBB126_2432
	s_branch .LBB126_2433
.LBB126_2442:
	s_mov_b64 s[0:1], -1
	s_mov_b64 s[24:25], 0
                                        ; implicit-def: $vgpr3
	s_branch .LBB126_2515
.LBB126_2443:
	s_mov_b64 s[26:27], -1
	s_mov_b64 s[24:25], 0
	s_mov_b64 s[0:1], 0
                                        ; implicit-def: $vgpr3
	s_branch .LBB126_2478
.LBB126_2444:
	s_mov_b64 s[26:27], -1
	s_mov_b64 s[24:25], 0
	s_mov_b64 s[0:1], 0
                                        ; implicit-def: $vgpr3
	s_branch .LBB126_2459
.LBB126_2445:
	s_mov_b64 s[26:27], -1
	s_mov_b64 s[24:25], 0
	s_mov_b64 s[0:1], 0
                                        ; implicit-def: $vgpr3
	s_branch .LBB126_2454
.LBB126_2446:
	s_trap 2
	s_or_b64 s[18:19], s[18:19], exec
	s_cbranch_execz .LBB126_2366
	s_branch .LBB126_2367
.LBB126_2447:
	s_mov_b64 s[26:27], -1
	s_mov_b64 s[24:25], 0
	s_mov_b64 s[0:1], 0
                                        ; implicit-def: $vgpr3
	s_branch .LBB126_2449
.LBB126_2448:
	s_mov_b64 s[0:1], -1
                                        ; implicit-def: $vgpr3
	s_mov_b64 s[24:25], 0
.LBB126_2449:
	s_and_b64 vcc, exec, s[26:27]
	s_cbranch_vccz .LBB126_2453
; %bb.2450:
	s_cmp_eq_u32 s13, 44
	s_cbranch_scc0 .LBB126_2452
; %bb.2451:
	global_load_ubyte v3, v[0:1], off
	s_movk_i32 s24, 0xff
	s_waitcnt vmcnt(1)
	v_mov_b32_e32 v6, 0x7e00
	s_mov_b64 s[0:1], 0
	s_waitcnt vmcnt(0)
	v_lshlrev_b32_e32 v5, 23, v3
	v_cvt_f16_f32_e32 v5, v5
	v_cmp_ne_u32_e32 vcc, s24, v3
	s_mov_b64 s[24:25], -1
	v_cndmask_b32_e32 v5, v6, v5, vcc
	v_cmp_ne_u32_e32 vcc, 0, v3
	v_cndmask_b32_e32 v3, 0, v5, vcc
	s_branch .LBB126_2453
.LBB126_2452:
	s_mov_b64 s[0:1], -1
                                        ; implicit-def: $vgpr3
.LBB126_2453:
	s_mov_b64 s[26:27], 0
.LBB126_2454:
	s_and_b64 vcc, exec, s[26:27]
	s_cbranch_vccz .LBB126_2458
; %bb.2455:
	s_cmp_eq_u32 s13, 29
	s_cbranch_scc0 .LBB126_2457
; %bb.2456:
	global_load_dwordx2 v[5:6], v[0:1], off
	s_mov_b64 s[0:1], 0
	s_mov_b64 s[24:25], -1
	s_mov_b64 s[26:27], 0
	s_waitcnt vmcnt(0)
	v_ffbh_u32_e32 v3, v6
	v_min_u32_e32 v3, 32, v3
	v_lshlrev_b64 v[5:6], v3, v[5:6]
	v_sub_u32_e32 v3, 32, v3
	v_min_u32_e32 v5, 1, v5
	v_or_b32_e32 v5, v6, v5
	v_cvt_f32_u32_e32 v5, v5
	v_ldexp_f32 v3, v5, v3
	v_cvt_f16_f32_e32 v3, v3
	s_branch .LBB126_2459
.LBB126_2457:
	s_mov_b64 s[0:1], -1
                                        ; implicit-def: $vgpr3
.LBB126_2458:
	s_mov_b64 s[26:27], 0
.LBB126_2459:
	s_and_b64 vcc, exec, s[26:27]
	s_cbranch_vccz .LBB126_2477
; %bb.2460:
	s_cmp_lt_i32 s13, 27
	s_cbranch_scc1 .LBB126_2463
; %bb.2461:
	s_cmp_gt_i32 s13, 27
	s_cbranch_scc0 .LBB126_2464
; %bb.2462:
	global_load_dword v3, v[0:1], off
	s_mov_b64 s[24:25], 0
	s_waitcnt vmcnt(0)
	v_cvt_f32_u32_e32 v3, v3
	v_cvt_f16_f32_e32 v3, v3
	s_branch .LBB126_2465
.LBB126_2463:
	s_mov_b64 s[24:25], -1
                                        ; implicit-def: $vgpr3
	s_branch .LBB126_2468
.LBB126_2464:
	s_mov_b64 s[24:25], -1
                                        ; implicit-def: $vgpr3
.LBB126_2465:
	s_andn2_b64 vcc, exec, s[24:25]
	s_cbranch_vccnz .LBB126_2467
; %bb.2466:
	global_load_ushort v3, v[0:1], off
	s_waitcnt vmcnt(0)
	v_cvt_f16_u16_e32 v3, v3
.LBB126_2467:
	s_mov_b64 s[24:25], 0
.LBB126_2468:
	s_andn2_b64 vcc, exec, s[24:25]
	s_cbranch_vccnz .LBB126_2476
; %bb.2469:
	global_load_ubyte v5, v[0:1], off
	s_movk_i32 s24, 0x7f
	s_waitcnt vmcnt(0)
	v_cmp_lt_i16_e32 vcc, s24, v5
	s_mov_b64 s[24:25], 0
	s_and_saveexec_b64 s[26:27], vcc
	s_xor_b64 s[26:27], exec, s[26:27]
	s_cbranch_execz .LBB126_2490
; %bb.2470:
	s_movk_i32 s24, 0x80
	v_cmp_eq_u16_e32 vcc, s24, v5
	s_mov_b64 s[24:25], -1
	s_and_saveexec_b64 s[28:29], vcc
; %bb.2471:
	s_xor_b64 s[24:25], exec, -1
; %bb.2472:
	s_or_b64 exec, exec, s[28:29]
	s_and_b64 s[24:25], s[24:25], exec
	s_or_saveexec_b64 s[26:27], s[26:27]
	v_mov_b32_e32 v3, 0x7e00
	s_xor_b64 exec, exec, s[26:27]
	s_cbranch_execnz .LBB126_2491
.LBB126_2473:
	s_or_b64 exec, exec, s[26:27]
	s_and_saveexec_b64 s[26:27], s[24:25]
	s_cbranch_execz .LBB126_2475
.LBB126_2474:
	v_lshlrev_b32_e32 v3, 24, v5
	v_and_b32_e32 v5, 0xffff, v5
	v_and_b32_e32 v6, 7, v5
	v_ffbh_u32_e32 v8, v6
	v_min_u32_e32 v8, 32, v8
	v_subrev_u32_e32 v9, 28, v8
	v_bfe_u32 v7, v5, 3, 4
	v_lshlrev_b32_e32 v5, v9, v5
	v_sub_u32_e32 v8, 29, v8
	v_and_b32_e32 v5, 7, v5
	v_cmp_eq_u32_e32 vcc, 0, v7
	v_cndmask_b32_e32 v7, v7, v8, vcc
	v_cndmask_b32_e32 v5, v6, v5, vcc
	v_mov_b32_e32 v6, 0x3b800000
	v_lshlrev_b32_e32 v5, 20, v5
	v_and_b32_e32 v3, 0x80000000, v3
	v_lshl_add_u32 v6, v7, 23, v6
	v_or3_b32 v3, v3, v6, v5
	v_cvt_f16_f32_e32 v3, v3
.LBB126_2475:
	s_or_b64 exec, exec, s[26:27]
.LBB126_2476:
	s_mov_b64 s[24:25], -1
.LBB126_2477:
	s_mov_b64 s[26:27], 0
.LBB126_2478:
	s_and_b64 vcc, exec, s[26:27]
	s_cbranch_vccz .LBB126_2511
; %bb.2479:
	s_cmp_gt_i32 s13, 22
	s_cbranch_scc0 .LBB126_2489
; %bb.2480:
	s_cmp_lt_i32 s13, 24
	s_cbranch_scc1 .LBB126_2492
; %bb.2481:
	s_cmp_gt_i32 s13, 24
	s_cbranch_scc0 .LBB126_2493
; %bb.2482:
	global_load_ubyte v5, v[0:1], off
	s_movk_i32 s10, 0x7f
	s_waitcnt vmcnt(0)
	v_cmp_lt_i16_e32 vcc, s10, v5
	s_mov_b64 s[10:11], 0
	s_and_saveexec_b64 s[24:25], vcc
	s_xor_b64 s[24:25], exec, s[24:25]
	s_cbranch_execz .LBB126_2505
; %bb.2483:
	s_movk_i32 s10, 0x80
	v_cmp_eq_u16_e32 vcc, s10, v5
	s_mov_b64 s[10:11], -1
	s_and_saveexec_b64 s[26:27], vcc
; %bb.2484:
	s_xor_b64 s[10:11], exec, -1
; %bb.2485:
	s_or_b64 exec, exec, s[26:27]
	s_and_b64 s[10:11], s[10:11], exec
	s_or_saveexec_b64 s[24:25], s[24:25]
	v_mov_b32_e32 v3, 0x7e00
	s_xor_b64 exec, exec, s[24:25]
	s_cbranch_execnz .LBB126_2506
.LBB126_2486:
	s_or_b64 exec, exec, s[24:25]
	s_and_saveexec_b64 s[24:25], s[10:11]
	s_cbranch_execz .LBB126_2488
.LBB126_2487:
	v_lshlrev_b32_e32 v3, 24, v5
	v_and_b32_e32 v5, 0xffff, v5
	v_and_b32_e32 v6, 3, v5
	v_ffbh_u32_e32 v8, v6
	v_min_u32_e32 v8, 32, v8
	v_subrev_u32_e32 v9, 29, v8
	v_bfe_u32 v7, v5, 2, 5
	v_lshlrev_b32_e32 v5, v9, v5
	v_sub_u32_e32 v8, 30, v8
	v_and_b32_e32 v5, 3, v5
	v_cmp_eq_u32_e32 vcc, 0, v7
	v_cndmask_b32_e32 v7, v7, v8, vcc
	v_cndmask_b32_e32 v5, v6, v5, vcc
	v_mov_b32_e32 v6, 0x37800000
	v_lshlrev_b32_e32 v5, 21, v5
	v_and_b32_e32 v3, 0x80000000, v3
	v_lshl_add_u32 v6, v7, 23, v6
	v_or3_b32 v3, v3, v6, v5
	v_cvt_f16_f32_e32 v3, v3
.LBB126_2488:
	s_or_b64 exec, exec, s[24:25]
	s_mov_b64 s[10:11], 0
	s_branch .LBB126_2494
.LBB126_2489:
	s_mov_b64 s[10:11], -1
                                        ; implicit-def: $vgpr3
	s_branch .LBB126_2500
.LBB126_2490:
	s_or_saveexec_b64 s[26:27], s[26:27]
	v_mov_b32_e32 v3, 0x7e00
	s_xor_b64 exec, exec, s[26:27]
	s_cbranch_execz .LBB126_2473
.LBB126_2491:
	v_cmp_ne_u16_e32 vcc, 0, v5
	s_andn2_b64 s[24:25], s[24:25], exec
	s_and_b64 s[28:29], vcc, exec
	s_or_b64 s[24:25], s[24:25], s[28:29]
	v_mov_b32_e32 v3, v5
	s_or_b64 exec, exec, s[26:27]
	s_and_saveexec_b64 s[26:27], s[24:25]
	s_cbranch_execnz .LBB126_2474
	s_branch .LBB126_2475
.LBB126_2492:
	s_mov_b64 s[10:11], -1
                                        ; implicit-def: $vgpr3
	s_branch .LBB126_2497
.LBB126_2493:
	s_mov_b64 s[10:11], -1
                                        ; implicit-def: $vgpr3
.LBB126_2494:
	s_and_b64 vcc, exec, s[10:11]
	s_cbranch_vccz .LBB126_2496
; %bb.2495:
	global_load_ubyte v3, v[0:1], off
	s_mov_b32 s10, 0x7f800000
	s_waitcnt vmcnt(0)
	v_lshlrev_b32_e32 v3, 24, v3
	v_and_b32_e32 v5, 0x7f000000, v3
	v_ffbh_u32_e32 v6, v5
	v_min_u32_e32 v6, 32, v6
	v_sub_u32_e64 v6, v6, 4 clamp
	v_lshlrev_b32_e32 v8, v6, v5
	v_lshlrev_b32_e32 v6, 23, v6
	v_lshrrev_b32_e32 v8, 4, v8
	v_add_u32_e32 v7, 0x1000000, v5
	v_sub_u32_e32 v6, v8, v6
	v_ashrrev_i32_e32 v7, 8, v7
	v_add_u32_e32 v6, 0x3c000000, v6
	v_and_or_b32 v6, v7, s10, v6
	v_cmp_ne_u32_e32 vcc, 0, v5
	v_cndmask_b32_e32 v5, 0, v6, vcc
	s_brev_b32 s10, 1
	v_and_or_b32 v3, v3, s10, v5
	v_cvt_f16_f32_e32 v3, v3
.LBB126_2496:
	s_mov_b64 s[10:11], 0
.LBB126_2497:
	s_andn2_b64 vcc, exec, s[10:11]
	s_cbranch_vccnz .LBB126_2499
; %bb.2498:
	global_load_ubyte v3, v[0:1], off
	s_movk_i32 s10, 0x7f00
	s_brev_b32 s11, 16
	s_waitcnt vmcnt(0)
	v_lshlrev_b16_e32 v5, 8, v3
	v_lshlrev_b32_e32 v3, 25, v3
	v_lshrrev_b32_e32 v6, 4, v3
	v_and_or_b32 v7, v5, s10, 0.5
	v_or_b32_e32 v6, 0x70000000, v6
	v_add_f32_e32 v7, -0.5, v7
	v_mul_f32_e32 v6, 0x7800000, v6
	v_cmp_gt_u32_e32 vcc, s11, v3
	v_bfe_i32 v5, v5, 0, 16
	v_cndmask_b32_e32 v3, v6, v7, vcc
	s_brev_b32 s10, 1
	v_and_or_b32 v3, v5, s10, v3
	v_cvt_f16_f32_e32 v3, v3
.LBB126_2499:
	s_mov_b64 s[10:11], 0
	s_mov_b64 s[24:25], -1
.LBB126_2500:
	s_andn2_b64 vcc, exec, s[10:11]
	s_mov_b64 s[10:11], 0
	s_cbranch_vccnz .LBB126_2511
; %bb.2501:
	s_cmp_gt_i32 s13, 14
	s_cbranch_scc0 .LBB126_2504
; %bb.2502:
	s_cmp_eq_u32 s13, 15
	s_cbranch_scc0 .LBB126_2507
; %bb.2503:
	global_load_ushort v3, v[0:1], off
	s_mov_b64 s[0:1], 0
	s_mov_b64 s[24:25], -1
	s_waitcnt vmcnt(0)
	v_lshlrev_b32_e32 v3, 16, v3
	v_cvt_f16_f32_e32 v3, v3
	s_branch .LBB126_2508
.LBB126_2504:
	s_mov_b64 s[26:27], -1
                                        ; implicit-def: $vgpr3
	s_branch .LBB126_2509
.LBB126_2505:
	s_or_saveexec_b64 s[24:25], s[24:25]
	v_mov_b32_e32 v3, 0x7e00
	s_xor_b64 exec, exec, s[24:25]
	s_cbranch_execz .LBB126_2486
.LBB126_2506:
	v_cmp_ne_u16_e32 vcc, 0, v5
	s_andn2_b64 s[10:11], s[10:11], exec
	s_and_b64 s[26:27], vcc, exec
	s_or_b64 s[10:11], s[10:11], s[26:27]
	v_mov_b32_e32 v3, v5
	s_or_b64 exec, exec, s[24:25]
	s_and_saveexec_b64 s[24:25], s[10:11]
	s_cbranch_execnz .LBB126_2487
	s_branch .LBB126_2488
.LBB126_2507:
	s_mov_b64 s[0:1], -1
                                        ; implicit-def: $vgpr3
.LBB126_2508:
	s_mov_b64 s[26:27], 0
.LBB126_2509:
	s_and_b64 vcc, exec, s[26:27]
	s_cbranch_vccz .LBB126_2511
; %bb.2510:
	s_cmp_lg_u32 s13, 11
	s_mov_b64 s[10:11], -1
	s_cselect_b64 s[0:1], -1, 0
.LBB126_2511:
	s_and_b64 vcc, exec, s[0:1]
	s_cbranch_vccnz .LBB126_2576
; %bb.2512:
	s_andn2_b64 vcc, exec, s[10:11]
	s_cbranch_vccnz .LBB126_2514
.LBB126_2513:
	global_load_ubyte v3, v[0:1], off
	s_waitcnt vmcnt(1)
	v_mov_b32_e32 v5, 0x3c00
	s_mov_b64 s[24:25], -1
	s_waitcnt vmcnt(0)
	v_cmp_ne_u16_e32 vcc, 0, v3
	v_cndmask_b32_e32 v3, 0, v5, vcc
.LBB126_2514:
	s_mov_b64 s[0:1], 0
.LBB126_2515:
	s_and_b64 vcc, exec, s[0:1]
	s_cbranch_vccz .LBB126_2564
; %bb.2516:
	s_and_b32 s10, 0xffff, s30
	s_cmp_lt_i32 s10, 5
	s_cbranch_scc1 .LBB126_2521
; %bb.2517:
	s_cmp_lt_i32 s10, 8
	s_cbranch_scc1 .LBB126_2522
; %bb.2518:
	;; [unrolled: 3-line block ×3, first 2 shown]
	s_cmp_gt_i32 s10, 9
	s_cbranch_scc0 .LBB126_2524
; %bb.2520:
	global_load_dwordx2 v[5:6], v[0:1], off
	s_movk_i32 s0, 0x1ff
	s_movk_i32 s1, 0xffe
	v_mov_b32_e32 v3, 0x7c00
	v_mov_b32_e32 v7, 0x7e00
	s_movk_i32 s11, 0x40f
	s_mov_b32 s13, 0x8000
	s_waitcnt vmcnt(0)
	v_and_or_b32 v5, v6, s0, v5
	v_cmp_ne_u32_e32 vcc, 0, v5
	v_lshrrev_b32_e32 v8, 8, v6
	v_bfe_u32 v9, v6, 20, 11
	v_cndmask_b32_e64 v5, 0, 1, vcc
	v_sub_u32_e32 v10, 0x3f1, v9
	v_and_or_b32 v5, v8, s1, v5
	v_add_u32_e32 v9, 0xfffffc10, v9
	v_med3_i32 v8, v10, 0, 13
	v_or_b32_e32 v10, 0x1000, v5
	v_cmp_ne_u32_e32 vcc, 0, v5
	v_lshl_or_b32 v11, v9, 12, v5
	v_cndmask_b32_e32 v5, v3, v7, vcc
	v_lshrrev_b32_e32 v7, v8, v10
	v_lshlrev_b32_e32 v8, v8, v7
	v_cmp_ne_u32_e32 vcc, v8, v10
	v_cndmask_b32_e64 v8, 0, 1, vcc
	v_or_b32_e32 v7, v7, v8
	v_cmp_gt_i32_e32 vcc, 1, v9
	v_cndmask_b32_e32 v7, v11, v7, vcc
	v_and_b32_e32 v8, 7, v7
	v_cmp_lt_i32_e32 vcc, 5, v8
	v_cndmask_b32_e64 v10, 0, 1, vcc
	v_cmp_eq_u32_e32 vcc, 3, v8
	v_cndmask_b32_e64 v8, 0, 1, vcc
	v_lshrrev_b32_e32 v7, 2, v7
	v_or_b32_e32 v8, v8, v10
	v_add_u32_e32 v7, v7, v8
	v_cmp_gt_i32_e32 vcc, 31, v9
	v_cndmask_b32_e32 v3, v3, v7, vcc
	v_cmp_eq_u32_e32 vcc, s11, v9
	v_lshrrev_b32_e32 v6, 16, v6
	v_cndmask_b32_e32 v3, v3, v5, vcc
	v_and_or_b32 v3, v6, s13, v3
	s_mov_b64 s[0:1], 0
	s_branch .LBB126_2525
.LBB126_2521:
	s_mov_b64 s[0:1], -1
                                        ; implicit-def: $vgpr3
	s_branch .LBB126_2543
.LBB126_2522:
	s_mov_b64 s[0:1], -1
                                        ; implicit-def: $vgpr3
	s_branch .LBB126_2531
.LBB126_2523:
	s_mov_b64 s[0:1], -1
                                        ; implicit-def: $vgpr3
	s_branch .LBB126_2528
.LBB126_2524:
	s_mov_b64 s[0:1], -1
                                        ; implicit-def: $vgpr3
.LBB126_2525:
	s_andn2_b64 vcc, exec, s[0:1]
	s_cbranch_vccnz .LBB126_2527
; %bb.2526:
	global_load_dword v3, v[0:1], off
	s_waitcnt vmcnt(0)
	v_cvt_f16_f32_e32 v3, v3
.LBB126_2527:
	s_mov_b64 s[0:1], 0
.LBB126_2528:
	s_andn2_b64 vcc, exec, s[0:1]
	s_cbranch_vccnz .LBB126_2530
; %bb.2529:
	global_load_dword v3, v[0:1], off
.LBB126_2530:
	s_mov_b64 s[0:1], 0
.LBB126_2531:
	s_andn2_b64 vcc, exec, s[0:1]
	s_cbranch_vccnz .LBB126_2542
; %bb.2532:
	s_cmp_lt_i32 s10, 6
	s_cbranch_scc1 .LBB126_2535
; %bb.2533:
	s_cmp_gt_i32 s10, 6
	s_cbranch_scc0 .LBB126_2536
; %bb.2534:
	global_load_dwordx2 v[5:6], v[0:1], off
	s_movk_i32 s0, 0x1ff
	s_movk_i32 s1, 0xffe
	s_waitcnt vmcnt(1)
	v_mov_b32_e32 v3, 0x7c00
	v_mov_b32_e32 v7, 0x7e00
	s_movk_i32 s11, 0x40f
	s_mov_b32 s13, 0x8000
	s_waitcnt vmcnt(0)
	v_and_or_b32 v5, v6, s0, v5
	v_cmp_ne_u32_e32 vcc, 0, v5
	v_lshrrev_b32_e32 v8, 8, v6
	v_bfe_u32 v9, v6, 20, 11
	v_cndmask_b32_e64 v5, 0, 1, vcc
	v_sub_u32_e32 v10, 0x3f1, v9
	v_and_or_b32 v5, v8, s1, v5
	v_add_u32_e32 v9, 0xfffffc10, v9
	v_med3_i32 v8, v10, 0, 13
	v_or_b32_e32 v10, 0x1000, v5
	v_cmp_ne_u32_e32 vcc, 0, v5
	v_lshl_or_b32 v11, v9, 12, v5
	v_cndmask_b32_e32 v5, v3, v7, vcc
	v_lshrrev_b32_e32 v7, v8, v10
	v_lshlrev_b32_e32 v8, v8, v7
	v_cmp_ne_u32_e32 vcc, v8, v10
	v_cndmask_b32_e64 v8, 0, 1, vcc
	v_or_b32_e32 v7, v7, v8
	v_cmp_gt_i32_e32 vcc, 1, v9
	v_cndmask_b32_e32 v7, v11, v7, vcc
	v_and_b32_e32 v8, 7, v7
	v_cmp_lt_i32_e32 vcc, 5, v8
	v_cndmask_b32_e64 v10, 0, 1, vcc
	v_cmp_eq_u32_e32 vcc, 3, v8
	v_cndmask_b32_e64 v8, 0, 1, vcc
	v_lshrrev_b32_e32 v7, 2, v7
	v_or_b32_e32 v8, v8, v10
	v_add_u32_e32 v7, v7, v8
	v_cmp_gt_i32_e32 vcc, 31, v9
	v_cndmask_b32_e32 v3, v3, v7, vcc
	v_cmp_eq_u32_e32 vcc, s11, v9
	v_lshrrev_b32_e32 v6, 16, v6
	v_cndmask_b32_e32 v3, v3, v5, vcc
	v_and_or_b32 v3, v6, s13, v3
	s_mov_b64 s[0:1], 0
	s_branch .LBB126_2537
.LBB126_2535:
	s_mov_b64 s[0:1], -1
                                        ; implicit-def: $vgpr3
	s_branch .LBB126_2540
.LBB126_2536:
	s_mov_b64 s[0:1], -1
                                        ; implicit-def: $vgpr3
.LBB126_2537:
	s_andn2_b64 vcc, exec, s[0:1]
	s_cbranch_vccnz .LBB126_2539
; %bb.2538:
	global_load_dword v3, v[0:1], off
	s_waitcnt vmcnt(0)
	v_cvt_f16_f32_e32 v3, v3
.LBB126_2539:
	s_mov_b64 s[0:1], 0
.LBB126_2540:
	s_andn2_b64 vcc, exec, s[0:1]
	s_cbranch_vccnz .LBB126_2542
; %bb.2541:
	global_load_ushort v3, v[0:1], off
.LBB126_2542:
	s_mov_b64 s[0:1], 0
.LBB126_2543:
	s_andn2_b64 vcc, exec, s[0:1]
	s_cbranch_vccnz .LBB126_2563
; %bb.2544:
	s_cmp_lt_i32 s10, 2
	s_cbranch_scc1 .LBB126_2548
; %bb.2545:
	s_cmp_lt_i32 s10, 3
	s_cbranch_scc1 .LBB126_2549
; %bb.2546:
	s_cmp_gt_i32 s10, 3
	s_cbranch_scc0 .LBB126_2550
; %bb.2547:
	global_load_dwordx2 v[5:6], v[0:1], off
	s_mov_b64 s[0:1], 0
	s_waitcnt vmcnt(0)
	v_xor_b32_e32 v7, v5, v6
	v_ffbh_i32_e32 v3, v6
	v_ashrrev_i32_e32 v7, 31, v7
	v_add_u32_e32 v3, -1, v3
	v_add_u32_e32 v7, 32, v7
	v_min_u32_e32 v3, v3, v7
	v_lshlrev_b64 v[5:6], v3, v[5:6]
	v_sub_u32_e32 v3, 32, v3
	v_min_u32_e32 v5, 1, v5
	v_or_b32_e32 v5, v6, v5
	v_cvt_f32_i32_e32 v5, v5
	v_ldexp_f32 v3, v5, v3
	v_cvt_f16_f32_e32 v3, v3
	s_branch .LBB126_2551
.LBB126_2548:
	s_mov_b64 s[0:1], -1
                                        ; implicit-def: $vgpr3
	s_branch .LBB126_2557
.LBB126_2549:
	s_mov_b64 s[0:1], -1
                                        ; implicit-def: $vgpr3
	s_branch .LBB126_2554
.LBB126_2550:
	s_mov_b64 s[0:1], -1
                                        ; implicit-def: $vgpr3
.LBB126_2551:
	s_andn2_b64 vcc, exec, s[0:1]
	s_cbranch_vccnz .LBB126_2553
; %bb.2552:
	global_load_dword v3, v[0:1], off
	s_waitcnt vmcnt(0)
	v_cvt_f32_i32_e32 v3, v3
	v_cvt_f16_f32_e32 v3, v3
.LBB126_2553:
	s_mov_b64 s[0:1], 0
.LBB126_2554:
	s_andn2_b64 vcc, exec, s[0:1]
	s_cbranch_vccnz .LBB126_2556
; %bb.2555:
	global_load_ushort v3, v[0:1], off
	s_waitcnt vmcnt(0)
	v_cvt_f16_i16_e32 v3, v3
.LBB126_2556:
	s_mov_b64 s[0:1], 0
.LBB126_2557:
	s_andn2_b64 vcc, exec, s[0:1]
	s_cbranch_vccnz .LBB126_2563
; %bb.2558:
	s_cmp_gt_i32 s10, 0
	s_cbranch_scc0 .LBB126_2560
; %bb.2559:
	global_load_sbyte v3, v[0:1], off
	s_mov_b64 s[0:1], 0
	s_waitcnt vmcnt(0)
	v_cvt_f16_i16_e32 v3, v3
	s_branch .LBB126_2561
.LBB126_2560:
	s_mov_b64 s[0:1], -1
                                        ; implicit-def: $vgpr3
.LBB126_2561:
	s_andn2_b64 vcc, exec, s[0:1]
	s_cbranch_vccnz .LBB126_2563
; %bb.2562:
	global_load_ubyte v0, v[0:1], off
	s_waitcnt vmcnt(0)
	v_cvt_f16_u16_e32 v3, v0
.LBB126_2563:
	s_mov_b64 s[24:25], -1
.LBB126_2564:
	s_andn2_b64 vcc, exec, s[24:25]
	s_cbranch_vccnz .LBB126_2699
; %bb.2565:
	v_add_u32_e32 v0, s14, v4
	v_ashrrev_i32_e32 v1, 31, v0
	v_mov_b32_e32 v4, s3
	v_add_co_u32_e32 v0, vcc, s2, v0
	s_cmp_lt_i32 s31, 11
	v_addc_co_u32_e32 v1, vcc, v4, v1, vcc
	s_cbranch_scc1 .LBB126_2572
; %bb.2566:
	s_and_b32 s13, 0xffff, s31
	s_cmp_gt_i32 s13, 25
	s_mov_b64 s[2:3], 0
	s_cbranch_scc0 .LBB126_2573
; %bb.2567:
	s_cmp_gt_i32 s13, 28
	s_cbranch_scc0 .LBB126_2574
; %bb.2568:
	s_cmp_gt_i32 s13, 43
	;; [unrolled: 3-line block ×3, first 2 shown]
	s_cbranch_scc0 .LBB126_2577
; %bb.2570:
	s_cmp_eq_u32 s13, 46
	s_mov_b64 s[24:25], 0
	s_cbranch_scc0 .LBB126_2578
; %bb.2571:
	global_load_dword v4, v[0:1], off
	s_mov_b64 s[0:1], 0
	s_mov_b64 s[10:11], -1
	s_waitcnt vmcnt(0)
	v_lshlrev_b32_e32 v4, 16, v4
	v_cvt_f16_f32_e32 v4, v4
	s_branch .LBB126_2579
.LBB126_2572:
	s_mov_b64 s[0:1], -1
	s_mov_b64 s[10:11], 0
                                        ; implicit-def: $vgpr4
	s_branch .LBB126_2645
.LBB126_2573:
	s_mov_b64 s[24:25], -1
	s_mov_b64 s[10:11], 0
	s_mov_b64 s[0:1], 0
                                        ; implicit-def: $vgpr4
	s_branch .LBB126_2608
.LBB126_2574:
	s_mov_b64 s[24:25], -1
	s_mov_b64 s[10:11], 0
	s_mov_b64 s[0:1], 0
                                        ; implicit-def: $vgpr4
	s_branch .LBB126_2589
.LBB126_2575:
	s_mov_b64 s[24:25], -1
	s_mov_b64 s[10:11], 0
	s_mov_b64 s[0:1], 0
                                        ; implicit-def: $vgpr4
	s_branch .LBB126_2584
.LBB126_2576:
	s_trap 2
	s_or_b64 s[18:19], s[18:19], exec
	s_cbranch_execz .LBB126_2513
	s_branch .LBB126_2514
.LBB126_2577:
	s_mov_b64 s[24:25], -1
	s_mov_b64 s[10:11], 0
	s_mov_b64 s[0:1], 0
                                        ; implicit-def: $vgpr4
	s_branch .LBB126_2579
.LBB126_2578:
	s_mov_b64 s[0:1], -1
                                        ; implicit-def: $vgpr4
	s_mov_b64 s[10:11], 0
.LBB126_2579:
	s_and_b64 vcc, exec, s[24:25]
	s_cbranch_vccz .LBB126_2583
; %bb.2580:
	s_cmp_eq_u32 s13, 44
	s_cbranch_scc0 .LBB126_2582
; %bb.2581:
	global_load_ubyte v4, v[0:1], off
	s_movk_i32 s10, 0xff
	s_waitcnt vmcnt(1)
	v_mov_b32_e32 v6, 0x7e00
	s_mov_b64 s[0:1], 0
	s_waitcnt vmcnt(0)
	v_lshlrev_b32_e32 v5, 23, v4
	v_cvt_f16_f32_e32 v5, v5
	v_cmp_ne_u32_e32 vcc, s10, v4
	s_mov_b64 s[10:11], -1
	v_cndmask_b32_e32 v5, v6, v5, vcc
	v_cmp_ne_u32_e32 vcc, 0, v4
	v_cndmask_b32_e32 v4, 0, v5, vcc
	s_branch .LBB126_2583
.LBB126_2582:
	s_mov_b64 s[0:1], -1
                                        ; implicit-def: $vgpr4
.LBB126_2583:
	s_mov_b64 s[24:25], 0
.LBB126_2584:
	s_and_b64 vcc, exec, s[24:25]
	s_cbranch_vccz .LBB126_2588
; %bb.2585:
	s_cmp_eq_u32 s13, 29
	s_cbranch_scc0 .LBB126_2587
; %bb.2586:
	global_load_dwordx2 v[4:5], v[0:1], off
	s_mov_b64 s[0:1], 0
	s_mov_b64 s[10:11], -1
	s_mov_b64 s[24:25], 0
	s_waitcnt vmcnt(0)
	v_ffbh_u32_e32 v6, v5
	v_min_u32_e32 v6, 32, v6
	v_lshlrev_b64 v[4:5], v6, v[4:5]
	v_min_u32_e32 v4, 1, v4
	v_or_b32_e32 v4, v5, v4
	v_cvt_f32_u32_e32 v4, v4
	v_sub_u32_e32 v5, 32, v6
	v_ldexp_f32 v4, v4, v5
	v_cvt_f16_f32_e32 v4, v4
	s_branch .LBB126_2589
.LBB126_2587:
	s_mov_b64 s[0:1], -1
                                        ; implicit-def: $vgpr4
.LBB126_2588:
	s_mov_b64 s[24:25], 0
.LBB126_2589:
	s_and_b64 vcc, exec, s[24:25]
	s_cbranch_vccz .LBB126_2607
; %bb.2590:
	s_cmp_lt_i32 s13, 27
	s_cbranch_scc1 .LBB126_2593
; %bb.2591:
	s_cmp_gt_i32 s13, 27
	s_cbranch_scc0 .LBB126_2594
; %bb.2592:
	global_load_dword v4, v[0:1], off
	s_mov_b64 s[10:11], 0
	s_waitcnt vmcnt(0)
	v_cvt_f32_u32_e32 v4, v4
	v_cvt_f16_f32_e32 v4, v4
	s_branch .LBB126_2595
.LBB126_2593:
	s_mov_b64 s[10:11], -1
                                        ; implicit-def: $vgpr4
	s_branch .LBB126_2598
.LBB126_2594:
	s_mov_b64 s[10:11], -1
                                        ; implicit-def: $vgpr4
.LBB126_2595:
	s_andn2_b64 vcc, exec, s[10:11]
	s_cbranch_vccnz .LBB126_2597
; %bb.2596:
	global_load_ushort v4, v[0:1], off
	s_waitcnt vmcnt(0)
	v_cvt_f16_u16_e32 v4, v4
.LBB126_2597:
	s_mov_b64 s[10:11], 0
.LBB126_2598:
	s_andn2_b64 vcc, exec, s[10:11]
	s_cbranch_vccnz .LBB126_2606
; %bb.2599:
	global_load_ubyte v5, v[0:1], off
	s_movk_i32 s10, 0x7f
	s_waitcnt vmcnt(0)
	v_cmp_lt_i16_e32 vcc, s10, v5
	s_mov_b64 s[10:11], 0
	s_and_saveexec_b64 s[24:25], vcc
	s_xor_b64 s[24:25], exec, s[24:25]
	s_cbranch_execz .LBB126_2620
; %bb.2600:
	s_movk_i32 s10, 0x80
	v_cmp_eq_u16_e32 vcc, s10, v5
	s_mov_b64 s[10:11], -1
	s_and_saveexec_b64 s[26:27], vcc
; %bb.2601:
	s_xor_b64 s[10:11], exec, -1
; %bb.2602:
	s_or_b64 exec, exec, s[26:27]
	s_and_b64 s[10:11], s[10:11], exec
	s_or_saveexec_b64 s[24:25], s[24:25]
	v_mov_b32_e32 v4, 0x7e00
	s_xor_b64 exec, exec, s[24:25]
	s_cbranch_execnz .LBB126_2621
.LBB126_2603:
	s_or_b64 exec, exec, s[24:25]
	s_and_saveexec_b64 s[24:25], s[10:11]
	s_cbranch_execz .LBB126_2605
.LBB126_2604:
	v_lshlrev_b32_e32 v4, 24, v5
	v_and_b32_e32 v5, 0xffff, v5
	v_and_b32_e32 v6, 7, v5
	v_ffbh_u32_e32 v8, v6
	v_min_u32_e32 v8, 32, v8
	v_subrev_u32_e32 v9, 28, v8
	v_bfe_u32 v7, v5, 3, 4
	v_lshlrev_b32_e32 v5, v9, v5
	v_sub_u32_e32 v8, 29, v8
	v_and_b32_e32 v5, 7, v5
	v_cmp_eq_u32_e32 vcc, 0, v7
	v_cndmask_b32_e32 v7, v7, v8, vcc
	v_cndmask_b32_e32 v5, v6, v5, vcc
	v_mov_b32_e32 v6, 0x3b800000
	v_lshlrev_b32_e32 v5, 20, v5
	v_and_b32_e32 v4, 0x80000000, v4
	v_lshl_add_u32 v6, v7, 23, v6
	v_or3_b32 v4, v4, v6, v5
	v_cvt_f16_f32_e32 v4, v4
.LBB126_2605:
	s_or_b64 exec, exec, s[24:25]
.LBB126_2606:
	s_mov_b64 s[10:11], -1
.LBB126_2607:
	s_mov_b64 s[24:25], 0
.LBB126_2608:
	s_and_b64 vcc, exec, s[24:25]
	s_cbranch_vccz .LBB126_2641
; %bb.2609:
	s_cmp_gt_i32 s13, 22
	s_cbranch_scc0 .LBB126_2619
; %bb.2610:
	s_cmp_lt_i32 s13, 24
	s_cbranch_scc1 .LBB126_2622
; %bb.2611:
	s_cmp_gt_i32 s13, 24
	s_cbranch_scc0 .LBB126_2623
; %bb.2612:
	global_load_ubyte v5, v[0:1], off
	s_movk_i32 s2, 0x7f
	s_waitcnt vmcnt(0)
	v_cmp_lt_i16_e32 vcc, s2, v5
	s_mov_b64 s[2:3], 0
	s_and_saveexec_b64 s[10:11], vcc
	s_xor_b64 s[10:11], exec, s[10:11]
	s_cbranch_execz .LBB126_2635
; %bb.2613:
	s_movk_i32 s2, 0x80
	v_cmp_eq_u16_e32 vcc, s2, v5
	s_mov_b64 s[2:3], -1
	s_and_saveexec_b64 s[24:25], vcc
; %bb.2614:
	s_xor_b64 s[2:3], exec, -1
; %bb.2615:
	s_or_b64 exec, exec, s[24:25]
	s_and_b64 s[2:3], s[2:3], exec
	s_or_saveexec_b64 s[10:11], s[10:11]
	v_mov_b32_e32 v4, 0x7e00
	s_xor_b64 exec, exec, s[10:11]
	s_cbranch_execnz .LBB126_2636
.LBB126_2616:
	s_or_b64 exec, exec, s[10:11]
	s_and_saveexec_b64 s[10:11], s[2:3]
	s_cbranch_execz .LBB126_2618
.LBB126_2617:
	v_lshlrev_b32_e32 v4, 24, v5
	v_and_b32_e32 v5, 0xffff, v5
	v_and_b32_e32 v6, 3, v5
	v_ffbh_u32_e32 v8, v6
	v_min_u32_e32 v8, 32, v8
	v_subrev_u32_e32 v9, 29, v8
	v_bfe_u32 v7, v5, 2, 5
	v_lshlrev_b32_e32 v5, v9, v5
	v_sub_u32_e32 v8, 30, v8
	v_and_b32_e32 v5, 3, v5
	v_cmp_eq_u32_e32 vcc, 0, v7
	v_cndmask_b32_e32 v7, v7, v8, vcc
	v_cndmask_b32_e32 v5, v6, v5, vcc
	v_mov_b32_e32 v6, 0x37800000
	v_lshlrev_b32_e32 v5, 21, v5
	v_and_b32_e32 v4, 0x80000000, v4
	v_lshl_add_u32 v6, v7, 23, v6
	v_or3_b32 v4, v4, v6, v5
	v_cvt_f16_f32_e32 v4, v4
.LBB126_2618:
	s_or_b64 exec, exec, s[10:11]
	s_mov_b64 s[2:3], 0
	s_branch .LBB126_2624
.LBB126_2619:
	s_mov_b64 s[2:3], -1
                                        ; implicit-def: $vgpr4
	s_branch .LBB126_2630
.LBB126_2620:
	s_or_saveexec_b64 s[24:25], s[24:25]
	v_mov_b32_e32 v4, 0x7e00
	s_xor_b64 exec, exec, s[24:25]
	s_cbranch_execz .LBB126_2603
.LBB126_2621:
	v_cmp_ne_u16_e32 vcc, 0, v5
	s_andn2_b64 s[10:11], s[10:11], exec
	s_and_b64 s[26:27], vcc, exec
	s_or_b64 s[10:11], s[10:11], s[26:27]
	v_mov_b32_e32 v4, v5
	s_or_b64 exec, exec, s[24:25]
	s_and_saveexec_b64 s[24:25], s[10:11]
	s_cbranch_execnz .LBB126_2604
	s_branch .LBB126_2605
.LBB126_2622:
	s_mov_b64 s[2:3], -1
                                        ; implicit-def: $vgpr4
	s_branch .LBB126_2627
.LBB126_2623:
	s_mov_b64 s[2:3], -1
                                        ; implicit-def: $vgpr4
.LBB126_2624:
	s_and_b64 vcc, exec, s[2:3]
	s_cbranch_vccz .LBB126_2626
; %bb.2625:
	global_load_ubyte v4, v[0:1], off
	s_mov_b32 s2, 0x7f800000
	s_waitcnt vmcnt(0)
	v_lshlrev_b32_e32 v4, 24, v4
	v_and_b32_e32 v5, 0x7f000000, v4
	v_ffbh_u32_e32 v6, v5
	v_min_u32_e32 v6, 32, v6
	v_sub_u32_e64 v6, v6, 4 clamp
	v_lshlrev_b32_e32 v8, v6, v5
	v_lshlrev_b32_e32 v6, 23, v6
	v_lshrrev_b32_e32 v8, 4, v8
	v_add_u32_e32 v7, 0x1000000, v5
	v_sub_u32_e32 v6, v8, v6
	v_ashrrev_i32_e32 v7, 8, v7
	v_add_u32_e32 v6, 0x3c000000, v6
	v_and_or_b32 v6, v7, s2, v6
	v_cmp_ne_u32_e32 vcc, 0, v5
	v_cndmask_b32_e32 v5, 0, v6, vcc
	s_brev_b32 s2, 1
	v_and_or_b32 v4, v4, s2, v5
	v_cvt_f16_f32_e32 v4, v4
.LBB126_2626:
	s_mov_b64 s[2:3], 0
.LBB126_2627:
	s_andn2_b64 vcc, exec, s[2:3]
	s_cbranch_vccnz .LBB126_2629
; %bb.2628:
	global_load_ubyte v4, v[0:1], off
	s_movk_i32 s2, 0x7f00
	s_brev_b32 s3, 16
	s_waitcnt vmcnt(0)
	v_lshlrev_b16_e32 v5, 8, v4
	v_lshlrev_b32_e32 v4, 25, v4
	v_lshrrev_b32_e32 v6, 4, v4
	v_and_or_b32 v7, v5, s2, 0.5
	v_or_b32_e32 v6, 0x70000000, v6
	v_add_f32_e32 v7, -0.5, v7
	v_mul_f32_e32 v6, 0x7800000, v6
	v_cmp_gt_u32_e32 vcc, s3, v4
	v_bfe_i32 v5, v5, 0, 16
	v_cndmask_b32_e32 v4, v6, v7, vcc
	s_brev_b32 s2, 1
	v_and_or_b32 v4, v5, s2, v4
	v_cvt_f16_f32_e32 v4, v4
.LBB126_2629:
	s_mov_b64 s[2:3], 0
	s_mov_b64 s[10:11], -1
.LBB126_2630:
	s_andn2_b64 vcc, exec, s[2:3]
	s_mov_b64 s[2:3], 0
	s_cbranch_vccnz .LBB126_2641
; %bb.2631:
	s_cmp_gt_i32 s13, 14
	s_cbranch_scc0 .LBB126_2634
; %bb.2632:
	s_cmp_eq_u32 s13, 15
	s_cbranch_scc0 .LBB126_2637
; %bb.2633:
	global_load_ushort v4, v[0:1], off
	s_mov_b64 s[0:1], 0
	s_mov_b64 s[10:11], -1
	s_waitcnt vmcnt(0)
	v_lshlrev_b32_e32 v4, 16, v4
	v_cvt_f16_f32_e32 v4, v4
	s_branch .LBB126_2638
.LBB126_2634:
	s_mov_b64 s[24:25], -1
                                        ; implicit-def: $vgpr4
	s_branch .LBB126_2639
.LBB126_2635:
	s_or_saveexec_b64 s[10:11], s[10:11]
	v_mov_b32_e32 v4, 0x7e00
	s_xor_b64 exec, exec, s[10:11]
	s_cbranch_execz .LBB126_2616
.LBB126_2636:
	v_cmp_ne_u16_e32 vcc, 0, v5
	s_andn2_b64 s[2:3], s[2:3], exec
	s_and_b64 s[24:25], vcc, exec
	s_or_b64 s[2:3], s[2:3], s[24:25]
	v_mov_b32_e32 v4, v5
	s_or_b64 exec, exec, s[10:11]
	s_and_saveexec_b64 s[10:11], s[2:3]
	s_cbranch_execnz .LBB126_2617
	s_branch .LBB126_2618
.LBB126_2637:
	s_mov_b64 s[0:1], -1
                                        ; implicit-def: $vgpr4
.LBB126_2638:
	s_mov_b64 s[24:25], 0
.LBB126_2639:
	s_and_b64 vcc, exec, s[24:25]
	s_cbranch_vccz .LBB126_2641
; %bb.2640:
	s_cmp_lg_u32 s13, 11
	s_mov_b64 s[2:3], -1
	s_cselect_b64 s[0:1], -1, 0
.LBB126_2641:
	s_and_b64 vcc, exec, s[0:1]
	s_cbranch_vccnz .LBB126_3193
; %bb.2642:
	s_andn2_b64 vcc, exec, s[2:3]
	s_cbranch_vccnz .LBB126_2644
.LBB126_2643:
	global_load_ubyte v4, v[0:1], off
	s_waitcnt vmcnt(1)
	v_mov_b32_e32 v5, 0x3c00
	s_mov_b64 s[10:11], -1
	s_waitcnt vmcnt(0)
	v_cmp_ne_u16_e32 vcc, 0, v4
	v_cndmask_b32_e32 v4, 0, v5, vcc
.LBB126_2644:
	s_mov_b64 s[0:1], 0
.LBB126_2645:
	s_and_b64 vcc, exec, s[0:1]
	s_cbranch_vccz .LBB126_2694
; %bb.2646:
	s_and_b32 s2, 0xffff, s31
	s_cmp_lt_i32 s2, 5
	s_cbranch_scc1 .LBB126_2651
; %bb.2647:
	s_cmp_lt_i32 s2, 8
	s_cbranch_scc1 .LBB126_2652
; %bb.2648:
	;; [unrolled: 3-line block ×3, first 2 shown]
	s_cmp_gt_i32 s2, 9
	s_cbranch_scc0 .LBB126_2654
; %bb.2650:
	global_load_dwordx2 v[4:5], v[0:1], off
	s_movk_i32 s0, 0x1ff
	s_movk_i32 s1, 0xffe
	s_waitcnt vmcnt(1)
	v_mov_b32_e32 v6, 0x7c00
	v_mov_b32_e32 v7, 0x7e00
	s_movk_i32 s3, 0x40f
	s_mov_b32 s10, 0x8000
	s_waitcnt vmcnt(0)
	v_and_or_b32 v4, v5, s0, v4
	v_cmp_ne_u32_e32 vcc, 0, v4
	v_lshrrev_b32_e32 v8, 8, v5
	v_bfe_u32 v9, v5, 20, 11
	v_cndmask_b32_e64 v4, 0, 1, vcc
	v_sub_u32_e32 v10, 0x3f1, v9
	v_and_or_b32 v4, v8, s1, v4
	v_add_u32_e32 v9, 0xfffffc10, v9
	v_med3_i32 v8, v10, 0, 13
	v_or_b32_e32 v10, 0x1000, v4
	v_cmp_ne_u32_e32 vcc, 0, v4
	v_lshl_or_b32 v11, v9, 12, v4
	v_cndmask_b32_e32 v4, v6, v7, vcc
	v_lshrrev_b32_e32 v7, v8, v10
	v_lshlrev_b32_e32 v8, v8, v7
	v_cmp_ne_u32_e32 vcc, v8, v10
	v_cndmask_b32_e64 v8, 0, 1, vcc
	v_or_b32_e32 v7, v7, v8
	v_cmp_gt_i32_e32 vcc, 1, v9
	v_cndmask_b32_e32 v7, v11, v7, vcc
	v_and_b32_e32 v8, 7, v7
	v_cmp_lt_i32_e32 vcc, 5, v8
	v_cndmask_b32_e64 v10, 0, 1, vcc
	v_cmp_eq_u32_e32 vcc, 3, v8
	v_cndmask_b32_e64 v8, 0, 1, vcc
	v_lshrrev_b32_e32 v7, 2, v7
	v_or_b32_e32 v8, v8, v10
	v_add_u32_e32 v7, v7, v8
	v_cmp_gt_i32_e32 vcc, 31, v9
	v_cndmask_b32_e32 v6, v6, v7, vcc
	v_cmp_eq_u32_e32 vcc, s3, v9
	v_lshrrev_b32_e32 v5, 16, v5
	v_cndmask_b32_e32 v4, v6, v4, vcc
	v_and_or_b32 v4, v5, s10, v4
	s_mov_b64 s[0:1], 0
	s_branch .LBB126_2655
.LBB126_2651:
	s_mov_b64 s[0:1], -1
                                        ; implicit-def: $vgpr4
	s_branch .LBB126_2673
.LBB126_2652:
	s_mov_b64 s[0:1], -1
                                        ; implicit-def: $vgpr4
	s_branch .LBB126_2661
.LBB126_2653:
	s_mov_b64 s[0:1], -1
                                        ; implicit-def: $vgpr4
	s_branch .LBB126_2658
.LBB126_2654:
	s_mov_b64 s[0:1], -1
                                        ; implicit-def: $vgpr4
.LBB126_2655:
	s_andn2_b64 vcc, exec, s[0:1]
	s_cbranch_vccnz .LBB126_2657
; %bb.2656:
	global_load_dword v4, v[0:1], off
	s_waitcnt vmcnt(0)
	v_cvt_f16_f32_e32 v4, v4
.LBB126_2657:
	s_mov_b64 s[0:1], 0
.LBB126_2658:
	s_andn2_b64 vcc, exec, s[0:1]
	s_cbranch_vccnz .LBB126_2660
; %bb.2659:
	global_load_dword v4, v[0:1], off
.LBB126_2660:
	s_mov_b64 s[0:1], 0
.LBB126_2661:
	s_andn2_b64 vcc, exec, s[0:1]
	s_cbranch_vccnz .LBB126_2672
; %bb.2662:
	s_cmp_lt_i32 s2, 6
	s_cbranch_scc1 .LBB126_2665
; %bb.2663:
	s_cmp_gt_i32 s2, 6
	s_cbranch_scc0 .LBB126_2666
; %bb.2664:
	global_load_dwordx2 v[4:5], v[0:1], off
	s_movk_i32 s0, 0x1ff
	s_movk_i32 s1, 0xffe
	s_waitcnt vmcnt(1)
	v_mov_b32_e32 v6, 0x7c00
	v_mov_b32_e32 v7, 0x7e00
	s_movk_i32 s3, 0x40f
	s_mov_b32 s10, 0x8000
	s_waitcnt vmcnt(0)
	v_and_or_b32 v4, v5, s0, v4
	v_cmp_ne_u32_e32 vcc, 0, v4
	v_lshrrev_b32_e32 v8, 8, v5
	v_bfe_u32 v9, v5, 20, 11
	v_cndmask_b32_e64 v4, 0, 1, vcc
	v_sub_u32_e32 v10, 0x3f1, v9
	v_and_or_b32 v4, v8, s1, v4
	v_add_u32_e32 v9, 0xfffffc10, v9
	v_med3_i32 v8, v10, 0, 13
	v_or_b32_e32 v10, 0x1000, v4
	v_cmp_ne_u32_e32 vcc, 0, v4
	v_lshl_or_b32 v11, v9, 12, v4
	v_cndmask_b32_e32 v4, v6, v7, vcc
	v_lshrrev_b32_e32 v7, v8, v10
	v_lshlrev_b32_e32 v8, v8, v7
	v_cmp_ne_u32_e32 vcc, v8, v10
	v_cndmask_b32_e64 v8, 0, 1, vcc
	v_or_b32_e32 v7, v7, v8
	v_cmp_gt_i32_e32 vcc, 1, v9
	v_cndmask_b32_e32 v7, v11, v7, vcc
	v_and_b32_e32 v8, 7, v7
	v_cmp_lt_i32_e32 vcc, 5, v8
	v_cndmask_b32_e64 v10, 0, 1, vcc
	v_cmp_eq_u32_e32 vcc, 3, v8
	v_cndmask_b32_e64 v8, 0, 1, vcc
	v_lshrrev_b32_e32 v7, 2, v7
	v_or_b32_e32 v8, v8, v10
	v_add_u32_e32 v7, v7, v8
	v_cmp_gt_i32_e32 vcc, 31, v9
	v_cndmask_b32_e32 v6, v6, v7, vcc
	v_cmp_eq_u32_e32 vcc, s3, v9
	v_lshrrev_b32_e32 v5, 16, v5
	v_cndmask_b32_e32 v4, v6, v4, vcc
	v_and_or_b32 v4, v5, s10, v4
	s_mov_b64 s[0:1], 0
	s_branch .LBB126_2667
.LBB126_2665:
	s_mov_b64 s[0:1], -1
                                        ; implicit-def: $vgpr4
	s_branch .LBB126_2670
.LBB126_2666:
	s_mov_b64 s[0:1], -1
                                        ; implicit-def: $vgpr4
.LBB126_2667:
	s_andn2_b64 vcc, exec, s[0:1]
	s_cbranch_vccnz .LBB126_2669
; %bb.2668:
	global_load_dword v4, v[0:1], off
	s_waitcnt vmcnt(0)
	v_cvt_f16_f32_e32 v4, v4
.LBB126_2669:
	s_mov_b64 s[0:1], 0
.LBB126_2670:
	s_andn2_b64 vcc, exec, s[0:1]
	s_cbranch_vccnz .LBB126_2672
; %bb.2671:
	global_load_ushort v4, v[0:1], off
.LBB126_2672:
	s_mov_b64 s[0:1], 0
.LBB126_2673:
	s_andn2_b64 vcc, exec, s[0:1]
	s_cbranch_vccnz .LBB126_2693
; %bb.2674:
	s_cmp_lt_i32 s2, 2
	s_cbranch_scc1 .LBB126_2678
; %bb.2675:
	s_cmp_lt_i32 s2, 3
	s_cbranch_scc1 .LBB126_2679
; %bb.2676:
	s_cmp_gt_i32 s2, 3
	s_cbranch_scc0 .LBB126_2680
; %bb.2677:
	global_load_dwordx2 v[4:5], v[0:1], off
	s_mov_b64 s[0:1], 0
	s_waitcnt vmcnt(0)
	v_xor_b32_e32 v7, v4, v5
	v_ffbh_i32_e32 v6, v5
	v_ashrrev_i32_e32 v7, 31, v7
	v_add_u32_e32 v6, -1, v6
	v_add_u32_e32 v7, 32, v7
	v_min_u32_e32 v6, v6, v7
	v_lshlrev_b64 v[4:5], v6, v[4:5]
	v_min_u32_e32 v4, 1, v4
	v_or_b32_e32 v4, v5, v4
	v_cvt_f32_i32_e32 v4, v4
	v_sub_u32_e32 v5, 32, v6
	v_ldexp_f32 v4, v4, v5
	v_cvt_f16_f32_e32 v4, v4
	s_branch .LBB126_2681
.LBB126_2678:
	s_mov_b64 s[0:1], -1
                                        ; implicit-def: $vgpr4
	s_branch .LBB126_2687
.LBB126_2679:
	s_mov_b64 s[0:1], -1
                                        ; implicit-def: $vgpr4
	s_branch .LBB126_2684
.LBB126_2680:
	s_mov_b64 s[0:1], -1
                                        ; implicit-def: $vgpr4
.LBB126_2681:
	s_andn2_b64 vcc, exec, s[0:1]
	s_cbranch_vccnz .LBB126_2683
; %bb.2682:
	global_load_dword v4, v[0:1], off
	s_waitcnt vmcnt(0)
	v_cvt_f32_i32_e32 v4, v4
	v_cvt_f16_f32_e32 v4, v4
.LBB126_2683:
	s_mov_b64 s[0:1], 0
.LBB126_2684:
	s_andn2_b64 vcc, exec, s[0:1]
	s_cbranch_vccnz .LBB126_2686
; %bb.2685:
	global_load_ushort v4, v[0:1], off
	s_waitcnt vmcnt(0)
	v_cvt_f16_i16_e32 v4, v4
.LBB126_2686:
	s_mov_b64 s[0:1], 0
.LBB126_2687:
	s_andn2_b64 vcc, exec, s[0:1]
	s_cbranch_vccnz .LBB126_2693
; %bb.2688:
	s_cmp_gt_i32 s2, 0
	s_cbranch_scc0 .LBB126_2690
; %bb.2689:
	global_load_sbyte v4, v[0:1], off
	s_mov_b64 s[0:1], 0
	s_waitcnt vmcnt(0)
	v_cvt_f16_i16_e32 v4, v4
	s_branch .LBB126_2691
.LBB126_2690:
	s_mov_b64 s[0:1], -1
                                        ; implicit-def: $vgpr4
.LBB126_2691:
	s_andn2_b64 vcc, exec, s[0:1]
	s_cbranch_vccnz .LBB126_2693
; %bb.2692:
	global_load_ubyte v0, v[0:1], off
	s_waitcnt vmcnt(0)
	v_cvt_f16_u16_e32 v4, v0
.LBB126_2693:
	s_mov_b64 s[10:11], -1
.LBB126_2694:
	s_andn2_b64 vcc, exec, s[10:11]
	s_cbranch_vccnz .LBB126_2699
; %bb.2695:
	s_cmp_lt_i32 s15, 1
	s_mov_b64 s[0:1], 0
	s_cbranch_scc1 .LBB126_2745
; %bb.2696:
	s_cmp_gt_i32 s15, 1
	s_cbranch_scc0 .LBB126_2746
; %bb.2697:
	s_cmp_eq_u32 s15, 2
	s_cbranch_scc0 .LBB126_2747
; %bb.2698:
	s_waitcnt vmcnt(0)
	v_cmp_le_f16_e64 s[24:25], v3, v4
	s_mov_b64 s[2:3], 0
	s_branch .LBB126_2748
.LBB126_2699:
	s_mov_b64 s[0:1], 0
                                        ; implicit-def: $sgpr24_sgpr25
.LBB126_2700:
	s_mov_b64 s[2:3], 0
                                        ; implicit-def: $sgpr28
                                        ; implicit-def: $vgpr0_vgpr1
.LBB126_2701:
	s_and_b64 s[4:5], s[2:3], exec
	s_andn2_b64 s[2:3], s[16:17], exec
	s_and_b64 s[8:9], s[18:19], exec
	s_and_b64 s[0:1], s[0:1], exec
	s_or_b64 s[16:17], s[2:3], s[8:9]
.LBB126_2702:
	s_or_b64 exec, exec, s[6:7]
	s_and_saveexec_b64 s[2:3], s[16:17]
	s_cbranch_execz .LBB126_2705
; %bb.2703:
	; divergent unreachable
	s_or_b64 exec, exec, s[2:3]
	s_and_saveexec_b64 s[2:3], s[4:5]
	s_xor_b64 s[2:3], exec, s[2:3]
	s_cbranch_execnz .LBB126_2706
.LBB126_2704:
	s_or_b64 exec, exec, s[2:3]
	s_and_saveexec_b64 s[2:3], s[0:1]
	s_cbranch_execnz .LBB126_2707
	s_branch .LBB126_2744
.LBB126_2705:
	s_or_b64 exec, exec, s[2:3]
	s_and_saveexec_b64 s[2:3], s[4:5]
	s_xor_b64 s[2:3], exec, s[2:3]
	s_cbranch_execz .LBB126_2704
.LBB126_2706:
	v_cndmask_b32_e64 v2, 0, 1, s[24:25]
	global_store_byte v[0:1], v2, off
	s_or_b64 exec, exec, s[2:3]
	s_and_saveexec_b64 s[2:3], s[0:1]
	s_cbranch_execz .LBB126_2744
.LBB126_2707:
	s_sext_i32_i16 s2, s28
	s_cmp_lt_i32 s2, 5
	s_mov_b64 s[0:1], -1
	s_cbranch_scc1 .LBB126_2728
; %bb.2708:
	s_cmp_lt_i32 s2, 8
	s_cbranch_scc1 .LBB126_2718
; %bb.2709:
	s_cmp_lt_i32 s2, 9
	s_cbranch_scc1 .LBB126_2715
; %bb.2710:
	s_cmp_gt_i32 s2, 9
	s_cbranch_scc0 .LBB126_2712
; %bb.2711:
	v_cndmask_b32_e64 v2, 0, 1, s[24:25]
	s_waitcnt vmcnt(0)
	v_cvt_f64_u32_e32 v[2:3], v2
	v_mov_b32_e32 v4, 0
	v_mov_b32_e32 v5, v4
	s_mov_b64 s[0:1], 0
	global_store_dwordx4 v[0:1], v[2:5], off
.LBB126_2712:
	s_andn2_b64 vcc, exec, s[0:1]
	s_cbranch_vccnz .LBB126_2714
; %bb.2713:
	v_cndmask_b32_e64 v2, 0, 1.0, s[24:25]
	s_waitcnt vmcnt(0)
	v_mov_b32_e32 v3, 0
	global_store_dwordx2 v[0:1], v[2:3], off
.LBB126_2714:
	s_mov_b64 s[0:1], 0
.LBB126_2715:
	s_andn2_b64 vcc, exec, s[0:1]
	s_cbranch_vccnz .LBB126_2717
; %bb.2716:
	v_cndmask_b32_e64 v2, 0, 1.0, s[24:25]
	v_cvt_f16_f32_e32 v2, v2
	global_store_dword v[0:1], v2, off
.LBB126_2717:
	s_mov_b64 s[0:1], 0
.LBB126_2718:
	s_andn2_b64 vcc, exec, s[0:1]
	s_cbranch_vccnz .LBB126_2727
; %bb.2719:
	s_sext_i32_i16 s2, s28
	s_cmp_lt_i32 s2, 6
	s_mov_b64 s[0:1], -1
	s_cbranch_scc1 .LBB126_2725
; %bb.2720:
	s_cmp_gt_i32 s2, 6
	s_cbranch_scc0 .LBB126_2722
; %bb.2721:
	v_cndmask_b32_e64 v2, 0, 1, s[24:25]
	s_waitcnt vmcnt(0)
	v_cvt_f64_u32_e32 v[2:3], v2
	s_mov_b64 s[0:1], 0
	global_store_dwordx2 v[0:1], v[2:3], off
.LBB126_2722:
	s_andn2_b64 vcc, exec, s[0:1]
	s_cbranch_vccnz .LBB126_2724
; %bb.2723:
	v_cndmask_b32_e64 v2, 0, 1.0, s[24:25]
	global_store_dword v[0:1], v2, off
.LBB126_2724:
	s_mov_b64 s[0:1], 0
.LBB126_2725:
	s_andn2_b64 vcc, exec, s[0:1]
	s_cbranch_vccnz .LBB126_2727
; %bb.2726:
	v_cndmask_b32_e64 v2, 0, 1.0, s[24:25]
	v_cvt_f16_f32_e32 v2, v2
	global_store_short v[0:1], v2, off
.LBB126_2727:
	s_mov_b64 s[0:1], 0
.LBB126_2728:
	s_andn2_b64 vcc, exec, s[0:1]
	s_cbranch_vccnz .LBB126_2744
; %bb.2729:
	s_sext_i32_i16 s2, s28
	s_cmp_lt_i32 s2, 2
	s_mov_b64 s[0:1], -1
	s_cbranch_scc1 .LBB126_2739
; %bb.2730:
	s_cmp_lt_i32 s2, 3
	s_cbranch_scc1 .LBB126_2736
; %bb.2731:
	s_cmp_gt_i32 s2, 3
	s_cbranch_scc0 .LBB126_2733
; %bb.2732:
	s_mov_b32 s0, 0
	v_cndmask_b32_e64 v2, 0, 1, s[24:25]
	s_waitcnt vmcnt(0)
	v_mov_b32_e32 v3, s0
	global_store_dwordx2 v[0:1], v[2:3], off
	s_mov_b64 s[0:1], 0
.LBB126_2733:
	s_andn2_b64 vcc, exec, s[0:1]
	s_cbranch_vccnz .LBB126_2735
; %bb.2734:
	v_cndmask_b32_e64 v2, 0, 1, s[24:25]
	global_store_dword v[0:1], v2, off
.LBB126_2735:
	s_mov_b64 s[0:1], 0
.LBB126_2736:
	s_andn2_b64 vcc, exec, s[0:1]
	s_cbranch_vccnz .LBB126_2738
; %bb.2737:
	v_cndmask_b32_e64 v2, 0, 1, s[24:25]
	global_store_short v[0:1], v2, off
.LBB126_2738:
	s_mov_b64 s[0:1], 0
.LBB126_2739:
	s_andn2_b64 vcc, exec, s[0:1]
	s_cbranch_vccnz .LBB126_2744
; %bb.2740:
	s_sext_i32_i16 s2, s28
	s_mov_b64 s[0:1], -1
	s_cmp_gt_i32 s2, 0
	v_cndmask_b32_e64 v2, 0, 1, s[24:25]
	s_cbranch_scc0 .LBB126_2742
; %bb.2741:
	global_store_byte v[0:1], v2, off
	s_mov_b64 s[0:1], 0
.LBB126_2742:
	s_andn2_b64 vcc, exec, s[0:1]
	s_cbranch_vccnz .LBB126_2744
; %bb.2743:
	global_store_byte v[0:1], v2, off
	s_endpgm
.LBB126_2744:
	s_endpgm
.LBB126_2745:
	s_mov_b64 s[10:11], -1
                                        ; implicit-def: $sgpr24_sgpr25
	s_mov_b64 s[2:3], 0
	s_branch .LBB126_2752
.LBB126_2746:
	s_mov_b64 s[10:11], -1
	s_mov_b64 s[2:3], 0
                                        ; implicit-def: $sgpr24_sgpr25
	s_branch .LBB126_2749
.LBB126_2747:
	s_mov_b64 s[2:3], -1
                                        ; implicit-def: $sgpr24_sgpr25
.LBB126_2748:
	s_mov_b64 s[10:11], 0
.LBB126_2749:
	s_and_b64 vcc, exec, s[10:11]
	s_cbranch_vccz .LBB126_2751
; %bb.2750:
	s_waitcnt vmcnt(0)
	v_cmp_gt_f16_e32 vcc, v3, v4
	s_andn2_b64 s[10:11], s[24:25], exec
	s_and_b64 s[24:25], vcc, exec
	s_or_b64 s[24:25], s[10:11], s[24:25]
.LBB126_2751:
	s_mov_b64 s[10:11], 0
.LBB126_2752:
	s_and_b64 vcc, exec, s[10:11]
	s_cbranch_vccz .LBB126_2834
; %bb.2753:
	s_cmp_lg_u32 s15, 0
	s_mov_b64 s[0:1], -1
	s_cselect_b64 s[2:3], -1, 0
	s_andn2_b64 vcc, exec, s[2:3]
	s_cbranch_vccz .LBB126_2835
.LBB126_2754:
	s_andn2_b64 vcc, exec, s[0:1]
	s_cbranch_vccnz .LBB126_2756
.LBB126_2755:
	s_waitcnt vmcnt(0)
	v_cmp_ge_f16_e32 vcc, v3, v4
	s_andn2_b64 s[0:1], s[24:25], exec
	s_and_b64 s[2:3], vcc, exec
	s_or_b64 s[24:25], s[0:1], s[2:3]
.LBB126_2756:
	v_mul_lo_u32 v2, s12, v2
	v_mov_b32_e32 v1, s9
	s_and_b32 s28, s33, 0xff
	s_cmp_lt_i32 s28, 11
	s_waitcnt vmcnt(0)
	v_ashrrev_i32_e32 v3, 31, v2
	v_add_co_u32_e32 v0, vcc, s8, v2
	v_addc_co_u32_e32 v1, vcc, v1, v3, vcc
	s_cbranch_scc1 .LBB126_2836
; %bb.2757:
	s_and_b32 s13, 0xffff, s28
	s_mov_b64 s[14:15], -1
	s_mov_b64 s[2:3], 0
	s_cmp_gt_i32 s13, 25
	s_mov_b64 s[10:11], 0
	s_mov_b64 s[0:1], 0
	s_cbranch_scc0 .LBB126_2790
; %bb.2758:
	s_cmp_gt_i32 s13, 28
	s_cbranch_scc0 .LBB126_2773
; %bb.2759:
	s_cmp_gt_i32 s13, 43
	;; [unrolled: 3-line block ×3, first 2 shown]
	s_cbranch_scc0 .LBB126_2763
; %bb.2761:
	s_mov_b64 s[0:1], -1
	s_mov_b64 s[14:15], 0
	s_cmp_eq_u32 s13, 46
	s_cbranch_scc0 .LBB126_2763
; %bb.2762:
	v_cndmask_b32_e64 v3, 0, 1.0, s[4:5]
	v_bfe_u32 v4, v3, 16, 1
	s_movk_i32 s0, 0x7fff
	v_add3_u32 v3, v3, v4, s0
	v_lshrrev_b32_e32 v3, 16, v3
	global_store_dword v[0:1], v3, off
	s_mov_b64 s[0:1], 0
	s_mov_b64 s[10:11], -1
.LBB126_2763:
	s_and_b64 vcc, exec, s[14:15]
	s_cbranch_vccz .LBB126_2768
; %bb.2764:
	s_cmp_eq_u32 s13, 44
	s_mov_b64 s[0:1], -1
	s_cbranch_scc0 .LBB126_2768
; %bb.2765:
	v_cndmask_b32_e64 v4, 0, 1.0, s[4:5]
	v_lshrrev_b32_e32 v3, 23, v4
	s_movk_i32 s0, 0xff
	v_cmp_ne_u32_e32 vcc, s0, v3
	v_mov_b32_e32 v5, 0xff
	s_and_saveexec_b64 s[10:11], vcc
; %bb.2766:
	s_mov_b32 s0, 0x3fffff
	v_and_b32_e32 v5, 0x400000, v4
	v_and_or_b32 v4, v4, s0, v3
	v_cmp_ne_u32_e32 vcc, 0, v5
	v_cmp_ne_u32_e64 s[0:1], 0, v4
	s_and_b64 s[0:1], vcc, s[0:1]
	v_cndmask_b32_e64 v4, 0, 1, s[0:1]
	v_add_u32_e32 v5, v3, v4
; %bb.2767:
	s_or_b64 exec, exec, s[10:11]
	s_mov_b64 s[0:1], 0
	s_mov_b64 s[10:11], -1
	global_store_byte v[0:1], v5, off
.LBB126_2768:
	s_mov_b64 s[14:15], 0
.LBB126_2769:
	s_and_b64 vcc, exec, s[14:15]
	s_cbranch_vccz .LBB126_2772
; %bb.2770:
	s_cmp_eq_u32 s13, 29
	s_mov_b64 s[0:1], -1
	s_cbranch_scc0 .LBB126_2772
; %bb.2771:
	s_mov_b32 s0, 0
	v_cndmask_b32_e64 v3, 0, 1, s[4:5]
	v_mov_b32_e32 v4, s0
	global_store_dwordx2 v[0:1], v[3:4], off
	s_mov_b64 s[0:1], 0
	s_mov_b64 s[10:11], -1
.LBB126_2772:
	s_mov_b64 s[14:15], 0
.LBB126_2773:
	s_and_b64 vcc, exec, s[14:15]
	s_cbranch_vccz .LBB126_2789
; %bb.2774:
	s_cmp_lt_i32 s13, 27
	s_mov_b64 s[10:11], -1
	s_cbranch_scc1 .LBB126_2780
; %bb.2775:
	s_cmp_gt_i32 s13, 27
	s_cbranch_scc0 .LBB126_2777
; %bb.2776:
	v_cndmask_b32_e64 v3, 0, 1, s[4:5]
	s_mov_b64 s[10:11], 0
	global_store_dword v[0:1], v3, off
.LBB126_2777:
	s_andn2_b64 vcc, exec, s[10:11]
	s_cbranch_vccnz .LBB126_2779
; %bb.2778:
	v_cndmask_b32_e64 v3, 0, 1, s[4:5]
	global_store_short v[0:1], v3, off
.LBB126_2779:
	s_mov_b64 s[10:11], 0
.LBB126_2780:
	s_andn2_b64 vcc, exec, s[10:11]
	s_cbranch_vccnz .LBB126_2788
; %bb.2781:
	v_cndmask_b32_e64 v4, 0, 1.0, s[4:5]
	s_mov_b32 s10, 0x43800000
	v_cmp_gt_u32_e32 vcc, s10, v4
	v_mov_b32_e32 v5, 0x80
	s_and_saveexec_b64 s[10:11], vcc
	s_cbranch_execz .LBB126_2787
; %bb.2782:
	s_mov_b32 s14, 0x3bffffff
	v_cmp_lt_u32_e32 vcc, s14, v4
	s_mov_b64 s[14:15], 0
                                        ; implicit-def: $vgpr3
	s_and_saveexec_b64 s[26:27], vcc
	s_xor_b64 s[26:27], exec, s[26:27]
	s_cbranch_execz .LBB126_3194
; %bb.2783:
	v_bfe_u32 v3, v4, 20, 1
	s_mov_b32 s29, 0x487ffff
	v_add3_u32 v3, v4, v3, s29
	s_mov_b64 s[14:15], exec
	v_lshrrev_b32_e32 v3, 20, v3
                                        ; implicit-def: $vgpr4
	s_andn2_saveexec_b64 s[26:27], s[26:27]
	s_cbranch_execnz .LBB126_3195
.LBB126_2784:
	s_or_b64 exec, exec, s[26:27]
	v_mov_b32_e32 v5, 0
	s_and_saveexec_b64 s[26:27], s[14:15]
.LBB126_2785:
	v_mov_b32_e32 v5, v3
.LBB126_2786:
	s_or_b64 exec, exec, s[26:27]
.LBB126_2787:
	s_or_b64 exec, exec, s[10:11]
	global_store_byte v[0:1], v5, off
.LBB126_2788:
	s_mov_b64 s[10:11], -1
.LBB126_2789:
	s_mov_b64 s[14:15], 0
.LBB126_2790:
	s_and_b64 vcc, exec, s[14:15]
	s_cbranch_vccz .LBB126_2830
; %bb.2791:
	s_cmp_gt_i32 s13, 22
	s_mov_b64 s[2:3], -1
	s_cbranch_scc0 .LBB126_2823
; %bb.2792:
	s_cmp_lt_i32 s13, 24
	s_cbranch_scc1 .LBB126_2812
; %bb.2793:
	s_cmp_gt_i32 s13, 24
	s_cbranch_scc0 .LBB126_2801
; %bb.2794:
	v_cndmask_b32_e64 v4, 0, 1.0, s[4:5]
	s_mov_b32 s2, 0x47800000
	v_cmp_gt_u32_e32 vcc, s2, v4
	v_mov_b32_e32 v5, 0x80
	s_and_saveexec_b64 s[2:3], vcc
	s_cbranch_execz .LBB126_2800
; %bb.2795:
	s_mov_b32 s10, 0x37ffffff
	v_cmp_lt_u32_e32 vcc, s10, v4
	s_mov_b64 s[10:11], 0
                                        ; implicit-def: $vgpr3
	s_and_saveexec_b64 s[14:15], vcc
	s_xor_b64 s[14:15], exec, s[14:15]
	s_cbranch_execz .LBB126_3197
; %bb.2796:
	v_bfe_u32 v3, v4, 21, 1
	s_mov_b32 s26, 0x88fffff
	v_add3_u32 v3, v4, v3, s26
	s_mov_b64 s[10:11], exec
	v_lshrrev_b32_e32 v3, 21, v3
                                        ; implicit-def: $vgpr4
	s_andn2_saveexec_b64 s[14:15], s[14:15]
	s_cbranch_execnz .LBB126_3198
.LBB126_2797:
	s_or_b64 exec, exec, s[14:15]
	v_mov_b32_e32 v5, 0
	s_and_saveexec_b64 s[14:15], s[10:11]
.LBB126_2798:
	v_mov_b32_e32 v5, v3
.LBB126_2799:
	s_or_b64 exec, exec, s[14:15]
.LBB126_2800:
	s_or_b64 exec, exec, s[2:3]
	s_mov_b64 s[2:3], 0
	global_store_byte v[0:1], v5, off
.LBB126_2801:
	s_and_b64 vcc, exec, s[2:3]
	s_cbranch_vccz .LBB126_2811
; %bb.2802:
	v_cndmask_b32_e64 v3, 0, 1.0, s[4:5]
	s_mov_b32 s2, 0x43f00000
	v_cmp_gt_u32_e32 vcc, s2, v3
                                        ; implicit-def: $vgpr4
	s_and_saveexec_b64 s[2:3], vcc
	s_xor_b64 s[2:3], exec, s[2:3]
	s_cbranch_execz .LBB126_2808
; %bb.2803:
	s_mov_b32 s10, 0x3c7fffff
	v_cmp_lt_u32_e32 vcc, s10, v3
                                        ; implicit-def: $vgpr4
	s_and_saveexec_b64 s[10:11], vcc
	s_xor_b64 s[10:11], exec, s[10:11]
; %bb.2804:
	v_bfe_u32 v4, v3, 20, 1
	s_mov_b32 s14, 0x407ffff
	v_add3_u32 v3, v3, v4, s14
	v_lshrrev_b32_e32 v4, 20, v3
	v_and_b32_e32 v3, 0xff00000, v3
	s_mov_b32 s14, 0x7f00000
	v_mov_b32_e32 v5, 0x7e
	v_cmp_ne_u32_e32 vcc, s14, v3
	v_cndmask_b32_e32 v4, v5, v4, vcc
                                        ; implicit-def: $vgpr3
; %bb.2805:
	s_andn2_saveexec_b64 s[10:11], s[10:11]
; %bb.2806:
	v_add_f32_e32 v4, 0x46800000, v3
; %bb.2807:
	s_or_b64 exec, exec, s[10:11]
                                        ; implicit-def: $vgpr3
.LBB126_2808:
	s_andn2_saveexec_b64 s[2:3], s[2:3]
; %bb.2809:
	s_mov_b32 s10, 0x7f800000
	v_mov_b32_e32 v4, 0x7e
	v_mov_b32_e32 v5, 0x7f
	v_cmp_lt_u32_e32 vcc, s10, v3
	v_cndmask_b32_e32 v4, v4, v5, vcc
; %bb.2810:
	s_or_b64 exec, exec, s[2:3]
	global_store_byte v[0:1], v4, off
.LBB126_2811:
	s_mov_b64 s[2:3], 0
.LBB126_2812:
	s_andn2_b64 vcc, exec, s[2:3]
	s_cbranch_vccnz .LBB126_2822
; %bb.2813:
	v_cndmask_b32_e64 v3, 0, 1.0, s[4:5]
	s_mov_b32 s2, 0x47800000
	v_cmp_gt_u32_e32 vcc, s2, v3
                                        ; implicit-def: $vgpr4
	s_and_saveexec_b64 s[2:3], vcc
	s_xor_b64 s[2:3], exec, s[2:3]
	s_cbranch_execz .LBB126_2819
; %bb.2814:
	s_mov_b32 s10, 0x387fffff
	v_cmp_lt_u32_e32 vcc, s10, v3
                                        ; implicit-def: $vgpr4
	s_and_saveexec_b64 s[10:11], vcc
	s_xor_b64 s[10:11], exec, s[10:11]
; %bb.2815:
	v_bfe_u32 v4, v3, 21, 1
	s_mov_b32 s14, 0x80fffff
	v_add3_u32 v3, v3, v4, s14
	v_lshrrev_b32_e32 v4, 21, v3
                                        ; implicit-def: $vgpr3
; %bb.2816:
	s_andn2_saveexec_b64 s[10:11], s[10:11]
; %bb.2817:
	v_add_f32_e32 v4, 0x43000000, v3
; %bb.2818:
	s_or_b64 exec, exec, s[10:11]
                                        ; implicit-def: $vgpr3
.LBB126_2819:
	s_andn2_saveexec_b64 s[2:3], s[2:3]
; %bb.2820:
	s_mov_b32 s10, 0x7f800000
	v_mov_b32_e32 v4, 0x7c
	v_mov_b32_e32 v5, 0x7f
	v_cmp_lt_u32_e32 vcc, s10, v3
	v_cndmask_b32_e32 v4, v4, v5, vcc
; %bb.2821:
	s_or_b64 exec, exec, s[2:3]
	global_store_byte v[0:1], v4, off
.LBB126_2822:
	s_mov_b64 s[2:3], 0
	s_mov_b64 s[10:11], -1
.LBB126_2823:
	s_andn2_b64 vcc, exec, s[2:3]
	s_mov_b64 s[2:3], 0
	s_cbranch_vccnz .LBB126_2830
; %bb.2824:
	s_cmp_gt_i32 s13, 14
	s_mov_b64 s[14:15], -1
	s_cbranch_scc0 .LBB126_2828
; %bb.2825:
	s_cmp_eq_u32 s13, 15
	s_mov_b64 s[0:1], -1
	s_cbranch_scc0 .LBB126_2827
; %bb.2826:
	v_cndmask_b32_e64 v3, 0, 1.0, s[4:5]
	v_bfe_u32 v4, v3, 16, 1
	s_movk_i32 s0, 0x7fff
	v_add3_u32 v3, v3, v4, s0
	global_store_short_d16_hi v[0:1], v3, off
	s_mov_b64 s[0:1], 0
	s_mov_b64 s[10:11], -1
.LBB126_2827:
	s_mov_b64 s[14:15], 0
.LBB126_2828:
	s_and_b64 vcc, exec, s[14:15]
	s_cbranch_vccz .LBB126_2830
; %bb.2829:
	s_cmp_lg_u32 s13, 11
	s_mov_b64 s[2:3], -1
	s_cselect_b64 s[0:1], -1, 0
.LBB126_2830:
	s_and_b64 vcc, exec, s[0:1]
	s_cbranch_vccnz .LBB126_3196
; %bb.2831:
	s_andn2_b64 vcc, exec, s[2:3]
	s_cbranch_vccnz .LBB126_2833
.LBB126_2832:
	v_cndmask_b32_e64 v3, 0, 1, s[4:5]
	s_mov_b64 s[10:11], -1
	global_store_byte v[0:1], v3, off
.LBB126_2833:
	s_mov_b64 s[0:1], 0
	s_branch .LBB126_2837
.LBB126_2834:
	s_andn2_b64 vcc, exec, s[2:3]
	s_cbranch_vccnz .LBB126_2754
.LBB126_2835:
	s_waitcnt vmcnt(0)
	v_cmp_lt_f16_e32 vcc, v3, v4
	s_andn2_b64 s[2:3], s[24:25], exec
	s_and_b64 s[10:11], vcc, exec
	s_or_b64 s[24:25], s[2:3], s[10:11]
	s_cbranch_execz .LBB126_2755
	s_branch .LBB126_2756
.LBB126_2836:
	s_mov_b64 s[0:1], -1
	s_mov_b64 s[10:11], 0
.LBB126_2837:
	s_and_b64 vcc, exec, s[0:1]
	s_cbranch_vccz .LBB126_2876
; %bb.2838:
	s_and_b32 s2, 0xffff, s28
	s_cmp_lt_i32 s2, 5
	s_mov_b64 s[0:1], -1
	s_cbranch_scc1 .LBB126_2859
; %bb.2839:
	s_cmp_lt_i32 s2, 8
	s_cbranch_scc1 .LBB126_2849
; %bb.2840:
	s_cmp_lt_i32 s2, 9
	s_cbranch_scc1 .LBB126_2846
; %bb.2841:
	s_cmp_gt_i32 s2, 9
	s_cbranch_scc0 .LBB126_2843
; %bb.2842:
	v_cndmask_b32_e64 v3, 0, 1, s[4:5]
	v_cvt_f64_u32_e32 v[3:4], v3
	v_mov_b32_e32 v5, 0
	v_mov_b32_e32 v6, v5
	s_mov_b64 s[0:1], 0
	global_store_dwordx4 v[0:1], v[3:6], off
.LBB126_2843:
	s_andn2_b64 vcc, exec, s[0:1]
	s_cbranch_vccnz .LBB126_2845
; %bb.2844:
	v_cndmask_b32_e64 v3, 0, 1.0, s[4:5]
	v_mov_b32_e32 v4, 0
	global_store_dwordx2 v[0:1], v[3:4], off
.LBB126_2845:
	s_mov_b64 s[0:1], 0
.LBB126_2846:
	s_andn2_b64 vcc, exec, s[0:1]
	s_cbranch_vccnz .LBB126_2848
; %bb.2847:
	v_cndmask_b32_e64 v3, 0, 1.0, s[4:5]
	v_cvt_f16_f32_e32 v3, v3
	global_store_dword v[0:1], v3, off
.LBB126_2848:
	s_mov_b64 s[0:1], 0
.LBB126_2849:
	s_andn2_b64 vcc, exec, s[0:1]
	s_cbranch_vccnz .LBB126_2858
; %bb.2850:
	s_cmp_lt_i32 s2, 6
	s_mov_b64 s[0:1], -1
	s_cbranch_scc1 .LBB126_2856
; %bb.2851:
	s_cmp_gt_i32 s2, 6
	s_cbranch_scc0 .LBB126_2853
; %bb.2852:
	v_cndmask_b32_e64 v3, 0, 1, s[4:5]
	v_cvt_f64_u32_e32 v[3:4], v3
	s_mov_b64 s[0:1], 0
	global_store_dwordx2 v[0:1], v[3:4], off
.LBB126_2853:
	s_andn2_b64 vcc, exec, s[0:1]
	s_cbranch_vccnz .LBB126_2855
; %bb.2854:
	v_cndmask_b32_e64 v3, 0, 1.0, s[4:5]
	global_store_dword v[0:1], v3, off
.LBB126_2855:
	s_mov_b64 s[0:1], 0
.LBB126_2856:
	s_andn2_b64 vcc, exec, s[0:1]
	s_cbranch_vccnz .LBB126_2858
; %bb.2857:
	v_cndmask_b32_e64 v3, 0, 1.0, s[4:5]
	v_cvt_f16_f32_e32 v3, v3
	global_store_short v[0:1], v3, off
.LBB126_2858:
	s_mov_b64 s[0:1], 0
.LBB126_2859:
	s_andn2_b64 vcc, exec, s[0:1]
	s_cbranch_vccnz .LBB126_2875
; %bb.2860:
	s_cmp_lt_i32 s2, 2
	s_mov_b64 s[0:1], -1
	s_cbranch_scc1 .LBB126_2870
; %bb.2861:
	s_cmp_lt_i32 s2, 3
	s_cbranch_scc1 .LBB126_2867
; %bb.2862:
	s_cmp_gt_i32 s2, 3
	s_cbranch_scc0 .LBB126_2864
; %bb.2863:
	s_mov_b32 s0, 0
	v_cndmask_b32_e64 v3, 0, 1, s[4:5]
	v_mov_b32_e32 v4, s0
	global_store_dwordx2 v[0:1], v[3:4], off
	s_mov_b64 s[0:1], 0
.LBB126_2864:
	s_andn2_b64 vcc, exec, s[0:1]
	s_cbranch_vccnz .LBB126_2866
; %bb.2865:
	v_cndmask_b32_e64 v3, 0, 1, s[4:5]
	global_store_dword v[0:1], v3, off
.LBB126_2866:
	s_mov_b64 s[0:1], 0
.LBB126_2867:
	s_andn2_b64 vcc, exec, s[0:1]
	s_cbranch_vccnz .LBB126_2869
; %bb.2868:
	v_cndmask_b32_e64 v3, 0, 1, s[4:5]
	global_store_short v[0:1], v3, off
.LBB126_2869:
	s_mov_b64 s[0:1], 0
.LBB126_2870:
	s_andn2_b64 vcc, exec, s[0:1]
	s_cbranch_vccnz .LBB126_2875
; %bb.2871:
	s_mov_b64 s[0:1], -1
	s_cmp_gt_i32 s2, 0
	v_cndmask_b32_e64 v3, 0, 1, s[4:5]
	s_cbranch_scc0 .LBB126_2873
; %bb.2872:
	global_store_byte v[0:1], v3, off
	s_mov_b64 s[0:1], 0
.LBB126_2873:
	s_andn2_b64 vcc, exec, s[0:1]
	s_cbranch_vccnz .LBB126_2875
; %bb.2874:
	global_store_byte v[0:1], v3, off
.LBB126_2875:
	s_mov_b64 s[10:11], -1
.LBB126_2876:
	s_andn2_b64 vcc, exec, s[10:11]
	s_cbranch_vccnz .LBB126_3191
; %bb.2877:
	s_lshl_b32 s14, s12, 7
	v_add_u32_e32 v2, s14, v2
	v_ashrrev_i32_e32 v1, 31, v2
	v_mov_b32_e32 v3, s9
	v_add_co_u32_e32 v0, vcc, s8, v2
	s_cmp_lt_i32 s28, 11
	v_addc_co_u32_e32 v1, vcc, v3, v1, vcc
	s_cbranch_scc1 .LBB126_2955
; %bb.2878:
	s_and_b32 s15, 0xffff, s28
	s_mov_b64 s[10:11], -1
	s_mov_b64 s[2:3], 0
	s_cmp_gt_i32 s15, 25
	s_mov_b64 s[4:5], 0
	s_mov_b64 s[0:1], 0
	s_cbranch_scc0 .LBB126_2911
; %bb.2879:
	s_cmp_gt_i32 s15, 28
	s_cbranch_scc0 .LBB126_2894
; %bb.2880:
	s_cmp_gt_i32 s15, 43
	;; [unrolled: 3-line block ×3, first 2 shown]
	s_cbranch_scc0 .LBB126_2884
; %bb.2882:
	s_mov_b64 s[0:1], -1
	s_mov_b64 s[10:11], 0
	s_cmp_eq_u32 s15, 46
	s_cbranch_scc0 .LBB126_2884
; %bb.2883:
	v_cndmask_b32_e64 v3, 0, 1.0, s[20:21]
	v_bfe_u32 v4, v3, 16, 1
	s_movk_i32 s0, 0x7fff
	v_add3_u32 v3, v3, v4, s0
	v_lshrrev_b32_e32 v3, 16, v3
	global_store_dword v[0:1], v3, off
	s_mov_b64 s[0:1], 0
	s_mov_b64 s[4:5], -1
.LBB126_2884:
	s_and_b64 vcc, exec, s[10:11]
	s_cbranch_vccz .LBB126_2889
; %bb.2885:
	s_cmp_eq_u32 s15, 44
	s_mov_b64 s[0:1], -1
	s_cbranch_scc0 .LBB126_2889
; %bb.2886:
	v_cndmask_b32_e64 v4, 0, 1.0, s[20:21]
	v_lshrrev_b32_e32 v3, 23, v4
	s_movk_i32 s0, 0xff
	v_cmp_ne_u32_e32 vcc, s0, v3
	v_mov_b32_e32 v5, 0xff
	s_and_saveexec_b64 s[4:5], vcc
; %bb.2887:
	s_mov_b32 s0, 0x3fffff
	v_and_b32_e32 v5, 0x400000, v4
	v_and_or_b32 v4, v4, s0, v3
	v_cmp_ne_u32_e32 vcc, 0, v5
	v_cmp_ne_u32_e64 s[0:1], 0, v4
	s_and_b64 s[0:1], vcc, s[0:1]
	v_cndmask_b32_e64 v4, 0, 1, s[0:1]
	v_add_u32_e32 v5, v3, v4
; %bb.2888:
	s_or_b64 exec, exec, s[4:5]
	s_mov_b64 s[0:1], 0
	s_mov_b64 s[4:5], -1
	global_store_byte v[0:1], v5, off
.LBB126_2889:
	s_mov_b64 s[10:11], 0
.LBB126_2890:
	s_and_b64 vcc, exec, s[10:11]
	s_cbranch_vccz .LBB126_2893
; %bb.2891:
	s_cmp_eq_u32 s15, 29
	s_mov_b64 s[0:1], -1
	s_cbranch_scc0 .LBB126_2893
; %bb.2892:
	s_mov_b32 s0, 0
	v_cndmask_b32_e64 v3, 0, 1, s[20:21]
	v_mov_b32_e32 v4, s0
	global_store_dwordx2 v[0:1], v[3:4], off
	s_mov_b64 s[0:1], 0
	s_mov_b64 s[4:5], -1
.LBB126_2893:
	s_mov_b64 s[10:11], 0
.LBB126_2894:
	s_and_b64 vcc, exec, s[10:11]
	s_cbranch_vccz .LBB126_2910
; %bb.2895:
	s_cmp_lt_i32 s15, 27
	s_mov_b64 s[4:5], -1
	s_cbranch_scc1 .LBB126_2901
; %bb.2896:
	s_cmp_gt_i32 s15, 27
	s_cbranch_scc0 .LBB126_2898
; %bb.2897:
	v_cndmask_b32_e64 v3, 0, 1, s[20:21]
	s_mov_b64 s[4:5], 0
	global_store_dword v[0:1], v3, off
.LBB126_2898:
	s_andn2_b64 vcc, exec, s[4:5]
	s_cbranch_vccnz .LBB126_2900
; %bb.2899:
	v_cndmask_b32_e64 v3, 0, 1, s[20:21]
	global_store_short v[0:1], v3, off
.LBB126_2900:
	s_mov_b64 s[4:5], 0
.LBB126_2901:
	s_andn2_b64 vcc, exec, s[4:5]
	s_cbranch_vccnz .LBB126_2909
; %bb.2902:
	v_cndmask_b32_e64 v4, 0, 1.0, s[20:21]
	s_mov_b32 s4, 0x43800000
	v_cmp_gt_u32_e32 vcc, s4, v4
	v_mov_b32_e32 v5, 0x80
	s_and_saveexec_b64 s[4:5], vcc
	s_cbranch_execz .LBB126_2908
; %bb.2903:
	s_mov_b32 s10, 0x3bffffff
	v_cmp_lt_u32_e32 vcc, s10, v4
	s_mov_b64 s[10:11], 0
                                        ; implicit-def: $vgpr3
	s_and_saveexec_b64 s[12:13], vcc
	s_xor_b64 s[12:13], exec, s[12:13]
	s_cbranch_execz .LBB126_3199
; %bb.2904:
	v_bfe_u32 v3, v4, 20, 1
	s_mov_b32 s26, 0x487ffff
	v_add3_u32 v3, v4, v3, s26
	s_mov_b64 s[10:11], exec
	v_lshrrev_b32_e32 v3, 20, v3
                                        ; implicit-def: $vgpr4
	s_andn2_saveexec_b64 s[12:13], s[12:13]
	s_cbranch_execnz .LBB126_3200
.LBB126_2905:
	s_or_b64 exec, exec, s[12:13]
	v_mov_b32_e32 v5, 0
	s_and_saveexec_b64 s[12:13], s[10:11]
.LBB126_2906:
	v_mov_b32_e32 v5, v3
.LBB126_2907:
	s_or_b64 exec, exec, s[12:13]
.LBB126_2908:
	s_or_b64 exec, exec, s[4:5]
	global_store_byte v[0:1], v5, off
.LBB126_2909:
	s_mov_b64 s[4:5], -1
.LBB126_2910:
	s_mov_b64 s[10:11], 0
.LBB126_2911:
	s_and_b64 vcc, exec, s[10:11]
	s_cbranch_vccz .LBB126_2951
; %bb.2912:
	s_cmp_gt_i32 s15, 22
	s_mov_b64 s[2:3], -1
	s_cbranch_scc0 .LBB126_2944
; %bb.2913:
	s_cmp_lt_i32 s15, 24
	s_cbranch_scc1 .LBB126_2933
; %bb.2914:
	s_cmp_gt_i32 s15, 24
	s_cbranch_scc0 .LBB126_2922
; %bb.2915:
	v_cndmask_b32_e64 v4, 0, 1.0, s[20:21]
	s_mov_b32 s2, 0x47800000
	v_cmp_gt_u32_e32 vcc, s2, v4
	v_mov_b32_e32 v5, 0x80
	s_and_saveexec_b64 s[2:3], vcc
	s_cbranch_execz .LBB126_2921
; %bb.2916:
	s_mov_b32 s4, 0x37ffffff
	v_cmp_lt_u32_e32 vcc, s4, v4
	s_mov_b64 s[4:5], 0
                                        ; implicit-def: $vgpr3
	s_and_saveexec_b64 s[10:11], vcc
	s_xor_b64 s[10:11], exec, s[10:11]
	s_cbranch_execz .LBB126_3202
; %bb.2917:
	v_bfe_u32 v3, v4, 21, 1
	s_mov_b32 s12, 0x88fffff
	v_add3_u32 v3, v4, v3, s12
	s_mov_b64 s[4:5], exec
	v_lshrrev_b32_e32 v3, 21, v3
                                        ; implicit-def: $vgpr4
	s_andn2_saveexec_b64 s[10:11], s[10:11]
	s_cbranch_execnz .LBB126_3203
.LBB126_2918:
	s_or_b64 exec, exec, s[10:11]
	v_mov_b32_e32 v5, 0
	s_and_saveexec_b64 s[10:11], s[4:5]
.LBB126_2919:
	v_mov_b32_e32 v5, v3
.LBB126_2920:
	s_or_b64 exec, exec, s[10:11]
.LBB126_2921:
	s_or_b64 exec, exec, s[2:3]
	s_mov_b64 s[2:3], 0
	global_store_byte v[0:1], v5, off
.LBB126_2922:
	s_and_b64 vcc, exec, s[2:3]
	s_cbranch_vccz .LBB126_2932
; %bb.2923:
	v_cndmask_b32_e64 v3, 0, 1.0, s[20:21]
	s_mov_b32 s2, 0x43f00000
	v_cmp_gt_u32_e32 vcc, s2, v3
                                        ; implicit-def: $vgpr4
	s_and_saveexec_b64 s[2:3], vcc
	s_xor_b64 s[2:3], exec, s[2:3]
	s_cbranch_execz .LBB126_2929
; %bb.2924:
	s_mov_b32 s4, 0x3c7fffff
	v_cmp_lt_u32_e32 vcc, s4, v3
                                        ; implicit-def: $vgpr4
	s_and_saveexec_b64 s[4:5], vcc
	s_xor_b64 s[4:5], exec, s[4:5]
; %bb.2925:
	v_bfe_u32 v4, v3, 20, 1
	s_mov_b32 s10, 0x407ffff
	v_add3_u32 v3, v3, v4, s10
	v_lshrrev_b32_e32 v4, 20, v3
	v_and_b32_e32 v3, 0xff00000, v3
	s_mov_b32 s10, 0x7f00000
	v_mov_b32_e32 v5, 0x7e
	v_cmp_ne_u32_e32 vcc, s10, v3
	v_cndmask_b32_e32 v4, v5, v4, vcc
                                        ; implicit-def: $vgpr3
; %bb.2926:
	s_andn2_saveexec_b64 s[4:5], s[4:5]
; %bb.2927:
	v_add_f32_e32 v4, 0x46800000, v3
; %bb.2928:
	s_or_b64 exec, exec, s[4:5]
                                        ; implicit-def: $vgpr3
.LBB126_2929:
	s_andn2_saveexec_b64 s[2:3], s[2:3]
; %bb.2930:
	s_mov_b32 s4, 0x7f800000
	v_mov_b32_e32 v4, 0x7e
	v_mov_b32_e32 v5, 0x7f
	v_cmp_lt_u32_e32 vcc, s4, v3
	v_cndmask_b32_e32 v4, v4, v5, vcc
; %bb.2931:
	s_or_b64 exec, exec, s[2:3]
	global_store_byte v[0:1], v4, off
.LBB126_2932:
	s_mov_b64 s[2:3], 0
.LBB126_2933:
	s_andn2_b64 vcc, exec, s[2:3]
	s_cbranch_vccnz .LBB126_2943
; %bb.2934:
	v_cndmask_b32_e64 v3, 0, 1.0, s[20:21]
	s_mov_b32 s2, 0x47800000
	v_cmp_gt_u32_e32 vcc, s2, v3
                                        ; implicit-def: $vgpr4
	s_and_saveexec_b64 s[2:3], vcc
	s_xor_b64 s[2:3], exec, s[2:3]
	s_cbranch_execz .LBB126_2940
; %bb.2935:
	s_mov_b32 s4, 0x387fffff
	v_cmp_lt_u32_e32 vcc, s4, v3
                                        ; implicit-def: $vgpr4
	s_and_saveexec_b64 s[4:5], vcc
	s_xor_b64 s[4:5], exec, s[4:5]
; %bb.2936:
	v_bfe_u32 v4, v3, 21, 1
	s_mov_b32 s10, 0x80fffff
	v_add3_u32 v3, v3, v4, s10
	v_lshrrev_b32_e32 v4, 21, v3
                                        ; implicit-def: $vgpr3
; %bb.2937:
	s_andn2_saveexec_b64 s[4:5], s[4:5]
; %bb.2938:
	v_add_f32_e32 v4, 0x43000000, v3
; %bb.2939:
	s_or_b64 exec, exec, s[4:5]
                                        ; implicit-def: $vgpr3
.LBB126_2940:
	s_andn2_saveexec_b64 s[2:3], s[2:3]
; %bb.2941:
	s_mov_b32 s4, 0x7f800000
	v_mov_b32_e32 v4, 0x7c
	v_mov_b32_e32 v5, 0x7f
	v_cmp_lt_u32_e32 vcc, s4, v3
	v_cndmask_b32_e32 v4, v4, v5, vcc
; %bb.2942:
	s_or_b64 exec, exec, s[2:3]
	global_store_byte v[0:1], v4, off
.LBB126_2943:
	s_mov_b64 s[2:3], 0
	s_mov_b64 s[4:5], -1
.LBB126_2944:
	s_andn2_b64 vcc, exec, s[2:3]
	s_mov_b64 s[2:3], 0
	s_cbranch_vccnz .LBB126_2951
; %bb.2945:
	s_cmp_gt_i32 s15, 14
	s_mov_b64 s[10:11], -1
	s_cbranch_scc0 .LBB126_2949
; %bb.2946:
	s_cmp_eq_u32 s15, 15
	s_mov_b64 s[0:1], -1
	s_cbranch_scc0 .LBB126_2948
; %bb.2947:
	v_cndmask_b32_e64 v3, 0, 1.0, s[20:21]
	v_bfe_u32 v4, v3, 16, 1
	s_movk_i32 s0, 0x7fff
	v_add3_u32 v3, v3, v4, s0
	global_store_short_d16_hi v[0:1], v3, off
	s_mov_b64 s[0:1], 0
	s_mov_b64 s[4:5], -1
.LBB126_2948:
	s_mov_b64 s[10:11], 0
.LBB126_2949:
	s_and_b64 vcc, exec, s[10:11]
	s_cbranch_vccz .LBB126_2951
; %bb.2950:
	s_cmp_lg_u32 s15, 11
	s_mov_b64 s[2:3], -1
	s_cselect_b64 s[0:1], -1, 0
.LBB126_2951:
	s_and_b64 vcc, exec, s[0:1]
	s_cbranch_vccnz .LBB126_3201
; %bb.2952:
	s_andn2_b64 vcc, exec, s[2:3]
	s_cbranch_vccnz .LBB126_2954
.LBB126_2953:
	v_cndmask_b32_e64 v3, 0, 1, s[20:21]
	s_mov_b64 s[4:5], -1
	global_store_byte v[0:1], v3, off
.LBB126_2954:
	s_mov_b64 s[0:1], 0
	s_branch .LBB126_2956
.LBB126_2955:
	s_mov_b64 s[0:1], -1
	s_mov_b64 s[4:5], 0
.LBB126_2956:
	s_and_b64 vcc, exec, s[0:1]
	s_cbranch_vccz .LBB126_2995
; %bb.2957:
	s_and_b32 s2, 0xffff, s28
	s_cmp_lt_i32 s2, 5
	s_mov_b64 s[0:1], -1
	s_cbranch_scc1 .LBB126_2978
; %bb.2958:
	s_cmp_lt_i32 s2, 8
	s_cbranch_scc1 .LBB126_2968
; %bb.2959:
	s_cmp_lt_i32 s2, 9
	s_cbranch_scc1 .LBB126_2965
; %bb.2960:
	s_cmp_gt_i32 s2, 9
	s_cbranch_scc0 .LBB126_2962
; %bb.2961:
	v_cndmask_b32_e64 v3, 0, 1, s[20:21]
	v_cvt_f64_u32_e32 v[3:4], v3
	v_mov_b32_e32 v5, 0
	v_mov_b32_e32 v6, v5
	s_mov_b64 s[0:1], 0
	global_store_dwordx4 v[0:1], v[3:6], off
.LBB126_2962:
	s_andn2_b64 vcc, exec, s[0:1]
	s_cbranch_vccnz .LBB126_2964
; %bb.2963:
	v_cndmask_b32_e64 v3, 0, 1.0, s[20:21]
	v_mov_b32_e32 v4, 0
	global_store_dwordx2 v[0:1], v[3:4], off
.LBB126_2964:
	s_mov_b64 s[0:1], 0
.LBB126_2965:
	s_andn2_b64 vcc, exec, s[0:1]
	s_cbranch_vccnz .LBB126_2967
; %bb.2966:
	v_cndmask_b32_e64 v3, 0, 1.0, s[20:21]
	v_cvt_f16_f32_e32 v3, v3
	global_store_dword v[0:1], v3, off
.LBB126_2967:
	s_mov_b64 s[0:1], 0
.LBB126_2968:
	s_andn2_b64 vcc, exec, s[0:1]
	s_cbranch_vccnz .LBB126_2977
; %bb.2969:
	s_cmp_lt_i32 s2, 6
	s_mov_b64 s[0:1], -1
	s_cbranch_scc1 .LBB126_2975
; %bb.2970:
	s_cmp_gt_i32 s2, 6
	s_cbranch_scc0 .LBB126_2972
; %bb.2971:
	v_cndmask_b32_e64 v3, 0, 1, s[20:21]
	v_cvt_f64_u32_e32 v[3:4], v3
	s_mov_b64 s[0:1], 0
	global_store_dwordx2 v[0:1], v[3:4], off
.LBB126_2972:
	s_andn2_b64 vcc, exec, s[0:1]
	s_cbranch_vccnz .LBB126_2974
; %bb.2973:
	v_cndmask_b32_e64 v3, 0, 1.0, s[20:21]
	global_store_dword v[0:1], v3, off
.LBB126_2974:
	s_mov_b64 s[0:1], 0
.LBB126_2975:
	s_andn2_b64 vcc, exec, s[0:1]
	s_cbranch_vccnz .LBB126_2977
; %bb.2976:
	v_cndmask_b32_e64 v3, 0, 1.0, s[20:21]
	v_cvt_f16_f32_e32 v3, v3
	global_store_short v[0:1], v3, off
.LBB126_2977:
	s_mov_b64 s[0:1], 0
.LBB126_2978:
	s_andn2_b64 vcc, exec, s[0:1]
	s_cbranch_vccnz .LBB126_2994
; %bb.2979:
	s_cmp_lt_i32 s2, 2
	s_mov_b64 s[0:1], -1
	s_cbranch_scc1 .LBB126_2989
; %bb.2980:
	s_cmp_lt_i32 s2, 3
	s_cbranch_scc1 .LBB126_2986
; %bb.2981:
	s_cmp_gt_i32 s2, 3
	s_cbranch_scc0 .LBB126_2983
; %bb.2982:
	s_mov_b32 s0, 0
	v_cndmask_b32_e64 v3, 0, 1, s[20:21]
	v_mov_b32_e32 v4, s0
	global_store_dwordx2 v[0:1], v[3:4], off
	s_mov_b64 s[0:1], 0
.LBB126_2983:
	s_andn2_b64 vcc, exec, s[0:1]
	s_cbranch_vccnz .LBB126_2985
; %bb.2984:
	v_cndmask_b32_e64 v3, 0, 1, s[20:21]
	global_store_dword v[0:1], v3, off
.LBB126_2985:
	s_mov_b64 s[0:1], 0
.LBB126_2986:
	s_andn2_b64 vcc, exec, s[0:1]
	s_cbranch_vccnz .LBB126_2988
; %bb.2987:
	v_cndmask_b32_e64 v3, 0, 1, s[20:21]
	global_store_short v[0:1], v3, off
.LBB126_2988:
	s_mov_b64 s[0:1], 0
.LBB126_2989:
	s_andn2_b64 vcc, exec, s[0:1]
	s_cbranch_vccnz .LBB126_2994
; %bb.2990:
	s_mov_b64 s[0:1], -1
	s_cmp_gt_i32 s2, 0
	v_cndmask_b32_e64 v3, 0, 1, s[20:21]
	s_cbranch_scc0 .LBB126_2992
; %bb.2991:
	global_store_byte v[0:1], v3, off
	s_mov_b64 s[0:1], 0
.LBB126_2992:
	s_andn2_b64 vcc, exec, s[0:1]
	s_cbranch_vccnz .LBB126_2994
; %bb.2993:
	global_store_byte v[0:1], v3, off
.LBB126_2994:
	s_mov_b64 s[4:5], -1
.LBB126_2995:
	s_andn2_b64 vcc, exec, s[4:5]
	s_cbranch_vccnz .LBB126_3191
; %bb.2996:
	v_add_u32_e32 v2, s14, v2
	v_ashrrev_i32_e32 v1, 31, v2
	v_mov_b32_e32 v3, s9
	v_add_co_u32_e32 v0, vcc, s8, v2
	s_cmp_lt_i32 s28, 11
	v_addc_co_u32_e32 v1, vcc, v3, v1, vcc
	s_cbranch_scc1 .LBB126_3074
; %bb.2997:
	s_and_b32 s15, 0xffff, s28
	s_mov_b64 s[10:11], -1
	s_mov_b64 s[2:3], 0
	s_cmp_gt_i32 s15, 25
	s_mov_b64 s[4:5], 0
	s_mov_b64 s[0:1], 0
	s_cbranch_scc0 .LBB126_3030
; %bb.2998:
	s_cmp_gt_i32 s15, 28
	s_cbranch_scc0 .LBB126_3013
; %bb.2999:
	s_cmp_gt_i32 s15, 43
	;; [unrolled: 3-line block ×3, first 2 shown]
	s_cbranch_scc0 .LBB126_3003
; %bb.3001:
	s_mov_b64 s[0:1], -1
	s_mov_b64 s[10:11], 0
	s_cmp_eq_u32 s15, 46
	s_cbranch_scc0 .LBB126_3003
; %bb.3002:
	v_cndmask_b32_e64 v3, 0, 1.0, s[22:23]
	v_bfe_u32 v4, v3, 16, 1
	s_movk_i32 s0, 0x7fff
	v_add3_u32 v3, v3, v4, s0
	v_lshrrev_b32_e32 v3, 16, v3
	global_store_dword v[0:1], v3, off
	s_mov_b64 s[0:1], 0
	s_mov_b64 s[4:5], -1
.LBB126_3003:
	s_and_b64 vcc, exec, s[10:11]
	s_cbranch_vccz .LBB126_3008
; %bb.3004:
	s_cmp_eq_u32 s15, 44
	s_mov_b64 s[0:1], -1
	s_cbranch_scc0 .LBB126_3008
; %bb.3005:
	v_cndmask_b32_e64 v4, 0, 1.0, s[22:23]
	v_lshrrev_b32_e32 v3, 23, v4
	s_movk_i32 s0, 0xff
	v_cmp_ne_u32_e32 vcc, s0, v3
	v_mov_b32_e32 v5, 0xff
	s_and_saveexec_b64 s[4:5], vcc
; %bb.3006:
	s_mov_b32 s0, 0x3fffff
	v_and_b32_e32 v5, 0x400000, v4
	v_and_or_b32 v4, v4, s0, v3
	v_cmp_ne_u32_e32 vcc, 0, v5
	v_cmp_ne_u32_e64 s[0:1], 0, v4
	s_and_b64 s[0:1], vcc, s[0:1]
	v_cndmask_b32_e64 v4, 0, 1, s[0:1]
	v_add_u32_e32 v5, v3, v4
; %bb.3007:
	s_or_b64 exec, exec, s[4:5]
	s_mov_b64 s[0:1], 0
	s_mov_b64 s[4:5], -1
	global_store_byte v[0:1], v5, off
.LBB126_3008:
	s_mov_b64 s[10:11], 0
.LBB126_3009:
	s_and_b64 vcc, exec, s[10:11]
	s_cbranch_vccz .LBB126_3012
; %bb.3010:
	s_cmp_eq_u32 s15, 29
	s_mov_b64 s[0:1], -1
	s_cbranch_scc0 .LBB126_3012
; %bb.3011:
	s_mov_b32 s0, 0
	v_cndmask_b32_e64 v3, 0, 1, s[22:23]
	v_mov_b32_e32 v4, s0
	global_store_dwordx2 v[0:1], v[3:4], off
	s_mov_b64 s[0:1], 0
	s_mov_b64 s[4:5], -1
.LBB126_3012:
	s_mov_b64 s[10:11], 0
.LBB126_3013:
	s_and_b64 vcc, exec, s[10:11]
	s_cbranch_vccz .LBB126_3029
; %bb.3014:
	s_cmp_lt_i32 s15, 27
	s_mov_b64 s[4:5], -1
	s_cbranch_scc1 .LBB126_3020
; %bb.3015:
	s_cmp_gt_i32 s15, 27
	s_cbranch_scc0 .LBB126_3017
; %bb.3016:
	v_cndmask_b32_e64 v3, 0, 1, s[22:23]
	s_mov_b64 s[4:5], 0
	global_store_dword v[0:1], v3, off
.LBB126_3017:
	s_andn2_b64 vcc, exec, s[4:5]
	s_cbranch_vccnz .LBB126_3019
; %bb.3018:
	v_cndmask_b32_e64 v3, 0, 1, s[22:23]
	global_store_short v[0:1], v3, off
.LBB126_3019:
	s_mov_b64 s[4:5], 0
.LBB126_3020:
	s_andn2_b64 vcc, exec, s[4:5]
	s_cbranch_vccnz .LBB126_3028
; %bb.3021:
	v_cndmask_b32_e64 v4, 0, 1.0, s[22:23]
	s_mov_b32 s4, 0x43800000
	v_cmp_gt_u32_e32 vcc, s4, v4
	v_mov_b32_e32 v5, 0x80
	s_and_saveexec_b64 s[4:5], vcc
	s_cbranch_execz .LBB126_3027
; %bb.3022:
	s_mov_b32 s10, 0x3bffffff
	v_cmp_lt_u32_e32 vcc, s10, v4
	s_mov_b64 s[10:11], 0
                                        ; implicit-def: $vgpr3
	s_and_saveexec_b64 s[12:13], vcc
	s_xor_b64 s[12:13], exec, s[12:13]
	s_cbranch_execz .LBB126_3204
; %bb.3023:
	v_bfe_u32 v3, v4, 20, 1
	s_mov_b32 s20, 0x487ffff
	v_add3_u32 v3, v4, v3, s20
	s_mov_b64 s[10:11], exec
	v_lshrrev_b32_e32 v3, 20, v3
                                        ; implicit-def: $vgpr4
	s_andn2_saveexec_b64 s[12:13], s[12:13]
	s_cbranch_execnz .LBB126_3205
.LBB126_3024:
	s_or_b64 exec, exec, s[12:13]
	v_mov_b32_e32 v5, 0
	s_and_saveexec_b64 s[12:13], s[10:11]
.LBB126_3025:
	v_mov_b32_e32 v5, v3
.LBB126_3026:
	s_or_b64 exec, exec, s[12:13]
.LBB126_3027:
	s_or_b64 exec, exec, s[4:5]
	global_store_byte v[0:1], v5, off
.LBB126_3028:
	s_mov_b64 s[4:5], -1
.LBB126_3029:
	s_mov_b64 s[10:11], 0
.LBB126_3030:
	s_and_b64 vcc, exec, s[10:11]
	s_cbranch_vccz .LBB126_3070
; %bb.3031:
	s_cmp_gt_i32 s15, 22
	s_mov_b64 s[2:3], -1
	s_cbranch_scc0 .LBB126_3063
; %bb.3032:
	s_cmp_lt_i32 s15, 24
	s_cbranch_scc1 .LBB126_3052
; %bb.3033:
	s_cmp_gt_i32 s15, 24
	s_cbranch_scc0 .LBB126_3041
; %bb.3034:
	v_cndmask_b32_e64 v4, 0, 1.0, s[22:23]
	s_mov_b32 s2, 0x47800000
	v_cmp_gt_u32_e32 vcc, s2, v4
	v_mov_b32_e32 v5, 0x80
	s_and_saveexec_b64 s[2:3], vcc
	s_cbranch_execz .LBB126_3040
; %bb.3035:
	s_mov_b32 s4, 0x37ffffff
	v_cmp_lt_u32_e32 vcc, s4, v4
	s_mov_b64 s[4:5], 0
                                        ; implicit-def: $vgpr3
	s_and_saveexec_b64 s[10:11], vcc
	s_xor_b64 s[10:11], exec, s[10:11]
	s_cbranch_execz .LBB126_3207
; %bb.3036:
	v_bfe_u32 v3, v4, 21, 1
	s_mov_b32 s12, 0x88fffff
	v_add3_u32 v3, v4, v3, s12
	s_mov_b64 s[4:5], exec
	v_lshrrev_b32_e32 v3, 21, v3
                                        ; implicit-def: $vgpr4
	s_andn2_saveexec_b64 s[10:11], s[10:11]
	s_cbranch_execnz .LBB126_3208
.LBB126_3037:
	s_or_b64 exec, exec, s[10:11]
	v_mov_b32_e32 v5, 0
	s_and_saveexec_b64 s[10:11], s[4:5]
.LBB126_3038:
	v_mov_b32_e32 v5, v3
.LBB126_3039:
	s_or_b64 exec, exec, s[10:11]
.LBB126_3040:
	s_or_b64 exec, exec, s[2:3]
	s_mov_b64 s[2:3], 0
	global_store_byte v[0:1], v5, off
.LBB126_3041:
	s_and_b64 vcc, exec, s[2:3]
	s_cbranch_vccz .LBB126_3051
; %bb.3042:
	v_cndmask_b32_e64 v3, 0, 1.0, s[22:23]
	s_mov_b32 s2, 0x43f00000
	v_cmp_gt_u32_e32 vcc, s2, v3
                                        ; implicit-def: $vgpr4
	s_and_saveexec_b64 s[2:3], vcc
	s_xor_b64 s[2:3], exec, s[2:3]
	s_cbranch_execz .LBB126_3048
; %bb.3043:
	s_mov_b32 s4, 0x3c7fffff
	v_cmp_lt_u32_e32 vcc, s4, v3
                                        ; implicit-def: $vgpr4
	s_and_saveexec_b64 s[4:5], vcc
	s_xor_b64 s[4:5], exec, s[4:5]
; %bb.3044:
	v_bfe_u32 v4, v3, 20, 1
	s_mov_b32 s10, 0x407ffff
	v_add3_u32 v3, v3, v4, s10
	v_lshrrev_b32_e32 v4, 20, v3
	v_and_b32_e32 v3, 0xff00000, v3
	s_mov_b32 s10, 0x7f00000
	v_mov_b32_e32 v5, 0x7e
	v_cmp_ne_u32_e32 vcc, s10, v3
	v_cndmask_b32_e32 v4, v5, v4, vcc
                                        ; implicit-def: $vgpr3
; %bb.3045:
	s_andn2_saveexec_b64 s[4:5], s[4:5]
; %bb.3046:
	v_add_f32_e32 v4, 0x46800000, v3
; %bb.3047:
	s_or_b64 exec, exec, s[4:5]
                                        ; implicit-def: $vgpr3
.LBB126_3048:
	s_andn2_saveexec_b64 s[2:3], s[2:3]
; %bb.3049:
	s_mov_b32 s4, 0x7f800000
	v_mov_b32_e32 v4, 0x7e
	v_mov_b32_e32 v5, 0x7f
	v_cmp_lt_u32_e32 vcc, s4, v3
	v_cndmask_b32_e32 v4, v4, v5, vcc
; %bb.3050:
	s_or_b64 exec, exec, s[2:3]
	global_store_byte v[0:1], v4, off
.LBB126_3051:
	s_mov_b64 s[2:3], 0
.LBB126_3052:
	s_andn2_b64 vcc, exec, s[2:3]
	s_cbranch_vccnz .LBB126_3062
; %bb.3053:
	v_cndmask_b32_e64 v3, 0, 1.0, s[22:23]
	s_mov_b32 s2, 0x47800000
	v_cmp_gt_u32_e32 vcc, s2, v3
                                        ; implicit-def: $vgpr4
	s_and_saveexec_b64 s[2:3], vcc
	s_xor_b64 s[2:3], exec, s[2:3]
	s_cbranch_execz .LBB126_3059
; %bb.3054:
	s_mov_b32 s4, 0x387fffff
	v_cmp_lt_u32_e32 vcc, s4, v3
                                        ; implicit-def: $vgpr4
	s_and_saveexec_b64 s[4:5], vcc
	s_xor_b64 s[4:5], exec, s[4:5]
; %bb.3055:
	v_bfe_u32 v4, v3, 21, 1
	s_mov_b32 s10, 0x80fffff
	v_add3_u32 v3, v3, v4, s10
	v_lshrrev_b32_e32 v4, 21, v3
                                        ; implicit-def: $vgpr3
; %bb.3056:
	s_andn2_saveexec_b64 s[4:5], s[4:5]
; %bb.3057:
	v_add_f32_e32 v4, 0x43000000, v3
; %bb.3058:
	s_or_b64 exec, exec, s[4:5]
                                        ; implicit-def: $vgpr3
.LBB126_3059:
	s_andn2_saveexec_b64 s[2:3], s[2:3]
; %bb.3060:
	s_mov_b32 s4, 0x7f800000
	v_mov_b32_e32 v4, 0x7c
	v_mov_b32_e32 v5, 0x7f
	v_cmp_lt_u32_e32 vcc, s4, v3
	v_cndmask_b32_e32 v4, v4, v5, vcc
; %bb.3061:
	s_or_b64 exec, exec, s[2:3]
	global_store_byte v[0:1], v4, off
.LBB126_3062:
	s_mov_b64 s[2:3], 0
	s_mov_b64 s[4:5], -1
.LBB126_3063:
	s_andn2_b64 vcc, exec, s[2:3]
	s_mov_b64 s[2:3], 0
	s_cbranch_vccnz .LBB126_3070
; %bb.3064:
	s_cmp_gt_i32 s15, 14
	s_mov_b64 s[10:11], -1
	s_cbranch_scc0 .LBB126_3068
; %bb.3065:
	s_cmp_eq_u32 s15, 15
	s_mov_b64 s[0:1], -1
	s_cbranch_scc0 .LBB126_3067
; %bb.3066:
	v_cndmask_b32_e64 v3, 0, 1.0, s[22:23]
	v_bfe_u32 v4, v3, 16, 1
	s_movk_i32 s0, 0x7fff
	v_add3_u32 v3, v3, v4, s0
	global_store_short_d16_hi v[0:1], v3, off
	s_mov_b64 s[0:1], 0
	s_mov_b64 s[4:5], -1
.LBB126_3067:
	s_mov_b64 s[10:11], 0
.LBB126_3068:
	s_and_b64 vcc, exec, s[10:11]
	s_cbranch_vccz .LBB126_3070
; %bb.3069:
	s_cmp_lg_u32 s15, 11
	s_mov_b64 s[2:3], -1
	s_cselect_b64 s[0:1], -1, 0
.LBB126_3070:
	s_and_b64 vcc, exec, s[0:1]
	s_cbranch_vccnz .LBB126_3206
; %bb.3071:
	s_andn2_b64 vcc, exec, s[2:3]
	s_cbranch_vccnz .LBB126_3073
.LBB126_3072:
	v_cndmask_b32_e64 v3, 0, 1, s[22:23]
	s_mov_b64 s[4:5], -1
	global_store_byte v[0:1], v3, off
.LBB126_3073:
	s_mov_b64 s[0:1], 0
	s_branch .LBB126_3075
.LBB126_3074:
	s_mov_b64 s[0:1], -1
	s_mov_b64 s[4:5], 0
.LBB126_3075:
	s_and_b64 vcc, exec, s[0:1]
	s_cbranch_vccz .LBB126_3114
; %bb.3076:
	s_and_b32 s2, 0xffff, s28
	s_cmp_lt_i32 s2, 5
	s_mov_b64 s[0:1], -1
	s_cbranch_scc1 .LBB126_3097
; %bb.3077:
	s_cmp_lt_i32 s2, 8
	s_cbranch_scc1 .LBB126_3087
; %bb.3078:
	s_cmp_lt_i32 s2, 9
	s_cbranch_scc1 .LBB126_3084
; %bb.3079:
	s_cmp_gt_i32 s2, 9
	s_cbranch_scc0 .LBB126_3081
; %bb.3080:
	v_cndmask_b32_e64 v3, 0, 1, s[22:23]
	v_cvt_f64_u32_e32 v[3:4], v3
	v_mov_b32_e32 v5, 0
	v_mov_b32_e32 v6, v5
	s_mov_b64 s[0:1], 0
	global_store_dwordx4 v[0:1], v[3:6], off
.LBB126_3081:
	s_andn2_b64 vcc, exec, s[0:1]
	s_cbranch_vccnz .LBB126_3083
; %bb.3082:
	v_cndmask_b32_e64 v3, 0, 1.0, s[22:23]
	v_mov_b32_e32 v4, 0
	global_store_dwordx2 v[0:1], v[3:4], off
.LBB126_3083:
	s_mov_b64 s[0:1], 0
.LBB126_3084:
	s_andn2_b64 vcc, exec, s[0:1]
	s_cbranch_vccnz .LBB126_3086
; %bb.3085:
	v_cndmask_b32_e64 v3, 0, 1.0, s[22:23]
	v_cvt_f16_f32_e32 v3, v3
	global_store_dword v[0:1], v3, off
.LBB126_3086:
	s_mov_b64 s[0:1], 0
.LBB126_3087:
	s_andn2_b64 vcc, exec, s[0:1]
	s_cbranch_vccnz .LBB126_3096
; %bb.3088:
	s_cmp_lt_i32 s2, 6
	s_mov_b64 s[0:1], -1
	s_cbranch_scc1 .LBB126_3094
; %bb.3089:
	s_cmp_gt_i32 s2, 6
	s_cbranch_scc0 .LBB126_3091
; %bb.3090:
	v_cndmask_b32_e64 v3, 0, 1, s[22:23]
	v_cvt_f64_u32_e32 v[3:4], v3
	s_mov_b64 s[0:1], 0
	global_store_dwordx2 v[0:1], v[3:4], off
.LBB126_3091:
	s_andn2_b64 vcc, exec, s[0:1]
	s_cbranch_vccnz .LBB126_3093
; %bb.3092:
	v_cndmask_b32_e64 v3, 0, 1.0, s[22:23]
	global_store_dword v[0:1], v3, off
.LBB126_3093:
	s_mov_b64 s[0:1], 0
.LBB126_3094:
	s_andn2_b64 vcc, exec, s[0:1]
	s_cbranch_vccnz .LBB126_3096
; %bb.3095:
	v_cndmask_b32_e64 v3, 0, 1.0, s[22:23]
	v_cvt_f16_f32_e32 v3, v3
	global_store_short v[0:1], v3, off
.LBB126_3096:
	s_mov_b64 s[0:1], 0
.LBB126_3097:
	s_andn2_b64 vcc, exec, s[0:1]
	s_cbranch_vccnz .LBB126_3113
; %bb.3098:
	s_cmp_lt_i32 s2, 2
	s_mov_b64 s[0:1], -1
	s_cbranch_scc1 .LBB126_3108
; %bb.3099:
	s_cmp_lt_i32 s2, 3
	s_cbranch_scc1 .LBB126_3105
; %bb.3100:
	s_cmp_gt_i32 s2, 3
	s_cbranch_scc0 .LBB126_3102
; %bb.3101:
	s_mov_b32 s0, 0
	v_cndmask_b32_e64 v3, 0, 1, s[22:23]
	v_mov_b32_e32 v4, s0
	global_store_dwordx2 v[0:1], v[3:4], off
	s_mov_b64 s[0:1], 0
.LBB126_3102:
	s_andn2_b64 vcc, exec, s[0:1]
	s_cbranch_vccnz .LBB126_3104
; %bb.3103:
	v_cndmask_b32_e64 v3, 0, 1, s[22:23]
	global_store_dword v[0:1], v3, off
.LBB126_3104:
	s_mov_b64 s[0:1], 0
.LBB126_3105:
	s_andn2_b64 vcc, exec, s[0:1]
	s_cbranch_vccnz .LBB126_3107
; %bb.3106:
	v_cndmask_b32_e64 v3, 0, 1, s[22:23]
	global_store_short v[0:1], v3, off
.LBB126_3107:
	s_mov_b64 s[0:1], 0
.LBB126_3108:
	s_andn2_b64 vcc, exec, s[0:1]
	s_cbranch_vccnz .LBB126_3113
; %bb.3109:
	s_mov_b64 s[0:1], -1
	s_cmp_gt_i32 s2, 0
	v_cndmask_b32_e64 v3, 0, 1, s[22:23]
	s_cbranch_scc0 .LBB126_3111
; %bb.3110:
	global_store_byte v[0:1], v3, off
	s_mov_b64 s[0:1], 0
.LBB126_3111:
	s_andn2_b64 vcc, exec, s[0:1]
	s_cbranch_vccnz .LBB126_3113
; %bb.3112:
	global_store_byte v[0:1], v3, off
.LBB126_3113:
	s_mov_b64 s[4:5], -1
.LBB126_3114:
	s_andn2_b64 vcc, exec, s[4:5]
	s_cbranch_vccnz .LBB126_3191
; %bb.3115:
	v_add_u32_e32 v0, s14, v2
	v_ashrrev_i32_e32 v1, 31, v0
	v_mov_b32_e32 v2, s9
	v_add_co_u32_e32 v0, vcc, s8, v0
	s_cmp_lt_i32 s28, 11
	v_addc_co_u32_e32 v1, vcc, v2, v1, vcc
	s_cbranch_scc1 .LBB126_3192
; %bb.3116:
	s_and_b32 s12, 0xffff, s28
	s_mov_b64 s[4:5], -1
	s_mov_b64 s[2:3], 0
	s_cmp_gt_i32 s12, 25
	s_mov_b64 s[0:1], 0
	s_cbranch_scc0 .LBB126_3149
; %bb.3117:
	s_cmp_gt_i32 s12, 28
	s_cbranch_scc0 .LBB126_3133
; %bb.3118:
	s_cmp_gt_i32 s12, 43
	;; [unrolled: 3-line block ×3, first 2 shown]
	s_cbranch_scc0 .LBB126_3123
; %bb.3120:
	s_cmp_eq_u32 s12, 46
	s_mov_b64 s[0:1], -1
	s_cbranch_scc0 .LBB126_3122
; %bb.3121:
	v_cndmask_b32_e64 v2, 0, 1.0, s[24:25]
	v_bfe_u32 v3, v2, 16, 1
	s_movk_i32 s0, 0x7fff
	v_add3_u32 v2, v2, v3, s0
	v_lshrrev_b32_e32 v2, 16, v2
	global_store_dword v[0:1], v2, off
	s_mov_b64 s[0:1], 0
.LBB126_3122:
	s_mov_b64 s[4:5], 0
.LBB126_3123:
	s_and_b64 vcc, exec, s[4:5]
	s_cbranch_vccz .LBB126_3128
; %bb.3124:
	s_cmp_eq_u32 s12, 44
	s_mov_b64 s[0:1], -1
	s_cbranch_scc0 .LBB126_3128
; %bb.3125:
	v_cndmask_b32_e64 v3, 0, 1.0, s[24:25]
	v_lshrrev_b32_e32 v2, 23, v3
	s_movk_i32 s0, 0xff
	v_cmp_ne_u32_e32 vcc, s0, v2
	v_mov_b32_e32 v4, 0xff
	s_and_saveexec_b64 s[4:5], vcc
; %bb.3126:
	s_mov_b32 s0, 0x3fffff
	v_and_b32_e32 v4, 0x400000, v3
	v_and_or_b32 v3, v3, s0, v2
	v_cmp_ne_u32_e32 vcc, 0, v4
	v_cmp_ne_u32_e64 s[0:1], 0, v3
	s_and_b64 s[0:1], vcc, s[0:1]
	v_cndmask_b32_e64 v3, 0, 1, s[0:1]
	v_add_u32_e32 v4, v2, v3
; %bb.3127:
	s_or_b64 exec, exec, s[4:5]
	s_mov_b64 s[0:1], 0
	global_store_byte v[0:1], v4, off
.LBB126_3128:
	s_mov_b64 s[4:5], 0
.LBB126_3129:
	s_and_b64 vcc, exec, s[4:5]
	s_cbranch_vccz .LBB126_3132
; %bb.3130:
	s_cmp_eq_u32 s12, 29
	s_mov_b64 s[0:1], -1
	s_cbranch_scc0 .LBB126_3132
; %bb.3131:
	s_mov_b32 s0, 0
	v_cndmask_b32_e64 v2, 0, 1, s[24:25]
	v_mov_b32_e32 v3, s0
	global_store_dwordx2 v[0:1], v[2:3], off
	s_mov_b64 s[0:1], 0
.LBB126_3132:
	s_mov_b64 s[4:5], 0
.LBB126_3133:
	s_and_b64 vcc, exec, s[4:5]
	s_cbranch_vccz .LBB126_3148
; %bb.3134:
	s_cmp_lt_i32 s12, 27
	s_mov_b64 s[4:5], -1
	s_cbranch_scc1 .LBB126_3140
; %bb.3135:
	s_cmp_gt_i32 s12, 27
	v_cndmask_b32_e64 v2, 0, 1, s[24:25]
	s_cbranch_scc0 .LBB126_3137
; %bb.3136:
	global_store_dword v[0:1], v2, off
	s_mov_b64 s[4:5], 0
.LBB126_3137:
	s_andn2_b64 vcc, exec, s[4:5]
	s_cbranch_vccnz .LBB126_3139
; %bb.3138:
	global_store_short v[0:1], v2, off
.LBB126_3139:
	s_mov_b64 s[4:5], 0
.LBB126_3140:
	s_andn2_b64 vcc, exec, s[4:5]
	s_cbranch_vccnz .LBB126_3148
; %bb.3141:
	v_cndmask_b32_e64 v3, 0, 1.0, s[24:25]
	s_mov_b32 s4, 0x43800000
	v_cmp_gt_u32_e32 vcc, s4, v3
	v_mov_b32_e32 v4, 0x80
	s_and_saveexec_b64 s[4:5], vcc
	s_cbranch_execz .LBB126_3147
; %bb.3142:
	s_mov_b32 s8, 0x3bffffff
	v_cmp_lt_u32_e32 vcc, s8, v3
	s_mov_b64 s[8:9], 0
                                        ; implicit-def: $vgpr2
	s_and_saveexec_b64 s[10:11], vcc
	s_xor_b64 s[10:11], exec, s[10:11]
	s_cbranch_execz .LBB126_3209
; %bb.3143:
	v_bfe_u32 v2, v3, 20, 1
	s_mov_b32 s13, 0x487ffff
	v_add3_u32 v2, v3, v2, s13
	s_mov_b64 s[8:9], exec
	v_lshrrev_b32_e32 v2, 20, v2
                                        ; implicit-def: $vgpr3
	s_andn2_saveexec_b64 s[10:11], s[10:11]
	s_cbranch_execnz .LBB126_3210
.LBB126_3144:
	s_or_b64 exec, exec, s[10:11]
	v_mov_b32_e32 v4, 0
	s_and_saveexec_b64 s[10:11], s[8:9]
.LBB126_3145:
	v_mov_b32_e32 v4, v2
.LBB126_3146:
	s_or_b64 exec, exec, s[10:11]
.LBB126_3147:
	s_or_b64 exec, exec, s[4:5]
	global_store_byte v[0:1], v4, off
.LBB126_3148:
	s_mov_b64 s[4:5], 0
.LBB126_3149:
	s_and_b64 vcc, exec, s[4:5]
	s_cbranch_vccz .LBB126_3189
; %bb.3150:
	s_cmp_gt_i32 s12, 22
	s_mov_b64 s[2:3], -1
	s_cbranch_scc0 .LBB126_3182
; %bb.3151:
	s_cmp_lt_i32 s12, 24
	s_cbranch_scc1 .LBB126_3171
; %bb.3152:
	s_cmp_gt_i32 s12, 24
	s_cbranch_scc0 .LBB126_3160
; %bb.3153:
	v_cndmask_b32_e64 v3, 0, 1.0, s[24:25]
	s_mov_b32 s2, 0x47800000
	v_cmp_gt_u32_e32 vcc, s2, v3
	v_mov_b32_e32 v4, 0x80
	s_and_saveexec_b64 s[2:3], vcc
	s_cbranch_execz .LBB126_3159
; %bb.3154:
	s_mov_b32 s4, 0x37ffffff
	v_cmp_lt_u32_e32 vcc, s4, v3
	s_mov_b64 s[4:5], 0
                                        ; implicit-def: $vgpr2
	s_and_saveexec_b64 s[8:9], vcc
	s_xor_b64 s[8:9], exec, s[8:9]
	s_cbranch_execz .LBB126_3212
; %bb.3155:
	v_bfe_u32 v2, v3, 21, 1
	s_mov_b32 s10, 0x88fffff
	v_add3_u32 v2, v3, v2, s10
	s_mov_b64 s[4:5], exec
	v_lshrrev_b32_e32 v2, 21, v2
                                        ; implicit-def: $vgpr3
	s_andn2_saveexec_b64 s[8:9], s[8:9]
	s_cbranch_execnz .LBB126_3213
.LBB126_3156:
	s_or_b64 exec, exec, s[8:9]
	v_mov_b32_e32 v4, 0
	s_and_saveexec_b64 s[8:9], s[4:5]
.LBB126_3157:
	v_mov_b32_e32 v4, v2
.LBB126_3158:
	s_or_b64 exec, exec, s[8:9]
.LBB126_3159:
	s_or_b64 exec, exec, s[2:3]
	s_mov_b64 s[2:3], 0
	global_store_byte v[0:1], v4, off
.LBB126_3160:
	s_and_b64 vcc, exec, s[2:3]
	s_cbranch_vccz .LBB126_3170
; %bb.3161:
	v_cndmask_b32_e64 v2, 0, 1.0, s[24:25]
	s_mov_b32 s2, 0x43f00000
	v_cmp_gt_u32_e32 vcc, s2, v2
                                        ; implicit-def: $vgpr3
	s_and_saveexec_b64 s[2:3], vcc
	s_xor_b64 s[2:3], exec, s[2:3]
	s_cbranch_execz .LBB126_3167
; %bb.3162:
	s_mov_b32 s4, 0x3c7fffff
	v_cmp_lt_u32_e32 vcc, s4, v2
                                        ; implicit-def: $vgpr3
	s_and_saveexec_b64 s[4:5], vcc
	s_xor_b64 s[4:5], exec, s[4:5]
; %bb.3163:
	v_bfe_u32 v3, v2, 20, 1
	s_mov_b32 s8, 0x407ffff
	v_add3_u32 v2, v2, v3, s8
	v_lshrrev_b32_e32 v3, 20, v2
	v_and_b32_e32 v2, 0xff00000, v2
	s_mov_b32 s8, 0x7f00000
	v_mov_b32_e32 v4, 0x7e
	v_cmp_ne_u32_e32 vcc, s8, v2
	v_cndmask_b32_e32 v3, v4, v3, vcc
                                        ; implicit-def: $vgpr2
; %bb.3164:
	s_andn2_saveexec_b64 s[4:5], s[4:5]
; %bb.3165:
	v_add_f32_e32 v3, 0x46800000, v2
; %bb.3166:
	s_or_b64 exec, exec, s[4:5]
                                        ; implicit-def: $vgpr2
.LBB126_3167:
	s_andn2_saveexec_b64 s[2:3], s[2:3]
; %bb.3168:
	s_mov_b32 s4, 0x7f800000
	v_mov_b32_e32 v3, 0x7e
	v_mov_b32_e32 v4, 0x7f
	v_cmp_lt_u32_e32 vcc, s4, v2
	v_cndmask_b32_e32 v3, v3, v4, vcc
; %bb.3169:
	s_or_b64 exec, exec, s[2:3]
	global_store_byte v[0:1], v3, off
.LBB126_3170:
	s_mov_b64 s[2:3], 0
.LBB126_3171:
	s_andn2_b64 vcc, exec, s[2:3]
	s_cbranch_vccnz .LBB126_3181
; %bb.3172:
	v_cndmask_b32_e64 v2, 0, 1.0, s[24:25]
	s_mov_b32 s2, 0x47800000
	v_cmp_gt_u32_e32 vcc, s2, v2
                                        ; implicit-def: $vgpr3
	s_and_saveexec_b64 s[2:3], vcc
	s_xor_b64 s[2:3], exec, s[2:3]
	s_cbranch_execz .LBB126_3178
; %bb.3173:
	s_mov_b32 s4, 0x387fffff
	v_cmp_lt_u32_e32 vcc, s4, v2
                                        ; implicit-def: $vgpr3
	s_and_saveexec_b64 s[4:5], vcc
	s_xor_b64 s[4:5], exec, s[4:5]
; %bb.3174:
	v_bfe_u32 v3, v2, 21, 1
	s_mov_b32 s8, 0x80fffff
	v_add3_u32 v2, v2, v3, s8
	v_lshrrev_b32_e32 v3, 21, v2
                                        ; implicit-def: $vgpr2
; %bb.3175:
	s_andn2_saveexec_b64 s[4:5], s[4:5]
; %bb.3176:
	v_add_f32_e32 v3, 0x43000000, v2
; %bb.3177:
	s_or_b64 exec, exec, s[4:5]
                                        ; implicit-def: $vgpr2
.LBB126_3178:
	s_andn2_saveexec_b64 s[2:3], s[2:3]
; %bb.3179:
	s_mov_b32 s4, 0x7f800000
	v_mov_b32_e32 v3, 0x7c
	v_mov_b32_e32 v4, 0x7f
	v_cmp_lt_u32_e32 vcc, s4, v2
	v_cndmask_b32_e32 v3, v3, v4, vcc
; %bb.3180:
	s_or_b64 exec, exec, s[2:3]
	global_store_byte v[0:1], v3, off
.LBB126_3181:
	s_mov_b64 s[2:3], 0
.LBB126_3182:
	s_andn2_b64 vcc, exec, s[2:3]
	s_mov_b64 s[2:3], 0
	s_cbranch_vccnz .LBB126_3189
; %bb.3183:
	s_cmp_gt_i32 s12, 14
	s_mov_b64 s[4:5], -1
	s_cbranch_scc0 .LBB126_3187
; %bb.3184:
	s_cmp_eq_u32 s12, 15
	s_mov_b64 s[0:1], -1
	s_cbranch_scc0 .LBB126_3186
; %bb.3185:
	v_cndmask_b32_e64 v2, 0, 1.0, s[24:25]
	v_bfe_u32 v3, v2, 16, 1
	s_movk_i32 s0, 0x7fff
	v_add3_u32 v2, v2, v3, s0
	global_store_short_d16_hi v[0:1], v2, off
	s_mov_b64 s[0:1], 0
.LBB126_3186:
	s_mov_b64 s[4:5], 0
.LBB126_3187:
	s_and_b64 vcc, exec, s[4:5]
	s_cbranch_vccz .LBB126_3189
; %bb.3188:
	s_cmp_lg_u32 s12, 11
	s_mov_b64 s[2:3], -1
	s_cselect_b64 s[0:1], -1, 0
.LBB126_3189:
	s_and_b64 vcc, exec, s[0:1]
	s_cbranch_vccnz .LBB126_3211
.LBB126_3190:
	s_mov_b64 s[0:1], 0
	s_branch .LBB126_2701
.LBB126_3191:
	s_mov_b64 s[0:1], 0
	s_branch .LBB126_2700
.LBB126_3192:
	s_mov_b64 s[2:3], 0
	s_mov_b64 s[0:1], -1
	s_branch .LBB126_2701
.LBB126_3193:
	s_trap 2
	s_or_b64 s[18:19], s[18:19], exec
	s_cbranch_execz .LBB126_2643
	s_branch .LBB126_2644
.LBB126_3194:
	s_andn2_saveexec_b64 s[26:27], s[26:27]
	s_cbranch_execz .LBB126_2784
.LBB126_3195:
	v_add_f32_e32 v3, 0x46000000, v4
	v_and_b32_e32 v3, 0xff, v3
	v_cmp_ne_u32_e32 vcc, 0, v3
	s_andn2_b64 s[14:15], s[14:15], exec
	s_and_b64 s[30:31], vcc, exec
	s_or_b64 s[14:15], s[14:15], s[30:31]
	s_or_b64 exec, exec, s[26:27]
	v_mov_b32_e32 v5, 0
	s_and_saveexec_b64 s[26:27], s[14:15]
	s_cbranch_execnz .LBB126_2785
	s_branch .LBB126_2786
.LBB126_3196:
	s_trap 2
	s_or_b64 s[18:19], s[18:19], exec
	s_cbranch_execz .LBB126_2832
	s_branch .LBB126_2833
.LBB126_3197:
	s_andn2_saveexec_b64 s[14:15], s[14:15]
	s_cbranch_execz .LBB126_2797
.LBB126_3198:
	v_add_f32_e32 v3, 0x42800000, v4
	v_and_b32_e32 v3, 0xff, v3
	v_cmp_ne_u32_e32 vcc, 0, v3
	s_andn2_b64 s[10:11], s[10:11], exec
	s_and_b64 s[26:27], vcc, exec
	s_or_b64 s[10:11], s[10:11], s[26:27]
	s_or_b64 exec, exec, s[14:15]
	v_mov_b32_e32 v5, 0
	s_and_saveexec_b64 s[14:15], s[10:11]
	s_cbranch_execnz .LBB126_2798
	s_branch .LBB126_2799
.LBB126_3199:
	s_andn2_saveexec_b64 s[12:13], s[12:13]
	s_cbranch_execz .LBB126_2905
.LBB126_3200:
	v_add_f32_e32 v3, 0x46000000, v4
	v_and_b32_e32 v3, 0xff, v3
	v_cmp_ne_u32_e32 vcc, 0, v3
	s_andn2_b64 s[10:11], s[10:11], exec
	s_and_b64 s[26:27], vcc, exec
	s_or_b64 s[10:11], s[10:11], s[26:27]
	s_or_b64 exec, exec, s[12:13]
	v_mov_b32_e32 v5, 0
	s_and_saveexec_b64 s[12:13], s[10:11]
	s_cbranch_execnz .LBB126_2906
	s_branch .LBB126_2907
.LBB126_3201:
	s_trap 2
	s_or_b64 s[18:19], s[18:19], exec
	s_cbranch_execz .LBB126_2953
	s_branch .LBB126_2954
.LBB126_3202:
	s_andn2_saveexec_b64 s[10:11], s[10:11]
	s_cbranch_execz .LBB126_2918
.LBB126_3203:
	v_add_f32_e32 v3, 0x42800000, v4
	v_and_b32_e32 v3, 0xff, v3
	v_cmp_ne_u32_e32 vcc, 0, v3
	s_andn2_b64 s[4:5], s[4:5], exec
	s_and_b64 s[12:13], vcc, exec
	s_or_b64 s[4:5], s[4:5], s[12:13]
	s_or_b64 exec, exec, s[10:11]
	v_mov_b32_e32 v5, 0
	s_and_saveexec_b64 s[10:11], s[4:5]
	s_cbranch_execnz .LBB126_2919
	s_branch .LBB126_2920
.LBB126_3204:
	s_andn2_saveexec_b64 s[12:13], s[12:13]
	s_cbranch_execz .LBB126_3024
.LBB126_3205:
	v_add_f32_e32 v3, 0x46000000, v4
	v_and_b32_e32 v3, 0xff, v3
	v_cmp_ne_u32_e32 vcc, 0, v3
	s_andn2_b64 s[10:11], s[10:11], exec
	s_and_b64 s[20:21], vcc, exec
	s_or_b64 s[10:11], s[10:11], s[20:21]
	s_or_b64 exec, exec, s[12:13]
	v_mov_b32_e32 v5, 0
	s_and_saveexec_b64 s[12:13], s[10:11]
	s_cbranch_execnz .LBB126_3025
	s_branch .LBB126_3026
.LBB126_3206:
	s_trap 2
	s_or_b64 s[18:19], s[18:19], exec
	s_cbranch_execz .LBB126_3072
	s_branch .LBB126_3073
.LBB126_3207:
	s_andn2_saveexec_b64 s[10:11], s[10:11]
	s_cbranch_execz .LBB126_3037
.LBB126_3208:
	v_add_f32_e32 v3, 0x42800000, v4
	v_and_b32_e32 v3, 0xff, v3
	v_cmp_ne_u32_e32 vcc, 0, v3
	s_andn2_b64 s[4:5], s[4:5], exec
	s_and_b64 s[12:13], vcc, exec
	s_or_b64 s[4:5], s[4:5], s[12:13]
	s_or_b64 exec, exec, s[10:11]
	v_mov_b32_e32 v5, 0
	s_and_saveexec_b64 s[10:11], s[4:5]
	s_cbranch_execnz .LBB126_3038
	s_branch .LBB126_3039
.LBB126_3209:
	s_andn2_saveexec_b64 s[10:11], s[10:11]
	s_cbranch_execz .LBB126_3144
.LBB126_3210:
	v_add_f32_e32 v2, 0x46000000, v3
	v_and_b32_e32 v2, 0xff, v2
	v_cmp_ne_u32_e32 vcc, 0, v2
	s_andn2_b64 s[8:9], s[8:9], exec
	s_and_b64 s[14:15], vcc, exec
	s_or_b64 s[8:9], s[8:9], s[14:15]
	s_or_b64 exec, exec, s[10:11]
	v_mov_b32_e32 v4, 0
	s_and_saveexec_b64 s[10:11], s[8:9]
	s_cbranch_execnz .LBB126_3145
	s_branch .LBB126_3146
.LBB126_3211:
	s_mov_b64 s[2:3], 0
	s_or_b64 s[18:19], s[18:19], exec
	s_trap 2
	s_branch .LBB126_3190
.LBB126_3212:
	s_andn2_saveexec_b64 s[8:9], s[8:9]
	s_cbranch_execz .LBB126_3156
.LBB126_3213:
	v_add_f32_e32 v2, 0x42800000, v3
	v_and_b32_e32 v2, 0xff, v2
	v_cmp_ne_u32_e32 vcc, 0, v2
	s_andn2_b64 s[4:5], s[4:5], exec
	s_and_b64 s[10:11], vcc, exec
	s_or_b64 s[4:5], s[4:5], s[10:11]
	s_or_b64 exec, exec, s[8:9]
	v_mov_b32_e32 v4, 0
	s_and_saveexec_b64 s[8:9], s[4:5]
	s_cbranch_execnz .LBB126_3157
	s_branch .LBB126_3158
	.section	.rodata,"a",@progbits
	.p2align	6, 0x0
	.amdhsa_kernel _ZN2at6native32elementwise_kernel_manual_unrollILi128ELi4EZNS0_15gpu_kernel_implINS0_12_GLOBAL__N_114CompareFunctorIN3c104HalfEEEEEvRNS_18TensorIteratorBaseERKT_EUlibE_EEviT1_
		.amdhsa_group_segment_fixed_size 0
		.amdhsa_private_segment_fixed_size 0
		.amdhsa_kernarg_size 56
		.amdhsa_user_sgpr_count 6
		.amdhsa_user_sgpr_private_segment_buffer 1
		.amdhsa_user_sgpr_dispatch_ptr 0
		.amdhsa_user_sgpr_queue_ptr 0
		.amdhsa_user_sgpr_kernarg_segment_ptr 1
		.amdhsa_user_sgpr_dispatch_id 0
		.amdhsa_user_sgpr_flat_scratch_init 0
		.amdhsa_user_sgpr_private_segment_size 0
		.amdhsa_uses_dynamic_stack 0
		.amdhsa_system_sgpr_private_segment_wavefront_offset 0
		.amdhsa_system_sgpr_workgroup_id_x 1
		.amdhsa_system_sgpr_workgroup_id_y 0
		.amdhsa_system_sgpr_workgroup_id_z 0
		.amdhsa_system_sgpr_workgroup_info 0
		.amdhsa_system_vgpr_workitem_id 0
		.amdhsa_next_free_vgpr 14
		.amdhsa_next_free_sgpr 57
		.amdhsa_reserve_vcc 1
		.amdhsa_reserve_flat_scratch 0
		.amdhsa_float_round_mode_32 0
		.amdhsa_float_round_mode_16_64 0
		.amdhsa_float_denorm_mode_32 3
		.amdhsa_float_denorm_mode_16_64 3
		.amdhsa_dx10_clamp 1
		.amdhsa_ieee_mode 1
		.amdhsa_fp16_overflow 0
		.amdhsa_exception_fp_ieee_invalid_op 0
		.amdhsa_exception_fp_denorm_src 0
		.amdhsa_exception_fp_ieee_div_zero 0
		.amdhsa_exception_fp_ieee_overflow 0
		.amdhsa_exception_fp_ieee_underflow 0
		.amdhsa_exception_fp_ieee_inexact 0
		.amdhsa_exception_int_div_zero 0
	.end_amdhsa_kernel
	.section	.text._ZN2at6native32elementwise_kernel_manual_unrollILi128ELi4EZNS0_15gpu_kernel_implINS0_12_GLOBAL__N_114CompareFunctorIN3c104HalfEEEEEvRNS_18TensorIteratorBaseERKT_EUlibE_EEviT1_,"axG",@progbits,_ZN2at6native32elementwise_kernel_manual_unrollILi128ELi4EZNS0_15gpu_kernel_implINS0_12_GLOBAL__N_114CompareFunctorIN3c104HalfEEEEEvRNS_18TensorIteratorBaseERKT_EUlibE_EEviT1_,comdat
.Lfunc_end126:
	.size	_ZN2at6native32elementwise_kernel_manual_unrollILi128ELi4EZNS0_15gpu_kernel_implINS0_12_GLOBAL__N_114CompareFunctorIN3c104HalfEEEEEvRNS_18TensorIteratorBaseERKT_EUlibE_EEviT1_, .Lfunc_end126-_ZN2at6native32elementwise_kernel_manual_unrollILi128ELi4EZNS0_15gpu_kernel_implINS0_12_GLOBAL__N_114CompareFunctorIN3c104HalfEEEEEvRNS_18TensorIteratorBaseERKT_EUlibE_EEviT1_
                                        ; -- End function
	.set _ZN2at6native32elementwise_kernel_manual_unrollILi128ELi4EZNS0_15gpu_kernel_implINS0_12_GLOBAL__N_114CompareFunctorIN3c104HalfEEEEEvRNS_18TensorIteratorBaseERKT_EUlibE_EEviT1_.num_vgpr, 14
	.set _ZN2at6native32elementwise_kernel_manual_unrollILi128ELi4EZNS0_15gpu_kernel_implINS0_12_GLOBAL__N_114CompareFunctorIN3c104HalfEEEEEvRNS_18TensorIteratorBaseERKT_EUlibE_EEviT1_.num_agpr, 0
	.set _ZN2at6native32elementwise_kernel_manual_unrollILi128ELi4EZNS0_15gpu_kernel_implINS0_12_GLOBAL__N_114CompareFunctorIN3c104HalfEEEEEvRNS_18TensorIteratorBaseERKT_EUlibE_EEviT1_.numbered_sgpr, 57
	.set _ZN2at6native32elementwise_kernel_manual_unrollILi128ELi4EZNS0_15gpu_kernel_implINS0_12_GLOBAL__N_114CompareFunctorIN3c104HalfEEEEEvRNS_18TensorIteratorBaseERKT_EUlibE_EEviT1_.num_named_barrier, 0
	.set _ZN2at6native32elementwise_kernel_manual_unrollILi128ELi4EZNS0_15gpu_kernel_implINS0_12_GLOBAL__N_114CompareFunctorIN3c104HalfEEEEEvRNS_18TensorIteratorBaseERKT_EUlibE_EEviT1_.private_seg_size, 0
	.set _ZN2at6native32elementwise_kernel_manual_unrollILi128ELi4EZNS0_15gpu_kernel_implINS0_12_GLOBAL__N_114CompareFunctorIN3c104HalfEEEEEvRNS_18TensorIteratorBaseERKT_EUlibE_EEviT1_.uses_vcc, 1
	.set _ZN2at6native32elementwise_kernel_manual_unrollILi128ELi4EZNS0_15gpu_kernel_implINS0_12_GLOBAL__N_114CompareFunctorIN3c104HalfEEEEEvRNS_18TensorIteratorBaseERKT_EUlibE_EEviT1_.uses_flat_scratch, 0
	.set _ZN2at6native32elementwise_kernel_manual_unrollILi128ELi4EZNS0_15gpu_kernel_implINS0_12_GLOBAL__N_114CompareFunctorIN3c104HalfEEEEEvRNS_18TensorIteratorBaseERKT_EUlibE_EEviT1_.has_dyn_sized_stack, 0
	.set _ZN2at6native32elementwise_kernel_manual_unrollILi128ELi4EZNS0_15gpu_kernel_implINS0_12_GLOBAL__N_114CompareFunctorIN3c104HalfEEEEEvRNS_18TensorIteratorBaseERKT_EUlibE_EEviT1_.has_recursion, 0
	.set _ZN2at6native32elementwise_kernel_manual_unrollILi128ELi4EZNS0_15gpu_kernel_implINS0_12_GLOBAL__N_114CompareFunctorIN3c104HalfEEEEEvRNS_18TensorIteratorBaseERKT_EUlibE_EEviT1_.has_indirect_call, 0
	.section	.AMDGPU.csdata,"",@progbits
; Kernel info:
; codeLenInByte = 55984
; TotalNumSgprs: 61
; NumVgprs: 14
; ScratchSize: 0
; MemoryBound: 0
; FloatMode: 240
; IeeeMode: 1
; LDSByteSize: 0 bytes/workgroup (compile time only)
; SGPRBlocks: 7
; VGPRBlocks: 3
; NumSGPRsForWavesPerEU: 61
; NumVGPRsForWavesPerEU: 14
; Occupancy: 10
; WaveLimiterHint : 0
; COMPUTE_PGM_RSRC2:SCRATCH_EN: 0
; COMPUTE_PGM_RSRC2:USER_SGPR: 6
; COMPUTE_PGM_RSRC2:TRAP_HANDLER: 0
; COMPUTE_PGM_RSRC2:TGID_X_EN: 1
; COMPUTE_PGM_RSRC2:TGID_Y_EN: 0
; COMPUTE_PGM_RSRC2:TGID_Z_EN: 0
; COMPUTE_PGM_RSRC2:TIDIG_COMP_CNT: 0
	.section	.text._ZN2at6native32elementwise_kernel_manual_unrollILi128ELi4EZNS0_15gpu_kernel_implINS0_12_GLOBAL__N_114CompareFunctorIN3c104HalfEEEEEvRNS_18TensorIteratorBaseERKT_EUlibE0_EEviT1_,"axG",@progbits,_ZN2at6native32elementwise_kernel_manual_unrollILi128ELi4EZNS0_15gpu_kernel_implINS0_12_GLOBAL__N_114CompareFunctorIN3c104HalfEEEEEvRNS_18TensorIteratorBaseERKT_EUlibE0_EEviT1_,comdat
	.globl	_ZN2at6native32elementwise_kernel_manual_unrollILi128ELi4EZNS0_15gpu_kernel_implINS0_12_GLOBAL__N_114CompareFunctorIN3c104HalfEEEEEvRNS_18TensorIteratorBaseERKT_EUlibE0_EEviT1_ ; -- Begin function _ZN2at6native32elementwise_kernel_manual_unrollILi128ELi4EZNS0_15gpu_kernel_implINS0_12_GLOBAL__N_114CompareFunctorIN3c104HalfEEEEEvRNS_18TensorIteratorBaseERKT_EUlibE0_EEviT1_
	.p2align	8
	.type	_ZN2at6native32elementwise_kernel_manual_unrollILi128ELi4EZNS0_15gpu_kernel_implINS0_12_GLOBAL__N_114CompareFunctorIN3c104HalfEEEEEvRNS_18TensorIteratorBaseERKT_EUlibE0_EEviT1_,@function
_ZN2at6native32elementwise_kernel_manual_unrollILi128ELi4EZNS0_15gpu_kernel_implINS0_12_GLOBAL__N_114CompareFunctorIN3c104HalfEEEEEvRNS_18TensorIteratorBaseERKT_EUlibE0_EEviT1_: ; @_ZN2at6native32elementwise_kernel_manual_unrollILi128ELi4EZNS0_15gpu_kernel_implINS0_12_GLOBAL__N_114CompareFunctorIN3c104HalfEEEEEvRNS_18TensorIteratorBaseERKT_EUlibE0_EEviT1_
; %bb.0:
	s_load_dword s68, s[4:5], 0x0
	s_load_dword s33, s[4:5], 0x8
	s_add_u32 s2, s4, 8
	s_addc_u32 s3, s5, 0
	v_lshl_or_b32 v8, s6, 9, v0
	v_or_b32_e32 v23, 0x180, v8
	s_waitcnt lgkmcnt(0)
	s_add_i32 s70, s33, -1
	s_cmp_gt_u32 s70, 1
	v_cmp_le_i32_e32 vcc, s68, v23
	s_cselect_b64 s[24:25], -1, 0
	s_mov_b64 s[6:7], 0
	s_mov_b64 s[12:13], 0
	s_and_saveexec_b64 s[0:1], vcc
	s_xor_b64 s[26:27], exec, s[0:1]
	s_cbranch_execz .LBB127_1655
; %bb.1:
	s_cmp_lg_u32 s33, 0
	s_load_dwordx4 s[16:19], s[2:3], 0x4
	s_load_dwordx2 s[30:31], s[2:3], 0x14
	s_load_dwordx8 s[8:15], s[2:3], 0x188
	s_load_dwordx4 s[20:23], s[2:3], 0xc4
	s_load_dwordx2 s[28:29], s[2:3], 0xd4
	s_cselect_b64 s[36:37], -1, 0
	s_min_u32 s73, s70, 15
	s_cmp_gt_u32 s33, 1
	s_cselect_b64 s[34:35], -1, 0
	s_waitcnt lgkmcnt(0)
	s_lshr_b32 s72, s15, 8
	s_lshr_b32 s71, s15, 16
	v_cmp_gt_i32_e32 vcc, s68, v8
	s_mov_b64 s[0:1], -1
	s_mov_b64 s[48:49], 0
	s_mov_b64 s[42:43], 0
	;; [unrolled: 1-line block ×4, first 2 shown]
	s_and_saveexec_b64 s[44:45], vcc
	s_cbranch_execz .LBB127_410
; %bb.2:
	s_andn2_b64 vcc, exec, s[24:25]
	s_cbranch_vccnz .LBB127_8
; %bb.3:
	s_andn2_b64 vcc, exec, s[36:37]
	s_cbranch_vccnz .LBB127_9
; %bb.4:
	s_add_i32 s0, s73, 1
	s_and_b32 s38, s0, 30
	s_add_u32 s0, s2, 0xffffffe8
	s_addc_u32 s1, s3, -1
	v_mov_b32_e32 v2, 0
	v_mov_b32_e32 v4, 0
	;; [unrolled: 1-line block ×4, first 2 shown]
.LBB127_5:                              ; =>This Inner Loop Header: Depth=1
	s_load_dwordx4 s[40:43], s[0:1], 0x1c
	s_load_dwordx2 s[46:47], s[0:1], 0x2c
	s_load_dwordx2 s[50:51], s[0:1], 0xec
	s_load_dwordx4 s[52:55], s[0:1], 0xdc
	s_add_u32 s0, s0, 24
	s_waitcnt lgkmcnt(0)
	v_mul_hi_u32 v3, s41, v1
	s_addc_u32 s1, s1, 0
	s_add_i32 s38, s38, -2
	s_cmp_lg_u32 s38, 0
	v_add_u32_e32 v3, v1, v3
	v_lshrrev_b32_e32 v3, s42, v3
	v_mul_lo_u32 v5, v3, s40
	v_mul_hi_u32 v6, s46, v3
	v_sub_u32_e32 v5, v1, v5
	v_add_u32_e32 v1, v3, v6
	v_lshrrev_b32_e32 v1, s47, v1
	v_mul_lo_u32 v9, v1, s43
	v_mul_lo_u32 v6, v5, s52
	v_mul_lo_u32 v7, v5, s53
	v_mul_lo_u32 v5, v5, s54
	v_sub_u32_e32 v3, v3, v9
	v_mul_lo_u32 v9, v3, s55
	v_mul_lo_u32 v10, v3, s50
	;; [unrolled: 1-line block ×3, first 2 shown]
	v_add3_u32 v0, v6, v0, v9
	v_add3_u32 v4, v7, v4, v10
	;; [unrolled: 1-line block ×3, first 2 shown]
	s_cbranch_scc1 .LBB127_5
; %bb.6:
	s_bitcmp1_b32 s73, 0
	s_cselect_b64 s[38:39], -1, 0
	s_and_b64 vcc, exec, s[38:39]
	s_cbranch_vccnz .LBB127_10
; %bb.7:
	s_load_dwordx2 s[38:39], s[0:1], 0x1c
	s_load_dword s42, s[0:1], 0x24
	s_load_dwordx2 s[40:41], s[0:1], 0xdc
	s_waitcnt lgkmcnt(0)
	v_mul_hi_u32 v3, s39, v1
	v_add_u32_e32 v3, v1, v3
	v_lshrrev_b32_e32 v3, s42, v3
	v_mul_lo_u32 v3, v3, s38
	s_load_dword s38, s[0:1], 0xe4
	v_sub_u32_e32 v3, v1, v3
	v_mad_u64_u32 v[0:1], s[0:1], v3, s40, v[0:1]
	v_mad_u64_u32 v[4:5], s[0:1], v3, s41, v[4:5]
	s_waitcnt lgkmcnt(0)
	v_mad_u64_u32 v[2:3], s[0:1], v3, s38, v[2:3]
	s_cbranch_execz .LBB127_11
	s_branch .LBB127_13
.LBB127_8:
                                        ; implicit-def: $vgpr0
                                        ; implicit-def: $vgpr4
                                        ; implicit-def: $vgpr2
	s_andn2_b64 vcc, exec, s[0:1]
	s_cbranch_vccz .LBB127_11
	s_branch .LBB127_13
.LBB127_9:
	v_mov_b32_e32 v0, 0
	v_mov_b32_e32 v4, 0
	;; [unrolled: 1-line block ×3, first 2 shown]
.LBB127_10:
	s_cbranch_execnz .LBB127_13
.LBB127_11:
	v_mul_hi_u32 v0, s17, v8
	s_andn2_b64 vcc, exec, s[34:35]
	v_add_u32_e32 v0, v8, v0
	v_lshrrev_b32_e32 v1, s18, v0
	v_mul_lo_u32 v0, v1, s16
	v_sub_u32_e32 v2, v8, v0
	v_mul_lo_u32 v0, v2, s20
	v_mul_lo_u32 v4, v2, s21
	v_mul_lo_u32 v2, v2, s22
	s_cbranch_vccnz .LBB127_13
; %bb.12:
	v_mul_hi_u32 v3, s30, v1
	v_add_u32_e32 v3, v1, v3
	v_lshrrev_b32_e32 v3, s31, v3
	v_mul_lo_u32 v3, v3, s19
	v_sub_u32_e32 v3, v1, v3
	v_mad_u64_u32 v[0:1], s[0:1], v3, s23, v[0:1]
	v_mad_u64_u32 v[4:5], s[0:1], v3, s28, v[4:5]
	v_mad_u64_u32 v[2:3], s[0:1], v3, s29, v[2:3]
.LBB127_13:
	v_mov_b32_e32 v1, s11
	s_and_b32 s46, s72, 0xff
	v_add_co_u32_e32 v3, vcc, s10, v4
	s_cmp_lt_i32 s46, 11
	v_addc_co_u32_e32 v4, vcc, 0, v1, vcc
	s_cbranch_scc1 .LBB127_20
; %bb.14:
	s_and_b32 s47, 0xffff, s46
	s_cmp_gt_i32 s47, 25
	s_cbranch_scc0 .LBB127_29
; %bb.15:
	s_cmp_gt_i32 s47, 28
	s_cbranch_scc0 .LBB127_36
; %bb.16:
	;; [unrolled: 3-line block ×4, first 2 shown]
	s_cmp_eq_u32 s47, 46
	s_mov_b64 s[38:39], 0
	s_cbranch_scc0 .LBB127_64
; %bb.19:
	global_load_dword v1, v[3:4], off
	s_mov_b64 s[0:1], -1
	s_mov_b64 s[42:43], 0
	s_waitcnt vmcnt(0)
	v_lshlrev_b32_e32 v1, 16, v1
	v_cvt_f16_f32_e32 v5, v1
	s_branch .LBB127_66
.LBB127_20:
	s_mov_b64 s[42:43], 0
                                        ; implicit-def: $vgpr5
	s_mov_b64 s[0:1], 0
	s_cbranch_execnz .LBB127_132
.LBB127_21:
	s_andn2_b64 vcc, exec, s[0:1]
	s_cbranch_vccnz .LBB127_179
.LBB127_22:
	v_mov_b32_e32 v3, s13
	s_and_b32 s50, s71, 0xff
	v_add_co_u32_e32 v1, vcc, s12, v2
	s_cmp_lt_i32 s50, 11
	v_addc_co_u32_e32 v2, vcc, 0, v3, vcc
	s_cbranch_scc1 .LBB127_30
; %bb.23:
	s_and_b32 s51, 0xffff, s50
	s_cmp_gt_i32 s51, 25
	s_cbranch_scc0 .LBB127_37
; %bb.24:
	s_cmp_gt_i32 s51, 28
	s_cbranch_scc0 .LBB127_42
; %bb.25:
	;; [unrolled: 3-line block ×4, first 2 shown]
	s_cmp_eq_u32 s51, 46
	s_mov_b64 s[38:39], 0
	s_cbranch_scc0 .LBB127_180
; %bb.28:
	global_load_dword v3, v[1:2], off
	s_mov_b64 s[0:1], -1
	s_mov_b64 s[40:41], 0
	s_waitcnt vmcnt(0)
	v_lshlrev_b32_e32 v3, 16, v3
	v_cvt_f16_f32_e32 v3, v3
	s_branch .LBB127_182
.LBB127_29:
	s_mov_b64 s[42:43], 0
	s_mov_b64 s[0:1], 0
                                        ; implicit-def: $vgpr5
	s_cbranch_execnz .LBB127_97
	s_branch .LBB127_131
.LBB127_30:
	s_mov_b64 s[40:41], 0
                                        ; implicit-def: $vgpr3
	s_mov_b64 s[0:1], 0
	s_cbranch_execnz .LBB127_359
.LBB127_31:
	s_andn2_b64 vcc, exec, s[0:1]
	s_cbranch_vccnz .LBB127_407
.LBB127_32:
	s_cmp_lt_i32 s14, 1
	s_mov_b64 s[0:1], 0
	s_cbranch_scc1 .LBB127_38
; %bb.33:
	s_cmp_gt_i32 s14, 1
	s_cbranch_scc0 .LBB127_43
; %bb.34:
	s_cmp_eq_u32 s14, 2
	s_cbranch_scc0 .LBB127_46
; %bb.35:
	s_waitcnt vmcnt(0)
	v_cmp_le_f16_e64 s[38:39], v5, v3
	s_mov_b64 s[46:47], 0
	s_branch .LBB127_47
.LBB127_36:
	s_mov_b64 s[38:39], -1
	s_mov_b64 s[42:43], 0
	s_mov_b64 s[0:1], 0
                                        ; implicit-def: $vgpr5
	s_branch .LBB127_78
.LBB127_37:
	s_mov_b64 s[38:39], -1
	s_mov_b64 s[40:41], 0
	s_mov_b64 s[0:1], 0
                                        ; implicit-def: $vgpr3
	s_branch .LBB127_323
.LBB127_38:
                                        ; implicit-def: $sgpr38_sgpr39
	s_mov_b64 s[46:47], 0
	s_cbranch_execnz .LBB127_51
.LBB127_39:
	s_andn2_b64 vcc, exec, s[46:47]
	s_cbranch_vccnz .LBB127_52
.LBB127_40:
	s_waitcnt vmcnt(0)
	v_cmp_lt_f16_e32 vcc, v5, v3
	s_andn2_b64 s[38:39], s[38:39], exec
	s_and_b64 s[46:47], vcc, exec
	s_or_b64 s[38:39], s[38:39], s[46:47]
	s_cbranch_execz .LBB127_53
	s_branch .LBB127_54
.LBB127_41:
	s_mov_b64 s[38:39], -1
	s_mov_b64 s[42:43], 0
	s_mov_b64 s[0:1], 0
                                        ; implicit-def: $vgpr5
	s_branch .LBB127_73
.LBB127_42:
	s_mov_b64 s[38:39], -1
	s_mov_b64 s[40:41], 0
	s_mov_b64 s[0:1], 0
                                        ; implicit-def: $vgpr3
	s_branch .LBB127_304
.LBB127_43:
	s_mov_b64 s[50:51], -1
	s_mov_b64 s[46:47], 0
                                        ; implicit-def: $sgpr38_sgpr39
	s_branch .LBB127_48
.LBB127_44:
	s_mov_b64 s[38:39], -1
	s_mov_b64 s[42:43], 0
	s_branch .LBB127_65
.LBB127_45:
	s_mov_b64 s[38:39], -1
	s_mov_b64 s[40:41], 0
	s_mov_b64 s[0:1], 0
                                        ; implicit-def: $vgpr3
	s_branch .LBB127_299
.LBB127_46:
	s_mov_b64 s[46:47], -1
                                        ; implicit-def: $sgpr38_sgpr39
.LBB127_47:
	s_mov_b64 s[50:51], 0
.LBB127_48:
	s_and_b64 vcc, exec, s[50:51]
	s_cbranch_vccz .LBB127_50
; %bb.49:
	s_waitcnt vmcnt(0)
	v_cmp_gt_f16_e32 vcc, v5, v3
	s_andn2_b64 s[38:39], s[38:39], exec
	s_and_b64 s[50:51], vcc, exec
	s_or_b64 s[38:39], s[38:39], s[50:51]
.LBB127_50:
	s_branch .LBB127_39
.LBB127_51:
	s_cmp_lg_u32 s14, 0
	s_mov_b64 s[0:1], -1
	s_cselect_b64 s[46:47], -1, 0
	s_andn2_b64 vcc, exec, s[46:47]
	s_cbranch_vccz .LBB127_40
.LBB127_52:
	s_andn2_b64 vcc, exec, s[0:1]
	s_cbranch_vccnz .LBB127_54
.LBB127_53:
	s_waitcnt vmcnt(0)
	v_cmp_ge_f16_e32 vcc, v5, v3
	s_andn2_b64 s[0:1], s[38:39], exec
	s_and_b64 s[38:39], vcc, exec
	s_or_b64 s[38:39], s[0:1], s[38:39]
.LBB127_54:
	v_mov_b32_e32 v1, s9
	s_and_b32 s54, s15, 0xff
	v_add_co_u32_e32 v0, vcc, s8, v0
	s_cmp_lt_i32 s54, 11
	v_addc_co_u32_e32 v1, vcc, 0, v1, vcc
	s_cbranch_scc1 .LBB127_61
; %bb.55:
	s_and_b32 s55, 0xffff, s54
	s_cmp_gt_i32 s55, 25
	s_cbranch_scc0 .LBB127_62
; %bb.56:
	s_cmp_gt_i32 s55, 28
	s_cbranch_scc0 .LBB127_63
; %bb.57:
	;; [unrolled: 3-line block ×4, first 2 shown]
	s_mov_b64 s[50:51], 0
	s_mov_b64 s[0:1], -1
	s_cmp_eq_u32 s55, 46
	s_mov_b64 s[46:47], 0
	s_cbranch_scc0 .LBB127_186
; %bb.60:
	v_cndmask_b32_e64 v2, 0, 1.0, s[38:39]
	s_waitcnt vmcnt(0)
	v_bfe_u32 v3, v2, 16, 1
	s_movk_i32 s0, 0x7fff
	v_add3_u32 v2, v2, v3, s0
	v_lshrrev_b32_e32 v2, 16, v2
	global_store_dword v[0:1], v2, off
	s_mov_b64 s[46:47], -1
	s_mov_b64 s[0:1], 0
	s_branch .LBB127_186
.LBB127_61:
	s_mov_b64 s[50:51], -1
	s_mov_b64 s[0:1], 0
	s_mov_b64 s[46:47], 0
	s_branch .LBB127_255
.LBB127_62:
	s_mov_b64 s[50:51], -1
	s_mov_b64 s[0:1], 0
	s_mov_b64 s[46:47], 0
	s_branch .LBB127_213
.LBB127_63:
	s_mov_b64 s[50:51], -1
	s_mov_b64 s[0:1], 0
	s_mov_b64 s[46:47], 0
	s_branch .LBB127_196
.LBB127_64:
	s_mov_b64 s[42:43], -1
.LBB127_65:
	s_mov_b64 s[0:1], 0
                                        ; implicit-def: $vgpr5
.LBB127_66:
	s_and_b64 vcc, exec, s[38:39]
	s_cbranch_vccz .LBB127_72
; %bb.67:
	s_cmp_eq_u32 s47, 44
	s_cbranch_scc0 .LBB127_71
; %bb.68:
	global_load_ubyte v1, v[3:4], off
	s_movk_i32 s38, 0xff
	v_mov_b32_e32 v6, 0x7e00
	s_mov_b64 s[0:1], -1
	s_mov_b64 s[42:43], 0
	s_waitcnt vmcnt(0)
	v_lshlrev_b32_e32 v5, 23, v1
	v_cvt_f16_f32_e32 v5, v5
	v_cmp_ne_u32_e32 vcc, s38, v1
	v_cndmask_b32_e32 v5, v6, v5, vcc
	v_cmp_ne_u32_e32 vcc, 0, v1
	v_cndmask_b32_e32 v5, 0, v5, vcc
	s_branch .LBB127_72
.LBB127_69:
	s_mov_b64 s[38:39], -1
	s_mov_b64 s[40:41], 0
	s_branch .LBB127_181
.LBB127_70:
	s_mov_b64 s[50:51], -1
	s_mov_b64 s[0:1], 0
	s_mov_b64 s[46:47], 0
	s_branch .LBB127_192
.LBB127_71:
	s_mov_b64 s[42:43], -1
                                        ; implicit-def: $vgpr5
.LBB127_72:
	s_mov_b64 s[38:39], 0
.LBB127_73:
	s_and_b64 vcc, exec, s[38:39]
	s_cbranch_vccz .LBB127_77
; %bb.74:
	s_cmp_eq_u32 s47, 29
	s_cbranch_scc0 .LBB127_76
; %bb.75:
	global_load_dwordx2 v[5:6], v[3:4], off
	s_mov_b64 s[0:1], -1
	s_mov_b64 s[42:43], 0
	s_mov_b64 s[38:39], 0
	s_waitcnt vmcnt(0)
	v_ffbh_u32_e32 v1, v6
	v_min_u32_e32 v1, 32, v1
	v_lshlrev_b64 v[5:6], v1, v[5:6]
	v_sub_u32_e32 v1, 32, v1
	v_min_u32_e32 v5, 1, v5
	v_or_b32_e32 v5, v6, v5
	v_cvt_f32_u32_e32 v5, v5
	v_ldexp_f32 v1, v5, v1
	v_cvt_f16_f32_e32 v5, v1
	s_branch .LBB127_78
.LBB127_76:
	s_mov_b64 s[42:43], -1
                                        ; implicit-def: $vgpr5
.LBB127_77:
	s_mov_b64 s[38:39], 0
.LBB127_78:
	s_and_b64 vcc, exec, s[38:39]
	s_cbranch_vccz .LBB127_96
; %bb.79:
	s_cmp_lt_i32 s47, 27
	s_cbranch_scc1 .LBB127_82
; %bb.80:
	s_cmp_gt_i32 s47, 27
	s_cbranch_scc0 .LBB127_83
; %bb.81:
	global_load_dword v1, v[3:4], off
	s_mov_b64 s[0:1], 0
	s_waitcnt vmcnt(0)
	v_cvt_f32_u32_e32 v1, v1
	v_cvt_f16_f32_e32 v5, v1
	s_branch .LBB127_84
.LBB127_82:
	s_mov_b64 s[0:1], -1
                                        ; implicit-def: $vgpr5
	s_branch .LBB127_87
.LBB127_83:
	s_mov_b64 s[0:1], -1
                                        ; implicit-def: $vgpr5
.LBB127_84:
	s_andn2_b64 vcc, exec, s[0:1]
	s_cbranch_vccnz .LBB127_86
; %bb.85:
	global_load_ushort v1, v[3:4], off
	s_waitcnt vmcnt(0)
	v_cvt_f16_u16_e32 v5, v1
.LBB127_86:
	s_mov_b64 s[0:1], 0
.LBB127_87:
	s_andn2_b64 vcc, exec, s[0:1]
	s_cbranch_vccnz .LBB127_95
; %bb.88:
	global_load_ubyte v1, v[3:4], off
	s_movk_i32 s0, 0x7f
	s_waitcnt vmcnt(0)
	v_cmp_lt_i16_e32 vcc, s0, v1
	s_mov_b64 s[0:1], 0
	s_and_saveexec_b64 s[38:39], vcc
	s_xor_b64 s[38:39], exec, s[38:39]
	s_cbranch_execz .LBB127_108
; %bb.89:
	s_movk_i32 s0, 0x80
	v_cmp_eq_u16_e32 vcc, s0, v1
	s_mov_b64 s[0:1], -1
	s_and_saveexec_b64 s[40:41], vcc
; %bb.90:
	s_xor_b64 s[0:1], exec, -1
; %bb.91:
	s_or_b64 exec, exec, s[40:41]
	s_and_b64 s[0:1], s[0:1], exec
	s_or_saveexec_b64 s[38:39], s[38:39]
	v_mov_b32_e32 v5, 0x7e00
	s_xor_b64 exec, exec, s[38:39]
	s_cbranch_execnz .LBB127_109
.LBB127_92:
	s_or_b64 exec, exec, s[38:39]
	s_and_saveexec_b64 s[38:39], s[0:1]
	s_cbranch_execz .LBB127_94
.LBB127_93:
	v_lshlrev_b32_e32 v5, 24, v1
	v_and_b32_e32 v1, 0xffff, v1
	v_and_b32_e32 v6, 7, v1
	v_ffbh_u32_e32 v9, v6
	v_min_u32_e32 v9, 32, v9
	v_subrev_u32_e32 v10, 28, v9
	v_bfe_u32 v7, v1, 3, 4
	v_lshlrev_b32_e32 v1, v10, v1
	v_sub_u32_e32 v9, 29, v9
	v_and_b32_e32 v1, 7, v1
	v_cmp_eq_u32_e32 vcc, 0, v7
	v_cndmask_b32_e32 v7, v7, v9, vcc
	v_cndmask_b32_e32 v1, v6, v1, vcc
	v_mov_b32_e32 v6, 0x3b800000
	v_lshlrev_b32_e32 v1, 20, v1
	v_and_b32_e32 v5, 0x80000000, v5
	v_lshl_add_u32 v6, v7, 23, v6
	v_or3_b32 v1, v5, v6, v1
	v_cvt_f16_f32_e32 v5, v1
.LBB127_94:
	s_or_b64 exec, exec, s[38:39]
.LBB127_95:
	s_mov_b64 s[0:1], -1
.LBB127_96:
	s_branch .LBB127_131
.LBB127_97:
	s_cmp_gt_i32 s47, 22
	s_cbranch_scc0 .LBB127_107
; %bb.98:
	s_cmp_lt_i32 s47, 24
	s_cbranch_scc1 .LBB127_110
; %bb.99:
	s_cmp_gt_i32 s47, 24
	s_cbranch_scc0 .LBB127_111
; %bb.100:
	global_load_ubyte v1, v[3:4], off
	s_movk_i32 s0, 0x7f
	s_waitcnt vmcnt(0)
	v_cmp_lt_i16_e32 vcc, s0, v1
	s_mov_b64 s[0:1], 0
	s_and_saveexec_b64 s[38:39], vcc
	s_xor_b64 s[38:39], exec, s[38:39]
	s_cbranch_execz .LBB127_123
; %bb.101:
	s_movk_i32 s0, 0x80
	v_cmp_eq_u16_e32 vcc, s0, v1
	s_mov_b64 s[0:1], -1
	s_and_saveexec_b64 s[40:41], vcc
; %bb.102:
	s_xor_b64 s[0:1], exec, -1
; %bb.103:
	s_or_b64 exec, exec, s[40:41]
	s_and_b64 s[0:1], s[0:1], exec
	s_or_saveexec_b64 s[38:39], s[38:39]
	v_mov_b32_e32 v5, 0x7e00
	s_xor_b64 exec, exec, s[38:39]
	s_cbranch_execnz .LBB127_124
.LBB127_104:
	s_or_b64 exec, exec, s[38:39]
	s_and_saveexec_b64 s[38:39], s[0:1]
	s_cbranch_execz .LBB127_106
.LBB127_105:
	v_lshlrev_b32_e32 v5, 24, v1
	v_and_b32_e32 v1, 0xffff, v1
	v_and_b32_e32 v6, 3, v1
	v_ffbh_u32_e32 v9, v6
	v_min_u32_e32 v9, 32, v9
	v_subrev_u32_e32 v10, 29, v9
	v_bfe_u32 v7, v1, 2, 5
	v_lshlrev_b32_e32 v1, v10, v1
	v_sub_u32_e32 v9, 30, v9
	v_and_b32_e32 v1, 3, v1
	v_cmp_eq_u32_e32 vcc, 0, v7
	v_cndmask_b32_e32 v7, v7, v9, vcc
	v_cndmask_b32_e32 v1, v6, v1, vcc
	v_mov_b32_e32 v6, 0x37800000
	v_lshlrev_b32_e32 v1, 21, v1
	v_and_b32_e32 v5, 0x80000000, v5
	v_lshl_add_u32 v6, v7, 23, v6
	v_or3_b32 v1, v5, v6, v1
	v_cvt_f16_f32_e32 v5, v1
.LBB127_106:
	s_or_b64 exec, exec, s[38:39]
	s_mov_b64 s[0:1], 0
	s_branch .LBB127_112
.LBB127_107:
	s_mov_b64 s[38:39], -1
                                        ; implicit-def: $vgpr5
	s_branch .LBB127_118
.LBB127_108:
	s_or_saveexec_b64 s[38:39], s[38:39]
	v_mov_b32_e32 v5, 0x7e00
	s_xor_b64 exec, exec, s[38:39]
	s_cbranch_execz .LBB127_92
.LBB127_109:
	v_cmp_ne_u16_e32 vcc, 0, v1
	s_andn2_b64 s[0:1], s[0:1], exec
	s_and_b64 s[40:41], vcc, exec
	s_or_b64 s[0:1], s[0:1], s[40:41]
	v_mov_b32_e32 v5, v1
	s_or_b64 exec, exec, s[38:39]
	s_and_saveexec_b64 s[38:39], s[0:1]
	s_cbranch_execnz .LBB127_93
	s_branch .LBB127_94
.LBB127_110:
	s_mov_b64 s[0:1], -1
                                        ; implicit-def: $vgpr5
	s_branch .LBB127_115
.LBB127_111:
	s_mov_b64 s[0:1], -1
                                        ; implicit-def: $vgpr5
.LBB127_112:
	s_and_b64 vcc, exec, s[0:1]
	s_cbranch_vccz .LBB127_114
; %bb.113:
	global_load_ubyte v1, v[3:4], off
	s_mov_b32 s0, 0x7f800000
	s_waitcnt vmcnt(0)
	v_lshlrev_b32_e32 v1, 24, v1
	v_and_b32_e32 v5, 0x7f000000, v1
	v_ffbh_u32_e32 v6, v5
	v_min_u32_e32 v6, 32, v6
	v_sub_u32_e64 v6, v6, 4 clamp
	v_lshlrev_b32_e32 v9, v6, v5
	v_lshlrev_b32_e32 v6, 23, v6
	v_lshrrev_b32_e32 v9, 4, v9
	v_add_u32_e32 v7, 0x1000000, v5
	v_sub_u32_e32 v6, v9, v6
	v_ashrrev_i32_e32 v7, 8, v7
	v_add_u32_e32 v6, 0x3c000000, v6
	v_and_or_b32 v6, v7, s0, v6
	v_cmp_ne_u32_e32 vcc, 0, v5
	v_cndmask_b32_e32 v5, 0, v6, vcc
	s_brev_b32 s0, 1
	v_and_or_b32 v1, v1, s0, v5
	v_cvt_f16_f32_e32 v5, v1
.LBB127_114:
	s_mov_b64 s[0:1], 0
.LBB127_115:
	s_andn2_b64 vcc, exec, s[0:1]
	s_cbranch_vccnz .LBB127_117
; %bb.116:
	global_load_ubyte v1, v[3:4], off
	s_movk_i32 s0, 0x7f00
	s_brev_b32 s1, 16
	s_waitcnt vmcnt(0)
	v_lshlrev_b16_e32 v5, 8, v1
	v_lshlrev_b32_e32 v1, 25, v1
	v_lshrrev_b32_e32 v6, 4, v1
	v_and_or_b32 v7, v5, s0, 0.5
	v_or_b32_e32 v6, 0x70000000, v6
	v_add_f32_e32 v7, -0.5, v7
	v_mul_f32_e32 v6, 0x7800000, v6
	v_cmp_gt_u32_e32 vcc, s1, v1
	v_bfe_i32 v5, v5, 0, 16
	v_cndmask_b32_e32 v1, v6, v7, vcc
	s_brev_b32 s0, 1
	v_and_or_b32 v1, v5, s0, v1
	v_cvt_f16_f32_e32 v5, v1
.LBB127_117:
	s_mov_b64 s[38:39], 0
	s_mov_b64 s[0:1], -1
.LBB127_118:
	s_andn2_b64 vcc, exec, s[38:39]
	s_cbranch_vccnz .LBB127_131
; %bb.119:
	s_cmp_gt_i32 s47, 14
	s_cbranch_scc0 .LBB127_122
; %bb.120:
	s_cmp_eq_u32 s47, 15
	s_cbranch_scc0 .LBB127_125
; %bb.121:
	global_load_ushort v1, v[3:4], off
	s_mov_b64 s[0:1], -1
	s_mov_b64 s[42:43], 0
	s_waitcnt vmcnt(0)
	v_lshlrev_b32_e32 v1, 16, v1
	v_cvt_f16_f32_e32 v5, v1
	s_branch .LBB127_126
.LBB127_122:
	s_mov_b64 s[38:39], -1
                                        ; implicit-def: $vgpr5
	s_branch .LBB127_127
.LBB127_123:
	s_or_saveexec_b64 s[38:39], s[38:39]
	v_mov_b32_e32 v5, 0x7e00
	s_xor_b64 exec, exec, s[38:39]
	s_cbranch_execz .LBB127_104
.LBB127_124:
	v_cmp_ne_u16_e32 vcc, 0, v1
	s_andn2_b64 s[0:1], s[0:1], exec
	s_and_b64 s[40:41], vcc, exec
	s_or_b64 s[0:1], s[0:1], s[40:41]
	v_mov_b32_e32 v5, v1
	s_or_b64 exec, exec, s[38:39]
	s_and_saveexec_b64 s[38:39], s[0:1]
	s_cbranch_execnz .LBB127_105
	s_branch .LBB127_106
.LBB127_125:
	s_mov_b64 s[42:43], -1
                                        ; implicit-def: $vgpr5
.LBB127_126:
	s_mov_b64 s[38:39], 0
.LBB127_127:
	s_and_b64 vcc, exec, s[38:39]
	s_cbranch_vccz .LBB127_131
; %bb.128:
	s_cmp_eq_u32 s47, 11
	s_cbranch_scc0 .LBB127_130
; %bb.129:
	global_load_ubyte v1, v[3:4], off
	v_mov_b32_e32 v5, 0x3c00
	s_mov_b64 s[0:1], -1
	s_mov_b64 s[42:43], 0
	s_waitcnt vmcnt(0)
	v_cmp_ne_u16_e32 vcc, 0, v1
	v_cndmask_b32_e32 v5, 0, v5, vcc
	s_branch .LBB127_131
.LBB127_130:
	s_mov_b64 s[42:43], -1
                                        ; implicit-def: $vgpr5
.LBB127_131:
	s_branch .LBB127_21
.LBB127_132:
	s_and_b32 s38, 0xffff, s46
	s_cmp_lt_i32 s38, 5
	s_cbranch_scc1 .LBB127_137
; %bb.133:
	s_cmp_lt_i32 s38, 8
	s_cbranch_scc1 .LBB127_138
; %bb.134:
	;; [unrolled: 3-line block ×3, first 2 shown]
	s_cmp_gt_i32 s38, 9
	s_cbranch_scc0 .LBB127_140
; %bb.136:
	global_load_dwordx2 v[5:6], v[3:4], off
	s_movk_i32 s0, 0x1ff
	s_movk_i32 s1, 0xffe
	v_mov_b32_e32 v1, 0x7c00
	v_mov_b32_e32 v7, 0x7e00
	s_movk_i32 s39, 0x40f
	s_mov_b32 s40, 0x8000
	s_waitcnt vmcnt(0)
	v_and_or_b32 v5, v6, s0, v5
	v_cmp_ne_u32_e32 vcc, 0, v5
	v_lshrrev_b32_e32 v9, 8, v6
	v_bfe_u32 v10, v6, 20, 11
	v_cndmask_b32_e64 v5, 0, 1, vcc
	v_sub_u32_e32 v11, 0x3f1, v10
	v_and_or_b32 v5, v9, s1, v5
	v_add_u32_e32 v10, 0xfffffc10, v10
	v_med3_i32 v9, v11, 0, 13
	v_or_b32_e32 v11, 0x1000, v5
	v_cmp_ne_u32_e32 vcc, 0, v5
	v_lshl_or_b32 v12, v10, 12, v5
	v_cndmask_b32_e32 v5, v1, v7, vcc
	v_lshrrev_b32_e32 v7, v9, v11
	v_lshlrev_b32_e32 v9, v9, v7
	v_cmp_ne_u32_e32 vcc, v9, v11
	v_cndmask_b32_e64 v9, 0, 1, vcc
	v_or_b32_e32 v7, v7, v9
	v_cmp_gt_i32_e32 vcc, 1, v10
	v_cndmask_b32_e32 v7, v12, v7, vcc
	v_and_b32_e32 v9, 7, v7
	v_cmp_lt_i32_e32 vcc, 5, v9
	v_cndmask_b32_e64 v11, 0, 1, vcc
	v_cmp_eq_u32_e32 vcc, 3, v9
	v_cndmask_b32_e64 v9, 0, 1, vcc
	v_lshrrev_b32_e32 v7, 2, v7
	v_or_b32_e32 v9, v9, v11
	v_add_u32_e32 v7, v7, v9
	v_cmp_gt_i32_e32 vcc, 31, v10
	v_cndmask_b32_e32 v1, v1, v7, vcc
	v_cmp_eq_u32_e32 vcc, s39, v10
	v_lshrrev_b32_e32 v6, 16, v6
	v_cndmask_b32_e32 v1, v1, v5, vcc
	v_and_or_b32 v5, v6, s40, v1
	s_mov_b64 s[0:1], 0
	s_branch .LBB127_141
.LBB127_137:
                                        ; implicit-def: $vgpr5
	s_branch .LBB127_159
.LBB127_138:
	s_mov_b64 s[0:1], -1
                                        ; implicit-def: $vgpr5
	s_branch .LBB127_147
.LBB127_139:
	s_mov_b64 s[0:1], -1
                                        ; implicit-def: $vgpr5
	s_branch .LBB127_144
.LBB127_140:
	s_mov_b64 s[0:1], -1
                                        ; implicit-def: $vgpr5
.LBB127_141:
	s_andn2_b64 vcc, exec, s[0:1]
	s_cbranch_vccnz .LBB127_143
; %bb.142:
	global_load_dword v1, v[3:4], off
	s_waitcnt vmcnt(0)
	v_cvt_f16_f32_e32 v5, v1
.LBB127_143:
	s_mov_b64 s[0:1], 0
.LBB127_144:
	s_andn2_b64 vcc, exec, s[0:1]
	s_cbranch_vccnz .LBB127_146
; %bb.145:
	global_load_dword v5, v[3:4], off
.LBB127_146:
	s_mov_b64 s[0:1], 0
.LBB127_147:
	s_andn2_b64 vcc, exec, s[0:1]
	s_cbranch_vccnz .LBB127_158
; %bb.148:
	s_cmp_lt_i32 s38, 6
	s_cbranch_scc1 .LBB127_151
; %bb.149:
	s_cmp_gt_i32 s38, 6
	s_cbranch_scc0 .LBB127_152
; %bb.150:
	global_load_dwordx2 v[5:6], v[3:4], off
	s_movk_i32 s0, 0x1ff
	s_movk_i32 s1, 0xffe
	v_mov_b32_e32 v1, 0x7c00
	v_mov_b32_e32 v7, 0x7e00
	s_movk_i32 s39, 0x40f
	s_mov_b32 s40, 0x8000
	s_waitcnt vmcnt(0)
	v_and_or_b32 v5, v6, s0, v5
	v_cmp_ne_u32_e32 vcc, 0, v5
	v_lshrrev_b32_e32 v9, 8, v6
	v_bfe_u32 v10, v6, 20, 11
	v_cndmask_b32_e64 v5, 0, 1, vcc
	v_sub_u32_e32 v11, 0x3f1, v10
	v_and_or_b32 v5, v9, s1, v5
	v_add_u32_e32 v10, 0xfffffc10, v10
	v_med3_i32 v9, v11, 0, 13
	v_or_b32_e32 v11, 0x1000, v5
	v_cmp_ne_u32_e32 vcc, 0, v5
	v_lshl_or_b32 v12, v10, 12, v5
	v_cndmask_b32_e32 v5, v1, v7, vcc
	v_lshrrev_b32_e32 v7, v9, v11
	v_lshlrev_b32_e32 v9, v9, v7
	v_cmp_ne_u32_e32 vcc, v9, v11
	v_cndmask_b32_e64 v9, 0, 1, vcc
	v_or_b32_e32 v7, v7, v9
	v_cmp_gt_i32_e32 vcc, 1, v10
	v_cndmask_b32_e32 v7, v12, v7, vcc
	v_and_b32_e32 v9, 7, v7
	v_cmp_lt_i32_e32 vcc, 5, v9
	v_cndmask_b32_e64 v11, 0, 1, vcc
	v_cmp_eq_u32_e32 vcc, 3, v9
	v_cndmask_b32_e64 v9, 0, 1, vcc
	v_lshrrev_b32_e32 v7, 2, v7
	v_or_b32_e32 v9, v9, v11
	v_add_u32_e32 v7, v7, v9
	v_cmp_gt_i32_e32 vcc, 31, v10
	v_cndmask_b32_e32 v1, v1, v7, vcc
	v_cmp_eq_u32_e32 vcc, s39, v10
	v_lshrrev_b32_e32 v6, 16, v6
	v_cndmask_b32_e32 v1, v1, v5, vcc
	v_and_or_b32 v5, v6, s40, v1
	s_mov_b64 s[0:1], 0
	s_branch .LBB127_153
.LBB127_151:
	s_mov_b64 s[0:1], -1
                                        ; implicit-def: $vgpr5
	s_branch .LBB127_156
.LBB127_152:
	s_mov_b64 s[0:1], -1
                                        ; implicit-def: $vgpr5
.LBB127_153:
	s_andn2_b64 vcc, exec, s[0:1]
	s_cbranch_vccnz .LBB127_155
; %bb.154:
	global_load_dword v1, v[3:4], off
	s_waitcnt vmcnt(0)
	v_cvt_f16_f32_e32 v5, v1
.LBB127_155:
	s_mov_b64 s[0:1], 0
.LBB127_156:
	s_andn2_b64 vcc, exec, s[0:1]
	s_cbranch_vccnz .LBB127_158
; %bb.157:
	global_load_ushort v5, v[3:4], off
.LBB127_158:
	s_cbranch_execnz .LBB127_178
.LBB127_159:
	s_cmp_lt_i32 s38, 2
	s_cbranch_scc1 .LBB127_163
; %bb.160:
	s_cmp_lt_i32 s38, 3
	s_cbranch_scc1 .LBB127_164
; %bb.161:
	s_cmp_gt_i32 s38, 3
	s_cbranch_scc0 .LBB127_165
; %bb.162:
	global_load_dwordx2 v[5:6], v[3:4], off
	s_mov_b64 s[0:1], 0
	s_waitcnt vmcnt(0)
	v_xor_b32_e32 v7, v5, v6
	v_ffbh_i32_e32 v1, v6
	v_ashrrev_i32_e32 v7, 31, v7
	v_add_u32_e32 v1, -1, v1
	v_add_u32_e32 v7, 32, v7
	v_min_u32_e32 v1, v1, v7
	v_lshlrev_b64 v[5:6], v1, v[5:6]
	v_sub_u32_e32 v1, 32, v1
	v_min_u32_e32 v5, 1, v5
	v_or_b32_e32 v5, v6, v5
	v_cvt_f32_i32_e32 v5, v5
	v_ldexp_f32 v1, v5, v1
	v_cvt_f16_f32_e32 v5, v1
	s_branch .LBB127_166
.LBB127_163:
	s_mov_b64 s[0:1], -1
                                        ; implicit-def: $vgpr5
	s_branch .LBB127_172
.LBB127_164:
	s_mov_b64 s[0:1], -1
                                        ; implicit-def: $vgpr5
	s_branch .LBB127_169
.LBB127_165:
	s_mov_b64 s[0:1], -1
                                        ; implicit-def: $vgpr5
.LBB127_166:
	s_andn2_b64 vcc, exec, s[0:1]
	s_cbranch_vccnz .LBB127_168
; %bb.167:
	global_load_dword v1, v[3:4], off
	s_waitcnt vmcnt(0)
	v_cvt_f32_i32_e32 v1, v1
	v_cvt_f16_f32_e32 v5, v1
.LBB127_168:
	s_mov_b64 s[0:1], 0
.LBB127_169:
	s_andn2_b64 vcc, exec, s[0:1]
	s_cbranch_vccnz .LBB127_171
; %bb.170:
	global_load_ushort v1, v[3:4], off
	s_waitcnt vmcnt(0)
	v_cvt_f16_i16_e32 v5, v1
.LBB127_171:
	s_mov_b64 s[0:1], 0
.LBB127_172:
	s_andn2_b64 vcc, exec, s[0:1]
	s_cbranch_vccnz .LBB127_178
; %bb.173:
	s_cmp_gt_i32 s38, 0
	s_cbranch_scc0 .LBB127_175
; %bb.174:
	global_load_sbyte v1, v[3:4], off
	s_mov_b64 s[0:1], 0
	s_waitcnt vmcnt(0)
	v_cvt_f16_i16_e32 v5, v1
	s_branch .LBB127_176
.LBB127_175:
	s_mov_b64 s[0:1], -1
                                        ; implicit-def: $vgpr5
.LBB127_176:
	s_andn2_b64 vcc, exec, s[0:1]
	s_cbranch_vccnz .LBB127_178
; %bb.177:
	global_load_ubyte v1, v[3:4], off
	s_waitcnt vmcnt(0)
	v_cvt_f16_u16_e32 v5, v1
.LBB127_178:
	s_branch .LBB127_22
.LBB127_179:
	s_mov_b64 s[0:1], 0
	s_mov_b64 s[40:41], 0
	s_branch .LBB127_408
.LBB127_180:
	s_mov_b64 s[40:41], -1
.LBB127_181:
	s_mov_b64 s[0:1], 0
                                        ; implicit-def: $vgpr3
.LBB127_182:
	s_and_b64 vcc, exec, s[38:39]
	s_cbranch_vccz .LBB127_298
; %bb.183:
	s_cmp_eq_u32 s51, 44
	s_cbranch_scc0 .LBB127_297
; %bb.184:
	global_load_ubyte v3, v[1:2], off
	s_movk_i32 s38, 0xff
	v_mov_b32_e32 v6, 0x7e00
	s_mov_b64 s[0:1], -1
	s_mov_b64 s[40:41], 0
	s_waitcnt vmcnt(0)
	v_lshlrev_b32_e32 v4, 23, v3
	v_cvt_f16_f32_e32 v4, v4
	v_cmp_ne_u32_e32 vcc, s38, v3
	v_cndmask_b32_e32 v4, v6, v4, vcc
	v_cmp_ne_u32_e32 vcc, 0, v3
	v_cndmask_b32_e32 v3, 0, v4, vcc
	s_branch .LBB127_298
.LBB127_185:
	s_mov_b64 s[50:51], -1
	s_mov_b64 s[0:1], 0
	s_mov_b64 s[46:47], 0
.LBB127_186:
	s_and_b64 vcc, exec, s[50:51]
	s_cbranch_vccz .LBB127_191
; %bb.187:
	s_cmp_eq_u32 s55, 44
	s_mov_b64 s[0:1], -1
	s_cbranch_scc0 .LBB127_191
; %bb.188:
	s_waitcnt vmcnt(0)
	v_cndmask_b32_e64 v3, 0, 1.0, s[38:39]
	v_lshrrev_b32_e32 v2, 23, v3
	s_movk_i32 s0, 0xff
	v_cmp_ne_u32_e32 vcc, s0, v2
	v_mov_b32_e32 v4, 0xff
	s_and_saveexec_b64 s[46:47], vcc
; %bb.189:
	s_mov_b32 s0, 0x3fffff
	v_and_b32_e32 v4, 0x400000, v3
	v_and_or_b32 v3, v3, s0, v2
	v_cmp_ne_u32_e32 vcc, 0, v4
	v_cmp_ne_u32_e64 s[0:1], 0, v3
	s_and_b64 s[0:1], vcc, s[0:1]
	v_cndmask_b32_e64 v3, 0, 1, s[0:1]
	v_add_u32_e32 v4, v2, v3
; %bb.190:
	s_or_b64 exec, exec, s[46:47]
	s_mov_b64 s[46:47], -1
	s_mov_b64 s[0:1], 0
	global_store_byte v[0:1], v4, off
.LBB127_191:
	s_mov_b64 s[50:51], 0
.LBB127_192:
	s_and_b64 vcc, exec, s[50:51]
	s_cbranch_vccz .LBB127_195
; %bb.193:
	s_cmp_eq_u32 s55, 29
	s_mov_b64 s[0:1], -1
	s_cbranch_scc0 .LBB127_195
; %bb.194:
	s_mov_b32 s0, 0
	v_cndmask_b32_e64 v2, 0, 1, s[38:39]
	s_waitcnt vmcnt(0)
	v_mov_b32_e32 v3, s0
	global_store_dwordx2 v[0:1], v[2:3], off
	s_mov_b64 s[46:47], -1
	s_mov_b64 s[0:1], 0
.LBB127_195:
	s_mov_b64 s[50:51], 0
.LBB127_196:
	s_and_b64 vcc, exec, s[50:51]
	s_cbranch_vccz .LBB127_212
; %bb.197:
	s_cmp_lt_i32 s55, 27
	s_mov_b64 s[46:47], -1
	s_cbranch_scc1 .LBB127_203
; %bb.198:
	s_cmp_gt_i32 s55, 27
	s_cbranch_scc0 .LBB127_200
; %bb.199:
	v_cndmask_b32_e64 v2, 0, 1, s[38:39]
	s_mov_b64 s[46:47], 0
	global_store_dword v[0:1], v2, off
.LBB127_200:
	s_andn2_b64 vcc, exec, s[46:47]
	s_cbranch_vccnz .LBB127_202
; %bb.201:
	v_cndmask_b32_e64 v2, 0, 1, s[38:39]
	global_store_short v[0:1], v2, off
.LBB127_202:
	s_mov_b64 s[46:47], 0
.LBB127_203:
	s_andn2_b64 vcc, exec, s[46:47]
	s_cbranch_vccnz .LBB127_211
; %bb.204:
	s_waitcnt vmcnt(0)
	v_cndmask_b32_e64 v3, 0, 1.0, s[38:39]
	s_mov_b32 s46, 0x43800000
	v_cmp_gt_u32_e32 vcc, s46, v3
	v_mov_b32_e32 v4, 0x80
	s_and_saveexec_b64 s[46:47], vcc
	s_cbranch_execz .LBB127_210
; %bb.205:
	s_mov_b32 s50, 0x3bffffff
	v_cmp_lt_u32_e32 vcc, s50, v3
	s_mov_b64 s[50:51], 0
                                        ; implicit-def: $vgpr2
	s_and_saveexec_b64 s[52:53], vcc
	s_xor_b64 s[52:53], exec, s[52:53]
	s_cbranch_execz .LBB127_450
; %bb.206:
	v_bfe_u32 v2, v3, 20, 1
	s_mov_b32 s56, 0x487ffff
	v_add3_u32 v2, v3, v2, s56
	s_mov_b64 s[50:51], exec
	v_lshrrev_b32_e32 v2, 20, v2
                                        ; implicit-def: $vgpr3
	s_andn2_saveexec_b64 s[52:53], s[52:53]
	s_cbranch_execnz .LBB127_451
.LBB127_207:
	s_or_b64 exec, exec, s[52:53]
	v_mov_b32_e32 v4, 0
	s_and_saveexec_b64 s[52:53], s[50:51]
.LBB127_208:
	v_mov_b32_e32 v4, v2
.LBB127_209:
	s_or_b64 exec, exec, s[52:53]
.LBB127_210:
	s_or_b64 exec, exec, s[46:47]
	global_store_byte v[0:1], v4, off
.LBB127_211:
	s_mov_b64 s[46:47], -1
.LBB127_212:
	s_mov_b64 s[50:51], 0
.LBB127_213:
	s_and_b64 vcc, exec, s[50:51]
	s_cbranch_vccz .LBB127_254
; %bb.214:
	s_cmp_gt_i32 s55, 22
	s_mov_b64 s[50:51], -1
	s_cbranch_scc0 .LBB127_246
; %bb.215:
	s_cmp_lt_i32 s55, 24
	s_mov_b64 s[46:47], -1
	s_cbranch_scc1 .LBB127_235
; %bb.216:
	s_cmp_gt_i32 s55, 24
	s_cbranch_scc0 .LBB127_224
; %bb.217:
	s_waitcnt vmcnt(0)
	v_cndmask_b32_e64 v3, 0, 1.0, s[38:39]
	s_mov_b32 s46, 0x47800000
	v_cmp_gt_u32_e32 vcc, s46, v3
	v_mov_b32_e32 v4, 0x80
	s_and_saveexec_b64 s[46:47], vcc
	s_cbranch_execz .LBB127_223
; %bb.218:
	s_mov_b32 s50, 0x37ffffff
	v_cmp_lt_u32_e32 vcc, s50, v3
	s_mov_b64 s[50:51], 0
                                        ; implicit-def: $vgpr2
	s_and_saveexec_b64 s[52:53], vcc
	s_xor_b64 s[52:53], exec, s[52:53]
	s_cbranch_execz .LBB127_569
; %bb.219:
	v_bfe_u32 v2, v3, 21, 1
	s_mov_b32 s56, 0x88fffff
	v_add3_u32 v2, v3, v2, s56
	s_mov_b64 s[50:51], exec
	v_lshrrev_b32_e32 v2, 21, v2
                                        ; implicit-def: $vgpr3
	s_andn2_saveexec_b64 s[52:53], s[52:53]
	s_cbranch_execnz .LBB127_570
.LBB127_220:
	s_or_b64 exec, exec, s[52:53]
	v_mov_b32_e32 v4, 0
	s_and_saveexec_b64 s[52:53], s[50:51]
.LBB127_221:
	v_mov_b32_e32 v4, v2
.LBB127_222:
	s_or_b64 exec, exec, s[52:53]
.LBB127_223:
	s_or_b64 exec, exec, s[46:47]
	s_mov_b64 s[46:47], 0
	global_store_byte v[0:1], v4, off
.LBB127_224:
	s_and_b64 vcc, exec, s[46:47]
	s_cbranch_vccz .LBB127_234
; %bb.225:
	v_cndmask_b32_e64 v2, 0, 1.0, s[38:39]
	s_mov_b32 s46, 0x43f00000
	v_cmp_gt_u32_e32 vcc, s46, v2
                                        ; implicit-def: $vgpr3
	s_and_saveexec_b64 s[46:47], vcc
	s_xor_b64 s[46:47], exec, s[46:47]
	s_cbranch_execz .LBB127_231
; %bb.226:
	s_mov_b32 s50, 0x3c7fffff
	v_cmp_lt_u32_e32 vcc, s50, v2
                                        ; implicit-def: $vgpr3
	s_and_saveexec_b64 s[50:51], vcc
	s_xor_b64 s[50:51], exec, s[50:51]
	s_cbranch_execz .LBB127_228
; %bb.227:
	s_waitcnt vmcnt(0)
	v_bfe_u32 v3, v2, 20, 1
	s_mov_b32 s52, 0x407ffff
	v_add3_u32 v2, v2, v3, s52
	v_lshrrev_b32_e32 v3, 20, v2
	v_and_b32_e32 v2, 0xff00000, v2
	s_mov_b32 s52, 0x7f00000
	v_mov_b32_e32 v4, 0x7e
	v_cmp_ne_u32_e32 vcc, s52, v2
	v_cndmask_b32_e32 v3, v4, v3, vcc
                                        ; implicit-def: $vgpr2
.LBB127_228:
	s_andn2_saveexec_b64 s[50:51], s[50:51]
	s_cbranch_execz .LBB127_230
; %bb.229:
	s_waitcnt vmcnt(0)
	v_add_f32_e32 v3, 0x46800000, v2
.LBB127_230:
	s_or_b64 exec, exec, s[50:51]
                                        ; implicit-def: $vgpr2
.LBB127_231:
	s_andn2_saveexec_b64 s[46:47], s[46:47]
	s_cbranch_execz .LBB127_233
; %bb.232:
	s_mov_b32 s50, 0x7f800000
	s_waitcnt vmcnt(0)
	v_mov_b32_e32 v3, 0x7e
	v_mov_b32_e32 v4, 0x7f
	v_cmp_lt_u32_e32 vcc, s50, v2
	v_cndmask_b32_e32 v3, v3, v4, vcc
.LBB127_233:
	s_or_b64 exec, exec, s[46:47]
	s_waitcnt vmcnt(0)
	global_store_byte v[0:1], v3, off
.LBB127_234:
	s_mov_b64 s[46:47], 0
.LBB127_235:
	s_andn2_b64 vcc, exec, s[46:47]
	s_cbranch_vccnz .LBB127_245
; %bb.236:
	v_cndmask_b32_e64 v2, 0, 1.0, s[38:39]
	s_mov_b32 s46, 0x47800000
	v_cmp_gt_u32_e32 vcc, s46, v2
                                        ; implicit-def: $vgpr3
	s_and_saveexec_b64 s[46:47], vcc
	s_xor_b64 s[46:47], exec, s[46:47]
	s_cbranch_execz .LBB127_242
; %bb.237:
	s_mov_b32 s50, 0x387fffff
	v_cmp_lt_u32_e32 vcc, s50, v2
                                        ; implicit-def: $vgpr3
	s_and_saveexec_b64 s[50:51], vcc
	s_xor_b64 s[50:51], exec, s[50:51]
	s_cbranch_execz .LBB127_239
; %bb.238:
	s_waitcnt vmcnt(0)
	v_bfe_u32 v3, v2, 21, 1
	s_mov_b32 s52, 0x80fffff
	v_add3_u32 v2, v2, v3, s52
	v_lshrrev_b32_e32 v3, 21, v2
                                        ; implicit-def: $vgpr2
.LBB127_239:
	s_andn2_saveexec_b64 s[50:51], s[50:51]
	s_cbranch_execz .LBB127_241
; %bb.240:
	s_waitcnt vmcnt(0)
	v_add_f32_e32 v3, 0x43000000, v2
.LBB127_241:
	s_or_b64 exec, exec, s[50:51]
                                        ; implicit-def: $vgpr2
.LBB127_242:
	s_andn2_saveexec_b64 s[46:47], s[46:47]
	s_cbranch_execz .LBB127_244
; %bb.243:
	s_mov_b32 s50, 0x7f800000
	s_waitcnt vmcnt(0)
	v_mov_b32_e32 v3, 0x7c
	v_mov_b32_e32 v4, 0x7f
	v_cmp_lt_u32_e32 vcc, s50, v2
	v_cndmask_b32_e32 v3, v3, v4, vcc
.LBB127_244:
	s_or_b64 exec, exec, s[46:47]
	s_waitcnt vmcnt(0)
	global_store_byte v[0:1], v3, off
.LBB127_245:
	s_mov_b64 s[50:51], 0
	s_mov_b64 s[46:47], -1
.LBB127_246:
	s_andn2_b64 vcc, exec, s[50:51]
	s_cbranch_vccnz .LBB127_254
; %bb.247:
	s_cmp_gt_i32 s55, 14
	s_mov_b64 s[50:51], -1
	s_cbranch_scc0 .LBB127_251
; %bb.248:
	s_cmp_eq_u32 s55, 15
	s_mov_b64 s[0:1], -1
	s_cbranch_scc0 .LBB127_250
; %bb.249:
	v_cndmask_b32_e64 v2, 0, 1.0, s[38:39]
	s_waitcnt vmcnt(0)
	v_bfe_u32 v3, v2, 16, 1
	s_movk_i32 s0, 0x7fff
	v_add3_u32 v2, v2, v3, s0
	global_store_short_d16_hi v[0:1], v2, off
	s_mov_b64 s[46:47], -1
	s_mov_b64 s[0:1], 0
.LBB127_250:
	s_mov_b64 s[50:51], 0
.LBB127_251:
	s_and_b64 vcc, exec, s[50:51]
	s_cbranch_vccz .LBB127_254
; %bb.252:
	s_cmp_eq_u32 s55, 11
	s_mov_b64 s[0:1], -1
	s_cbranch_scc0 .LBB127_254
; %bb.253:
	v_cndmask_b32_e64 v2, 0, 1, s[38:39]
	s_mov_b64 s[46:47], -1
	s_mov_b64 s[0:1], 0
	global_store_byte v[0:1], v2, off
.LBB127_254:
	s_mov_b64 s[50:51], 0
.LBB127_255:
	s_and_b64 vcc, exec, s[50:51]
	s_cbranch_vccz .LBB127_294
; %bb.256:
	s_and_b32 s50, 0xffff, s54
	s_cmp_lt_i32 s50, 5
	s_mov_b64 s[46:47], -1
	s_cbranch_scc1 .LBB127_277
; %bb.257:
	s_cmp_lt_i32 s50, 8
	s_cbranch_scc1 .LBB127_267
; %bb.258:
	s_cmp_lt_i32 s50, 9
	s_cbranch_scc1 .LBB127_264
; %bb.259:
	s_cmp_gt_i32 s50, 9
	s_cbranch_scc0 .LBB127_261
; %bb.260:
	v_cndmask_b32_e64 v2, 0, 1, s[38:39]
	s_waitcnt vmcnt(0)
	v_cvt_f64_u32_e32 v[2:3], v2
	v_mov_b32_e32 v4, 0
	v_mov_b32_e32 v5, v4
	s_mov_b64 s[46:47], 0
	global_store_dwordx4 v[0:1], v[2:5], off
.LBB127_261:
	s_andn2_b64 vcc, exec, s[46:47]
	s_cbranch_vccnz .LBB127_263
; %bb.262:
	v_cndmask_b32_e64 v2, 0, 1.0, s[38:39]
	s_waitcnt vmcnt(0)
	v_mov_b32_e32 v3, 0
	global_store_dwordx2 v[0:1], v[2:3], off
.LBB127_263:
	s_mov_b64 s[46:47], 0
.LBB127_264:
	s_andn2_b64 vcc, exec, s[46:47]
	s_cbranch_vccnz .LBB127_266
; %bb.265:
	v_cndmask_b32_e64 v2, 0, 1.0, s[38:39]
	v_cvt_f16_f32_e32 v2, v2
	global_store_dword v[0:1], v2, off
.LBB127_266:
	s_mov_b64 s[46:47], 0
.LBB127_267:
	s_andn2_b64 vcc, exec, s[46:47]
	s_cbranch_vccnz .LBB127_276
; %bb.268:
	s_cmp_lt_i32 s50, 6
	s_mov_b64 s[46:47], -1
	s_cbranch_scc1 .LBB127_274
; %bb.269:
	s_cmp_gt_i32 s50, 6
	s_cbranch_scc0 .LBB127_271
; %bb.270:
	v_cndmask_b32_e64 v2, 0, 1, s[38:39]
	s_waitcnt vmcnt(0)
	v_cvt_f64_u32_e32 v[2:3], v2
	s_mov_b64 s[46:47], 0
	global_store_dwordx2 v[0:1], v[2:3], off
.LBB127_271:
	s_andn2_b64 vcc, exec, s[46:47]
	s_cbranch_vccnz .LBB127_273
; %bb.272:
	v_cndmask_b32_e64 v2, 0, 1.0, s[38:39]
	global_store_dword v[0:1], v2, off
.LBB127_273:
	s_mov_b64 s[46:47], 0
.LBB127_274:
	s_andn2_b64 vcc, exec, s[46:47]
	s_cbranch_vccnz .LBB127_276
; %bb.275:
	v_cndmask_b32_e64 v2, 0, 1.0, s[38:39]
	v_cvt_f16_f32_e32 v2, v2
	global_store_short v[0:1], v2, off
.LBB127_276:
	s_mov_b64 s[46:47], 0
.LBB127_277:
	s_andn2_b64 vcc, exec, s[46:47]
	s_cbranch_vccnz .LBB127_293
; %bb.278:
	s_cmp_lt_i32 s50, 2
	s_mov_b64 s[46:47], -1
	s_cbranch_scc1 .LBB127_288
; %bb.279:
	s_cmp_lt_i32 s50, 3
	s_cbranch_scc1 .LBB127_285
; %bb.280:
	s_cmp_gt_i32 s50, 3
	s_cbranch_scc0 .LBB127_282
; %bb.281:
	s_mov_b32 s46, 0
	v_cndmask_b32_e64 v2, 0, 1, s[38:39]
	s_waitcnt vmcnt(0)
	v_mov_b32_e32 v3, s46
	global_store_dwordx2 v[0:1], v[2:3], off
	s_mov_b64 s[46:47], 0
.LBB127_282:
	s_andn2_b64 vcc, exec, s[46:47]
	s_cbranch_vccnz .LBB127_284
; %bb.283:
	v_cndmask_b32_e64 v2, 0, 1, s[38:39]
	global_store_dword v[0:1], v2, off
.LBB127_284:
	s_mov_b64 s[46:47], 0
.LBB127_285:
	s_andn2_b64 vcc, exec, s[46:47]
	s_cbranch_vccnz .LBB127_287
; %bb.286:
	v_cndmask_b32_e64 v2, 0, 1, s[38:39]
	global_store_short v[0:1], v2, off
.LBB127_287:
	s_mov_b64 s[46:47], 0
.LBB127_288:
	s_andn2_b64 vcc, exec, s[46:47]
	s_cbranch_vccnz .LBB127_293
; %bb.289:
	s_cmp_gt_i32 s50, 0
	s_mov_b64 s[46:47], -1
	s_cbranch_scc0 .LBB127_291
; %bb.290:
	v_cndmask_b32_e64 v2, 0, 1, s[38:39]
	global_store_byte v[0:1], v2, off
	s_mov_b64 s[46:47], 0
.LBB127_291:
	s_andn2_b64 vcc, exec, s[46:47]
	s_cbranch_vccnz .LBB127_293
; %bb.292:
	v_cndmask_b32_e64 v2, 0, 1, s[38:39]
	global_store_byte v[0:1], v2, off
.LBB127_293:
	s_mov_b64 s[46:47], -1
.LBB127_294:
	s_andn2_b64 vcc, exec, s[46:47]
	s_cbranch_vccnz .LBB127_296
; %bb.295:
	v_add_u32_e32 v8, 0x80, v8
	s_mov_b64 s[46:47], -1
	s_branch .LBB127_409
.LBB127_296:
	s_mov_b64 s[46:47], 0
                                        ; implicit-def: $vgpr8
	s_branch .LBB127_409
.LBB127_297:
	s_mov_b64 s[40:41], -1
                                        ; implicit-def: $vgpr3
.LBB127_298:
	s_mov_b64 s[38:39], 0
.LBB127_299:
	s_and_b64 vcc, exec, s[38:39]
	s_cbranch_vccz .LBB127_303
; %bb.300:
	s_cmp_eq_u32 s51, 29
	s_cbranch_scc0 .LBB127_302
; %bb.301:
	global_load_dwordx2 v[3:4], v[1:2], off
	s_mov_b64 s[0:1], -1
	s_mov_b64 s[40:41], 0
	s_mov_b64 s[38:39], 0
	s_waitcnt vmcnt(0)
	v_ffbh_u32_e32 v6, v4
	v_min_u32_e32 v6, 32, v6
	v_lshlrev_b64 v[3:4], v6, v[3:4]
	v_min_u32_e32 v3, 1, v3
	v_or_b32_e32 v3, v4, v3
	v_cvt_f32_u32_e32 v3, v3
	v_sub_u32_e32 v4, 32, v6
	v_ldexp_f32 v3, v3, v4
	v_cvt_f16_f32_e32 v3, v3
	s_branch .LBB127_304
.LBB127_302:
	s_mov_b64 s[40:41], -1
                                        ; implicit-def: $vgpr3
.LBB127_303:
	s_mov_b64 s[38:39], 0
.LBB127_304:
	s_and_b64 vcc, exec, s[38:39]
	s_cbranch_vccz .LBB127_322
; %bb.305:
	s_cmp_lt_i32 s51, 27
	s_cbranch_scc1 .LBB127_308
; %bb.306:
	s_cmp_gt_i32 s51, 27
	s_cbranch_scc0 .LBB127_309
; %bb.307:
	global_load_dword v3, v[1:2], off
	s_mov_b64 s[0:1], 0
	s_waitcnt vmcnt(0)
	v_cvt_f32_u32_e32 v3, v3
	v_cvt_f16_f32_e32 v3, v3
	s_branch .LBB127_310
.LBB127_308:
	s_mov_b64 s[0:1], -1
                                        ; implicit-def: $vgpr3
	s_branch .LBB127_313
.LBB127_309:
	s_mov_b64 s[0:1], -1
                                        ; implicit-def: $vgpr3
.LBB127_310:
	s_andn2_b64 vcc, exec, s[0:1]
	s_cbranch_vccnz .LBB127_312
; %bb.311:
	global_load_ushort v3, v[1:2], off
	s_waitcnt vmcnt(0)
	v_cvt_f16_u16_e32 v3, v3
.LBB127_312:
	s_mov_b64 s[0:1], 0
.LBB127_313:
	s_andn2_b64 vcc, exec, s[0:1]
	s_cbranch_vccnz .LBB127_321
; %bb.314:
	global_load_ubyte v4, v[1:2], off
	s_movk_i32 s0, 0x7f
	s_waitcnt vmcnt(0)
	v_cmp_lt_i16_e32 vcc, s0, v4
	s_mov_b64 s[0:1], 0
	s_and_saveexec_b64 s[38:39], vcc
	s_xor_b64 s[38:39], exec, s[38:39]
	s_cbranch_execz .LBB127_335
; %bb.315:
	s_movk_i32 s0, 0x80
	v_cmp_eq_u16_e32 vcc, s0, v4
	s_mov_b64 s[0:1], -1
	s_and_saveexec_b64 s[46:47], vcc
; %bb.316:
	s_xor_b64 s[0:1], exec, -1
; %bb.317:
	s_or_b64 exec, exec, s[46:47]
	s_and_b64 s[0:1], s[0:1], exec
	s_or_saveexec_b64 s[38:39], s[38:39]
	v_mov_b32_e32 v3, 0x7e00
	s_xor_b64 exec, exec, s[38:39]
	s_cbranch_execnz .LBB127_336
.LBB127_318:
	s_or_b64 exec, exec, s[38:39]
	s_and_saveexec_b64 s[38:39], s[0:1]
	s_cbranch_execz .LBB127_320
.LBB127_319:
	v_lshlrev_b32_e32 v3, 24, v4
	v_and_b32_e32 v4, 0xffff, v4
	v_and_b32_e32 v6, 7, v4
	v_ffbh_u32_e32 v9, v6
	v_min_u32_e32 v9, 32, v9
	v_subrev_u32_e32 v10, 28, v9
	v_bfe_u32 v7, v4, 3, 4
	v_lshlrev_b32_e32 v4, v10, v4
	v_sub_u32_e32 v9, 29, v9
	v_and_b32_e32 v4, 7, v4
	v_cmp_eq_u32_e32 vcc, 0, v7
	v_cndmask_b32_e32 v7, v7, v9, vcc
	v_cndmask_b32_e32 v4, v6, v4, vcc
	v_mov_b32_e32 v6, 0x3b800000
	v_lshlrev_b32_e32 v4, 20, v4
	v_and_b32_e32 v3, 0x80000000, v3
	v_lshl_add_u32 v6, v7, 23, v6
	v_or3_b32 v3, v3, v6, v4
	v_cvt_f16_f32_e32 v3, v3
.LBB127_320:
	s_or_b64 exec, exec, s[38:39]
.LBB127_321:
	s_mov_b64 s[0:1], -1
.LBB127_322:
	s_mov_b64 s[38:39], 0
.LBB127_323:
	s_and_b64 vcc, exec, s[38:39]
	s_cbranch_vccz .LBB127_358
; %bb.324:
	s_cmp_gt_i32 s51, 22
	s_cbranch_scc0 .LBB127_334
; %bb.325:
	s_cmp_lt_i32 s51, 24
	s_cbranch_scc1 .LBB127_337
; %bb.326:
	s_cmp_gt_i32 s51, 24
	s_cbranch_scc0 .LBB127_338
; %bb.327:
	global_load_ubyte v4, v[1:2], off
	s_movk_i32 s0, 0x7f
	s_waitcnt vmcnt(0)
	v_cmp_lt_i16_e32 vcc, s0, v4
	s_mov_b64 s[0:1], 0
	s_and_saveexec_b64 s[38:39], vcc
	s_xor_b64 s[38:39], exec, s[38:39]
	s_cbranch_execz .LBB127_350
; %bb.328:
	s_movk_i32 s0, 0x80
	v_cmp_eq_u16_e32 vcc, s0, v4
	s_mov_b64 s[0:1], -1
	s_and_saveexec_b64 s[46:47], vcc
; %bb.329:
	s_xor_b64 s[0:1], exec, -1
; %bb.330:
	s_or_b64 exec, exec, s[46:47]
	s_and_b64 s[0:1], s[0:1], exec
	s_or_saveexec_b64 s[38:39], s[38:39]
	v_mov_b32_e32 v3, 0x7e00
	s_xor_b64 exec, exec, s[38:39]
	s_cbranch_execnz .LBB127_351
.LBB127_331:
	s_or_b64 exec, exec, s[38:39]
	s_and_saveexec_b64 s[38:39], s[0:1]
	s_cbranch_execz .LBB127_333
.LBB127_332:
	v_lshlrev_b32_e32 v3, 24, v4
	v_and_b32_e32 v4, 0xffff, v4
	v_and_b32_e32 v6, 3, v4
	v_ffbh_u32_e32 v9, v6
	v_min_u32_e32 v9, 32, v9
	v_subrev_u32_e32 v10, 29, v9
	v_bfe_u32 v7, v4, 2, 5
	v_lshlrev_b32_e32 v4, v10, v4
	v_sub_u32_e32 v9, 30, v9
	v_and_b32_e32 v4, 3, v4
	v_cmp_eq_u32_e32 vcc, 0, v7
	v_cndmask_b32_e32 v7, v7, v9, vcc
	v_cndmask_b32_e32 v4, v6, v4, vcc
	v_mov_b32_e32 v6, 0x37800000
	v_lshlrev_b32_e32 v4, 21, v4
	v_and_b32_e32 v3, 0x80000000, v3
	v_lshl_add_u32 v6, v7, 23, v6
	v_or3_b32 v3, v3, v6, v4
	v_cvt_f16_f32_e32 v3, v3
.LBB127_333:
	s_or_b64 exec, exec, s[38:39]
	s_mov_b64 s[0:1], 0
	s_branch .LBB127_339
.LBB127_334:
	s_mov_b64 s[38:39], -1
                                        ; implicit-def: $vgpr3
	s_branch .LBB127_345
.LBB127_335:
	s_or_saveexec_b64 s[38:39], s[38:39]
	v_mov_b32_e32 v3, 0x7e00
	s_xor_b64 exec, exec, s[38:39]
	s_cbranch_execz .LBB127_318
.LBB127_336:
	v_cmp_ne_u16_e32 vcc, 0, v4
	s_andn2_b64 s[0:1], s[0:1], exec
	s_and_b64 s[46:47], vcc, exec
	s_or_b64 s[0:1], s[0:1], s[46:47]
	v_mov_b32_e32 v3, v4
	s_or_b64 exec, exec, s[38:39]
	s_and_saveexec_b64 s[38:39], s[0:1]
	s_cbranch_execnz .LBB127_319
	s_branch .LBB127_320
.LBB127_337:
	s_mov_b64 s[0:1], -1
                                        ; implicit-def: $vgpr3
	s_branch .LBB127_342
.LBB127_338:
	s_mov_b64 s[0:1], -1
                                        ; implicit-def: $vgpr3
.LBB127_339:
	s_and_b64 vcc, exec, s[0:1]
	s_cbranch_vccz .LBB127_341
; %bb.340:
	global_load_ubyte v3, v[1:2], off
	s_mov_b32 s0, 0x7f800000
	s_waitcnt vmcnt(0)
	v_lshlrev_b32_e32 v3, 24, v3
	v_and_b32_e32 v4, 0x7f000000, v3
	v_ffbh_u32_e32 v6, v4
	v_min_u32_e32 v6, 32, v6
	v_sub_u32_e64 v6, v6, 4 clamp
	v_lshlrev_b32_e32 v9, v6, v4
	v_lshlrev_b32_e32 v6, 23, v6
	v_lshrrev_b32_e32 v9, 4, v9
	v_add_u32_e32 v7, 0x1000000, v4
	v_sub_u32_e32 v6, v9, v6
	v_ashrrev_i32_e32 v7, 8, v7
	v_add_u32_e32 v6, 0x3c000000, v6
	v_and_or_b32 v6, v7, s0, v6
	v_cmp_ne_u32_e32 vcc, 0, v4
	v_cndmask_b32_e32 v4, 0, v6, vcc
	s_brev_b32 s0, 1
	v_and_or_b32 v3, v3, s0, v4
	v_cvt_f16_f32_e32 v3, v3
.LBB127_341:
	s_mov_b64 s[0:1], 0
.LBB127_342:
	s_andn2_b64 vcc, exec, s[0:1]
	s_cbranch_vccnz .LBB127_344
; %bb.343:
	global_load_ubyte v3, v[1:2], off
	s_movk_i32 s0, 0x7f00
	s_brev_b32 s1, 16
	s_waitcnt vmcnt(0)
	v_lshlrev_b16_e32 v4, 8, v3
	v_lshlrev_b32_e32 v3, 25, v3
	v_lshrrev_b32_e32 v6, 4, v3
	v_and_or_b32 v7, v4, s0, 0.5
	v_or_b32_e32 v6, 0x70000000, v6
	v_add_f32_e32 v7, -0.5, v7
	v_mul_f32_e32 v6, 0x7800000, v6
	v_cmp_gt_u32_e32 vcc, s1, v3
	v_bfe_i32 v4, v4, 0, 16
	v_cndmask_b32_e32 v3, v6, v7, vcc
	s_brev_b32 s0, 1
	v_and_or_b32 v3, v4, s0, v3
	v_cvt_f16_f32_e32 v3, v3
.LBB127_344:
	s_mov_b64 s[38:39], 0
	s_mov_b64 s[0:1], -1
.LBB127_345:
	s_andn2_b64 vcc, exec, s[38:39]
	s_cbranch_vccnz .LBB127_358
; %bb.346:
	s_cmp_gt_i32 s51, 14
	s_cbranch_scc0 .LBB127_349
; %bb.347:
	s_cmp_eq_u32 s51, 15
	s_cbranch_scc0 .LBB127_352
; %bb.348:
	global_load_ushort v3, v[1:2], off
	s_mov_b64 s[0:1], -1
	s_mov_b64 s[40:41], 0
	s_waitcnt vmcnt(0)
	v_lshlrev_b32_e32 v3, 16, v3
	v_cvt_f16_f32_e32 v3, v3
	s_branch .LBB127_353
.LBB127_349:
	s_mov_b64 s[38:39], -1
                                        ; implicit-def: $vgpr3
	s_branch .LBB127_354
.LBB127_350:
	s_or_saveexec_b64 s[38:39], s[38:39]
	v_mov_b32_e32 v3, 0x7e00
	s_xor_b64 exec, exec, s[38:39]
	s_cbranch_execz .LBB127_331
.LBB127_351:
	v_cmp_ne_u16_e32 vcc, 0, v4
	s_andn2_b64 s[0:1], s[0:1], exec
	s_and_b64 s[46:47], vcc, exec
	s_or_b64 s[0:1], s[0:1], s[46:47]
	v_mov_b32_e32 v3, v4
	s_or_b64 exec, exec, s[38:39]
	s_and_saveexec_b64 s[38:39], s[0:1]
	s_cbranch_execnz .LBB127_332
	s_branch .LBB127_333
.LBB127_352:
	s_mov_b64 s[40:41], -1
                                        ; implicit-def: $vgpr3
.LBB127_353:
	s_mov_b64 s[38:39], 0
.LBB127_354:
	s_and_b64 vcc, exec, s[38:39]
	s_cbranch_vccz .LBB127_358
; %bb.355:
	s_cmp_eq_u32 s51, 11
	s_cbranch_scc0 .LBB127_357
; %bb.356:
	global_load_ubyte v3, v[1:2], off
	v_mov_b32_e32 v4, 0x3c00
	s_mov_b64 s[0:1], -1
	s_mov_b64 s[40:41], 0
	s_waitcnt vmcnt(0)
	v_cmp_ne_u16_e32 vcc, 0, v3
	v_cndmask_b32_e32 v3, 0, v4, vcc
	s_branch .LBB127_358
.LBB127_357:
	s_mov_b64 s[40:41], -1
                                        ; implicit-def: $vgpr3
.LBB127_358:
	s_branch .LBB127_31
.LBB127_359:
	s_and_b32 s38, 0xffff, s50
	s_cmp_lt_i32 s38, 5
	s_cbranch_scc1 .LBB127_364
; %bb.360:
	s_cmp_lt_i32 s38, 8
	s_cbranch_scc1 .LBB127_365
; %bb.361:
	;; [unrolled: 3-line block ×3, first 2 shown]
	s_cmp_gt_i32 s38, 9
	s_cbranch_scc0 .LBB127_367
; %bb.363:
	global_load_dwordx2 v[3:4], v[1:2], off
	s_movk_i32 s0, 0x1ff
	s_movk_i32 s1, 0xffe
	v_mov_b32_e32 v6, 0x7c00
	v_mov_b32_e32 v7, 0x7e00
	s_movk_i32 s39, 0x40f
	s_mov_b32 s46, 0x8000
	s_waitcnt vmcnt(0)
	v_and_or_b32 v3, v4, s0, v3
	v_cmp_ne_u32_e32 vcc, 0, v3
	v_lshrrev_b32_e32 v9, 8, v4
	v_bfe_u32 v10, v4, 20, 11
	v_cndmask_b32_e64 v3, 0, 1, vcc
	v_sub_u32_e32 v11, 0x3f1, v10
	v_and_or_b32 v3, v9, s1, v3
	v_add_u32_e32 v10, 0xfffffc10, v10
	v_med3_i32 v9, v11, 0, 13
	v_or_b32_e32 v11, 0x1000, v3
	v_cmp_ne_u32_e32 vcc, 0, v3
	v_lshl_or_b32 v12, v10, 12, v3
	v_cndmask_b32_e32 v3, v6, v7, vcc
	v_lshrrev_b32_e32 v7, v9, v11
	v_lshlrev_b32_e32 v9, v9, v7
	v_cmp_ne_u32_e32 vcc, v9, v11
	v_cndmask_b32_e64 v9, 0, 1, vcc
	v_or_b32_e32 v7, v7, v9
	v_cmp_gt_i32_e32 vcc, 1, v10
	v_cndmask_b32_e32 v7, v12, v7, vcc
	v_and_b32_e32 v9, 7, v7
	v_cmp_lt_i32_e32 vcc, 5, v9
	v_cndmask_b32_e64 v11, 0, 1, vcc
	v_cmp_eq_u32_e32 vcc, 3, v9
	v_cndmask_b32_e64 v9, 0, 1, vcc
	v_lshrrev_b32_e32 v7, 2, v7
	v_or_b32_e32 v9, v9, v11
	v_add_u32_e32 v7, v7, v9
	v_cmp_gt_i32_e32 vcc, 31, v10
	v_cndmask_b32_e32 v6, v6, v7, vcc
	v_cmp_eq_u32_e32 vcc, s39, v10
	v_lshrrev_b32_e32 v4, 16, v4
	v_cndmask_b32_e32 v3, v6, v3, vcc
	v_and_or_b32 v3, v4, s46, v3
	s_mov_b64 s[0:1], 0
	s_branch .LBB127_368
.LBB127_364:
	s_mov_b64 s[0:1], -1
                                        ; implicit-def: $vgpr3
	s_branch .LBB127_386
.LBB127_365:
	s_mov_b64 s[0:1], -1
                                        ; implicit-def: $vgpr3
	s_branch .LBB127_374
.LBB127_366:
	s_mov_b64 s[0:1], -1
                                        ; implicit-def: $vgpr3
	s_branch .LBB127_371
.LBB127_367:
	s_mov_b64 s[0:1], -1
                                        ; implicit-def: $vgpr3
.LBB127_368:
	s_andn2_b64 vcc, exec, s[0:1]
	s_cbranch_vccnz .LBB127_370
; %bb.369:
	global_load_dword v3, v[1:2], off
	s_waitcnt vmcnt(0)
	v_cvt_f16_f32_e32 v3, v3
.LBB127_370:
	s_mov_b64 s[0:1], 0
.LBB127_371:
	s_andn2_b64 vcc, exec, s[0:1]
	s_cbranch_vccnz .LBB127_373
; %bb.372:
	global_load_dword v3, v[1:2], off
.LBB127_373:
	s_mov_b64 s[0:1], 0
.LBB127_374:
	s_andn2_b64 vcc, exec, s[0:1]
	s_cbranch_vccnz .LBB127_385
; %bb.375:
	s_cmp_lt_i32 s38, 6
	s_cbranch_scc1 .LBB127_378
; %bb.376:
	s_cmp_gt_i32 s38, 6
	s_cbranch_scc0 .LBB127_379
; %bb.377:
	global_load_dwordx2 v[3:4], v[1:2], off
	s_movk_i32 s0, 0x1ff
	s_movk_i32 s1, 0xffe
	v_mov_b32_e32 v6, 0x7c00
	v_mov_b32_e32 v7, 0x7e00
	s_movk_i32 s39, 0x40f
	s_mov_b32 s46, 0x8000
	s_waitcnt vmcnt(0)
	v_and_or_b32 v3, v4, s0, v3
	v_cmp_ne_u32_e32 vcc, 0, v3
	v_lshrrev_b32_e32 v9, 8, v4
	v_bfe_u32 v10, v4, 20, 11
	v_cndmask_b32_e64 v3, 0, 1, vcc
	v_sub_u32_e32 v11, 0x3f1, v10
	v_and_or_b32 v3, v9, s1, v3
	v_add_u32_e32 v10, 0xfffffc10, v10
	v_med3_i32 v9, v11, 0, 13
	v_or_b32_e32 v11, 0x1000, v3
	v_cmp_ne_u32_e32 vcc, 0, v3
	v_lshl_or_b32 v12, v10, 12, v3
	v_cndmask_b32_e32 v3, v6, v7, vcc
	v_lshrrev_b32_e32 v7, v9, v11
	v_lshlrev_b32_e32 v9, v9, v7
	v_cmp_ne_u32_e32 vcc, v9, v11
	v_cndmask_b32_e64 v9, 0, 1, vcc
	v_or_b32_e32 v7, v7, v9
	v_cmp_gt_i32_e32 vcc, 1, v10
	v_cndmask_b32_e32 v7, v12, v7, vcc
	v_and_b32_e32 v9, 7, v7
	v_cmp_lt_i32_e32 vcc, 5, v9
	v_cndmask_b32_e64 v11, 0, 1, vcc
	v_cmp_eq_u32_e32 vcc, 3, v9
	v_cndmask_b32_e64 v9, 0, 1, vcc
	v_lshrrev_b32_e32 v7, 2, v7
	v_or_b32_e32 v9, v9, v11
	v_add_u32_e32 v7, v7, v9
	v_cmp_gt_i32_e32 vcc, 31, v10
	v_cndmask_b32_e32 v6, v6, v7, vcc
	v_cmp_eq_u32_e32 vcc, s39, v10
	v_lshrrev_b32_e32 v4, 16, v4
	v_cndmask_b32_e32 v3, v6, v3, vcc
	v_and_or_b32 v3, v4, s46, v3
	s_mov_b64 s[0:1], 0
	s_branch .LBB127_380
.LBB127_378:
	s_mov_b64 s[0:1], -1
                                        ; implicit-def: $vgpr3
	s_branch .LBB127_383
.LBB127_379:
	s_mov_b64 s[0:1], -1
                                        ; implicit-def: $vgpr3
.LBB127_380:
	s_andn2_b64 vcc, exec, s[0:1]
	s_cbranch_vccnz .LBB127_382
; %bb.381:
	global_load_dword v3, v[1:2], off
	s_waitcnt vmcnt(0)
	v_cvt_f16_f32_e32 v3, v3
.LBB127_382:
	s_mov_b64 s[0:1], 0
.LBB127_383:
	s_andn2_b64 vcc, exec, s[0:1]
	s_cbranch_vccnz .LBB127_385
; %bb.384:
	global_load_ushort v3, v[1:2], off
.LBB127_385:
	s_mov_b64 s[0:1], 0
.LBB127_386:
	s_andn2_b64 vcc, exec, s[0:1]
	s_cbranch_vccnz .LBB127_406
; %bb.387:
	s_cmp_lt_i32 s38, 2
	s_cbranch_scc1 .LBB127_391
; %bb.388:
	s_cmp_lt_i32 s38, 3
	s_cbranch_scc1 .LBB127_392
; %bb.389:
	s_cmp_gt_i32 s38, 3
	s_cbranch_scc0 .LBB127_393
; %bb.390:
	global_load_dwordx2 v[3:4], v[1:2], off
	s_mov_b64 s[0:1], 0
	s_waitcnt vmcnt(0)
	v_xor_b32_e32 v7, v3, v4
	v_ffbh_i32_e32 v6, v4
	v_ashrrev_i32_e32 v7, 31, v7
	v_add_u32_e32 v6, -1, v6
	v_add_u32_e32 v7, 32, v7
	v_min_u32_e32 v6, v6, v7
	v_lshlrev_b64 v[3:4], v6, v[3:4]
	v_min_u32_e32 v3, 1, v3
	v_or_b32_e32 v3, v4, v3
	v_cvt_f32_i32_e32 v3, v3
	v_sub_u32_e32 v4, 32, v6
	v_ldexp_f32 v3, v3, v4
	v_cvt_f16_f32_e32 v3, v3
	s_branch .LBB127_394
.LBB127_391:
	s_mov_b64 s[0:1], -1
                                        ; implicit-def: $vgpr3
	s_branch .LBB127_400
.LBB127_392:
	s_mov_b64 s[0:1], -1
                                        ; implicit-def: $vgpr3
	s_branch .LBB127_397
.LBB127_393:
	s_mov_b64 s[0:1], -1
                                        ; implicit-def: $vgpr3
.LBB127_394:
	s_andn2_b64 vcc, exec, s[0:1]
	s_cbranch_vccnz .LBB127_396
; %bb.395:
	global_load_dword v3, v[1:2], off
	s_waitcnt vmcnt(0)
	v_cvt_f32_i32_e32 v3, v3
	v_cvt_f16_f32_e32 v3, v3
.LBB127_396:
	s_mov_b64 s[0:1], 0
.LBB127_397:
	s_andn2_b64 vcc, exec, s[0:1]
	s_cbranch_vccnz .LBB127_399
; %bb.398:
	global_load_ushort v3, v[1:2], off
	s_waitcnt vmcnt(0)
	v_cvt_f16_i16_e32 v3, v3
.LBB127_399:
	s_mov_b64 s[0:1], 0
.LBB127_400:
	s_andn2_b64 vcc, exec, s[0:1]
	s_cbranch_vccnz .LBB127_406
; %bb.401:
	s_cmp_gt_i32 s38, 0
	s_cbranch_scc0 .LBB127_403
; %bb.402:
	global_load_sbyte v3, v[1:2], off
	s_mov_b64 s[0:1], 0
	s_waitcnt vmcnt(0)
	v_cvt_f16_i16_e32 v3, v3
	s_branch .LBB127_404
.LBB127_403:
	s_mov_b64 s[0:1], -1
                                        ; implicit-def: $vgpr3
.LBB127_404:
	s_andn2_b64 vcc, exec, s[0:1]
	s_cbranch_vccnz .LBB127_406
; %bb.405:
	global_load_ubyte v1, v[1:2], off
	s_waitcnt vmcnt(0)
	v_cvt_f16_u16_e32 v3, v1
.LBB127_406:
	s_branch .LBB127_32
.LBB127_407:
	s_mov_b64 s[0:1], 0
.LBB127_408:
                                        ; implicit-def: $vgpr8
	s_mov_b64 s[46:47], 0
.LBB127_409:
	s_and_b64 s[38:39], s[0:1], exec
	s_and_b64 s[40:41], s[40:41], exec
	;; [unrolled: 1-line block ×3, first 2 shown]
	s_orn2_b64 s[0:1], s[46:47], exec
.LBB127_410:
	s_or_b64 exec, exec, s[44:45]
	s_mov_b64 s[52:53], 0
	s_mov_b64 s[50:51], 0
                                        ; implicit-def: $sgpr74
                                        ; implicit-def: $vgpr3_vgpr4
                                        ; implicit-def: $vgpr0
                                        ; implicit-def: $vgpr2
                                        ; implicit-def: $vgpr5
	s_and_saveexec_b64 s[44:45], s[0:1]
	s_cbranch_execz .LBB127_418
; %bb.411:
	v_cmp_gt_i32_e32 vcc, s68, v8
	s_mov_b64 s[0:1], -1
	s_mov_b64 s[46:47], s[42:43]
	s_mov_b64 s[48:49], s[40:41]
	;; [unrolled: 1-line block ×3, first 2 shown]
	s_and_saveexec_b64 s[52:53], vcc
	s_cbranch_execz .LBB127_828
; %bb.412:
	s_andn2_b64 vcc, exec, s[24:25]
	s_cbranch_vccnz .LBB127_421
; %bb.413:
	s_andn2_b64 vcc, exec, s[36:37]
	s_cbranch_vccnz .LBB127_422
; %bb.414:
	s_add_i32 s0, s73, 1
	s_and_b32 s46, s0, 30
	s_add_u32 s0, s2, 0xffffffe8
	s_addc_u32 s1, s3, -1
	v_mov_b32_e32 v2, 0
	v_mov_b32_e32 v4, 0
	;; [unrolled: 1-line block ×4, first 2 shown]
.LBB127_415:                            ; =>This Inner Loop Header: Depth=1
	s_load_dwordx4 s[48:51], s[0:1], 0x1c
	s_load_dwordx2 s[54:55], s[0:1], 0x2c
	s_load_dwordx2 s[60:61], s[0:1], 0xec
	s_load_dwordx4 s[56:59], s[0:1], 0xdc
	s_add_u32 s0, s0, 24
	s_waitcnt vmcnt(0) lgkmcnt(0)
	v_mul_hi_u32 v3, s49, v1
	s_addc_u32 s1, s1, 0
	s_add_i32 s46, s46, -2
	s_cmp_eq_u32 s46, 0
	v_add_u32_e32 v3, v1, v3
	v_lshrrev_b32_e32 v3, s50, v3
	v_mul_lo_u32 v5, v3, s48
	v_mul_hi_u32 v6, s54, v3
	v_sub_u32_e32 v5, v1, v5
	v_add_u32_e32 v1, v3, v6
	v_lshrrev_b32_e32 v1, s55, v1
	v_mul_lo_u32 v9, v1, s51
	v_mul_lo_u32 v6, v5, s56
	;; [unrolled: 1-line block ×4, first 2 shown]
	v_sub_u32_e32 v3, v3, v9
	v_mul_lo_u32 v9, v3, s59
	v_mul_lo_u32 v10, v3, s60
	;; [unrolled: 1-line block ×3, first 2 shown]
	v_add3_u32 v0, v6, v0, v9
	v_add3_u32 v4, v7, v4, v10
	;; [unrolled: 1-line block ×3, first 2 shown]
	s_cbranch_scc0 .LBB127_415
; %bb.416:
	s_bitcmp1_b32 s73, 0
	s_cselect_b64 s[46:47], -1, 0
	s_and_b64 vcc, exec, s[46:47]
	s_cbranch_vccnz .LBB127_423
; %bb.417:
	s_load_dwordx2 s[46:47], s[0:1], 0x1c
	s_load_dword s50, s[0:1], 0x24
	s_load_dwordx2 s[48:49], s[0:1], 0xdc
	s_waitcnt lgkmcnt(0)
	v_mul_hi_u32 v3, s47, v1
	v_add_u32_e32 v3, v1, v3
	v_lshrrev_b32_e32 v3, s50, v3
	v_mul_lo_u32 v3, v3, s46
	s_load_dword s46, s[0:1], 0xe4
	v_sub_u32_e32 v3, v1, v3
	v_mad_u64_u32 v[0:1], s[0:1], v3, s48, v[0:1]
	v_mad_u64_u32 v[4:5], s[0:1], v3, s49, v[4:5]
	s_waitcnt lgkmcnt(0)
	v_mad_u64_u32 v[2:3], s[0:1], v3, s46, v[2:3]
	s_branch .LBB127_423
.LBB127_418:
	s_or_b64 exec, exec, s[44:45]
	s_mov_b64 s[10:11], 0
	s_and_saveexec_b64 s[0:1], s[42:43]
	s_cbranch_execnz .LBB127_1343
.LBB127_419:
	s_or_b64 exec, exec, s[0:1]
	s_and_saveexec_b64 s[0:1], s[48:49]
	s_xor_b64 s[0:1], exec, s[0:1]
	s_cbranch_execz .LBB127_1344
.LBB127_420:
	s_waitcnt vmcnt(0)
	global_load_ubyte v1, v[3:4], off
	v_mov_b32_e32 v5, 0x3c00
	s_or_b64 s[50:51], s[50:51], exec
	s_waitcnt vmcnt(0)
	v_cmp_ne_u16_e32 vcc, 0, v1
	v_cndmask_b32_e32 v5, 0, v5, vcc
	s_or_b64 exec, exec, s[0:1]
	s_and_saveexec_b64 s[0:1], s[52:53]
	s_cbranch_execz .LBB127_1390
	s_branch .LBB127_1345
.LBB127_421:
                                        ; implicit-def: $vgpr0
                                        ; implicit-def: $vgpr4
                                        ; implicit-def: $vgpr2
	s_andn2_b64 vcc, exec, s[0:1]
	s_cbranch_vccz .LBB127_424
	s_branch .LBB127_426
.LBB127_422:
	v_mov_b32_e32 v0, 0
	v_mov_b32_e32 v4, 0
	v_mov_b32_e32 v2, 0
.LBB127_423:
	s_cbranch_execnz .LBB127_426
.LBB127_424:
	v_mul_hi_u32 v0, s17, v8
	s_andn2_b64 vcc, exec, s[34:35]
	v_add_u32_e32 v0, v8, v0
	v_lshrrev_b32_e32 v1, s18, v0
	v_mul_lo_u32 v0, v1, s16
	v_sub_u32_e32 v2, v8, v0
	v_mul_lo_u32 v0, v2, s20
	v_mul_lo_u32 v4, v2, s21
	;; [unrolled: 1-line block ×3, first 2 shown]
	s_cbranch_vccnz .LBB127_426
; %bb.425:
	s_waitcnt vmcnt(0)
	v_mul_hi_u32 v3, s30, v1
	v_add_u32_e32 v3, v1, v3
	v_lshrrev_b32_e32 v3, s31, v3
	v_mul_lo_u32 v3, v3, s19
	v_sub_u32_e32 v3, v1, v3
	v_mad_u64_u32 v[0:1], s[0:1], v3, s23, v[0:1]
	v_mad_u64_u32 v[4:5], s[0:1], v3, s28, v[4:5]
	;; [unrolled: 1-line block ×3, first 2 shown]
.LBB127_426:
	v_mov_b32_e32 v1, s11
	s_and_b32 s54, s72, 0xff
	s_waitcnt vmcnt(0)
	v_add_co_u32_e32 v3, vcc, s10, v4
	s_cmp_lt_i32 s54, 11
	v_addc_co_u32_e32 v4, vcc, 0, v1, vcc
	s_cbranch_scc1 .LBB127_433
; %bb.427:
	s_and_b32 s55, 0xffff, s54
	s_cmp_gt_i32 s55, 25
	s_cbranch_scc0 .LBB127_442
; %bb.428:
	s_cmp_gt_i32 s55, 28
	s_cbranch_scc0 .LBB127_444
; %bb.429:
	s_cmp_gt_i32 s55, 43
	s_cbranch_scc0 .LBB127_446
; %bb.430:
	s_cmp_gt_i32 s55, 45
	s_cbranch_scc0 .LBB127_448
; %bb.431:
	s_cmp_eq_u32 s55, 46
	s_mov_b64 s[48:49], 0
	s_cbranch_scc0 .LBB127_452
; %bb.432:
	global_load_dword v1, v[3:4], off
	s_mov_b64 s[0:1], -1
	s_mov_b64 s[46:47], 0
	s_waitcnt vmcnt(0)
	v_lshlrev_b32_e32 v1, 16, v1
	v_cvt_f16_f32_e32 v5, v1
	s_branch .LBB127_453
.LBB127_433:
	s_mov_b64 s[0:1], 0
                                        ; implicit-def: $vgpr5
	s_mov_b64 s[46:47], s[42:43]
	s_cbranch_execnz .LBB127_519
.LBB127_434:
	s_andn2_b64 vcc, exec, s[0:1]
	s_cbranch_vccnz .LBB127_567
.LBB127_435:
	v_mov_b32_e32 v3, s13
	s_and_b32 s56, s71, 0xff
	v_add_co_u32_e32 v1, vcc, s12, v2
	s_cmp_lt_i32 s56, 11
	v_addc_co_u32_e32 v2, vcc, 0, v3, vcc
	s_cbranch_scc1 .LBB127_443
; %bb.436:
	s_and_b32 s57, 0xffff, s56
	s_cmp_gt_i32 s57, 25
	s_cbranch_scc0 .LBB127_445
; %bb.437:
	s_cmp_gt_i32 s57, 28
	s_cbranch_scc0 .LBB127_447
; %bb.438:
	;; [unrolled: 3-line block ×4, first 2 shown]
	s_cmp_eq_u32 s57, 46
	s_mov_b64 s[50:51], 0
	s_cbranch_scc0 .LBB127_571
; %bb.441:
	global_load_dword v3, v[1:2], off
	s_mov_b64 s[0:1], -1
	s_mov_b64 s[48:49], 0
	s_waitcnt vmcnt(0)
	v_lshlrev_b32_e32 v3, 16, v3
	v_cvt_f16_f32_e32 v3, v3
	s_branch .LBB127_572
.LBB127_442:
	s_mov_b64 s[48:49], -1
	s_mov_b64 s[0:1], 0
	s_mov_b64 s[46:47], s[42:43]
                                        ; implicit-def: $vgpr5
	s_branch .LBB127_483
.LBB127_443:
	s_mov_b64 s[50:51], -1
	s_mov_b64 s[0:1], 0
                                        ; implicit-def: $vgpr3
	s_mov_b64 s[48:49], s[40:41]
	s_branch .LBB127_637
.LBB127_444:
	s_mov_b64 s[48:49], -1
	s_mov_b64 s[0:1], 0
	s_mov_b64 s[46:47], s[42:43]
                                        ; implicit-def: $vgpr5
	s_branch .LBB127_464
.LBB127_445:
	s_mov_b64 s[50:51], -1
	s_mov_b64 s[0:1], 0
	s_mov_b64 s[48:49], s[40:41]
                                        ; implicit-def: $vgpr3
	s_branch .LBB127_601
.LBB127_446:
	s_mov_b64 s[48:49], -1
	s_mov_b64 s[0:1], 0
	s_mov_b64 s[46:47], s[42:43]
                                        ; implicit-def: $vgpr5
	s_branch .LBB127_459
.LBB127_447:
	s_mov_b64 s[50:51], -1
	s_mov_b64 s[0:1], 0
	s_mov_b64 s[48:49], s[40:41]
                                        ; implicit-def: $vgpr3
	s_branch .LBB127_582
.LBB127_448:
	s_mov_b64 s[48:49], -1
	s_mov_b64 s[0:1], 0
	s_mov_b64 s[46:47], s[42:43]
                                        ; implicit-def: $vgpr5
	s_branch .LBB127_453
.LBB127_449:
	s_mov_b64 s[50:51], -1
	s_mov_b64 s[0:1], 0
	s_mov_b64 s[48:49], s[40:41]
                                        ; implicit-def: $vgpr3
	s_branch .LBB127_577
.LBB127_450:
	s_andn2_saveexec_b64 s[52:53], s[52:53]
	s_cbranch_execz .LBB127_207
.LBB127_451:
	v_add_f32_e32 v2, 0x46000000, v3
	v_and_b32_e32 v2, 0xff, v2
	v_cmp_ne_u32_e32 vcc, 0, v2
	s_andn2_b64 s[50:51], s[50:51], exec
	s_and_b64 s[56:57], vcc, exec
	s_or_b64 s[50:51], s[50:51], s[56:57]
	s_or_b64 exec, exec, s[52:53]
	v_mov_b32_e32 v4, 0
	s_and_saveexec_b64 s[52:53], s[50:51]
	s_cbranch_execnz .LBB127_208
	s_branch .LBB127_209
.LBB127_452:
	s_mov_b64 s[46:47], -1
                                        ; implicit-def: $vgpr5
	s_mov_b64 s[0:1], 0
.LBB127_453:
	s_and_b64 vcc, exec, s[48:49]
	s_cbranch_vccz .LBB127_458
; %bb.454:
	s_cmp_eq_u32 s55, 44
	s_cbranch_scc0 .LBB127_457
; %bb.455:
	global_load_ubyte v1, v[3:4], off
	s_movk_i32 s46, 0xff
	v_mov_b32_e32 v6, 0x7e00
	s_mov_b64 s[0:1], -1
	s_waitcnt vmcnt(0)
	v_lshlrev_b32_e32 v5, 23, v1
	v_cvt_f16_f32_e32 v5, v5
	v_cmp_ne_u32_e32 vcc, s46, v1
	s_mov_b64 s[46:47], 0
	v_cndmask_b32_e32 v5, v6, v5, vcc
	v_cmp_ne_u32_e32 vcc, 0, v1
	v_cndmask_b32_e32 v5, 0, v5, vcc
	s_branch .LBB127_458
.LBB127_456:
	s_mov_b64 s[50:51], -1
	s_mov_b64 s[0:1], 0
	s_mov_b64 s[48:49], s[40:41]
                                        ; implicit-def: $vgpr3
	s_branch .LBB127_572
.LBB127_457:
	s_mov_b64 s[46:47], -1
                                        ; implicit-def: $vgpr5
.LBB127_458:
	s_mov_b64 s[48:49], 0
.LBB127_459:
	s_and_b64 vcc, exec, s[48:49]
	s_cbranch_vccz .LBB127_463
; %bb.460:
	s_cmp_eq_u32 s55, 29
	s_cbranch_scc0 .LBB127_462
; %bb.461:
	global_load_dwordx2 v[5:6], v[3:4], off
	s_mov_b64 s[0:1], -1
	s_mov_b64 s[46:47], 0
	s_mov_b64 s[48:49], 0
	s_waitcnt vmcnt(0)
	v_ffbh_u32_e32 v1, v6
	v_min_u32_e32 v1, 32, v1
	v_lshlrev_b64 v[5:6], v1, v[5:6]
	v_sub_u32_e32 v1, 32, v1
	v_min_u32_e32 v5, 1, v5
	v_or_b32_e32 v5, v6, v5
	v_cvt_f32_u32_e32 v5, v5
	v_ldexp_f32 v1, v5, v1
	v_cvt_f16_f32_e32 v5, v1
	s_branch .LBB127_464
.LBB127_462:
	s_mov_b64 s[46:47], -1
                                        ; implicit-def: $vgpr5
.LBB127_463:
	s_mov_b64 s[48:49], 0
.LBB127_464:
	s_and_b64 vcc, exec, s[48:49]
	s_cbranch_vccz .LBB127_482
; %bb.465:
	s_cmp_lt_i32 s55, 27
	s_cbranch_scc1 .LBB127_468
; %bb.466:
	s_cmp_gt_i32 s55, 27
	s_cbranch_scc0 .LBB127_469
; %bb.467:
	global_load_dword v1, v[3:4], off
	s_mov_b64 s[0:1], 0
	s_waitcnt vmcnt(0)
	v_cvt_f32_u32_e32 v1, v1
	v_cvt_f16_f32_e32 v5, v1
	s_branch .LBB127_470
.LBB127_468:
	s_mov_b64 s[0:1], -1
                                        ; implicit-def: $vgpr5
	s_branch .LBB127_473
.LBB127_469:
	s_mov_b64 s[0:1], -1
                                        ; implicit-def: $vgpr5
.LBB127_470:
	s_andn2_b64 vcc, exec, s[0:1]
	s_cbranch_vccnz .LBB127_472
; %bb.471:
	global_load_ushort v1, v[3:4], off
	s_waitcnt vmcnt(0)
	v_cvt_f16_u16_e32 v5, v1
.LBB127_472:
	s_mov_b64 s[0:1], 0
.LBB127_473:
	s_andn2_b64 vcc, exec, s[0:1]
	s_cbranch_vccnz .LBB127_481
; %bb.474:
	global_load_ubyte v1, v[3:4], off
	s_movk_i32 s0, 0x7f
	s_waitcnt vmcnt(0)
	v_cmp_lt_i16_e32 vcc, s0, v1
	s_mov_b64 s[0:1], 0
	s_and_saveexec_b64 s[48:49], vcc
	s_xor_b64 s[48:49], exec, s[48:49]
	s_cbranch_execz .LBB127_495
; %bb.475:
	s_movk_i32 s0, 0x80
	v_cmp_eq_u16_e32 vcc, s0, v1
	s_mov_b64 s[0:1], -1
	s_and_saveexec_b64 s[50:51], vcc
; %bb.476:
	s_xor_b64 s[0:1], exec, -1
; %bb.477:
	s_or_b64 exec, exec, s[50:51]
	s_and_b64 s[0:1], s[0:1], exec
	s_or_saveexec_b64 s[48:49], s[48:49]
	v_mov_b32_e32 v5, 0x7e00
	s_xor_b64 exec, exec, s[48:49]
	s_cbranch_execnz .LBB127_496
.LBB127_478:
	s_or_b64 exec, exec, s[48:49]
	s_and_saveexec_b64 s[48:49], s[0:1]
	s_cbranch_execz .LBB127_480
.LBB127_479:
	v_lshlrev_b32_e32 v5, 24, v1
	v_and_b32_e32 v1, 0xffff, v1
	v_and_b32_e32 v6, 7, v1
	v_ffbh_u32_e32 v9, v6
	v_min_u32_e32 v9, 32, v9
	v_subrev_u32_e32 v10, 28, v9
	v_bfe_u32 v7, v1, 3, 4
	v_lshlrev_b32_e32 v1, v10, v1
	v_sub_u32_e32 v9, 29, v9
	v_and_b32_e32 v1, 7, v1
	v_cmp_eq_u32_e32 vcc, 0, v7
	v_cndmask_b32_e32 v7, v7, v9, vcc
	v_cndmask_b32_e32 v1, v6, v1, vcc
	v_mov_b32_e32 v6, 0x3b800000
	v_lshlrev_b32_e32 v1, 20, v1
	v_and_b32_e32 v5, 0x80000000, v5
	v_lshl_add_u32 v6, v7, 23, v6
	v_or3_b32 v1, v5, v6, v1
	v_cvt_f16_f32_e32 v5, v1
.LBB127_480:
	s_or_b64 exec, exec, s[48:49]
.LBB127_481:
	s_mov_b64 s[0:1], -1
.LBB127_482:
	s_mov_b64 s[48:49], 0
.LBB127_483:
	s_and_b64 vcc, exec, s[48:49]
	s_cbranch_vccz .LBB127_518
; %bb.484:
	s_cmp_gt_i32 s55, 22
	s_cbranch_scc0 .LBB127_494
; %bb.485:
	s_cmp_lt_i32 s55, 24
	s_cbranch_scc1 .LBB127_497
; %bb.486:
	s_cmp_gt_i32 s55, 24
	s_cbranch_scc0 .LBB127_498
; %bb.487:
	global_load_ubyte v1, v[3:4], off
	s_movk_i32 s0, 0x7f
	s_waitcnt vmcnt(0)
	v_cmp_lt_i16_e32 vcc, s0, v1
	s_mov_b64 s[0:1], 0
	s_and_saveexec_b64 s[48:49], vcc
	s_xor_b64 s[48:49], exec, s[48:49]
	s_cbranch_execz .LBB127_510
; %bb.488:
	s_movk_i32 s0, 0x80
	v_cmp_eq_u16_e32 vcc, s0, v1
	s_mov_b64 s[0:1], -1
	s_and_saveexec_b64 s[50:51], vcc
; %bb.489:
	s_xor_b64 s[0:1], exec, -1
; %bb.490:
	s_or_b64 exec, exec, s[50:51]
	s_and_b64 s[0:1], s[0:1], exec
	s_or_saveexec_b64 s[48:49], s[48:49]
	v_mov_b32_e32 v5, 0x7e00
	s_xor_b64 exec, exec, s[48:49]
	s_cbranch_execnz .LBB127_511
.LBB127_491:
	s_or_b64 exec, exec, s[48:49]
	s_and_saveexec_b64 s[48:49], s[0:1]
	s_cbranch_execz .LBB127_493
.LBB127_492:
	v_lshlrev_b32_e32 v5, 24, v1
	v_and_b32_e32 v1, 0xffff, v1
	v_and_b32_e32 v6, 3, v1
	v_ffbh_u32_e32 v9, v6
	v_min_u32_e32 v9, 32, v9
	v_subrev_u32_e32 v10, 29, v9
	v_bfe_u32 v7, v1, 2, 5
	v_lshlrev_b32_e32 v1, v10, v1
	v_sub_u32_e32 v9, 30, v9
	v_and_b32_e32 v1, 3, v1
	v_cmp_eq_u32_e32 vcc, 0, v7
	v_cndmask_b32_e32 v7, v7, v9, vcc
	v_cndmask_b32_e32 v1, v6, v1, vcc
	v_mov_b32_e32 v6, 0x37800000
	v_lshlrev_b32_e32 v1, 21, v1
	v_and_b32_e32 v5, 0x80000000, v5
	v_lshl_add_u32 v6, v7, 23, v6
	v_or3_b32 v1, v5, v6, v1
	v_cvt_f16_f32_e32 v5, v1
.LBB127_493:
	s_or_b64 exec, exec, s[48:49]
	s_mov_b64 s[0:1], 0
	s_branch .LBB127_499
.LBB127_494:
	s_mov_b64 s[48:49], -1
                                        ; implicit-def: $vgpr5
	s_branch .LBB127_505
.LBB127_495:
	s_or_saveexec_b64 s[48:49], s[48:49]
	v_mov_b32_e32 v5, 0x7e00
	s_xor_b64 exec, exec, s[48:49]
	s_cbranch_execz .LBB127_478
.LBB127_496:
	v_cmp_ne_u16_e32 vcc, 0, v1
	s_andn2_b64 s[0:1], s[0:1], exec
	s_and_b64 s[50:51], vcc, exec
	s_or_b64 s[0:1], s[0:1], s[50:51]
	v_mov_b32_e32 v5, v1
	s_or_b64 exec, exec, s[48:49]
	s_and_saveexec_b64 s[48:49], s[0:1]
	s_cbranch_execnz .LBB127_479
	s_branch .LBB127_480
.LBB127_497:
	s_mov_b64 s[0:1], -1
                                        ; implicit-def: $vgpr5
	s_branch .LBB127_502
.LBB127_498:
	s_mov_b64 s[0:1], -1
                                        ; implicit-def: $vgpr5
.LBB127_499:
	s_and_b64 vcc, exec, s[0:1]
	s_cbranch_vccz .LBB127_501
; %bb.500:
	global_load_ubyte v1, v[3:4], off
	s_mov_b32 s0, 0x7f800000
	s_waitcnt vmcnt(0)
	v_lshlrev_b32_e32 v1, 24, v1
	v_and_b32_e32 v5, 0x7f000000, v1
	v_ffbh_u32_e32 v6, v5
	v_min_u32_e32 v6, 32, v6
	v_sub_u32_e64 v6, v6, 4 clamp
	v_lshlrev_b32_e32 v9, v6, v5
	v_lshlrev_b32_e32 v6, 23, v6
	v_lshrrev_b32_e32 v9, 4, v9
	v_add_u32_e32 v7, 0x1000000, v5
	v_sub_u32_e32 v6, v9, v6
	v_ashrrev_i32_e32 v7, 8, v7
	v_add_u32_e32 v6, 0x3c000000, v6
	v_and_or_b32 v6, v7, s0, v6
	v_cmp_ne_u32_e32 vcc, 0, v5
	v_cndmask_b32_e32 v5, 0, v6, vcc
	s_brev_b32 s0, 1
	v_and_or_b32 v1, v1, s0, v5
	v_cvt_f16_f32_e32 v5, v1
.LBB127_501:
	s_mov_b64 s[0:1], 0
.LBB127_502:
	s_andn2_b64 vcc, exec, s[0:1]
	s_cbranch_vccnz .LBB127_504
; %bb.503:
	global_load_ubyte v1, v[3:4], off
	s_movk_i32 s0, 0x7f00
	s_brev_b32 s1, 16
	s_waitcnt vmcnt(0)
	v_lshlrev_b16_e32 v5, 8, v1
	v_lshlrev_b32_e32 v1, 25, v1
	v_lshrrev_b32_e32 v6, 4, v1
	v_and_or_b32 v7, v5, s0, 0.5
	v_or_b32_e32 v6, 0x70000000, v6
	v_add_f32_e32 v7, -0.5, v7
	v_mul_f32_e32 v6, 0x7800000, v6
	v_cmp_gt_u32_e32 vcc, s1, v1
	v_bfe_i32 v5, v5, 0, 16
	v_cndmask_b32_e32 v1, v6, v7, vcc
	s_brev_b32 s0, 1
	v_and_or_b32 v1, v5, s0, v1
	v_cvt_f16_f32_e32 v5, v1
.LBB127_504:
	s_mov_b64 s[48:49], 0
	s_mov_b64 s[0:1], -1
.LBB127_505:
	s_andn2_b64 vcc, exec, s[48:49]
	s_cbranch_vccnz .LBB127_518
; %bb.506:
	s_cmp_gt_i32 s55, 14
	s_cbranch_scc0 .LBB127_509
; %bb.507:
	s_cmp_eq_u32 s55, 15
	s_cbranch_scc0 .LBB127_512
; %bb.508:
	global_load_ushort v1, v[3:4], off
	s_mov_b64 s[0:1], -1
	s_mov_b64 s[46:47], 0
	s_waitcnt vmcnt(0)
	v_lshlrev_b32_e32 v1, 16, v1
	v_cvt_f16_f32_e32 v5, v1
	s_branch .LBB127_513
.LBB127_509:
	s_mov_b64 s[48:49], -1
                                        ; implicit-def: $vgpr5
	s_branch .LBB127_514
.LBB127_510:
	s_or_saveexec_b64 s[48:49], s[48:49]
	v_mov_b32_e32 v5, 0x7e00
	s_xor_b64 exec, exec, s[48:49]
	s_cbranch_execz .LBB127_491
.LBB127_511:
	v_cmp_ne_u16_e32 vcc, 0, v1
	s_andn2_b64 s[0:1], s[0:1], exec
	s_and_b64 s[50:51], vcc, exec
	s_or_b64 s[0:1], s[0:1], s[50:51]
	v_mov_b32_e32 v5, v1
	s_or_b64 exec, exec, s[48:49]
	s_and_saveexec_b64 s[48:49], s[0:1]
	s_cbranch_execnz .LBB127_492
	s_branch .LBB127_493
.LBB127_512:
	s_mov_b64 s[46:47], -1
                                        ; implicit-def: $vgpr5
.LBB127_513:
	s_mov_b64 s[48:49], 0
.LBB127_514:
	s_and_b64 vcc, exec, s[48:49]
	s_cbranch_vccz .LBB127_518
; %bb.515:
	s_cmp_eq_u32 s55, 11
	s_cbranch_scc0 .LBB127_517
; %bb.516:
	global_load_ubyte v1, v[3:4], off
	v_mov_b32_e32 v5, 0x3c00
	s_mov_b64 s[0:1], -1
	s_mov_b64 s[46:47], 0
	s_waitcnt vmcnt(0)
	v_cmp_ne_u16_e32 vcc, 0, v1
	v_cndmask_b32_e32 v5, 0, v5, vcc
	s_branch .LBB127_518
.LBB127_517:
	s_mov_b64 s[46:47], -1
                                        ; implicit-def: $vgpr5
.LBB127_518:
	s_branch .LBB127_434
.LBB127_519:
	s_and_b32 s48, 0xffff, s54
	s_cmp_lt_i32 s48, 5
	s_cbranch_scc1 .LBB127_524
; %bb.520:
	s_cmp_lt_i32 s48, 8
	s_cbranch_scc1 .LBB127_525
; %bb.521:
	;; [unrolled: 3-line block ×3, first 2 shown]
	s_cmp_gt_i32 s48, 9
	s_cbranch_scc0 .LBB127_527
; %bb.523:
	global_load_dwordx2 v[5:6], v[3:4], off
	s_movk_i32 s0, 0x1ff
	s_movk_i32 s1, 0xffe
	v_mov_b32_e32 v1, 0x7c00
	v_mov_b32_e32 v7, 0x7e00
	s_movk_i32 s49, 0x40f
	s_mov_b32 s50, 0x8000
	s_waitcnt vmcnt(0)
	v_and_or_b32 v5, v6, s0, v5
	v_cmp_ne_u32_e32 vcc, 0, v5
	v_lshrrev_b32_e32 v9, 8, v6
	v_bfe_u32 v10, v6, 20, 11
	v_cndmask_b32_e64 v5, 0, 1, vcc
	v_sub_u32_e32 v11, 0x3f1, v10
	v_and_or_b32 v5, v9, s1, v5
	v_add_u32_e32 v10, 0xfffffc10, v10
	v_med3_i32 v9, v11, 0, 13
	v_or_b32_e32 v11, 0x1000, v5
	v_cmp_ne_u32_e32 vcc, 0, v5
	v_lshl_or_b32 v12, v10, 12, v5
	v_cndmask_b32_e32 v5, v1, v7, vcc
	v_lshrrev_b32_e32 v7, v9, v11
	v_lshlrev_b32_e32 v9, v9, v7
	v_cmp_ne_u32_e32 vcc, v9, v11
	v_cndmask_b32_e64 v9, 0, 1, vcc
	v_or_b32_e32 v7, v7, v9
	v_cmp_gt_i32_e32 vcc, 1, v10
	v_cndmask_b32_e32 v7, v12, v7, vcc
	v_and_b32_e32 v9, 7, v7
	v_cmp_lt_i32_e32 vcc, 5, v9
	v_cndmask_b32_e64 v11, 0, 1, vcc
	v_cmp_eq_u32_e32 vcc, 3, v9
	v_cndmask_b32_e64 v9, 0, 1, vcc
	v_lshrrev_b32_e32 v7, 2, v7
	v_or_b32_e32 v9, v9, v11
	v_add_u32_e32 v7, v7, v9
	v_cmp_gt_i32_e32 vcc, 31, v10
	v_cndmask_b32_e32 v1, v1, v7, vcc
	v_cmp_eq_u32_e32 vcc, s49, v10
	v_lshrrev_b32_e32 v6, 16, v6
	v_cndmask_b32_e32 v1, v1, v5, vcc
	v_and_or_b32 v5, v6, s50, v1
	s_mov_b64 s[0:1], 0
	s_branch .LBB127_528
.LBB127_524:
	s_mov_b64 s[0:1], -1
                                        ; implicit-def: $vgpr5
	s_branch .LBB127_546
.LBB127_525:
	s_mov_b64 s[0:1], -1
                                        ; implicit-def: $vgpr5
	s_branch .LBB127_534
.LBB127_526:
	s_mov_b64 s[0:1], -1
                                        ; implicit-def: $vgpr5
	s_branch .LBB127_531
.LBB127_527:
	s_mov_b64 s[0:1], -1
                                        ; implicit-def: $vgpr5
.LBB127_528:
	s_andn2_b64 vcc, exec, s[0:1]
	s_cbranch_vccnz .LBB127_530
; %bb.529:
	global_load_dword v1, v[3:4], off
	s_waitcnt vmcnt(0)
	v_cvt_f16_f32_e32 v5, v1
.LBB127_530:
	s_mov_b64 s[0:1], 0
.LBB127_531:
	s_andn2_b64 vcc, exec, s[0:1]
	s_cbranch_vccnz .LBB127_533
; %bb.532:
	global_load_dword v5, v[3:4], off
.LBB127_533:
	s_mov_b64 s[0:1], 0
.LBB127_534:
	s_andn2_b64 vcc, exec, s[0:1]
	s_cbranch_vccnz .LBB127_545
; %bb.535:
	s_cmp_lt_i32 s48, 6
	s_cbranch_scc1 .LBB127_538
; %bb.536:
	s_cmp_gt_i32 s48, 6
	s_cbranch_scc0 .LBB127_539
; %bb.537:
	global_load_dwordx2 v[5:6], v[3:4], off
	s_movk_i32 s0, 0x1ff
	s_movk_i32 s1, 0xffe
	v_mov_b32_e32 v1, 0x7c00
	v_mov_b32_e32 v7, 0x7e00
	s_movk_i32 s49, 0x40f
	s_mov_b32 s50, 0x8000
	s_waitcnt vmcnt(0)
	v_and_or_b32 v5, v6, s0, v5
	v_cmp_ne_u32_e32 vcc, 0, v5
	v_lshrrev_b32_e32 v9, 8, v6
	v_bfe_u32 v10, v6, 20, 11
	v_cndmask_b32_e64 v5, 0, 1, vcc
	v_sub_u32_e32 v11, 0x3f1, v10
	v_and_or_b32 v5, v9, s1, v5
	v_add_u32_e32 v10, 0xfffffc10, v10
	v_med3_i32 v9, v11, 0, 13
	v_or_b32_e32 v11, 0x1000, v5
	v_cmp_ne_u32_e32 vcc, 0, v5
	v_lshl_or_b32 v12, v10, 12, v5
	v_cndmask_b32_e32 v5, v1, v7, vcc
	v_lshrrev_b32_e32 v7, v9, v11
	v_lshlrev_b32_e32 v9, v9, v7
	v_cmp_ne_u32_e32 vcc, v9, v11
	v_cndmask_b32_e64 v9, 0, 1, vcc
	v_or_b32_e32 v7, v7, v9
	v_cmp_gt_i32_e32 vcc, 1, v10
	v_cndmask_b32_e32 v7, v12, v7, vcc
	v_and_b32_e32 v9, 7, v7
	v_cmp_lt_i32_e32 vcc, 5, v9
	v_cndmask_b32_e64 v11, 0, 1, vcc
	v_cmp_eq_u32_e32 vcc, 3, v9
	v_cndmask_b32_e64 v9, 0, 1, vcc
	v_lshrrev_b32_e32 v7, 2, v7
	v_or_b32_e32 v9, v9, v11
	v_add_u32_e32 v7, v7, v9
	v_cmp_gt_i32_e32 vcc, 31, v10
	v_cndmask_b32_e32 v1, v1, v7, vcc
	v_cmp_eq_u32_e32 vcc, s49, v10
	v_lshrrev_b32_e32 v6, 16, v6
	v_cndmask_b32_e32 v1, v1, v5, vcc
	v_and_or_b32 v5, v6, s50, v1
	s_mov_b64 s[0:1], 0
	s_branch .LBB127_540
.LBB127_538:
	s_mov_b64 s[0:1], -1
                                        ; implicit-def: $vgpr5
	s_branch .LBB127_543
.LBB127_539:
	s_mov_b64 s[0:1], -1
                                        ; implicit-def: $vgpr5
.LBB127_540:
	s_andn2_b64 vcc, exec, s[0:1]
	s_cbranch_vccnz .LBB127_542
; %bb.541:
	global_load_dword v1, v[3:4], off
	s_waitcnt vmcnt(0)
	v_cvt_f16_f32_e32 v5, v1
.LBB127_542:
	s_mov_b64 s[0:1], 0
.LBB127_543:
	s_andn2_b64 vcc, exec, s[0:1]
	s_cbranch_vccnz .LBB127_545
; %bb.544:
	global_load_ushort v5, v[3:4], off
.LBB127_545:
	s_mov_b64 s[0:1], 0
.LBB127_546:
	s_andn2_b64 vcc, exec, s[0:1]
	s_cbranch_vccnz .LBB127_566
; %bb.547:
	s_cmp_lt_i32 s48, 2
	s_cbranch_scc1 .LBB127_551
; %bb.548:
	s_cmp_lt_i32 s48, 3
	s_cbranch_scc1 .LBB127_552
; %bb.549:
	s_cmp_gt_i32 s48, 3
	s_cbranch_scc0 .LBB127_553
; %bb.550:
	global_load_dwordx2 v[5:6], v[3:4], off
	s_mov_b64 s[0:1], 0
	s_waitcnt vmcnt(0)
	v_xor_b32_e32 v7, v5, v6
	v_ffbh_i32_e32 v1, v6
	v_ashrrev_i32_e32 v7, 31, v7
	v_add_u32_e32 v1, -1, v1
	v_add_u32_e32 v7, 32, v7
	v_min_u32_e32 v1, v1, v7
	v_lshlrev_b64 v[5:6], v1, v[5:6]
	v_sub_u32_e32 v1, 32, v1
	v_min_u32_e32 v5, 1, v5
	v_or_b32_e32 v5, v6, v5
	v_cvt_f32_i32_e32 v5, v5
	v_ldexp_f32 v1, v5, v1
	v_cvt_f16_f32_e32 v5, v1
	s_branch .LBB127_554
.LBB127_551:
	s_mov_b64 s[0:1], -1
                                        ; implicit-def: $vgpr5
	s_branch .LBB127_560
.LBB127_552:
	s_mov_b64 s[0:1], -1
                                        ; implicit-def: $vgpr5
	s_branch .LBB127_557
.LBB127_553:
	s_mov_b64 s[0:1], -1
                                        ; implicit-def: $vgpr5
.LBB127_554:
	s_andn2_b64 vcc, exec, s[0:1]
	s_cbranch_vccnz .LBB127_556
; %bb.555:
	global_load_dword v1, v[3:4], off
	s_waitcnt vmcnt(0)
	v_cvt_f32_i32_e32 v1, v1
	v_cvt_f16_f32_e32 v5, v1
.LBB127_556:
	s_mov_b64 s[0:1], 0
.LBB127_557:
	s_andn2_b64 vcc, exec, s[0:1]
	s_cbranch_vccnz .LBB127_559
; %bb.558:
	global_load_ushort v1, v[3:4], off
	s_waitcnt vmcnt(0)
	v_cvt_f16_i16_e32 v5, v1
.LBB127_559:
	s_mov_b64 s[0:1], 0
.LBB127_560:
	s_andn2_b64 vcc, exec, s[0:1]
	s_cbranch_vccnz .LBB127_566
; %bb.561:
	s_cmp_gt_i32 s48, 0
	s_cbranch_scc0 .LBB127_563
; %bb.562:
	global_load_sbyte v1, v[3:4], off
	s_mov_b64 s[0:1], 0
	s_waitcnt vmcnt(0)
	v_cvt_f16_i16_e32 v5, v1
	s_branch .LBB127_564
.LBB127_563:
	s_mov_b64 s[0:1], -1
                                        ; implicit-def: $vgpr5
.LBB127_564:
	s_andn2_b64 vcc, exec, s[0:1]
	s_cbranch_vccnz .LBB127_566
; %bb.565:
	global_load_ubyte v1, v[3:4], off
	s_waitcnt vmcnt(0)
	v_cvt_f16_u16_e32 v5, v1
.LBB127_566:
	s_branch .LBB127_435
.LBB127_567:
	s_mov_b64 s[54:55], 0
	s_mov_b64 s[0:1], s[38:39]
	;; [unrolled: 1-line block ×3, first 2 shown]
.LBB127_568:
                                        ; implicit-def: $vgpr8
	s_branch .LBB127_827
.LBB127_569:
	s_andn2_saveexec_b64 s[52:53], s[52:53]
	s_cbranch_execz .LBB127_220
.LBB127_570:
	v_add_f32_e32 v2, 0x42800000, v3
	v_and_b32_e32 v2, 0xff, v2
	v_cmp_ne_u32_e32 vcc, 0, v2
	s_andn2_b64 s[50:51], s[50:51], exec
	s_and_b64 s[56:57], vcc, exec
	s_or_b64 s[50:51], s[50:51], s[56:57]
	s_or_b64 exec, exec, s[52:53]
	v_mov_b32_e32 v4, 0
	s_and_saveexec_b64 s[52:53], s[50:51]
	s_cbranch_execnz .LBB127_221
	s_branch .LBB127_222
.LBB127_571:
	s_mov_b64 s[48:49], -1
                                        ; implicit-def: $vgpr3
	s_mov_b64 s[0:1], 0
.LBB127_572:
	s_and_b64 vcc, exec, s[50:51]
	s_cbranch_vccz .LBB127_576
; %bb.573:
	s_cmp_eq_u32 s57, 44
	s_cbranch_scc0 .LBB127_575
; %bb.574:
	global_load_ubyte v3, v[1:2], off
	s_movk_i32 s48, 0xff
	v_mov_b32_e32 v6, 0x7e00
	s_mov_b64 s[0:1], -1
	s_waitcnt vmcnt(0)
	v_lshlrev_b32_e32 v4, 23, v3
	v_cvt_f16_f32_e32 v4, v4
	v_cmp_ne_u32_e32 vcc, s48, v3
	s_mov_b64 s[48:49], 0
	v_cndmask_b32_e32 v4, v6, v4, vcc
	v_cmp_ne_u32_e32 vcc, 0, v3
	v_cndmask_b32_e32 v3, 0, v4, vcc
	s_branch .LBB127_576
.LBB127_575:
	s_mov_b64 s[48:49], -1
                                        ; implicit-def: $vgpr3
.LBB127_576:
	s_mov_b64 s[50:51], 0
.LBB127_577:
	s_and_b64 vcc, exec, s[50:51]
	s_cbranch_vccz .LBB127_581
; %bb.578:
	s_cmp_eq_u32 s57, 29
	s_cbranch_scc0 .LBB127_580
; %bb.579:
	global_load_dwordx2 v[3:4], v[1:2], off
	s_mov_b64 s[0:1], -1
	s_mov_b64 s[48:49], 0
	s_mov_b64 s[50:51], 0
	s_waitcnt vmcnt(0)
	v_ffbh_u32_e32 v6, v4
	v_min_u32_e32 v6, 32, v6
	v_lshlrev_b64 v[3:4], v6, v[3:4]
	v_min_u32_e32 v3, 1, v3
	v_or_b32_e32 v3, v4, v3
	v_cvt_f32_u32_e32 v3, v3
	v_sub_u32_e32 v4, 32, v6
	v_ldexp_f32 v3, v3, v4
	v_cvt_f16_f32_e32 v3, v3
	s_branch .LBB127_582
.LBB127_580:
	s_mov_b64 s[48:49], -1
                                        ; implicit-def: $vgpr3
.LBB127_581:
	s_mov_b64 s[50:51], 0
.LBB127_582:
	s_and_b64 vcc, exec, s[50:51]
	s_cbranch_vccz .LBB127_600
; %bb.583:
	s_cmp_lt_i32 s57, 27
	s_cbranch_scc1 .LBB127_586
; %bb.584:
	s_cmp_gt_i32 s57, 27
	s_cbranch_scc0 .LBB127_587
; %bb.585:
	global_load_dword v3, v[1:2], off
	s_mov_b64 s[0:1], 0
	s_waitcnt vmcnt(0)
	v_cvt_f32_u32_e32 v3, v3
	v_cvt_f16_f32_e32 v3, v3
	s_branch .LBB127_588
.LBB127_586:
	s_mov_b64 s[0:1], -1
                                        ; implicit-def: $vgpr3
	s_branch .LBB127_591
.LBB127_587:
	s_mov_b64 s[0:1], -1
                                        ; implicit-def: $vgpr3
.LBB127_588:
	s_andn2_b64 vcc, exec, s[0:1]
	s_cbranch_vccnz .LBB127_590
; %bb.589:
	global_load_ushort v3, v[1:2], off
	s_waitcnt vmcnt(0)
	v_cvt_f16_u16_e32 v3, v3
.LBB127_590:
	s_mov_b64 s[0:1], 0
.LBB127_591:
	s_andn2_b64 vcc, exec, s[0:1]
	s_cbranch_vccnz .LBB127_599
; %bb.592:
	global_load_ubyte v4, v[1:2], off
	s_movk_i32 s0, 0x7f
	s_waitcnt vmcnt(0)
	v_cmp_lt_i16_e32 vcc, s0, v4
	s_mov_b64 s[0:1], 0
	s_and_saveexec_b64 s[50:51], vcc
	s_xor_b64 s[50:51], exec, s[50:51]
	s_cbranch_execz .LBB127_613
; %bb.593:
	s_movk_i32 s0, 0x80
	v_cmp_eq_u16_e32 vcc, s0, v4
	s_mov_b64 s[0:1], -1
	s_and_saveexec_b64 s[54:55], vcc
; %bb.594:
	s_xor_b64 s[0:1], exec, -1
; %bb.595:
	s_or_b64 exec, exec, s[54:55]
	s_and_b64 s[0:1], s[0:1], exec
	s_or_saveexec_b64 s[50:51], s[50:51]
	v_mov_b32_e32 v3, 0x7e00
	s_xor_b64 exec, exec, s[50:51]
	s_cbranch_execnz .LBB127_614
.LBB127_596:
	s_or_b64 exec, exec, s[50:51]
	s_and_saveexec_b64 s[50:51], s[0:1]
	s_cbranch_execz .LBB127_598
.LBB127_597:
	v_lshlrev_b32_e32 v3, 24, v4
	v_and_b32_e32 v4, 0xffff, v4
	v_and_b32_e32 v6, 7, v4
	v_ffbh_u32_e32 v9, v6
	v_min_u32_e32 v9, 32, v9
	v_subrev_u32_e32 v10, 28, v9
	v_bfe_u32 v7, v4, 3, 4
	v_lshlrev_b32_e32 v4, v10, v4
	v_sub_u32_e32 v9, 29, v9
	v_and_b32_e32 v4, 7, v4
	v_cmp_eq_u32_e32 vcc, 0, v7
	v_cndmask_b32_e32 v7, v7, v9, vcc
	v_cndmask_b32_e32 v4, v6, v4, vcc
	v_mov_b32_e32 v6, 0x3b800000
	v_lshlrev_b32_e32 v4, 20, v4
	v_and_b32_e32 v3, 0x80000000, v3
	v_lshl_add_u32 v6, v7, 23, v6
	v_or3_b32 v3, v3, v6, v4
	v_cvt_f16_f32_e32 v3, v3
.LBB127_598:
	s_or_b64 exec, exec, s[50:51]
.LBB127_599:
	s_mov_b64 s[0:1], -1
.LBB127_600:
	s_mov_b64 s[50:51], 0
.LBB127_601:
	s_and_b64 vcc, exec, s[50:51]
	s_cbranch_vccz .LBB127_636
; %bb.602:
	s_cmp_gt_i32 s57, 22
	s_cbranch_scc0 .LBB127_612
; %bb.603:
	s_cmp_lt_i32 s57, 24
	s_cbranch_scc1 .LBB127_615
; %bb.604:
	s_cmp_gt_i32 s57, 24
	s_cbranch_scc0 .LBB127_616
; %bb.605:
	global_load_ubyte v4, v[1:2], off
	s_movk_i32 s0, 0x7f
	s_waitcnt vmcnt(0)
	v_cmp_lt_i16_e32 vcc, s0, v4
	s_mov_b64 s[0:1], 0
	s_and_saveexec_b64 s[50:51], vcc
	s_xor_b64 s[50:51], exec, s[50:51]
	s_cbranch_execz .LBB127_628
; %bb.606:
	s_movk_i32 s0, 0x80
	v_cmp_eq_u16_e32 vcc, s0, v4
	s_mov_b64 s[0:1], -1
	s_and_saveexec_b64 s[54:55], vcc
; %bb.607:
	s_xor_b64 s[0:1], exec, -1
; %bb.608:
	s_or_b64 exec, exec, s[54:55]
	s_and_b64 s[0:1], s[0:1], exec
	s_or_saveexec_b64 s[50:51], s[50:51]
	v_mov_b32_e32 v3, 0x7e00
	s_xor_b64 exec, exec, s[50:51]
	s_cbranch_execnz .LBB127_629
.LBB127_609:
	s_or_b64 exec, exec, s[50:51]
	s_and_saveexec_b64 s[50:51], s[0:1]
	s_cbranch_execz .LBB127_611
.LBB127_610:
	v_lshlrev_b32_e32 v3, 24, v4
	v_and_b32_e32 v4, 0xffff, v4
	v_and_b32_e32 v6, 3, v4
	v_ffbh_u32_e32 v9, v6
	v_min_u32_e32 v9, 32, v9
	v_subrev_u32_e32 v10, 29, v9
	v_bfe_u32 v7, v4, 2, 5
	v_lshlrev_b32_e32 v4, v10, v4
	v_sub_u32_e32 v9, 30, v9
	v_and_b32_e32 v4, 3, v4
	v_cmp_eq_u32_e32 vcc, 0, v7
	v_cndmask_b32_e32 v7, v7, v9, vcc
	v_cndmask_b32_e32 v4, v6, v4, vcc
	v_mov_b32_e32 v6, 0x37800000
	v_lshlrev_b32_e32 v4, 21, v4
	v_and_b32_e32 v3, 0x80000000, v3
	v_lshl_add_u32 v6, v7, 23, v6
	v_or3_b32 v3, v3, v6, v4
	v_cvt_f16_f32_e32 v3, v3
.LBB127_611:
	s_or_b64 exec, exec, s[50:51]
	s_mov_b64 s[0:1], 0
	s_branch .LBB127_617
.LBB127_612:
	s_mov_b64 s[50:51], -1
                                        ; implicit-def: $vgpr3
	s_branch .LBB127_623
.LBB127_613:
	s_or_saveexec_b64 s[50:51], s[50:51]
	v_mov_b32_e32 v3, 0x7e00
	s_xor_b64 exec, exec, s[50:51]
	s_cbranch_execz .LBB127_596
.LBB127_614:
	v_cmp_ne_u16_e32 vcc, 0, v4
	s_andn2_b64 s[0:1], s[0:1], exec
	s_and_b64 s[54:55], vcc, exec
	s_or_b64 s[0:1], s[0:1], s[54:55]
	v_mov_b32_e32 v3, v4
	s_or_b64 exec, exec, s[50:51]
	s_and_saveexec_b64 s[50:51], s[0:1]
	s_cbranch_execnz .LBB127_597
	s_branch .LBB127_598
.LBB127_615:
	s_mov_b64 s[0:1], -1
                                        ; implicit-def: $vgpr3
	s_branch .LBB127_620
.LBB127_616:
	s_mov_b64 s[0:1], -1
                                        ; implicit-def: $vgpr3
.LBB127_617:
	s_and_b64 vcc, exec, s[0:1]
	s_cbranch_vccz .LBB127_619
; %bb.618:
	global_load_ubyte v3, v[1:2], off
	s_mov_b32 s0, 0x7f800000
	s_waitcnt vmcnt(0)
	v_lshlrev_b32_e32 v3, 24, v3
	v_and_b32_e32 v4, 0x7f000000, v3
	v_ffbh_u32_e32 v6, v4
	v_min_u32_e32 v6, 32, v6
	v_sub_u32_e64 v6, v6, 4 clamp
	v_lshlrev_b32_e32 v9, v6, v4
	v_lshlrev_b32_e32 v6, 23, v6
	v_lshrrev_b32_e32 v9, 4, v9
	v_add_u32_e32 v7, 0x1000000, v4
	v_sub_u32_e32 v6, v9, v6
	v_ashrrev_i32_e32 v7, 8, v7
	v_add_u32_e32 v6, 0x3c000000, v6
	v_and_or_b32 v6, v7, s0, v6
	v_cmp_ne_u32_e32 vcc, 0, v4
	v_cndmask_b32_e32 v4, 0, v6, vcc
	s_brev_b32 s0, 1
	v_and_or_b32 v3, v3, s0, v4
	v_cvt_f16_f32_e32 v3, v3
.LBB127_619:
	s_mov_b64 s[0:1], 0
.LBB127_620:
	s_andn2_b64 vcc, exec, s[0:1]
	s_cbranch_vccnz .LBB127_622
; %bb.621:
	global_load_ubyte v3, v[1:2], off
	s_movk_i32 s0, 0x7f00
	s_brev_b32 s1, 16
	s_waitcnt vmcnt(0)
	v_lshlrev_b16_e32 v4, 8, v3
	v_lshlrev_b32_e32 v3, 25, v3
	v_lshrrev_b32_e32 v6, 4, v3
	v_and_or_b32 v7, v4, s0, 0.5
	v_or_b32_e32 v6, 0x70000000, v6
	v_add_f32_e32 v7, -0.5, v7
	v_mul_f32_e32 v6, 0x7800000, v6
	v_cmp_gt_u32_e32 vcc, s1, v3
	v_bfe_i32 v4, v4, 0, 16
	v_cndmask_b32_e32 v3, v6, v7, vcc
	s_brev_b32 s0, 1
	v_and_or_b32 v3, v4, s0, v3
	v_cvt_f16_f32_e32 v3, v3
.LBB127_622:
	s_mov_b64 s[50:51], 0
	s_mov_b64 s[0:1], -1
.LBB127_623:
	s_andn2_b64 vcc, exec, s[50:51]
	s_cbranch_vccnz .LBB127_636
; %bb.624:
	s_cmp_gt_i32 s57, 14
	s_cbranch_scc0 .LBB127_627
; %bb.625:
	s_cmp_eq_u32 s57, 15
	s_cbranch_scc0 .LBB127_630
; %bb.626:
	global_load_ushort v3, v[1:2], off
	s_mov_b64 s[0:1], -1
	s_mov_b64 s[48:49], 0
	s_waitcnt vmcnt(0)
	v_lshlrev_b32_e32 v3, 16, v3
	v_cvt_f16_f32_e32 v3, v3
	s_branch .LBB127_631
.LBB127_627:
	s_mov_b64 s[50:51], -1
                                        ; implicit-def: $vgpr3
	s_branch .LBB127_632
.LBB127_628:
	s_or_saveexec_b64 s[50:51], s[50:51]
	v_mov_b32_e32 v3, 0x7e00
	s_xor_b64 exec, exec, s[50:51]
	s_cbranch_execz .LBB127_609
.LBB127_629:
	v_cmp_ne_u16_e32 vcc, 0, v4
	s_andn2_b64 s[0:1], s[0:1], exec
	s_and_b64 s[54:55], vcc, exec
	s_or_b64 s[0:1], s[0:1], s[54:55]
	v_mov_b32_e32 v3, v4
	s_or_b64 exec, exec, s[50:51]
	s_and_saveexec_b64 s[50:51], s[0:1]
	s_cbranch_execnz .LBB127_610
	s_branch .LBB127_611
.LBB127_630:
	s_mov_b64 s[48:49], -1
                                        ; implicit-def: $vgpr3
.LBB127_631:
	s_mov_b64 s[50:51], 0
.LBB127_632:
	s_and_b64 vcc, exec, s[50:51]
	s_cbranch_vccz .LBB127_636
; %bb.633:
	s_cmp_eq_u32 s57, 11
	s_cbranch_scc0 .LBB127_635
; %bb.634:
	global_load_ubyte v3, v[1:2], off
	v_mov_b32_e32 v4, 0x3c00
	s_mov_b64 s[0:1], -1
	s_mov_b64 s[48:49], 0
	s_waitcnt vmcnt(0)
	v_cmp_ne_u16_e32 vcc, 0, v3
	v_cndmask_b32_e32 v3, 0, v4, vcc
	s_branch .LBB127_636
.LBB127_635:
	s_mov_b64 s[48:49], -1
                                        ; implicit-def: $vgpr3
.LBB127_636:
	s_mov_b64 s[50:51], 0
.LBB127_637:
	s_and_b64 vcc, exec, s[50:51]
	s_cbranch_vccz .LBB127_686
; %bb.638:
	s_and_b32 s50, 0xffff, s56
	s_cmp_lt_i32 s50, 5
	s_cbranch_scc1 .LBB127_643
; %bb.639:
	s_cmp_lt_i32 s50, 8
	s_cbranch_scc1 .LBB127_644
; %bb.640:
	;; [unrolled: 3-line block ×3, first 2 shown]
	s_cmp_gt_i32 s50, 9
	s_cbranch_scc0 .LBB127_646
; %bb.642:
	global_load_dwordx2 v[3:4], v[1:2], off
	s_movk_i32 s0, 0x1ff
	s_movk_i32 s1, 0xffe
	v_mov_b32_e32 v6, 0x7c00
	v_mov_b32_e32 v7, 0x7e00
	s_movk_i32 s51, 0x40f
	s_mov_b32 s54, 0x8000
	s_waitcnt vmcnt(0)
	v_and_or_b32 v3, v4, s0, v3
	v_cmp_ne_u32_e32 vcc, 0, v3
	v_lshrrev_b32_e32 v9, 8, v4
	v_bfe_u32 v10, v4, 20, 11
	v_cndmask_b32_e64 v3, 0, 1, vcc
	v_sub_u32_e32 v11, 0x3f1, v10
	v_and_or_b32 v3, v9, s1, v3
	v_add_u32_e32 v10, 0xfffffc10, v10
	v_med3_i32 v9, v11, 0, 13
	v_or_b32_e32 v11, 0x1000, v3
	v_cmp_ne_u32_e32 vcc, 0, v3
	v_lshl_or_b32 v12, v10, 12, v3
	v_cndmask_b32_e32 v3, v6, v7, vcc
	v_lshrrev_b32_e32 v7, v9, v11
	v_lshlrev_b32_e32 v9, v9, v7
	v_cmp_ne_u32_e32 vcc, v9, v11
	v_cndmask_b32_e64 v9, 0, 1, vcc
	v_or_b32_e32 v7, v7, v9
	v_cmp_gt_i32_e32 vcc, 1, v10
	v_cndmask_b32_e32 v7, v12, v7, vcc
	v_and_b32_e32 v9, 7, v7
	v_cmp_lt_i32_e32 vcc, 5, v9
	v_cndmask_b32_e64 v11, 0, 1, vcc
	v_cmp_eq_u32_e32 vcc, 3, v9
	v_cndmask_b32_e64 v9, 0, 1, vcc
	v_lshrrev_b32_e32 v7, 2, v7
	v_or_b32_e32 v9, v9, v11
	v_add_u32_e32 v7, v7, v9
	v_cmp_gt_i32_e32 vcc, 31, v10
	v_cndmask_b32_e32 v6, v6, v7, vcc
	v_cmp_eq_u32_e32 vcc, s51, v10
	v_lshrrev_b32_e32 v4, 16, v4
	v_cndmask_b32_e32 v3, v6, v3, vcc
	v_and_or_b32 v3, v4, s54, v3
	s_mov_b64 s[0:1], 0
	s_branch .LBB127_647
.LBB127_643:
	s_mov_b64 s[0:1], -1
                                        ; implicit-def: $vgpr3
	s_branch .LBB127_665
.LBB127_644:
	s_mov_b64 s[0:1], -1
                                        ; implicit-def: $vgpr3
	s_branch .LBB127_653
.LBB127_645:
	s_mov_b64 s[0:1], -1
                                        ; implicit-def: $vgpr3
	s_branch .LBB127_650
.LBB127_646:
	s_mov_b64 s[0:1], -1
                                        ; implicit-def: $vgpr3
.LBB127_647:
	s_andn2_b64 vcc, exec, s[0:1]
	s_cbranch_vccnz .LBB127_649
; %bb.648:
	global_load_dword v3, v[1:2], off
	s_waitcnt vmcnt(0)
	v_cvt_f16_f32_e32 v3, v3
.LBB127_649:
	s_mov_b64 s[0:1], 0
.LBB127_650:
	s_andn2_b64 vcc, exec, s[0:1]
	s_cbranch_vccnz .LBB127_652
; %bb.651:
	global_load_dword v3, v[1:2], off
.LBB127_652:
	s_mov_b64 s[0:1], 0
.LBB127_653:
	s_andn2_b64 vcc, exec, s[0:1]
	s_cbranch_vccnz .LBB127_664
; %bb.654:
	s_cmp_lt_i32 s50, 6
	s_cbranch_scc1 .LBB127_657
; %bb.655:
	s_cmp_gt_i32 s50, 6
	s_cbranch_scc0 .LBB127_658
; %bb.656:
	global_load_dwordx2 v[3:4], v[1:2], off
	s_movk_i32 s0, 0x1ff
	s_movk_i32 s1, 0xffe
	v_mov_b32_e32 v6, 0x7c00
	v_mov_b32_e32 v7, 0x7e00
	s_movk_i32 s51, 0x40f
	s_mov_b32 s54, 0x8000
	s_waitcnt vmcnt(0)
	v_and_or_b32 v3, v4, s0, v3
	v_cmp_ne_u32_e32 vcc, 0, v3
	v_lshrrev_b32_e32 v9, 8, v4
	v_bfe_u32 v10, v4, 20, 11
	v_cndmask_b32_e64 v3, 0, 1, vcc
	v_sub_u32_e32 v11, 0x3f1, v10
	v_and_or_b32 v3, v9, s1, v3
	v_add_u32_e32 v10, 0xfffffc10, v10
	v_med3_i32 v9, v11, 0, 13
	v_or_b32_e32 v11, 0x1000, v3
	v_cmp_ne_u32_e32 vcc, 0, v3
	v_lshl_or_b32 v12, v10, 12, v3
	v_cndmask_b32_e32 v3, v6, v7, vcc
	v_lshrrev_b32_e32 v7, v9, v11
	v_lshlrev_b32_e32 v9, v9, v7
	v_cmp_ne_u32_e32 vcc, v9, v11
	v_cndmask_b32_e64 v9, 0, 1, vcc
	v_or_b32_e32 v7, v7, v9
	v_cmp_gt_i32_e32 vcc, 1, v10
	v_cndmask_b32_e32 v7, v12, v7, vcc
	v_and_b32_e32 v9, 7, v7
	v_cmp_lt_i32_e32 vcc, 5, v9
	v_cndmask_b32_e64 v11, 0, 1, vcc
	v_cmp_eq_u32_e32 vcc, 3, v9
	v_cndmask_b32_e64 v9, 0, 1, vcc
	v_lshrrev_b32_e32 v7, 2, v7
	v_or_b32_e32 v9, v9, v11
	v_add_u32_e32 v7, v7, v9
	v_cmp_gt_i32_e32 vcc, 31, v10
	v_cndmask_b32_e32 v6, v6, v7, vcc
	v_cmp_eq_u32_e32 vcc, s51, v10
	v_lshrrev_b32_e32 v4, 16, v4
	v_cndmask_b32_e32 v3, v6, v3, vcc
	v_and_or_b32 v3, v4, s54, v3
	s_mov_b64 s[0:1], 0
	s_branch .LBB127_659
.LBB127_657:
	s_mov_b64 s[0:1], -1
                                        ; implicit-def: $vgpr3
	s_branch .LBB127_662
.LBB127_658:
	s_mov_b64 s[0:1], -1
                                        ; implicit-def: $vgpr3
.LBB127_659:
	s_andn2_b64 vcc, exec, s[0:1]
	s_cbranch_vccnz .LBB127_661
; %bb.660:
	global_load_dword v3, v[1:2], off
	s_waitcnt vmcnt(0)
	v_cvt_f16_f32_e32 v3, v3
.LBB127_661:
	s_mov_b64 s[0:1], 0
.LBB127_662:
	s_andn2_b64 vcc, exec, s[0:1]
	s_cbranch_vccnz .LBB127_664
; %bb.663:
	global_load_ushort v3, v[1:2], off
.LBB127_664:
	s_mov_b64 s[0:1], 0
.LBB127_665:
	s_andn2_b64 vcc, exec, s[0:1]
	s_cbranch_vccnz .LBB127_685
; %bb.666:
	s_cmp_lt_i32 s50, 2
	s_cbranch_scc1 .LBB127_670
; %bb.667:
	s_cmp_lt_i32 s50, 3
	s_cbranch_scc1 .LBB127_671
; %bb.668:
	s_cmp_gt_i32 s50, 3
	s_cbranch_scc0 .LBB127_672
; %bb.669:
	global_load_dwordx2 v[3:4], v[1:2], off
	s_mov_b64 s[0:1], 0
	s_waitcnt vmcnt(0)
	v_xor_b32_e32 v7, v3, v4
	v_ffbh_i32_e32 v6, v4
	v_ashrrev_i32_e32 v7, 31, v7
	v_add_u32_e32 v6, -1, v6
	v_add_u32_e32 v7, 32, v7
	v_min_u32_e32 v6, v6, v7
	v_lshlrev_b64 v[3:4], v6, v[3:4]
	v_min_u32_e32 v3, 1, v3
	v_or_b32_e32 v3, v4, v3
	v_cvt_f32_i32_e32 v3, v3
	v_sub_u32_e32 v4, 32, v6
	v_ldexp_f32 v3, v3, v4
	v_cvt_f16_f32_e32 v3, v3
	s_branch .LBB127_673
.LBB127_670:
	s_mov_b64 s[0:1], -1
                                        ; implicit-def: $vgpr3
	s_branch .LBB127_679
.LBB127_671:
	s_mov_b64 s[0:1], -1
                                        ; implicit-def: $vgpr3
	s_branch .LBB127_676
.LBB127_672:
	s_mov_b64 s[0:1], -1
                                        ; implicit-def: $vgpr3
.LBB127_673:
	s_andn2_b64 vcc, exec, s[0:1]
	s_cbranch_vccnz .LBB127_675
; %bb.674:
	global_load_dword v3, v[1:2], off
	s_waitcnt vmcnt(0)
	v_cvt_f32_i32_e32 v3, v3
	v_cvt_f16_f32_e32 v3, v3
.LBB127_675:
	s_mov_b64 s[0:1], 0
.LBB127_676:
	s_andn2_b64 vcc, exec, s[0:1]
	s_cbranch_vccnz .LBB127_678
; %bb.677:
	global_load_ushort v3, v[1:2], off
	s_waitcnt vmcnt(0)
	v_cvt_f16_i16_e32 v3, v3
.LBB127_678:
	s_mov_b64 s[0:1], 0
.LBB127_679:
	s_andn2_b64 vcc, exec, s[0:1]
	s_cbranch_vccnz .LBB127_685
; %bb.680:
	s_cmp_gt_i32 s50, 0
	s_cbranch_scc0 .LBB127_682
; %bb.681:
	global_load_sbyte v3, v[1:2], off
	s_mov_b64 s[0:1], 0
	s_waitcnt vmcnt(0)
	v_cvt_f16_i16_e32 v3, v3
	s_branch .LBB127_683
.LBB127_682:
	s_mov_b64 s[0:1], -1
                                        ; implicit-def: $vgpr3
.LBB127_683:
	s_andn2_b64 vcc, exec, s[0:1]
	s_cbranch_vccnz .LBB127_685
; %bb.684:
	global_load_ubyte v1, v[1:2], off
	s_waitcnt vmcnt(0)
	v_cvt_f16_u16_e32 v3, v1
.LBB127_685:
	s_mov_b64 s[0:1], -1
.LBB127_686:
	s_andn2_b64 vcc, exec, s[0:1]
	s_cbranch_vccnz .LBB127_691
; %bb.687:
	s_cmp_lt_i32 s14, 1
	s_mov_b64 s[0:1], 0
	s_cbranch_scc1 .LBB127_692
; %bb.688:
	s_cmp_gt_i32 s14, 1
	s_cbranch_scc0 .LBB127_693
; %bb.689:
	s_cmp_eq_u32 s14, 2
	s_cbranch_scc0 .LBB127_694
; %bb.690:
	s_waitcnt vmcnt(0)
	v_cmp_le_f16_e64 s[50:51], v5, v3
	s_mov_b64 s[54:55], 0
	s_branch .LBB127_695
.LBB127_691:
	s_mov_b64 s[54:55], 0
                                        ; implicit-def: $vgpr8
	s_mov_b64 s[0:1], s[38:39]
	s_branch .LBB127_827
.LBB127_692:
	s_mov_b64 s[56:57], -1
                                        ; implicit-def: $sgpr50_sgpr51
	s_mov_b64 s[54:55], 0
	s_branch .LBB127_699
.LBB127_693:
	s_mov_b64 s[56:57], -1
	s_mov_b64 s[54:55], 0
                                        ; implicit-def: $sgpr50_sgpr51
	s_branch .LBB127_696
.LBB127_694:
	s_mov_b64 s[54:55], -1
                                        ; implicit-def: $sgpr50_sgpr51
.LBB127_695:
	s_mov_b64 s[56:57], 0
.LBB127_696:
	s_and_b64 vcc, exec, s[56:57]
	s_cbranch_vccz .LBB127_698
; %bb.697:
	s_waitcnt vmcnt(0)
	v_cmp_gt_f16_e32 vcc, v5, v3
	s_andn2_b64 s[50:51], s[50:51], exec
	s_and_b64 s[56:57], vcc, exec
	s_or_b64 s[50:51], s[50:51], s[56:57]
.LBB127_698:
	s_mov_b64 s[56:57], 0
.LBB127_699:
	s_and_b64 vcc, exec, s[56:57]
	s_cbranch_vccz .LBB127_710
; %bb.700:
	s_cmp_lg_u32 s14, 0
	s_mov_b64 s[0:1], -1
	s_cselect_b64 s[54:55], -1, 0
	s_andn2_b64 vcc, exec, s[54:55]
	s_cbranch_vccz .LBB127_711
.LBB127_701:
	s_andn2_b64 vcc, exec, s[0:1]
	s_cbranch_vccnz .LBB127_703
.LBB127_702:
	s_waitcnt vmcnt(0)
	v_cmp_ge_f16_e32 vcc, v5, v3
	s_andn2_b64 s[0:1], s[50:51], exec
	s_and_b64 s[50:51], vcc, exec
	s_or_b64 s[50:51], s[0:1], s[50:51]
.LBB127_703:
	v_mov_b32_e32 v1, s9
	s_and_b32 s60, s15, 0xff
	v_add_co_u32_e32 v0, vcc, s8, v0
	s_cmp_lt_i32 s60, 11
	v_addc_co_u32_e32 v1, vcc, 0, v1, vcc
	s_cbranch_scc1 .LBB127_712
; %bb.704:
	s_and_b32 s61, 0xffff, s60
	s_cmp_gt_i32 s61, 25
	s_cbranch_scc0 .LBB127_713
; %bb.705:
	s_cmp_gt_i32 s61, 28
	s_cbranch_scc0 .LBB127_714
; %bb.706:
	;; [unrolled: 3-line block ×4, first 2 shown]
	s_mov_b64 s[56:57], 0
	s_mov_b64 s[0:1], -1
	s_cmp_eq_u32 s61, 46
	s_mov_b64 s[54:55], 0
	s_cbranch_scc0 .LBB127_717
; %bb.709:
	v_cndmask_b32_e64 v2, 0, 1.0, s[50:51]
	s_waitcnt vmcnt(0)
	v_bfe_u32 v3, v2, 16, 1
	s_movk_i32 s0, 0x7fff
	v_add3_u32 v2, v2, v3, s0
	v_lshrrev_b32_e32 v2, 16, v2
	global_store_dword v[0:1], v2, off
	s_mov_b64 s[54:55], -1
	s_mov_b64 s[0:1], 0
	s_branch .LBB127_717
.LBB127_710:
	s_andn2_b64 vcc, exec, s[54:55]
	s_cbranch_vccnz .LBB127_701
.LBB127_711:
	s_waitcnt vmcnt(0)
	v_cmp_lt_f16_e32 vcc, v5, v3
	s_andn2_b64 s[50:51], s[50:51], exec
	s_and_b64 s[54:55], vcc, exec
	s_or_b64 s[50:51], s[50:51], s[54:55]
	s_cbranch_execz .LBB127_702
	s_branch .LBB127_703
.LBB127_712:
	s_mov_b64 s[56:57], -1
	s_mov_b64 s[54:55], 0
	s_mov_b64 s[0:1], s[38:39]
	s_branch .LBB127_786
.LBB127_713:
	s_mov_b64 s[56:57], -1
	s_mov_b64 s[54:55], 0
	s_mov_b64 s[0:1], s[38:39]
	s_branch .LBB127_744
.LBB127_714:
	s_mov_b64 s[56:57], -1
	s_mov_b64 s[54:55], 0
	s_mov_b64 s[0:1], s[38:39]
	s_branch .LBB127_727
.LBB127_715:
	s_mov_b64 s[56:57], -1
	s_mov_b64 s[54:55], 0
	s_mov_b64 s[0:1], s[38:39]
	s_branch .LBB127_723
.LBB127_716:
	s_mov_b64 s[56:57], -1
	s_mov_b64 s[54:55], 0
	s_mov_b64 s[0:1], s[38:39]
.LBB127_717:
	s_and_b64 vcc, exec, s[56:57]
	s_cbranch_vccz .LBB127_722
; %bb.718:
	s_cmp_eq_u32 s61, 44
	s_mov_b64 s[0:1], -1
	s_cbranch_scc0 .LBB127_722
; %bb.719:
	s_waitcnt vmcnt(0)
	v_cndmask_b32_e64 v3, 0, 1.0, s[50:51]
	v_lshrrev_b32_e32 v2, 23, v3
	s_movk_i32 s0, 0xff
	v_cmp_ne_u32_e32 vcc, s0, v2
	v_mov_b32_e32 v4, 0xff
	s_and_saveexec_b64 s[54:55], vcc
; %bb.720:
	s_mov_b32 s0, 0x3fffff
	v_and_b32_e32 v4, 0x400000, v3
	v_and_or_b32 v3, v3, s0, v2
	v_cmp_ne_u32_e32 vcc, 0, v4
	v_cmp_ne_u32_e64 s[0:1], 0, v3
	s_and_b64 s[0:1], vcc, s[0:1]
	v_cndmask_b32_e64 v3, 0, 1, s[0:1]
	v_add_u32_e32 v4, v2, v3
; %bb.721:
	s_or_b64 exec, exec, s[54:55]
	s_mov_b64 s[54:55], -1
	s_mov_b64 s[0:1], 0
	global_store_byte v[0:1], v4, off
.LBB127_722:
	s_mov_b64 s[56:57], 0
.LBB127_723:
	s_and_b64 vcc, exec, s[56:57]
	s_cbranch_vccz .LBB127_726
; %bb.724:
	s_cmp_eq_u32 s61, 29
	s_mov_b64 s[0:1], -1
	s_cbranch_scc0 .LBB127_726
; %bb.725:
	s_mov_b32 s0, 0
	v_cndmask_b32_e64 v2, 0, 1, s[50:51]
	s_waitcnt vmcnt(0)
	v_mov_b32_e32 v3, s0
	global_store_dwordx2 v[0:1], v[2:3], off
	s_mov_b64 s[54:55], -1
	s_mov_b64 s[0:1], 0
.LBB127_726:
	s_mov_b64 s[56:57], 0
.LBB127_727:
	s_and_b64 vcc, exec, s[56:57]
	s_cbranch_vccz .LBB127_743
; %bb.728:
	s_cmp_lt_i32 s61, 27
	s_mov_b64 s[54:55], -1
	s_cbranch_scc1 .LBB127_734
; %bb.729:
	s_cmp_gt_i32 s61, 27
	s_cbranch_scc0 .LBB127_731
; %bb.730:
	v_cndmask_b32_e64 v2, 0, 1, s[50:51]
	s_mov_b64 s[54:55], 0
	global_store_dword v[0:1], v2, off
.LBB127_731:
	s_andn2_b64 vcc, exec, s[54:55]
	s_cbranch_vccnz .LBB127_733
; %bb.732:
	v_cndmask_b32_e64 v2, 0, 1, s[50:51]
	global_store_short v[0:1], v2, off
.LBB127_733:
	s_mov_b64 s[54:55], 0
.LBB127_734:
	s_andn2_b64 vcc, exec, s[54:55]
	s_cbranch_vccnz .LBB127_742
; %bb.735:
	s_waitcnt vmcnt(0)
	v_cndmask_b32_e64 v3, 0, 1.0, s[50:51]
	s_mov_b32 s54, 0x43800000
	v_cmp_gt_u32_e32 vcc, s54, v3
	v_mov_b32_e32 v4, 0x80
	s_and_saveexec_b64 s[54:55], vcc
	s_cbranch_execz .LBB127_741
; %bb.736:
	s_mov_b32 s56, 0x3bffffff
	v_cmp_lt_u32_e32 vcc, s56, v3
	s_mov_b64 s[56:57], 0
                                        ; implicit-def: $vgpr2
	s_and_saveexec_b64 s[58:59], vcc
	s_xor_b64 s[58:59], exec, s[58:59]
	s_cbranch_execz .LBB127_855
; %bb.737:
	v_bfe_u32 v2, v3, 20, 1
	s_mov_b32 s62, 0x487ffff
	v_add3_u32 v2, v3, v2, s62
	s_mov_b64 s[56:57], exec
	v_lshrrev_b32_e32 v2, 20, v2
                                        ; implicit-def: $vgpr3
	s_andn2_saveexec_b64 s[58:59], s[58:59]
	s_cbranch_execnz .LBB127_856
.LBB127_738:
	s_or_b64 exec, exec, s[58:59]
	v_mov_b32_e32 v4, 0
	s_and_saveexec_b64 s[58:59], s[56:57]
.LBB127_739:
	v_mov_b32_e32 v4, v2
.LBB127_740:
	s_or_b64 exec, exec, s[58:59]
.LBB127_741:
	s_or_b64 exec, exec, s[54:55]
	global_store_byte v[0:1], v4, off
.LBB127_742:
	s_mov_b64 s[54:55], -1
.LBB127_743:
	s_mov_b64 s[56:57], 0
.LBB127_744:
	s_and_b64 vcc, exec, s[56:57]
	s_cbranch_vccz .LBB127_785
; %bb.745:
	s_cmp_gt_i32 s61, 22
	s_mov_b64 s[56:57], -1
	s_cbranch_scc0 .LBB127_777
; %bb.746:
	s_cmp_lt_i32 s61, 24
	s_mov_b64 s[54:55], -1
	s_cbranch_scc1 .LBB127_766
; %bb.747:
	s_cmp_gt_i32 s61, 24
	s_cbranch_scc0 .LBB127_755
; %bb.748:
	s_waitcnt vmcnt(0)
	v_cndmask_b32_e64 v3, 0, 1.0, s[50:51]
	s_mov_b32 s54, 0x47800000
	v_cmp_gt_u32_e32 vcc, s54, v3
	v_mov_b32_e32 v4, 0x80
	s_and_saveexec_b64 s[54:55], vcc
	s_cbranch_execz .LBB127_754
; %bb.749:
	s_mov_b32 s56, 0x37ffffff
	v_cmp_lt_u32_e32 vcc, s56, v3
	s_mov_b64 s[56:57], 0
                                        ; implicit-def: $vgpr2
	s_and_saveexec_b64 s[58:59], vcc
	s_xor_b64 s[58:59], exec, s[58:59]
	s_cbranch_execz .LBB127_987
; %bb.750:
	v_bfe_u32 v2, v3, 21, 1
	s_mov_b32 s62, 0x88fffff
	v_add3_u32 v2, v3, v2, s62
	s_mov_b64 s[56:57], exec
	v_lshrrev_b32_e32 v2, 21, v2
                                        ; implicit-def: $vgpr3
	s_andn2_saveexec_b64 s[58:59], s[58:59]
	s_cbranch_execnz .LBB127_988
.LBB127_751:
	s_or_b64 exec, exec, s[58:59]
	v_mov_b32_e32 v4, 0
	s_and_saveexec_b64 s[58:59], s[56:57]
.LBB127_752:
	v_mov_b32_e32 v4, v2
.LBB127_753:
	s_or_b64 exec, exec, s[58:59]
.LBB127_754:
	s_or_b64 exec, exec, s[54:55]
	s_mov_b64 s[54:55], 0
	global_store_byte v[0:1], v4, off
.LBB127_755:
	s_and_b64 vcc, exec, s[54:55]
	s_cbranch_vccz .LBB127_765
; %bb.756:
	v_cndmask_b32_e64 v2, 0, 1.0, s[50:51]
	s_mov_b32 s54, 0x43f00000
	v_cmp_gt_u32_e32 vcc, s54, v2
                                        ; implicit-def: $vgpr3
	s_and_saveexec_b64 s[54:55], vcc
	s_xor_b64 s[54:55], exec, s[54:55]
	s_cbranch_execz .LBB127_762
; %bb.757:
	s_mov_b32 s56, 0x3c7fffff
	v_cmp_lt_u32_e32 vcc, s56, v2
                                        ; implicit-def: $vgpr3
	s_and_saveexec_b64 s[56:57], vcc
	s_xor_b64 s[56:57], exec, s[56:57]
	s_cbranch_execz .LBB127_759
; %bb.758:
	s_waitcnt vmcnt(0)
	v_bfe_u32 v3, v2, 20, 1
	s_mov_b32 s58, 0x407ffff
	v_add3_u32 v2, v2, v3, s58
	v_lshrrev_b32_e32 v3, 20, v2
	v_and_b32_e32 v2, 0xff00000, v2
	s_mov_b32 s58, 0x7f00000
	v_mov_b32_e32 v4, 0x7e
	v_cmp_ne_u32_e32 vcc, s58, v2
	v_cndmask_b32_e32 v3, v4, v3, vcc
                                        ; implicit-def: $vgpr2
.LBB127_759:
	s_andn2_saveexec_b64 s[56:57], s[56:57]
	s_cbranch_execz .LBB127_761
; %bb.760:
	s_waitcnt vmcnt(0)
	v_add_f32_e32 v3, 0x46800000, v2
.LBB127_761:
	s_or_b64 exec, exec, s[56:57]
                                        ; implicit-def: $vgpr2
.LBB127_762:
	s_andn2_saveexec_b64 s[54:55], s[54:55]
	s_cbranch_execz .LBB127_764
; %bb.763:
	s_mov_b32 s56, 0x7f800000
	s_waitcnt vmcnt(0)
	v_mov_b32_e32 v3, 0x7e
	v_mov_b32_e32 v4, 0x7f
	v_cmp_lt_u32_e32 vcc, s56, v2
	v_cndmask_b32_e32 v3, v3, v4, vcc
.LBB127_764:
	s_or_b64 exec, exec, s[54:55]
	s_waitcnt vmcnt(0)
	global_store_byte v[0:1], v3, off
.LBB127_765:
	s_mov_b64 s[54:55], 0
.LBB127_766:
	s_andn2_b64 vcc, exec, s[54:55]
	s_cbranch_vccnz .LBB127_776
; %bb.767:
	v_cndmask_b32_e64 v2, 0, 1.0, s[50:51]
	s_mov_b32 s54, 0x47800000
	v_cmp_gt_u32_e32 vcc, s54, v2
                                        ; implicit-def: $vgpr3
	s_and_saveexec_b64 s[54:55], vcc
	s_xor_b64 s[54:55], exec, s[54:55]
	s_cbranch_execz .LBB127_773
; %bb.768:
	s_mov_b32 s56, 0x387fffff
	v_cmp_lt_u32_e32 vcc, s56, v2
                                        ; implicit-def: $vgpr3
	s_and_saveexec_b64 s[56:57], vcc
	s_xor_b64 s[56:57], exec, s[56:57]
	s_cbranch_execz .LBB127_770
; %bb.769:
	s_waitcnt vmcnt(0)
	v_bfe_u32 v3, v2, 21, 1
	s_mov_b32 s58, 0x80fffff
	v_add3_u32 v2, v2, v3, s58
	v_lshrrev_b32_e32 v3, 21, v2
                                        ; implicit-def: $vgpr2
.LBB127_770:
	s_andn2_saveexec_b64 s[56:57], s[56:57]
	s_cbranch_execz .LBB127_772
; %bb.771:
	s_waitcnt vmcnt(0)
	v_add_f32_e32 v3, 0x43000000, v2
.LBB127_772:
	s_or_b64 exec, exec, s[56:57]
                                        ; implicit-def: $vgpr2
.LBB127_773:
	s_andn2_saveexec_b64 s[54:55], s[54:55]
	s_cbranch_execz .LBB127_775
; %bb.774:
	s_mov_b32 s56, 0x7f800000
	s_waitcnt vmcnt(0)
	v_mov_b32_e32 v3, 0x7c
	v_mov_b32_e32 v4, 0x7f
	v_cmp_lt_u32_e32 vcc, s56, v2
	v_cndmask_b32_e32 v3, v3, v4, vcc
.LBB127_775:
	s_or_b64 exec, exec, s[54:55]
	s_waitcnt vmcnt(0)
	global_store_byte v[0:1], v3, off
.LBB127_776:
	s_mov_b64 s[56:57], 0
	s_mov_b64 s[54:55], -1
.LBB127_777:
	s_andn2_b64 vcc, exec, s[56:57]
	s_cbranch_vccnz .LBB127_785
; %bb.778:
	s_cmp_gt_i32 s61, 14
	s_mov_b64 s[56:57], -1
	s_cbranch_scc0 .LBB127_782
; %bb.779:
	s_cmp_eq_u32 s61, 15
	s_mov_b64 s[0:1], -1
	s_cbranch_scc0 .LBB127_781
; %bb.780:
	v_cndmask_b32_e64 v2, 0, 1.0, s[50:51]
	s_waitcnt vmcnt(0)
	v_bfe_u32 v3, v2, 16, 1
	s_movk_i32 s0, 0x7fff
	v_add3_u32 v2, v2, v3, s0
	global_store_short_d16_hi v[0:1], v2, off
	s_mov_b64 s[54:55], -1
	s_mov_b64 s[0:1], 0
.LBB127_781:
	s_mov_b64 s[56:57], 0
.LBB127_782:
	s_and_b64 vcc, exec, s[56:57]
	s_cbranch_vccz .LBB127_785
; %bb.783:
	s_cmp_eq_u32 s61, 11
	s_mov_b64 s[0:1], -1
	s_cbranch_scc0 .LBB127_785
; %bb.784:
	v_cndmask_b32_e64 v2, 0, 1, s[50:51]
	s_mov_b64 s[54:55], -1
	s_mov_b64 s[0:1], 0
	global_store_byte v[0:1], v2, off
.LBB127_785:
	s_mov_b64 s[56:57], 0
.LBB127_786:
	s_and_b64 vcc, exec, s[56:57]
	s_cbranch_vccz .LBB127_825
; %bb.787:
	s_and_b32 s56, 0xffff, s60
	s_cmp_lt_i32 s56, 5
	s_mov_b64 s[54:55], -1
	s_cbranch_scc1 .LBB127_808
; %bb.788:
	s_cmp_lt_i32 s56, 8
	s_cbranch_scc1 .LBB127_798
; %bb.789:
	s_cmp_lt_i32 s56, 9
	s_cbranch_scc1 .LBB127_795
; %bb.790:
	s_cmp_gt_i32 s56, 9
	s_cbranch_scc0 .LBB127_792
; %bb.791:
	v_cndmask_b32_e64 v2, 0, 1, s[50:51]
	s_waitcnt vmcnt(0)
	v_cvt_f64_u32_e32 v[2:3], v2
	v_mov_b32_e32 v4, 0
	v_mov_b32_e32 v5, v4
	s_mov_b64 s[54:55], 0
	global_store_dwordx4 v[0:1], v[2:5], off
.LBB127_792:
	s_andn2_b64 vcc, exec, s[54:55]
	s_cbranch_vccnz .LBB127_794
; %bb.793:
	v_cndmask_b32_e64 v2, 0, 1.0, s[50:51]
	s_waitcnt vmcnt(0)
	v_mov_b32_e32 v3, 0
	global_store_dwordx2 v[0:1], v[2:3], off
.LBB127_794:
	s_mov_b64 s[54:55], 0
.LBB127_795:
	s_andn2_b64 vcc, exec, s[54:55]
	s_cbranch_vccnz .LBB127_797
; %bb.796:
	v_cndmask_b32_e64 v2, 0, 1.0, s[50:51]
	v_cvt_f16_f32_e32 v2, v2
	global_store_dword v[0:1], v2, off
.LBB127_797:
	s_mov_b64 s[54:55], 0
.LBB127_798:
	s_andn2_b64 vcc, exec, s[54:55]
	s_cbranch_vccnz .LBB127_807
; %bb.799:
	s_cmp_lt_i32 s56, 6
	s_mov_b64 s[54:55], -1
	s_cbranch_scc1 .LBB127_805
; %bb.800:
	s_cmp_gt_i32 s56, 6
	s_cbranch_scc0 .LBB127_802
; %bb.801:
	v_cndmask_b32_e64 v2, 0, 1, s[50:51]
	s_waitcnt vmcnt(0)
	v_cvt_f64_u32_e32 v[2:3], v2
	s_mov_b64 s[54:55], 0
	global_store_dwordx2 v[0:1], v[2:3], off
.LBB127_802:
	s_andn2_b64 vcc, exec, s[54:55]
	s_cbranch_vccnz .LBB127_804
; %bb.803:
	v_cndmask_b32_e64 v2, 0, 1.0, s[50:51]
	global_store_dword v[0:1], v2, off
.LBB127_804:
	s_mov_b64 s[54:55], 0
.LBB127_805:
	s_andn2_b64 vcc, exec, s[54:55]
	s_cbranch_vccnz .LBB127_807
; %bb.806:
	v_cndmask_b32_e64 v2, 0, 1.0, s[50:51]
	v_cvt_f16_f32_e32 v2, v2
	global_store_short v[0:1], v2, off
.LBB127_807:
	s_mov_b64 s[54:55], 0
.LBB127_808:
	s_andn2_b64 vcc, exec, s[54:55]
	s_cbranch_vccnz .LBB127_824
; %bb.809:
	s_cmp_lt_i32 s56, 2
	s_mov_b64 s[54:55], -1
	s_cbranch_scc1 .LBB127_819
; %bb.810:
	s_cmp_lt_i32 s56, 3
	s_cbranch_scc1 .LBB127_816
; %bb.811:
	s_cmp_gt_i32 s56, 3
	s_cbranch_scc0 .LBB127_813
; %bb.812:
	s_mov_b32 s54, 0
	v_cndmask_b32_e64 v2, 0, 1, s[50:51]
	s_waitcnt vmcnt(0)
	v_mov_b32_e32 v3, s54
	s_mov_b64 s[54:55], 0
	global_store_dwordx2 v[0:1], v[2:3], off
.LBB127_813:
	s_andn2_b64 vcc, exec, s[54:55]
	s_cbranch_vccnz .LBB127_815
; %bb.814:
	v_cndmask_b32_e64 v2, 0, 1, s[50:51]
	global_store_dword v[0:1], v2, off
.LBB127_815:
	s_mov_b64 s[54:55], 0
.LBB127_816:
	s_andn2_b64 vcc, exec, s[54:55]
	s_cbranch_vccnz .LBB127_818
; %bb.817:
	v_cndmask_b32_e64 v2, 0, 1, s[50:51]
	global_store_short v[0:1], v2, off
.LBB127_818:
	s_mov_b64 s[54:55], 0
.LBB127_819:
	s_andn2_b64 vcc, exec, s[54:55]
	s_cbranch_vccnz .LBB127_824
; %bb.820:
	s_mov_b64 s[54:55], -1
	s_cmp_gt_i32 s56, 0
	v_cndmask_b32_e64 v2, 0, 1, s[50:51]
	s_cbranch_scc0 .LBB127_822
; %bb.821:
	s_mov_b64 s[54:55], 0
	global_store_byte v[0:1], v2, off
.LBB127_822:
	s_andn2_b64 vcc, exec, s[54:55]
	s_cbranch_vccnz .LBB127_824
; %bb.823:
	global_store_byte v[0:1], v2, off
.LBB127_824:
	s_mov_b64 s[54:55], -1
.LBB127_825:
	s_andn2_b64 vcc, exec, s[54:55]
	s_cbranch_vccnz .LBB127_837
; %bb.826:
	v_add_u32_e32 v8, 0x80, v8
	s_mov_b64 s[54:55], -1
.LBB127_827:
	s_andn2_b64 s[50:51], s[38:39], exec
	s_and_b64 s[0:1], s[0:1], exec
	s_or_b64 s[50:51], s[50:51], s[0:1]
	s_andn2_b64 s[0:1], s[40:41], exec
	s_and_b64 s[48:49], s[48:49], exec
	s_or_b64 s[48:49], s[0:1], s[48:49]
	;; [unrolled: 3-line block ×3, first 2 shown]
	s_orn2_b64 s[0:1], s[54:55], exec
.LBB127_828:
	s_or_b64 exec, exec, s[52:53]
	s_mov_b64 s[54:55], 0
	s_mov_b64 s[56:57], 0
	;; [unrolled: 1-line block ×3, first 2 shown]
                                        ; implicit-def: $sgpr74
                                        ; implicit-def: $vgpr3_vgpr4
                                        ; implicit-def: $vgpr0
                                        ; implicit-def: $vgpr2
                                        ; implicit-def: $vgpr5
	s_and_saveexec_b64 s[52:53], s[0:1]
	s_cbranch_execz .LBB127_1342
; %bb.829:
	v_cmp_gt_i32_e32 vcc, s68, v8
	s_mov_b64 s[66:67], -1
	s_mov_b64 s[0:1], s[46:47]
	s_mov_b64 s[58:59], s[48:49]
	;; [unrolled: 1-line block ×3, first 2 shown]
	s_and_saveexec_b64 s[54:55], vcc
	s_cbranch_execz .LBB127_1246
; %bb.830:
	s_andn2_b64 vcc, exec, s[24:25]
	s_cbranch_vccnz .LBB127_836
; %bb.831:
	s_andn2_b64 vcc, exec, s[36:37]
	s_cbranch_vccnz .LBB127_838
; %bb.832:
	s_add_i32 s0, s73, 1
	s_and_b32 s56, s0, 30
	s_add_u32 s0, s2, 0xffffffe8
	s_addc_u32 s1, s3, -1
	v_mov_b32_e32 v2, 0
	v_mov_b32_e32 v4, 0
	;; [unrolled: 1-line block ×4, first 2 shown]
.LBB127_833:                            ; =>This Inner Loop Header: Depth=1
	s_load_dwordx4 s[60:63], s[0:1], 0x1c
	s_load_dwordx2 s[58:59], s[0:1], 0x2c
	s_load_dwordx2 s[74:75], s[0:1], 0xec
	s_load_dwordx4 s[64:67], s[0:1], 0xdc
	s_add_u32 s0, s0, 24
	s_waitcnt vmcnt(0) lgkmcnt(0)
	v_mul_hi_u32 v3, s61, v1
	s_addc_u32 s1, s1, 0
	s_add_i32 s56, s56, -2
	s_cmp_eq_u32 s56, 0
	v_add_u32_e32 v3, v1, v3
	v_lshrrev_b32_e32 v3, s62, v3
	v_mul_lo_u32 v5, v3, s60
	v_mul_hi_u32 v6, s58, v3
	v_sub_u32_e32 v5, v1, v5
	v_add_u32_e32 v1, v3, v6
	v_lshrrev_b32_e32 v1, s59, v1
	v_mul_lo_u32 v9, v1, s63
	v_mul_lo_u32 v6, v5, s64
	;; [unrolled: 1-line block ×4, first 2 shown]
	v_sub_u32_e32 v3, v3, v9
	v_mul_lo_u32 v9, v3, s67
	v_mul_lo_u32 v10, v3, s74
	;; [unrolled: 1-line block ×3, first 2 shown]
	v_add3_u32 v0, v6, v0, v9
	v_add3_u32 v4, v7, v4, v10
	;; [unrolled: 1-line block ×3, first 2 shown]
	s_cbranch_scc0 .LBB127_833
; %bb.834:
	s_bitcmp1_b32 s73, 0
	s_cselect_b64 s[56:57], -1, 0
	s_and_b64 vcc, exec, s[56:57]
	s_cbranch_vccnz .LBB127_839
; %bb.835:
	s_load_dwordx2 s[56:57], s[0:1], 0x1c
	s_load_dword s60, s[0:1], 0x24
	s_load_dwordx2 s[58:59], s[0:1], 0xdc
	s_waitcnt lgkmcnt(0)
	v_mul_hi_u32 v3, s57, v1
	v_add_u32_e32 v3, v1, v3
	v_lshrrev_b32_e32 v3, s60, v3
	v_mul_lo_u32 v3, v3, s56
	s_load_dword s56, s[0:1], 0xe4
	v_sub_u32_e32 v3, v1, v3
	v_mad_u64_u32 v[0:1], s[0:1], v3, s58, v[0:1]
	v_mad_u64_u32 v[4:5], s[0:1], v3, s59, v[4:5]
	s_waitcnt lgkmcnt(0)
	v_mad_u64_u32 v[2:3], s[0:1], v3, s56, v[2:3]
	s_branch .LBB127_839
.LBB127_836:
	s_mov_b64 s[0:1], -1
                                        ; implicit-def: $vgpr0
                                        ; implicit-def: $vgpr4
                                        ; implicit-def: $vgpr2
	s_branch .LBB127_840
.LBB127_837:
	s_mov_b64 s[54:55], 0
	s_branch .LBB127_568
.LBB127_838:
	v_mov_b32_e32 v0, 0
	v_mov_b32_e32 v4, 0
	;; [unrolled: 1-line block ×3, first 2 shown]
.LBB127_839:
	s_mov_b64 s[0:1], 0
.LBB127_840:
	s_andn2_b64 vcc, exec, s[0:1]
	s_cbranch_vccnz .LBB127_843
; %bb.841:
	v_mul_hi_u32 v0, s17, v8
	s_andn2_b64 vcc, exec, s[34:35]
	v_add_u32_e32 v0, v8, v0
	v_lshrrev_b32_e32 v1, s18, v0
	v_mul_lo_u32 v0, v1, s16
	v_sub_u32_e32 v2, v8, v0
	v_mul_lo_u32 v0, v2, s20
	v_mul_lo_u32 v4, v2, s21
	;; [unrolled: 1-line block ×3, first 2 shown]
	s_cbranch_vccnz .LBB127_843
; %bb.842:
	s_waitcnt vmcnt(0)
	v_mul_hi_u32 v3, s30, v1
	v_add_u32_e32 v3, v1, v3
	v_lshrrev_b32_e32 v3, s31, v3
	v_mul_lo_u32 v3, v3, s19
	v_sub_u32_e32 v3, v1, v3
	v_mad_u64_u32 v[0:1], s[0:1], v3, s23, v[0:1]
	v_mad_u64_u32 v[4:5], s[0:1], v3, s28, v[4:5]
	;; [unrolled: 1-line block ×3, first 2 shown]
.LBB127_843:
	v_mov_b32_e32 v1, s11
	s_and_b32 s62, s72, 0xff
	s_waitcnt vmcnt(0)
	v_add_co_u32_e32 v3, vcc, s10, v4
	s_cmp_lt_i32 s62, 11
	v_addc_co_u32_e32 v4, vcc, 0, v1, vcc
	s_cbranch_scc1 .LBB127_850
; %bb.844:
	s_and_b32 s63, 0xffff, s62
	s_cmp_gt_i32 s63, 25
	s_cbranch_scc0 .LBB127_851
; %bb.845:
	s_cmp_gt_i32 s63, 28
	s_cbranch_scc0 .LBB127_852
; %bb.846:
	;; [unrolled: 3-line block ×4, first 2 shown]
	s_cmp_eq_u32 s63, 46
	s_mov_b64 s[58:59], 0
	s_cbranch_scc0 .LBB127_857
; %bb.849:
	global_load_dword v1, v[3:4], off
	s_mov_b64 s[0:1], -1
	s_mov_b64 s[56:57], 0
	s_waitcnt vmcnt(0)
	v_lshlrev_b32_e32 v1, 16, v1
	v_cvt_f16_f32_e32 v5, v1
	s_branch .LBB127_858
.LBB127_850:
	s_mov_b64 s[58:59], -1
	s_mov_b64 s[0:1], 0
                                        ; implicit-def: $vgpr5
	s_mov_b64 s[56:57], s[46:47]
	s_branch .LBB127_923
.LBB127_851:
	s_mov_b64 s[58:59], -1
	s_mov_b64 s[0:1], 0
	s_mov_b64 s[56:57], s[46:47]
                                        ; implicit-def: $vgpr5
	s_branch .LBB127_887
.LBB127_852:
	s_mov_b64 s[58:59], -1
	s_mov_b64 s[0:1], 0
	s_mov_b64 s[56:57], s[46:47]
                                        ; implicit-def: $vgpr5
	s_branch .LBB127_868
.LBB127_853:
	s_mov_b64 s[58:59], -1
	s_mov_b64 s[0:1], 0
	s_mov_b64 s[56:57], s[46:47]
                                        ; implicit-def: $vgpr5
	s_branch .LBB127_863
.LBB127_854:
	s_mov_b64 s[58:59], -1
	s_mov_b64 s[0:1], 0
	s_mov_b64 s[56:57], s[46:47]
                                        ; implicit-def: $vgpr5
	s_branch .LBB127_858
.LBB127_855:
	s_andn2_saveexec_b64 s[58:59], s[58:59]
	s_cbranch_execz .LBB127_738
.LBB127_856:
	v_add_f32_e32 v2, 0x46000000, v3
	v_and_b32_e32 v2, 0xff, v2
	v_cmp_ne_u32_e32 vcc, 0, v2
	s_andn2_b64 s[56:57], s[56:57], exec
	s_and_b64 s[62:63], vcc, exec
	s_or_b64 s[56:57], s[56:57], s[62:63]
	s_or_b64 exec, exec, s[58:59]
	v_mov_b32_e32 v4, 0
	s_and_saveexec_b64 s[58:59], s[56:57]
	s_cbranch_execnz .LBB127_739
	s_branch .LBB127_740
.LBB127_857:
	s_mov_b64 s[56:57], -1
                                        ; implicit-def: $vgpr5
	s_mov_b64 s[0:1], 0
.LBB127_858:
	s_and_b64 vcc, exec, s[58:59]
	s_cbranch_vccz .LBB127_862
; %bb.859:
	s_cmp_eq_u32 s63, 44
	s_cbranch_scc0 .LBB127_861
; %bb.860:
	global_load_ubyte v1, v[3:4], off
	s_movk_i32 s56, 0xff
	v_mov_b32_e32 v6, 0x7e00
	s_mov_b64 s[0:1], -1
	s_waitcnt vmcnt(0)
	v_lshlrev_b32_e32 v5, 23, v1
	v_cvt_f16_f32_e32 v5, v5
	v_cmp_ne_u32_e32 vcc, s56, v1
	s_mov_b64 s[56:57], 0
	v_cndmask_b32_e32 v5, v6, v5, vcc
	v_cmp_ne_u32_e32 vcc, 0, v1
	v_cndmask_b32_e32 v5, 0, v5, vcc
	s_branch .LBB127_862
.LBB127_861:
	s_mov_b64 s[56:57], -1
                                        ; implicit-def: $vgpr5
.LBB127_862:
	s_mov_b64 s[58:59], 0
.LBB127_863:
	s_and_b64 vcc, exec, s[58:59]
	s_cbranch_vccz .LBB127_867
; %bb.864:
	s_cmp_eq_u32 s63, 29
	s_cbranch_scc0 .LBB127_866
; %bb.865:
	global_load_dwordx2 v[5:6], v[3:4], off
	s_mov_b64 s[0:1], -1
	s_mov_b64 s[56:57], 0
	s_mov_b64 s[58:59], 0
	s_waitcnt vmcnt(0)
	v_ffbh_u32_e32 v1, v6
	v_min_u32_e32 v1, 32, v1
	v_lshlrev_b64 v[5:6], v1, v[5:6]
	v_sub_u32_e32 v1, 32, v1
	v_min_u32_e32 v5, 1, v5
	v_or_b32_e32 v5, v6, v5
	v_cvt_f32_u32_e32 v5, v5
	v_ldexp_f32 v1, v5, v1
	v_cvt_f16_f32_e32 v5, v1
	s_branch .LBB127_868
.LBB127_866:
	s_mov_b64 s[56:57], -1
                                        ; implicit-def: $vgpr5
.LBB127_867:
	s_mov_b64 s[58:59], 0
.LBB127_868:
	s_and_b64 vcc, exec, s[58:59]
	s_cbranch_vccz .LBB127_886
; %bb.869:
	s_cmp_lt_i32 s63, 27
	s_cbranch_scc1 .LBB127_872
; %bb.870:
	s_cmp_gt_i32 s63, 27
	s_cbranch_scc0 .LBB127_873
; %bb.871:
	global_load_dword v1, v[3:4], off
	s_mov_b64 s[0:1], 0
	s_waitcnt vmcnt(0)
	v_cvt_f32_u32_e32 v1, v1
	v_cvt_f16_f32_e32 v5, v1
	s_branch .LBB127_874
.LBB127_872:
	s_mov_b64 s[0:1], -1
                                        ; implicit-def: $vgpr5
	s_branch .LBB127_877
.LBB127_873:
	s_mov_b64 s[0:1], -1
                                        ; implicit-def: $vgpr5
.LBB127_874:
	s_andn2_b64 vcc, exec, s[0:1]
	s_cbranch_vccnz .LBB127_876
; %bb.875:
	global_load_ushort v1, v[3:4], off
	s_waitcnt vmcnt(0)
	v_cvt_f16_u16_e32 v5, v1
.LBB127_876:
	s_mov_b64 s[0:1], 0
.LBB127_877:
	s_andn2_b64 vcc, exec, s[0:1]
	s_cbranch_vccnz .LBB127_885
; %bb.878:
	global_load_ubyte v1, v[3:4], off
	s_movk_i32 s0, 0x7f
	s_waitcnt vmcnt(0)
	v_cmp_lt_i16_e32 vcc, s0, v1
	s_mov_b64 s[0:1], 0
	s_and_saveexec_b64 s[58:59], vcc
	s_xor_b64 s[58:59], exec, s[58:59]
	s_cbranch_execz .LBB127_899
; %bb.879:
	s_movk_i32 s0, 0x80
	v_cmp_eq_u16_e32 vcc, s0, v1
	s_mov_b64 s[0:1], -1
	s_and_saveexec_b64 s[60:61], vcc
; %bb.880:
	s_xor_b64 s[0:1], exec, -1
; %bb.881:
	s_or_b64 exec, exec, s[60:61]
	s_and_b64 s[0:1], s[0:1], exec
	s_or_saveexec_b64 s[58:59], s[58:59]
	v_mov_b32_e32 v5, 0x7e00
	s_xor_b64 exec, exec, s[58:59]
	s_cbranch_execnz .LBB127_900
.LBB127_882:
	s_or_b64 exec, exec, s[58:59]
	s_and_saveexec_b64 s[58:59], s[0:1]
	s_cbranch_execz .LBB127_884
.LBB127_883:
	v_lshlrev_b32_e32 v5, 24, v1
	v_and_b32_e32 v1, 0xffff, v1
	v_and_b32_e32 v6, 7, v1
	v_ffbh_u32_e32 v9, v6
	v_min_u32_e32 v9, 32, v9
	v_subrev_u32_e32 v10, 28, v9
	v_bfe_u32 v7, v1, 3, 4
	v_lshlrev_b32_e32 v1, v10, v1
	v_sub_u32_e32 v9, 29, v9
	v_and_b32_e32 v1, 7, v1
	v_cmp_eq_u32_e32 vcc, 0, v7
	v_cndmask_b32_e32 v7, v7, v9, vcc
	v_cndmask_b32_e32 v1, v6, v1, vcc
	v_mov_b32_e32 v6, 0x3b800000
	v_lshlrev_b32_e32 v1, 20, v1
	v_and_b32_e32 v5, 0x80000000, v5
	v_lshl_add_u32 v6, v7, 23, v6
	v_or3_b32 v1, v5, v6, v1
	v_cvt_f16_f32_e32 v5, v1
.LBB127_884:
	s_or_b64 exec, exec, s[58:59]
.LBB127_885:
	s_mov_b64 s[0:1], -1
.LBB127_886:
	s_mov_b64 s[58:59], 0
.LBB127_887:
	s_and_b64 vcc, exec, s[58:59]
	s_cbranch_vccz .LBB127_922
; %bb.888:
	s_cmp_gt_i32 s63, 22
	s_cbranch_scc0 .LBB127_898
; %bb.889:
	s_cmp_lt_i32 s63, 24
	s_cbranch_scc1 .LBB127_901
; %bb.890:
	s_cmp_gt_i32 s63, 24
	s_cbranch_scc0 .LBB127_902
; %bb.891:
	global_load_ubyte v1, v[3:4], off
	s_movk_i32 s0, 0x7f
	s_waitcnt vmcnt(0)
	v_cmp_lt_i16_e32 vcc, s0, v1
	s_mov_b64 s[0:1], 0
	s_and_saveexec_b64 s[58:59], vcc
	s_xor_b64 s[58:59], exec, s[58:59]
	s_cbranch_execz .LBB127_914
; %bb.892:
	s_movk_i32 s0, 0x80
	v_cmp_eq_u16_e32 vcc, s0, v1
	s_mov_b64 s[0:1], -1
	s_and_saveexec_b64 s[60:61], vcc
; %bb.893:
	s_xor_b64 s[0:1], exec, -1
; %bb.894:
	s_or_b64 exec, exec, s[60:61]
	s_and_b64 s[0:1], s[0:1], exec
	s_or_saveexec_b64 s[58:59], s[58:59]
	v_mov_b32_e32 v5, 0x7e00
	s_xor_b64 exec, exec, s[58:59]
	s_cbranch_execnz .LBB127_915
.LBB127_895:
	s_or_b64 exec, exec, s[58:59]
	s_and_saveexec_b64 s[58:59], s[0:1]
	s_cbranch_execz .LBB127_897
.LBB127_896:
	v_lshlrev_b32_e32 v5, 24, v1
	v_and_b32_e32 v1, 0xffff, v1
	v_and_b32_e32 v6, 3, v1
	v_ffbh_u32_e32 v9, v6
	v_min_u32_e32 v9, 32, v9
	v_subrev_u32_e32 v10, 29, v9
	v_bfe_u32 v7, v1, 2, 5
	v_lshlrev_b32_e32 v1, v10, v1
	v_sub_u32_e32 v9, 30, v9
	v_and_b32_e32 v1, 3, v1
	v_cmp_eq_u32_e32 vcc, 0, v7
	v_cndmask_b32_e32 v7, v7, v9, vcc
	v_cndmask_b32_e32 v1, v6, v1, vcc
	v_mov_b32_e32 v6, 0x37800000
	v_lshlrev_b32_e32 v1, 21, v1
	v_and_b32_e32 v5, 0x80000000, v5
	v_lshl_add_u32 v6, v7, 23, v6
	v_or3_b32 v1, v5, v6, v1
	v_cvt_f16_f32_e32 v5, v1
.LBB127_897:
	s_or_b64 exec, exec, s[58:59]
	s_mov_b64 s[0:1], 0
	s_branch .LBB127_903
.LBB127_898:
	s_mov_b64 s[58:59], -1
                                        ; implicit-def: $vgpr5
	s_branch .LBB127_909
.LBB127_899:
	s_or_saveexec_b64 s[58:59], s[58:59]
	v_mov_b32_e32 v5, 0x7e00
	s_xor_b64 exec, exec, s[58:59]
	s_cbranch_execz .LBB127_882
.LBB127_900:
	v_cmp_ne_u16_e32 vcc, 0, v1
	s_andn2_b64 s[0:1], s[0:1], exec
	s_and_b64 s[60:61], vcc, exec
	s_or_b64 s[0:1], s[0:1], s[60:61]
	v_mov_b32_e32 v5, v1
	s_or_b64 exec, exec, s[58:59]
	s_and_saveexec_b64 s[58:59], s[0:1]
	s_cbranch_execnz .LBB127_883
	s_branch .LBB127_884
.LBB127_901:
	s_mov_b64 s[0:1], -1
                                        ; implicit-def: $vgpr5
	s_branch .LBB127_906
.LBB127_902:
	s_mov_b64 s[0:1], -1
                                        ; implicit-def: $vgpr5
.LBB127_903:
	s_and_b64 vcc, exec, s[0:1]
	s_cbranch_vccz .LBB127_905
; %bb.904:
	global_load_ubyte v1, v[3:4], off
	s_mov_b32 s0, 0x7f800000
	s_waitcnt vmcnt(0)
	v_lshlrev_b32_e32 v1, 24, v1
	v_and_b32_e32 v5, 0x7f000000, v1
	v_ffbh_u32_e32 v6, v5
	v_min_u32_e32 v6, 32, v6
	v_sub_u32_e64 v6, v6, 4 clamp
	v_lshlrev_b32_e32 v9, v6, v5
	v_lshlrev_b32_e32 v6, 23, v6
	v_lshrrev_b32_e32 v9, 4, v9
	v_add_u32_e32 v7, 0x1000000, v5
	v_sub_u32_e32 v6, v9, v6
	v_ashrrev_i32_e32 v7, 8, v7
	v_add_u32_e32 v6, 0x3c000000, v6
	v_and_or_b32 v6, v7, s0, v6
	v_cmp_ne_u32_e32 vcc, 0, v5
	v_cndmask_b32_e32 v5, 0, v6, vcc
	s_brev_b32 s0, 1
	v_and_or_b32 v1, v1, s0, v5
	v_cvt_f16_f32_e32 v5, v1
.LBB127_905:
	s_mov_b64 s[0:1], 0
.LBB127_906:
	s_andn2_b64 vcc, exec, s[0:1]
	s_cbranch_vccnz .LBB127_908
; %bb.907:
	global_load_ubyte v1, v[3:4], off
	s_movk_i32 s0, 0x7f00
	s_brev_b32 s1, 16
	s_waitcnt vmcnt(0)
	v_lshlrev_b16_e32 v5, 8, v1
	v_lshlrev_b32_e32 v1, 25, v1
	v_lshrrev_b32_e32 v6, 4, v1
	v_and_or_b32 v7, v5, s0, 0.5
	v_or_b32_e32 v6, 0x70000000, v6
	v_add_f32_e32 v7, -0.5, v7
	v_mul_f32_e32 v6, 0x7800000, v6
	v_cmp_gt_u32_e32 vcc, s1, v1
	v_bfe_i32 v5, v5, 0, 16
	v_cndmask_b32_e32 v1, v6, v7, vcc
	s_brev_b32 s0, 1
	v_and_or_b32 v1, v5, s0, v1
	v_cvt_f16_f32_e32 v5, v1
.LBB127_908:
	s_mov_b64 s[58:59], 0
	s_mov_b64 s[0:1], -1
.LBB127_909:
	s_andn2_b64 vcc, exec, s[58:59]
	s_cbranch_vccnz .LBB127_922
; %bb.910:
	s_cmp_gt_i32 s63, 14
	s_cbranch_scc0 .LBB127_913
; %bb.911:
	s_cmp_eq_u32 s63, 15
	s_cbranch_scc0 .LBB127_916
; %bb.912:
	global_load_ushort v1, v[3:4], off
	s_mov_b64 s[0:1], -1
	s_mov_b64 s[56:57], 0
	s_waitcnt vmcnt(0)
	v_lshlrev_b32_e32 v1, 16, v1
	v_cvt_f16_f32_e32 v5, v1
	s_branch .LBB127_917
.LBB127_913:
	s_mov_b64 s[58:59], -1
                                        ; implicit-def: $vgpr5
	s_branch .LBB127_918
.LBB127_914:
	s_or_saveexec_b64 s[58:59], s[58:59]
	v_mov_b32_e32 v5, 0x7e00
	s_xor_b64 exec, exec, s[58:59]
	s_cbranch_execz .LBB127_895
.LBB127_915:
	v_cmp_ne_u16_e32 vcc, 0, v1
	s_andn2_b64 s[0:1], s[0:1], exec
	s_and_b64 s[60:61], vcc, exec
	s_or_b64 s[0:1], s[0:1], s[60:61]
	v_mov_b32_e32 v5, v1
	s_or_b64 exec, exec, s[58:59]
	s_and_saveexec_b64 s[58:59], s[0:1]
	s_cbranch_execnz .LBB127_896
	s_branch .LBB127_897
.LBB127_916:
	s_mov_b64 s[56:57], -1
                                        ; implicit-def: $vgpr5
.LBB127_917:
	s_mov_b64 s[58:59], 0
.LBB127_918:
	s_and_b64 vcc, exec, s[58:59]
	s_cbranch_vccz .LBB127_922
; %bb.919:
	s_cmp_eq_u32 s63, 11
	s_cbranch_scc0 .LBB127_921
; %bb.920:
	global_load_ubyte v1, v[3:4], off
	v_mov_b32_e32 v5, 0x3c00
	s_mov_b64 s[0:1], -1
	s_mov_b64 s[56:57], 0
	s_waitcnt vmcnt(0)
	v_cmp_ne_u16_e32 vcc, 0, v1
	v_cndmask_b32_e32 v5, 0, v5, vcc
	s_branch .LBB127_922
.LBB127_921:
	s_mov_b64 s[56:57], -1
                                        ; implicit-def: $vgpr5
.LBB127_922:
	s_mov_b64 s[58:59], 0
.LBB127_923:
	s_and_b64 vcc, exec, s[58:59]
	s_cbranch_vccz .LBB127_972
; %bb.924:
	s_and_b32 s58, 0xffff, s62
	s_cmp_lt_i32 s58, 5
	s_cbranch_scc1 .LBB127_929
; %bb.925:
	s_cmp_lt_i32 s58, 8
	s_cbranch_scc1 .LBB127_930
; %bb.926:
	;; [unrolled: 3-line block ×3, first 2 shown]
	s_cmp_gt_i32 s58, 9
	s_cbranch_scc0 .LBB127_932
; %bb.928:
	global_load_dwordx2 v[5:6], v[3:4], off
	s_movk_i32 s0, 0x1ff
	s_movk_i32 s1, 0xffe
	v_mov_b32_e32 v1, 0x7c00
	v_mov_b32_e32 v7, 0x7e00
	s_movk_i32 s59, 0x40f
	s_mov_b32 s60, 0x8000
	s_waitcnt vmcnt(0)
	v_and_or_b32 v5, v6, s0, v5
	v_cmp_ne_u32_e32 vcc, 0, v5
	v_lshrrev_b32_e32 v9, 8, v6
	v_bfe_u32 v10, v6, 20, 11
	v_cndmask_b32_e64 v5, 0, 1, vcc
	v_sub_u32_e32 v11, 0x3f1, v10
	v_and_or_b32 v5, v9, s1, v5
	v_add_u32_e32 v10, 0xfffffc10, v10
	v_med3_i32 v9, v11, 0, 13
	v_or_b32_e32 v11, 0x1000, v5
	v_cmp_ne_u32_e32 vcc, 0, v5
	v_lshl_or_b32 v12, v10, 12, v5
	v_cndmask_b32_e32 v5, v1, v7, vcc
	v_lshrrev_b32_e32 v7, v9, v11
	v_lshlrev_b32_e32 v9, v9, v7
	v_cmp_ne_u32_e32 vcc, v9, v11
	v_cndmask_b32_e64 v9, 0, 1, vcc
	v_or_b32_e32 v7, v7, v9
	v_cmp_gt_i32_e32 vcc, 1, v10
	v_cndmask_b32_e32 v7, v12, v7, vcc
	v_and_b32_e32 v9, 7, v7
	v_cmp_lt_i32_e32 vcc, 5, v9
	v_cndmask_b32_e64 v11, 0, 1, vcc
	v_cmp_eq_u32_e32 vcc, 3, v9
	v_cndmask_b32_e64 v9, 0, 1, vcc
	v_lshrrev_b32_e32 v7, 2, v7
	v_or_b32_e32 v9, v9, v11
	v_add_u32_e32 v7, v7, v9
	v_cmp_gt_i32_e32 vcc, 31, v10
	v_cndmask_b32_e32 v1, v1, v7, vcc
	v_cmp_eq_u32_e32 vcc, s59, v10
	v_lshrrev_b32_e32 v6, 16, v6
	v_cndmask_b32_e32 v1, v1, v5, vcc
	v_and_or_b32 v5, v6, s60, v1
	s_mov_b64 s[0:1], 0
	s_branch .LBB127_933
.LBB127_929:
	s_mov_b64 s[0:1], -1
                                        ; implicit-def: $vgpr5
	s_branch .LBB127_951
.LBB127_930:
	s_mov_b64 s[0:1], -1
                                        ; implicit-def: $vgpr5
	s_branch .LBB127_939
.LBB127_931:
	s_mov_b64 s[0:1], -1
                                        ; implicit-def: $vgpr5
	s_branch .LBB127_936
.LBB127_932:
	s_mov_b64 s[0:1], -1
                                        ; implicit-def: $vgpr5
.LBB127_933:
	s_andn2_b64 vcc, exec, s[0:1]
	s_cbranch_vccnz .LBB127_935
; %bb.934:
	global_load_dword v1, v[3:4], off
	s_waitcnt vmcnt(0)
	v_cvt_f16_f32_e32 v5, v1
.LBB127_935:
	s_mov_b64 s[0:1], 0
.LBB127_936:
	s_andn2_b64 vcc, exec, s[0:1]
	s_cbranch_vccnz .LBB127_938
; %bb.937:
	global_load_dword v5, v[3:4], off
.LBB127_938:
	s_mov_b64 s[0:1], 0
.LBB127_939:
	s_andn2_b64 vcc, exec, s[0:1]
	s_cbranch_vccnz .LBB127_950
; %bb.940:
	s_cmp_lt_i32 s58, 6
	s_cbranch_scc1 .LBB127_943
; %bb.941:
	s_cmp_gt_i32 s58, 6
	s_cbranch_scc0 .LBB127_944
; %bb.942:
	global_load_dwordx2 v[5:6], v[3:4], off
	s_movk_i32 s0, 0x1ff
	s_movk_i32 s1, 0xffe
	v_mov_b32_e32 v1, 0x7c00
	v_mov_b32_e32 v7, 0x7e00
	s_movk_i32 s59, 0x40f
	s_mov_b32 s60, 0x8000
	s_waitcnt vmcnt(0)
	v_and_or_b32 v5, v6, s0, v5
	v_cmp_ne_u32_e32 vcc, 0, v5
	v_lshrrev_b32_e32 v9, 8, v6
	v_bfe_u32 v10, v6, 20, 11
	v_cndmask_b32_e64 v5, 0, 1, vcc
	v_sub_u32_e32 v11, 0x3f1, v10
	v_and_or_b32 v5, v9, s1, v5
	v_add_u32_e32 v10, 0xfffffc10, v10
	v_med3_i32 v9, v11, 0, 13
	v_or_b32_e32 v11, 0x1000, v5
	v_cmp_ne_u32_e32 vcc, 0, v5
	v_lshl_or_b32 v12, v10, 12, v5
	v_cndmask_b32_e32 v5, v1, v7, vcc
	v_lshrrev_b32_e32 v7, v9, v11
	v_lshlrev_b32_e32 v9, v9, v7
	v_cmp_ne_u32_e32 vcc, v9, v11
	v_cndmask_b32_e64 v9, 0, 1, vcc
	v_or_b32_e32 v7, v7, v9
	v_cmp_gt_i32_e32 vcc, 1, v10
	v_cndmask_b32_e32 v7, v12, v7, vcc
	v_and_b32_e32 v9, 7, v7
	v_cmp_lt_i32_e32 vcc, 5, v9
	v_cndmask_b32_e64 v11, 0, 1, vcc
	v_cmp_eq_u32_e32 vcc, 3, v9
	v_cndmask_b32_e64 v9, 0, 1, vcc
	v_lshrrev_b32_e32 v7, 2, v7
	v_or_b32_e32 v9, v9, v11
	v_add_u32_e32 v7, v7, v9
	v_cmp_gt_i32_e32 vcc, 31, v10
	v_cndmask_b32_e32 v1, v1, v7, vcc
	v_cmp_eq_u32_e32 vcc, s59, v10
	v_lshrrev_b32_e32 v6, 16, v6
	v_cndmask_b32_e32 v1, v1, v5, vcc
	v_and_or_b32 v5, v6, s60, v1
	s_mov_b64 s[0:1], 0
	s_branch .LBB127_945
.LBB127_943:
	s_mov_b64 s[0:1], -1
                                        ; implicit-def: $vgpr5
	s_branch .LBB127_948
.LBB127_944:
	s_mov_b64 s[0:1], -1
                                        ; implicit-def: $vgpr5
.LBB127_945:
	s_andn2_b64 vcc, exec, s[0:1]
	s_cbranch_vccnz .LBB127_947
; %bb.946:
	global_load_dword v1, v[3:4], off
	s_waitcnt vmcnt(0)
	v_cvt_f16_f32_e32 v5, v1
.LBB127_947:
	s_mov_b64 s[0:1], 0
.LBB127_948:
	s_andn2_b64 vcc, exec, s[0:1]
	s_cbranch_vccnz .LBB127_950
; %bb.949:
	global_load_ushort v5, v[3:4], off
.LBB127_950:
	s_mov_b64 s[0:1], 0
.LBB127_951:
	s_andn2_b64 vcc, exec, s[0:1]
	s_cbranch_vccnz .LBB127_971
; %bb.952:
	s_cmp_lt_i32 s58, 2
	s_cbranch_scc1 .LBB127_956
; %bb.953:
	s_cmp_lt_i32 s58, 3
	s_cbranch_scc1 .LBB127_957
; %bb.954:
	s_cmp_gt_i32 s58, 3
	s_cbranch_scc0 .LBB127_958
; %bb.955:
	global_load_dwordx2 v[5:6], v[3:4], off
	s_mov_b64 s[0:1], 0
	s_waitcnt vmcnt(0)
	v_xor_b32_e32 v7, v5, v6
	v_ffbh_i32_e32 v1, v6
	v_ashrrev_i32_e32 v7, 31, v7
	v_add_u32_e32 v1, -1, v1
	v_add_u32_e32 v7, 32, v7
	v_min_u32_e32 v1, v1, v7
	v_lshlrev_b64 v[5:6], v1, v[5:6]
	v_sub_u32_e32 v1, 32, v1
	v_min_u32_e32 v5, 1, v5
	v_or_b32_e32 v5, v6, v5
	v_cvt_f32_i32_e32 v5, v5
	v_ldexp_f32 v1, v5, v1
	v_cvt_f16_f32_e32 v5, v1
	s_branch .LBB127_959
.LBB127_956:
	s_mov_b64 s[0:1], -1
                                        ; implicit-def: $vgpr5
	s_branch .LBB127_965
.LBB127_957:
	s_mov_b64 s[0:1], -1
                                        ; implicit-def: $vgpr5
	s_branch .LBB127_962
.LBB127_958:
	s_mov_b64 s[0:1], -1
                                        ; implicit-def: $vgpr5
.LBB127_959:
	s_andn2_b64 vcc, exec, s[0:1]
	s_cbranch_vccnz .LBB127_961
; %bb.960:
	global_load_dword v1, v[3:4], off
	s_waitcnt vmcnt(0)
	v_cvt_f32_i32_e32 v1, v1
	v_cvt_f16_f32_e32 v5, v1
.LBB127_961:
	s_mov_b64 s[0:1], 0
.LBB127_962:
	s_andn2_b64 vcc, exec, s[0:1]
	s_cbranch_vccnz .LBB127_964
; %bb.963:
	global_load_ushort v1, v[3:4], off
	s_waitcnt vmcnt(0)
	v_cvt_f16_i16_e32 v5, v1
.LBB127_964:
	s_mov_b64 s[0:1], 0
.LBB127_965:
	s_andn2_b64 vcc, exec, s[0:1]
	s_cbranch_vccnz .LBB127_971
; %bb.966:
	s_cmp_gt_i32 s58, 0
	s_cbranch_scc0 .LBB127_968
; %bb.967:
	global_load_sbyte v1, v[3:4], off
	s_mov_b64 s[0:1], 0
	s_waitcnt vmcnt(0)
	v_cvt_f16_i16_e32 v5, v1
	s_branch .LBB127_969
.LBB127_968:
	s_mov_b64 s[0:1], -1
                                        ; implicit-def: $vgpr5
.LBB127_969:
	s_andn2_b64 vcc, exec, s[0:1]
	s_cbranch_vccnz .LBB127_971
; %bb.970:
	global_load_ubyte v1, v[3:4], off
	s_waitcnt vmcnt(0)
	v_cvt_f16_u16_e32 v5, v1
.LBB127_971:
	s_mov_b64 s[0:1], -1
.LBB127_972:
	s_andn2_b64 vcc, exec, s[0:1]
	s_cbranch_vccnz .LBB127_980
; %bb.973:
	v_mov_b32_e32 v3, s13
	s_and_b32 s64, s71, 0xff
	v_add_co_u32_e32 v1, vcc, s12, v2
	s_cmp_lt_i32 s64, 11
	v_addc_co_u32_e32 v2, vcc, 0, v3, vcc
	s_cbranch_scc1 .LBB127_982
; %bb.974:
	s_and_b32 s65, 0xffff, s64
	s_cmp_gt_i32 s65, 25
	s_cbranch_scc0 .LBB127_983
; %bb.975:
	s_cmp_gt_i32 s65, 28
	s_cbranch_scc0 .LBB127_984
; %bb.976:
	;; [unrolled: 3-line block ×4, first 2 shown]
	s_cmp_eq_u32 s65, 46
	s_mov_b64 s[60:61], 0
	s_cbranch_scc0 .LBB127_989
; %bb.979:
	global_load_dword v3, v[1:2], off
	s_mov_b64 s[0:1], -1
	s_mov_b64 s[58:59], 0
	s_waitcnt vmcnt(0)
	v_lshlrev_b32_e32 v3, 16, v3
	v_cvt_f16_f32_e32 v3, v3
	s_branch .LBB127_990
.LBB127_980:
	s_mov_b64 s[62:63], 0
	s_mov_b64 s[0:1], s[50:51]
	;; [unrolled: 1-line block ×3, first 2 shown]
.LBB127_981:
                                        ; implicit-def: $vgpr8
	s_branch .LBB127_1245
.LBB127_982:
	s_mov_b64 s[60:61], -1
	s_mov_b64 s[0:1], 0
                                        ; implicit-def: $vgpr3
	s_mov_b64 s[58:59], s[48:49]
	s_branch .LBB127_1055
.LBB127_983:
	s_mov_b64 s[60:61], -1
	s_mov_b64 s[0:1], 0
	s_mov_b64 s[58:59], s[48:49]
                                        ; implicit-def: $vgpr3
	s_branch .LBB127_1019
.LBB127_984:
	s_mov_b64 s[60:61], -1
	s_mov_b64 s[0:1], 0
	s_mov_b64 s[58:59], s[48:49]
                                        ; implicit-def: $vgpr3
	s_branch .LBB127_1000
.LBB127_985:
	s_mov_b64 s[60:61], -1
	s_mov_b64 s[0:1], 0
	s_mov_b64 s[58:59], s[48:49]
                                        ; implicit-def: $vgpr3
	s_branch .LBB127_995
.LBB127_986:
	s_mov_b64 s[60:61], -1
	s_mov_b64 s[0:1], 0
	s_mov_b64 s[58:59], s[48:49]
                                        ; implicit-def: $vgpr3
	s_branch .LBB127_990
.LBB127_987:
	s_andn2_saveexec_b64 s[58:59], s[58:59]
	s_cbranch_execz .LBB127_751
.LBB127_988:
	v_add_f32_e32 v2, 0x42800000, v3
	v_and_b32_e32 v2, 0xff, v2
	v_cmp_ne_u32_e32 vcc, 0, v2
	s_andn2_b64 s[56:57], s[56:57], exec
	s_and_b64 s[62:63], vcc, exec
	s_or_b64 s[56:57], s[56:57], s[62:63]
	s_or_b64 exec, exec, s[58:59]
	v_mov_b32_e32 v4, 0
	s_and_saveexec_b64 s[58:59], s[56:57]
	s_cbranch_execnz .LBB127_752
	s_branch .LBB127_753
.LBB127_989:
	s_mov_b64 s[58:59], -1
                                        ; implicit-def: $vgpr3
	s_mov_b64 s[0:1], 0
.LBB127_990:
	s_and_b64 vcc, exec, s[60:61]
	s_cbranch_vccz .LBB127_994
; %bb.991:
	s_cmp_eq_u32 s65, 44
	s_cbranch_scc0 .LBB127_993
; %bb.992:
	global_load_ubyte v3, v[1:2], off
	s_movk_i32 s58, 0xff
	v_mov_b32_e32 v6, 0x7e00
	s_mov_b64 s[0:1], -1
	s_waitcnt vmcnt(0)
	v_lshlrev_b32_e32 v4, 23, v3
	v_cvt_f16_f32_e32 v4, v4
	v_cmp_ne_u32_e32 vcc, s58, v3
	s_mov_b64 s[58:59], 0
	v_cndmask_b32_e32 v4, v6, v4, vcc
	v_cmp_ne_u32_e32 vcc, 0, v3
	v_cndmask_b32_e32 v3, 0, v4, vcc
	s_branch .LBB127_994
.LBB127_993:
	s_mov_b64 s[58:59], -1
                                        ; implicit-def: $vgpr3
.LBB127_994:
	s_mov_b64 s[60:61], 0
.LBB127_995:
	s_and_b64 vcc, exec, s[60:61]
	s_cbranch_vccz .LBB127_999
; %bb.996:
	s_cmp_eq_u32 s65, 29
	s_cbranch_scc0 .LBB127_998
; %bb.997:
	global_load_dwordx2 v[3:4], v[1:2], off
	s_mov_b64 s[0:1], -1
	s_mov_b64 s[58:59], 0
	s_mov_b64 s[60:61], 0
	s_waitcnt vmcnt(0)
	v_ffbh_u32_e32 v6, v4
	v_min_u32_e32 v6, 32, v6
	v_lshlrev_b64 v[3:4], v6, v[3:4]
	v_min_u32_e32 v3, 1, v3
	v_or_b32_e32 v3, v4, v3
	v_cvt_f32_u32_e32 v3, v3
	v_sub_u32_e32 v4, 32, v6
	v_ldexp_f32 v3, v3, v4
	v_cvt_f16_f32_e32 v3, v3
	s_branch .LBB127_1000
.LBB127_998:
	s_mov_b64 s[58:59], -1
                                        ; implicit-def: $vgpr3
.LBB127_999:
	s_mov_b64 s[60:61], 0
.LBB127_1000:
	s_and_b64 vcc, exec, s[60:61]
	s_cbranch_vccz .LBB127_1018
; %bb.1001:
	s_cmp_lt_i32 s65, 27
	s_cbranch_scc1 .LBB127_1004
; %bb.1002:
	s_cmp_gt_i32 s65, 27
	s_cbranch_scc0 .LBB127_1005
; %bb.1003:
	global_load_dword v3, v[1:2], off
	s_mov_b64 s[0:1], 0
	s_waitcnt vmcnt(0)
	v_cvt_f32_u32_e32 v3, v3
	v_cvt_f16_f32_e32 v3, v3
	s_branch .LBB127_1006
.LBB127_1004:
	s_mov_b64 s[0:1], -1
                                        ; implicit-def: $vgpr3
	s_branch .LBB127_1009
.LBB127_1005:
	s_mov_b64 s[0:1], -1
                                        ; implicit-def: $vgpr3
.LBB127_1006:
	s_andn2_b64 vcc, exec, s[0:1]
	s_cbranch_vccnz .LBB127_1008
; %bb.1007:
	global_load_ushort v3, v[1:2], off
	s_waitcnt vmcnt(0)
	v_cvt_f16_u16_e32 v3, v3
.LBB127_1008:
	s_mov_b64 s[0:1], 0
.LBB127_1009:
	s_andn2_b64 vcc, exec, s[0:1]
	s_cbranch_vccnz .LBB127_1017
; %bb.1010:
	global_load_ubyte v4, v[1:2], off
	s_movk_i32 s0, 0x7f
	s_waitcnt vmcnt(0)
	v_cmp_lt_i16_e32 vcc, s0, v4
	s_mov_b64 s[0:1], 0
	s_and_saveexec_b64 s[60:61], vcc
	s_xor_b64 s[60:61], exec, s[60:61]
	s_cbranch_execz .LBB127_1031
; %bb.1011:
	s_movk_i32 s0, 0x80
	v_cmp_eq_u16_e32 vcc, s0, v4
	s_mov_b64 s[0:1], -1
	s_and_saveexec_b64 s[62:63], vcc
; %bb.1012:
	s_xor_b64 s[0:1], exec, -1
; %bb.1013:
	s_or_b64 exec, exec, s[62:63]
	s_and_b64 s[0:1], s[0:1], exec
	s_or_saveexec_b64 s[60:61], s[60:61]
	v_mov_b32_e32 v3, 0x7e00
	s_xor_b64 exec, exec, s[60:61]
	s_cbranch_execnz .LBB127_1032
.LBB127_1014:
	s_or_b64 exec, exec, s[60:61]
	s_and_saveexec_b64 s[60:61], s[0:1]
	s_cbranch_execz .LBB127_1016
.LBB127_1015:
	v_lshlrev_b32_e32 v3, 24, v4
	v_and_b32_e32 v4, 0xffff, v4
	v_and_b32_e32 v6, 7, v4
	v_ffbh_u32_e32 v9, v6
	v_min_u32_e32 v9, 32, v9
	v_subrev_u32_e32 v10, 28, v9
	v_bfe_u32 v7, v4, 3, 4
	v_lshlrev_b32_e32 v4, v10, v4
	v_sub_u32_e32 v9, 29, v9
	v_and_b32_e32 v4, 7, v4
	v_cmp_eq_u32_e32 vcc, 0, v7
	v_cndmask_b32_e32 v7, v7, v9, vcc
	v_cndmask_b32_e32 v4, v6, v4, vcc
	v_mov_b32_e32 v6, 0x3b800000
	v_lshlrev_b32_e32 v4, 20, v4
	v_and_b32_e32 v3, 0x80000000, v3
	v_lshl_add_u32 v6, v7, 23, v6
	v_or3_b32 v3, v3, v6, v4
	v_cvt_f16_f32_e32 v3, v3
.LBB127_1016:
	s_or_b64 exec, exec, s[60:61]
.LBB127_1017:
	s_mov_b64 s[0:1], -1
.LBB127_1018:
	s_mov_b64 s[60:61], 0
.LBB127_1019:
	s_and_b64 vcc, exec, s[60:61]
	s_cbranch_vccz .LBB127_1054
; %bb.1020:
	s_cmp_gt_i32 s65, 22
	s_cbranch_scc0 .LBB127_1030
; %bb.1021:
	s_cmp_lt_i32 s65, 24
	s_cbranch_scc1 .LBB127_1033
; %bb.1022:
	s_cmp_gt_i32 s65, 24
	s_cbranch_scc0 .LBB127_1034
; %bb.1023:
	global_load_ubyte v4, v[1:2], off
	s_movk_i32 s0, 0x7f
	s_waitcnt vmcnt(0)
	v_cmp_lt_i16_e32 vcc, s0, v4
	s_mov_b64 s[0:1], 0
	s_and_saveexec_b64 s[60:61], vcc
	s_xor_b64 s[60:61], exec, s[60:61]
	s_cbranch_execz .LBB127_1046
; %bb.1024:
	s_movk_i32 s0, 0x80
	v_cmp_eq_u16_e32 vcc, s0, v4
	s_mov_b64 s[0:1], -1
	s_and_saveexec_b64 s[62:63], vcc
; %bb.1025:
	s_xor_b64 s[0:1], exec, -1
; %bb.1026:
	s_or_b64 exec, exec, s[62:63]
	s_and_b64 s[0:1], s[0:1], exec
	s_or_saveexec_b64 s[60:61], s[60:61]
	v_mov_b32_e32 v3, 0x7e00
	s_xor_b64 exec, exec, s[60:61]
	s_cbranch_execnz .LBB127_1047
.LBB127_1027:
	s_or_b64 exec, exec, s[60:61]
	s_and_saveexec_b64 s[60:61], s[0:1]
	s_cbranch_execz .LBB127_1029
.LBB127_1028:
	v_lshlrev_b32_e32 v3, 24, v4
	v_and_b32_e32 v4, 0xffff, v4
	v_and_b32_e32 v6, 3, v4
	v_ffbh_u32_e32 v9, v6
	v_min_u32_e32 v9, 32, v9
	v_subrev_u32_e32 v10, 29, v9
	v_bfe_u32 v7, v4, 2, 5
	v_lshlrev_b32_e32 v4, v10, v4
	v_sub_u32_e32 v9, 30, v9
	v_and_b32_e32 v4, 3, v4
	v_cmp_eq_u32_e32 vcc, 0, v7
	v_cndmask_b32_e32 v7, v7, v9, vcc
	v_cndmask_b32_e32 v4, v6, v4, vcc
	v_mov_b32_e32 v6, 0x37800000
	v_lshlrev_b32_e32 v4, 21, v4
	v_and_b32_e32 v3, 0x80000000, v3
	v_lshl_add_u32 v6, v7, 23, v6
	v_or3_b32 v3, v3, v6, v4
	v_cvt_f16_f32_e32 v3, v3
.LBB127_1029:
	s_or_b64 exec, exec, s[60:61]
	s_mov_b64 s[0:1], 0
	s_branch .LBB127_1035
.LBB127_1030:
	s_mov_b64 s[60:61], -1
                                        ; implicit-def: $vgpr3
	s_branch .LBB127_1041
.LBB127_1031:
	s_or_saveexec_b64 s[60:61], s[60:61]
	v_mov_b32_e32 v3, 0x7e00
	s_xor_b64 exec, exec, s[60:61]
	s_cbranch_execz .LBB127_1014
.LBB127_1032:
	v_cmp_ne_u16_e32 vcc, 0, v4
	s_andn2_b64 s[0:1], s[0:1], exec
	s_and_b64 s[62:63], vcc, exec
	s_or_b64 s[0:1], s[0:1], s[62:63]
	v_mov_b32_e32 v3, v4
	s_or_b64 exec, exec, s[60:61]
	s_and_saveexec_b64 s[60:61], s[0:1]
	s_cbranch_execnz .LBB127_1015
	s_branch .LBB127_1016
.LBB127_1033:
	s_mov_b64 s[0:1], -1
                                        ; implicit-def: $vgpr3
	s_branch .LBB127_1038
.LBB127_1034:
	s_mov_b64 s[0:1], -1
                                        ; implicit-def: $vgpr3
.LBB127_1035:
	s_and_b64 vcc, exec, s[0:1]
	s_cbranch_vccz .LBB127_1037
; %bb.1036:
	global_load_ubyte v3, v[1:2], off
	s_mov_b32 s0, 0x7f800000
	s_waitcnt vmcnt(0)
	v_lshlrev_b32_e32 v3, 24, v3
	v_and_b32_e32 v4, 0x7f000000, v3
	v_ffbh_u32_e32 v6, v4
	v_min_u32_e32 v6, 32, v6
	v_sub_u32_e64 v6, v6, 4 clamp
	v_lshlrev_b32_e32 v9, v6, v4
	v_lshlrev_b32_e32 v6, 23, v6
	v_lshrrev_b32_e32 v9, 4, v9
	v_add_u32_e32 v7, 0x1000000, v4
	v_sub_u32_e32 v6, v9, v6
	v_ashrrev_i32_e32 v7, 8, v7
	v_add_u32_e32 v6, 0x3c000000, v6
	v_and_or_b32 v6, v7, s0, v6
	v_cmp_ne_u32_e32 vcc, 0, v4
	v_cndmask_b32_e32 v4, 0, v6, vcc
	s_brev_b32 s0, 1
	v_and_or_b32 v3, v3, s0, v4
	v_cvt_f16_f32_e32 v3, v3
.LBB127_1037:
	s_mov_b64 s[0:1], 0
.LBB127_1038:
	s_andn2_b64 vcc, exec, s[0:1]
	s_cbranch_vccnz .LBB127_1040
; %bb.1039:
	global_load_ubyte v3, v[1:2], off
	s_movk_i32 s0, 0x7f00
	s_brev_b32 s1, 16
	s_waitcnt vmcnt(0)
	v_lshlrev_b16_e32 v4, 8, v3
	v_lshlrev_b32_e32 v3, 25, v3
	v_lshrrev_b32_e32 v6, 4, v3
	v_and_or_b32 v7, v4, s0, 0.5
	v_or_b32_e32 v6, 0x70000000, v6
	v_add_f32_e32 v7, -0.5, v7
	v_mul_f32_e32 v6, 0x7800000, v6
	v_cmp_gt_u32_e32 vcc, s1, v3
	v_bfe_i32 v4, v4, 0, 16
	v_cndmask_b32_e32 v3, v6, v7, vcc
	s_brev_b32 s0, 1
	v_and_or_b32 v3, v4, s0, v3
	v_cvt_f16_f32_e32 v3, v3
.LBB127_1040:
	s_mov_b64 s[60:61], 0
	s_mov_b64 s[0:1], -1
.LBB127_1041:
	s_andn2_b64 vcc, exec, s[60:61]
	s_cbranch_vccnz .LBB127_1054
; %bb.1042:
	s_cmp_gt_i32 s65, 14
	s_cbranch_scc0 .LBB127_1045
; %bb.1043:
	s_cmp_eq_u32 s65, 15
	s_cbranch_scc0 .LBB127_1048
; %bb.1044:
	global_load_ushort v3, v[1:2], off
	s_mov_b64 s[0:1], -1
	s_mov_b64 s[58:59], 0
	s_waitcnt vmcnt(0)
	v_lshlrev_b32_e32 v3, 16, v3
	v_cvt_f16_f32_e32 v3, v3
	s_branch .LBB127_1049
.LBB127_1045:
	s_mov_b64 s[60:61], -1
                                        ; implicit-def: $vgpr3
	s_branch .LBB127_1050
.LBB127_1046:
	s_or_saveexec_b64 s[60:61], s[60:61]
	v_mov_b32_e32 v3, 0x7e00
	s_xor_b64 exec, exec, s[60:61]
	s_cbranch_execz .LBB127_1027
.LBB127_1047:
	v_cmp_ne_u16_e32 vcc, 0, v4
	s_andn2_b64 s[0:1], s[0:1], exec
	s_and_b64 s[62:63], vcc, exec
	s_or_b64 s[0:1], s[0:1], s[62:63]
	v_mov_b32_e32 v3, v4
	s_or_b64 exec, exec, s[60:61]
	s_and_saveexec_b64 s[60:61], s[0:1]
	s_cbranch_execnz .LBB127_1028
	s_branch .LBB127_1029
.LBB127_1048:
	s_mov_b64 s[58:59], -1
                                        ; implicit-def: $vgpr3
.LBB127_1049:
	s_mov_b64 s[60:61], 0
.LBB127_1050:
	s_and_b64 vcc, exec, s[60:61]
	s_cbranch_vccz .LBB127_1054
; %bb.1051:
	s_cmp_eq_u32 s65, 11
	s_cbranch_scc0 .LBB127_1053
; %bb.1052:
	global_load_ubyte v3, v[1:2], off
	v_mov_b32_e32 v4, 0x3c00
	s_mov_b64 s[0:1], -1
	s_mov_b64 s[58:59], 0
	s_waitcnt vmcnt(0)
	v_cmp_ne_u16_e32 vcc, 0, v3
	v_cndmask_b32_e32 v3, 0, v4, vcc
	s_branch .LBB127_1054
.LBB127_1053:
	s_mov_b64 s[58:59], -1
                                        ; implicit-def: $vgpr3
.LBB127_1054:
	s_mov_b64 s[60:61], 0
.LBB127_1055:
	s_and_b64 vcc, exec, s[60:61]
	s_cbranch_vccz .LBB127_1104
; %bb.1056:
	s_and_b32 s60, 0xffff, s64
	s_cmp_lt_i32 s60, 5
	s_cbranch_scc1 .LBB127_1061
; %bb.1057:
	s_cmp_lt_i32 s60, 8
	s_cbranch_scc1 .LBB127_1062
; %bb.1058:
	;; [unrolled: 3-line block ×3, first 2 shown]
	s_cmp_gt_i32 s60, 9
	s_cbranch_scc0 .LBB127_1064
; %bb.1060:
	global_load_dwordx2 v[3:4], v[1:2], off
	s_movk_i32 s0, 0x1ff
	s_movk_i32 s1, 0xffe
	v_mov_b32_e32 v6, 0x7c00
	v_mov_b32_e32 v7, 0x7e00
	s_movk_i32 s61, 0x40f
	s_mov_b32 s62, 0x8000
	s_waitcnt vmcnt(0)
	v_and_or_b32 v3, v4, s0, v3
	v_cmp_ne_u32_e32 vcc, 0, v3
	v_lshrrev_b32_e32 v9, 8, v4
	v_bfe_u32 v10, v4, 20, 11
	v_cndmask_b32_e64 v3, 0, 1, vcc
	v_sub_u32_e32 v11, 0x3f1, v10
	v_and_or_b32 v3, v9, s1, v3
	v_add_u32_e32 v10, 0xfffffc10, v10
	v_med3_i32 v9, v11, 0, 13
	v_or_b32_e32 v11, 0x1000, v3
	v_cmp_ne_u32_e32 vcc, 0, v3
	v_lshl_or_b32 v12, v10, 12, v3
	v_cndmask_b32_e32 v3, v6, v7, vcc
	v_lshrrev_b32_e32 v7, v9, v11
	v_lshlrev_b32_e32 v9, v9, v7
	v_cmp_ne_u32_e32 vcc, v9, v11
	v_cndmask_b32_e64 v9, 0, 1, vcc
	v_or_b32_e32 v7, v7, v9
	v_cmp_gt_i32_e32 vcc, 1, v10
	v_cndmask_b32_e32 v7, v12, v7, vcc
	v_and_b32_e32 v9, 7, v7
	v_cmp_lt_i32_e32 vcc, 5, v9
	v_cndmask_b32_e64 v11, 0, 1, vcc
	v_cmp_eq_u32_e32 vcc, 3, v9
	v_cndmask_b32_e64 v9, 0, 1, vcc
	v_lshrrev_b32_e32 v7, 2, v7
	v_or_b32_e32 v9, v9, v11
	v_add_u32_e32 v7, v7, v9
	v_cmp_gt_i32_e32 vcc, 31, v10
	v_cndmask_b32_e32 v6, v6, v7, vcc
	v_cmp_eq_u32_e32 vcc, s61, v10
	v_lshrrev_b32_e32 v4, 16, v4
	v_cndmask_b32_e32 v3, v6, v3, vcc
	v_and_or_b32 v3, v4, s62, v3
	s_mov_b64 s[0:1], 0
	s_branch .LBB127_1065
.LBB127_1061:
	s_mov_b64 s[0:1], -1
                                        ; implicit-def: $vgpr3
	s_branch .LBB127_1083
.LBB127_1062:
	s_mov_b64 s[0:1], -1
                                        ; implicit-def: $vgpr3
	s_branch .LBB127_1071
.LBB127_1063:
	s_mov_b64 s[0:1], -1
                                        ; implicit-def: $vgpr3
	s_branch .LBB127_1068
.LBB127_1064:
	s_mov_b64 s[0:1], -1
                                        ; implicit-def: $vgpr3
.LBB127_1065:
	s_andn2_b64 vcc, exec, s[0:1]
	s_cbranch_vccnz .LBB127_1067
; %bb.1066:
	global_load_dword v3, v[1:2], off
	s_waitcnt vmcnt(0)
	v_cvt_f16_f32_e32 v3, v3
.LBB127_1067:
	s_mov_b64 s[0:1], 0
.LBB127_1068:
	s_andn2_b64 vcc, exec, s[0:1]
	s_cbranch_vccnz .LBB127_1070
; %bb.1069:
	global_load_dword v3, v[1:2], off
.LBB127_1070:
	s_mov_b64 s[0:1], 0
.LBB127_1071:
	s_andn2_b64 vcc, exec, s[0:1]
	s_cbranch_vccnz .LBB127_1082
; %bb.1072:
	s_cmp_lt_i32 s60, 6
	s_cbranch_scc1 .LBB127_1075
; %bb.1073:
	s_cmp_gt_i32 s60, 6
	s_cbranch_scc0 .LBB127_1076
; %bb.1074:
	global_load_dwordx2 v[3:4], v[1:2], off
	s_movk_i32 s0, 0x1ff
	s_movk_i32 s1, 0xffe
	v_mov_b32_e32 v6, 0x7c00
	v_mov_b32_e32 v7, 0x7e00
	s_movk_i32 s61, 0x40f
	s_mov_b32 s62, 0x8000
	s_waitcnt vmcnt(0)
	v_and_or_b32 v3, v4, s0, v3
	v_cmp_ne_u32_e32 vcc, 0, v3
	v_lshrrev_b32_e32 v9, 8, v4
	v_bfe_u32 v10, v4, 20, 11
	v_cndmask_b32_e64 v3, 0, 1, vcc
	v_sub_u32_e32 v11, 0x3f1, v10
	v_and_or_b32 v3, v9, s1, v3
	v_add_u32_e32 v10, 0xfffffc10, v10
	v_med3_i32 v9, v11, 0, 13
	v_or_b32_e32 v11, 0x1000, v3
	v_cmp_ne_u32_e32 vcc, 0, v3
	v_lshl_or_b32 v12, v10, 12, v3
	v_cndmask_b32_e32 v3, v6, v7, vcc
	v_lshrrev_b32_e32 v7, v9, v11
	v_lshlrev_b32_e32 v9, v9, v7
	v_cmp_ne_u32_e32 vcc, v9, v11
	v_cndmask_b32_e64 v9, 0, 1, vcc
	v_or_b32_e32 v7, v7, v9
	v_cmp_gt_i32_e32 vcc, 1, v10
	v_cndmask_b32_e32 v7, v12, v7, vcc
	v_and_b32_e32 v9, 7, v7
	v_cmp_lt_i32_e32 vcc, 5, v9
	v_cndmask_b32_e64 v11, 0, 1, vcc
	v_cmp_eq_u32_e32 vcc, 3, v9
	v_cndmask_b32_e64 v9, 0, 1, vcc
	v_lshrrev_b32_e32 v7, 2, v7
	v_or_b32_e32 v9, v9, v11
	v_add_u32_e32 v7, v7, v9
	v_cmp_gt_i32_e32 vcc, 31, v10
	v_cndmask_b32_e32 v6, v6, v7, vcc
	v_cmp_eq_u32_e32 vcc, s61, v10
	v_lshrrev_b32_e32 v4, 16, v4
	v_cndmask_b32_e32 v3, v6, v3, vcc
	v_and_or_b32 v3, v4, s62, v3
	s_mov_b64 s[0:1], 0
	s_branch .LBB127_1077
.LBB127_1075:
	s_mov_b64 s[0:1], -1
                                        ; implicit-def: $vgpr3
	s_branch .LBB127_1080
.LBB127_1076:
	s_mov_b64 s[0:1], -1
                                        ; implicit-def: $vgpr3
.LBB127_1077:
	s_andn2_b64 vcc, exec, s[0:1]
	s_cbranch_vccnz .LBB127_1079
; %bb.1078:
	global_load_dword v3, v[1:2], off
	s_waitcnt vmcnt(0)
	v_cvt_f16_f32_e32 v3, v3
.LBB127_1079:
	s_mov_b64 s[0:1], 0
.LBB127_1080:
	s_andn2_b64 vcc, exec, s[0:1]
	s_cbranch_vccnz .LBB127_1082
; %bb.1081:
	global_load_ushort v3, v[1:2], off
.LBB127_1082:
	s_mov_b64 s[0:1], 0
.LBB127_1083:
	s_andn2_b64 vcc, exec, s[0:1]
	s_cbranch_vccnz .LBB127_1103
; %bb.1084:
	s_cmp_lt_i32 s60, 2
	s_cbranch_scc1 .LBB127_1088
; %bb.1085:
	s_cmp_lt_i32 s60, 3
	s_cbranch_scc1 .LBB127_1089
; %bb.1086:
	s_cmp_gt_i32 s60, 3
	s_cbranch_scc0 .LBB127_1090
; %bb.1087:
	global_load_dwordx2 v[3:4], v[1:2], off
	s_mov_b64 s[0:1], 0
	s_waitcnt vmcnt(0)
	v_xor_b32_e32 v7, v3, v4
	v_ffbh_i32_e32 v6, v4
	v_ashrrev_i32_e32 v7, 31, v7
	v_add_u32_e32 v6, -1, v6
	v_add_u32_e32 v7, 32, v7
	v_min_u32_e32 v6, v6, v7
	v_lshlrev_b64 v[3:4], v6, v[3:4]
	v_min_u32_e32 v3, 1, v3
	v_or_b32_e32 v3, v4, v3
	v_cvt_f32_i32_e32 v3, v3
	v_sub_u32_e32 v4, 32, v6
	v_ldexp_f32 v3, v3, v4
	v_cvt_f16_f32_e32 v3, v3
	s_branch .LBB127_1091
.LBB127_1088:
	s_mov_b64 s[0:1], -1
                                        ; implicit-def: $vgpr3
	s_branch .LBB127_1097
.LBB127_1089:
	s_mov_b64 s[0:1], -1
                                        ; implicit-def: $vgpr3
	s_branch .LBB127_1094
.LBB127_1090:
	s_mov_b64 s[0:1], -1
                                        ; implicit-def: $vgpr3
.LBB127_1091:
	s_andn2_b64 vcc, exec, s[0:1]
	s_cbranch_vccnz .LBB127_1093
; %bb.1092:
	global_load_dword v3, v[1:2], off
	s_waitcnt vmcnt(0)
	v_cvt_f32_i32_e32 v3, v3
	v_cvt_f16_f32_e32 v3, v3
.LBB127_1093:
	s_mov_b64 s[0:1], 0
.LBB127_1094:
	s_andn2_b64 vcc, exec, s[0:1]
	s_cbranch_vccnz .LBB127_1096
; %bb.1095:
	global_load_ushort v3, v[1:2], off
	s_waitcnt vmcnt(0)
	v_cvt_f16_i16_e32 v3, v3
.LBB127_1096:
	s_mov_b64 s[0:1], 0
.LBB127_1097:
	s_andn2_b64 vcc, exec, s[0:1]
	s_cbranch_vccnz .LBB127_1103
; %bb.1098:
	s_cmp_gt_i32 s60, 0
	s_cbranch_scc0 .LBB127_1100
; %bb.1099:
	global_load_sbyte v3, v[1:2], off
	s_mov_b64 s[0:1], 0
	s_waitcnt vmcnt(0)
	v_cvt_f16_i16_e32 v3, v3
	s_branch .LBB127_1101
.LBB127_1100:
	s_mov_b64 s[0:1], -1
                                        ; implicit-def: $vgpr3
.LBB127_1101:
	s_andn2_b64 vcc, exec, s[0:1]
	s_cbranch_vccnz .LBB127_1103
; %bb.1102:
	global_load_ubyte v1, v[1:2], off
	s_waitcnt vmcnt(0)
	v_cvt_f16_u16_e32 v3, v1
.LBB127_1103:
	s_mov_b64 s[0:1], -1
.LBB127_1104:
	s_andn2_b64 vcc, exec, s[0:1]
	s_cbranch_vccnz .LBB127_1109
; %bb.1105:
	s_cmp_lt_i32 s14, 1
	s_mov_b64 s[0:1], 0
	s_cbranch_scc1 .LBB127_1110
; %bb.1106:
	s_cmp_gt_i32 s14, 1
	s_cbranch_scc0 .LBB127_1111
; %bb.1107:
	s_cmp_eq_u32 s14, 2
	s_cbranch_scc0 .LBB127_1112
; %bb.1108:
	s_waitcnt vmcnt(0)
	v_cmp_le_f16_e64 s[60:61], v5, v3
	s_mov_b64 s[62:63], 0
	s_branch .LBB127_1113
.LBB127_1109:
	s_mov_b64 s[62:63], 0
                                        ; implicit-def: $vgpr8
	s_mov_b64 s[0:1], s[50:51]
	s_branch .LBB127_1245
.LBB127_1110:
	s_mov_b64 s[64:65], -1
                                        ; implicit-def: $sgpr60_sgpr61
	s_mov_b64 s[62:63], 0
	s_branch .LBB127_1117
.LBB127_1111:
	s_mov_b64 s[64:65], -1
	s_mov_b64 s[62:63], 0
                                        ; implicit-def: $sgpr60_sgpr61
	s_branch .LBB127_1114
.LBB127_1112:
	s_mov_b64 s[62:63], -1
                                        ; implicit-def: $sgpr60_sgpr61
.LBB127_1113:
	s_mov_b64 s[64:65], 0
.LBB127_1114:
	s_and_b64 vcc, exec, s[64:65]
	s_cbranch_vccz .LBB127_1116
; %bb.1115:
	s_waitcnt vmcnt(0)
	v_cmp_gt_f16_e32 vcc, v5, v3
	s_andn2_b64 s[60:61], s[60:61], exec
	s_and_b64 s[64:65], vcc, exec
	s_or_b64 s[60:61], s[60:61], s[64:65]
.LBB127_1116:
	s_mov_b64 s[64:65], 0
.LBB127_1117:
	s_and_b64 vcc, exec, s[64:65]
	s_cbranch_vccz .LBB127_1128
; %bb.1118:
	s_cmp_lg_u32 s14, 0
	s_mov_b64 s[0:1], -1
	s_cselect_b64 s[62:63], -1, 0
	s_andn2_b64 vcc, exec, s[62:63]
	s_cbranch_vccz .LBB127_1129
.LBB127_1119:
	s_andn2_b64 vcc, exec, s[0:1]
	s_cbranch_vccnz .LBB127_1121
.LBB127_1120:
	s_waitcnt vmcnt(0)
	v_cmp_ge_f16_e32 vcc, v5, v3
	s_andn2_b64 s[0:1], s[60:61], exec
	s_and_b64 s[60:61], vcc, exec
	s_or_b64 s[60:61], s[0:1], s[60:61]
.LBB127_1121:
	v_mov_b32_e32 v1, s9
	s_and_b32 s69, s15, 0xff
	v_add_co_u32_e32 v0, vcc, s8, v0
	s_cmp_lt_i32 s69, 11
	v_addc_co_u32_e32 v1, vcc, 0, v1, vcc
	s_cbranch_scc1 .LBB127_1130
; %bb.1122:
	s_and_b32 s74, 0xffff, s69
	s_cmp_gt_i32 s74, 25
	s_cbranch_scc0 .LBB127_1131
; %bb.1123:
	s_cmp_gt_i32 s74, 28
	s_cbranch_scc0 .LBB127_1132
; %bb.1124:
	;; [unrolled: 3-line block ×4, first 2 shown]
	s_mov_b64 s[64:65], 0
	s_mov_b64 s[0:1], -1
	s_cmp_eq_u32 s74, 46
	s_mov_b64 s[62:63], 0
	s_cbranch_scc0 .LBB127_1135
; %bb.1127:
	v_cndmask_b32_e64 v2, 0, 1.0, s[60:61]
	s_waitcnt vmcnt(0)
	v_bfe_u32 v3, v2, 16, 1
	s_movk_i32 s0, 0x7fff
	v_add3_u32 v2, v2, v3, s0
	v_lshrrev_b32_e32 v2, 16, v2
	global_store_dword v[0:1], v2, off
	s_mov_b64 s[62:63], -1
	s_mov_b64 s[0:1], 0
	s_branch .LBB127_1135
.LBB127_1128:
	s_andn2_b64 vcc, exec, s[62:63]
	s_cbranch_vccnz .LBB127_1119
.LBB127_1129:
	s_waitcnt vmcnt(0)
	v_cmp_lt_f16_e32 vcc, v5, v3
	s_andn2_b64 s[60:61], s[60:61], exec
	s_and_b64 s[62:63], vcc, exec
	s_or_b64 s[60:61], s[60:61], s[62:63]
	s_cbranch_execz .LBB127_1120
	s_branch .LBB127_1121
.LBB127_1130:
	s_mov_b64 s[64:65], -1
	s_mov_b64 s[62:63], 0
	s_mov_b64 s[0:1], s[50:51]
	s_branch .LBB127_1204
.LBB127_1131:
	s_mov_b64 s[64:65], -1
	s_mov_b64 s[62:63], 0
	s_mov_b64 s[0:1], s[50:51]
	s_branch .LBB127_1162
.LBB127_1132:
	s_mov_b64 s[64:65], -1
	s_mov_b64 s[62:63], 0
	s_mov_b64 s[0:1], s[50:51]
	s_branch .LBB127_1145
.LBB127_1133:
	s_mov_b64 s[64:65], -1
	s_mov_b64 s[62:63], 0
	s_mov_b64 s[0:1], s[50:51]
	s_branch .LBB127_1141
.LBB127_1134:
	s_mov_b64 s[64:65], -1
	s_mov_b64 s[62:63], 0
	s_mov_b64 s[0:1], s[50:51]
.LBB127_1135:
	s_and_b64 vcc, exec, s[64:65]
	s_cbranch_vccz .LBB127_1140
; %bb.1136:
	s_cmp_eq_u32 s74, 44
	s_mov_b64 s[0:1], -1
	s_cbranch_scc0 .LBB127_1140
; %bb.1137:
	s_waitcnt vmcnt(0)
	v_cndmask_b32_e64 v3, 0, 1.0, s[60:61]
	v_lshrrev_b32_e32 v2, 23, v3
	s_movk_i32 s0, 0xff
	v_cmp_ne_u32_e32 vcc, s0, v2
	v_mov_b32_e32 v4, 0xff
	s_and_saveexec_b64 s[62:63], vcc
; %bb.1138:
	s_mov_b32 s0, 0x3fffff
	v_and_b32_e32 v4, 0x400000, v3
	v_and_or_b32 v3, v3, s0, v2
	v_cmp_ne_u32_e32 vcc, 0, v4
	v_cmp_ne_u32_e64 s[0:1], 0, v3
	s_and_b64 s[0:1], vcc, s[0:1]
	v_cndmask_b32_e64 v3, 0, 1, s[0:1]
	v_add_u32_e32 v4, v2, v3
; %bb.1139:
	s_or_b64 exec, exec, s[62:63]
	s_mov_b64 s[62:63], -1
	s_mov_b64 s[0:1], 0
	global_store_byte v[0:1], v4, off
.LBB127_1140:
	s_mov_b64 s[64:65], 0
.LBB127_1141:
	s_and_b64 vcc, exec, s[64:65]
	s_cbranch_vccz .LBB127_1144
; %bb.1142:
	s_cmp_eq_u32 s74, 29
	s_mov_b64 s[0:1], -1
	s_cbranch_scc0 .LBB127_1144
; %bb.1143:
	s_mov_b32 s0, 0
	v_cndmask_b32_e64 v2, 0, 1, s[60:61]
	s_waitcnt vmcnt(0)
	v_mov_b32_e32 v3, s0
	global_store_dwordx2 v[0:1], v[2:3], off
	s_mov_b64 s[62:63], -1
	s_mov_b64 s[0:1], 0
.LBB127_1144:
	s_mov_b64 s[64:65], 0
.LBB127_1145:
	s_and_b64 vcc, exec, s[64:65]
	s_cbranch_vccz .LBB127_1161
; %bb.1146:
	s_cmp_lt_i32 s74, 27
	s_mov_b64 s[62:63], -1
	s_cbranch_scc1 .LBB127_1152
; %bb.1147:
	s_cmp_gt_i32 s74, 27
	s_cbranch_scc0 .LBB127_1149
; %bb.1148:
	v_cndmask_b32_e64 v2, 0, 1, s[60:61]
	s_mov_b64 s[62:63], 0
	global_store_dword v[0:1], v2, off
.LBB127_1149:
	s_andn2_b64 vcc, exec, s[62:63]
	s_cbranch_vccnz .LBB127_1151
; %bb.1150:
	v_cndmask_b32_e64 v2, 0, 1, s[60:61]
	global_store_short v[0:1], v2, off
.LBB127_1151:
	s_mov_b64 s[62:63], 0
.LBB127_1152:
	s_andn2_b64 vcc, exec, s[62:63]
	s_cbranch_vccnz .LBB127_1160
; %bb.1153:
	s_waitcnt vmcnt(0)
	v_cndmask_b32_e64 v3, 0, 1.0, s[60:61]
	s_mov_b32 s62, 0x43800000
	v_cmp_gt_u32_e32 vcc, s62, v3
	v_mov_b32_e32 v4, 0x80
	s_and_saveexec_b64 s[62:63], vcc
	s_cbranch_execz .LBB127_1159
; %bb.1154:
	s_mov_b32 s64, 0x3bffffff
	v_cmp_lt_u32_e32 vcc, s64, v3
	s_mov_b64 s[64:65], 0
                                        ; implicit-def: $vgpr2
	s_and_saveexec_b64 s[66:67], vcc
	s_xor_b64 s[66:67], exec, s[66:67]
	s_cbranch_execz .LBB127_1273
; %bb.1155:
	v_bfe_u32 v2, v3, 20, 1
	s_mov_b32 s75, 0x487ffff
	v_add3_u32 v2, v3, v2, s75
	s_mov_b64 s[64:65], exec
	v_lshrrev_b32_e32 v2, 20, v2
                                        ; implicit-def: $vgpr3
	s_andn2_saveexec_b64 s[66:67], s[66:67]
	s_cbranch_execnz .LBB127_1274
.LBB127_1156:
	s_or_b64 exec, exec, s[66:67]
	v_mov_b32_e32 v4, 0
	s_and_saveexec_b64 s[66:67], s[64:65]
.LBB127_1157:
	v_mov_b32_e32 v4, v2
.LBB127_1158:
	s_or_b64 exec, exec, s[66:67]
.LBB127_1159:
	s_or_b64 exec, exec, s[62:63]
	global_store_byte v[0:1], v4, off
.LBB127_1160:
	s_mov_b64 s[62:63], -1
.LBB127_1161:
	s_mov_b64 s[64:65], 0
.LBB127_1162:
	s_and_b64 vcc, exec, s[64:65]
	s_cbranch_vccz .LBB127_1203
; %bb.1163:
	s_cmp_gt_i32 s74, 22
	s_mov_b64 s[64:65], -1
	s_cbranch_scc0 .LBB127_1195
; %bb.1164:
	s_cmp_lt_i32 s74, 24
	s_mov_b64 s[62:63], -1
	s_cbranch_scc1 .LBB127_1184
; %bb.1165:
	s_cmp_gt_i32 s74, 24
	s_cbranch_scc0 .LBB127_1173
; %bb.1166:
	s_waitcnt vmcnt(0)
	v_cndmask_b32_e64 v3, 0, 1.0, s[60:61]
	s_mov_b32 s62, 0x47800000
	v_cmp_gt_u32_e32 vcc, s62, v3
	v_mov_b32_e32 v4, 0x80
	s_and_saveexec_b64 s[62:63], vcc
	s_cbranch_execz .LBB127_1172
; %bb.1167:
	s_mov_b32 s64, 0x37ffffff
	v_cmp_lt_u32_e32 vcc, s64, v3
	s_mov_b64 s[64:65], 0
                                        ; implicit-def: $vgpr2
	s_and_saveexec_b64 s[66:67], vcc
	s_xor_b64 s[66:67], exec, s[66:67]
	s_cbranch_execz .LBB127_2388
; %bb.1168:
	v_bfe_u32 v2, v3, 21, 1
	s_mov_b32 s75, 0x88fffff
	v_add3_u32 v2, v3, v2, s75
	s_mov_b64 s[64:65], exec
	v_lshrrev_b32_e32 v2, 21, v2
                                        ; implicit-def: $vgpr3
	s_andn2_saveexec_b64 s[66:67], s[66:67]
	s_cbranch_execnz .LBB127_2389
.LBB127_1169:
	s_or_b64 exec, exec, s[66:67]
	v_mov_b32_e32 v4, 0
	s_and_saveexec_b64 s[66:67], s[64:65]
.LBB127_1170:
	v_mov_b32_e32 v4, v2
.LBB127_1171:
	s_or_b64 exec, exec, s[66:67]
.LBB127_1172:
	s_or_b64 exec, exec, s[62:63]
	s_mov_b64 s[62:63], 0
	global_store_byte v[0:1], v4, off
.LBB127_1173:
	s_and_b64 vcc, exec, s[62:63]
	s_cbranch_vccz .LBB127_1183
; %bb.1174:
	v_cndmask_b32_e64 v2, 0, 1.0, s[60:61]
	s_mov_b32 s62, 0x43f00000
	v_cmp_gt_u32_e32 vcc, s62, v2
                                        ; implicit-def: $vgpr3
	s_and_saveexec_b64 s[62:63], vcc
	s_xor_b64 s[62:63], exec, s[62:63]
	s_cbranch_execz .LBB127_1180
; %bb.1175:
	s_mov_b32 s64, 0x3c7fffff
	v_cmp_lt_u32_e32 vcc, s64, v2
                                        ; implicit-def: $vgpr3
	s_and_saveexec_b64 s[64:65], vcc
	s_xor_b64 s[64:65], exec, s[64:65]
	s_cbranch_execz .LBB127_1177
; %bb.1176:
	s_waitcnt vmcnt(0)
	v_bfe_u32 v3, v2, 20, 1
	s_mov_b32 s66, 0x407ffff
	v_add3_u32 v2, v2, v3, s66
	v_lshrrev_b32_e32 v3, 20, v2
	v_and_b32_e32 v2, 0xff00000, v2
	s_mov_b32 s66, 0x7f00000
	v_mov_b32_e32 v4, 0x7e
	v_cmp_ne_u32_e32 vcc, s66, v2
	v_cndmask_b32_e32 v3, v4, v3, vcc
                                        ; implicit-def: $vgpr2
.LBB127_1177:
	s_andn2_saveexec_b64 s[64:65], s[64:65]
	s_cbranch_execz .LBB127_1179
; %bb.1178:
	s_waitcnt vmcnt(0)
	v_add_f32_e32 v3, 0x46800000, v2
.LBB127_1179:
	s_or_b64 exec, exec, s[64:65]
                                        ; implicit-def: $vgpr2
.LBB127_1180:
	s_andn2_saveexec_b64 s[62:63], s[62:63]
	s_cbranch_execz .LBB127_1182
; %bb.1181:
	s_mov_b32 s64, 0x7f800000
	s_waitcnt vmcnt(0)
	v_mov_b32_e32 v3, 0x7e
	v_mov_b32_e32 v4, 0x7f
	v_cmp_lt_u32_e32 vcc, s64, v2
	v_cndmask_b32_e32 v3, v3, v4, vcc
.LBB127_1182:
	s_or_b64 exec, exec, s[62:63]
	s_waitcnt vmcnt(0)
	global_store_byte v[0:1], v3, off
.LBB127_1183:
	s_mov_b64 s[62:63], 0
.LBB127_1184:
	s_andn2_b64 vcc, exec, s[62:63]
	s_cbranch_vccnz .LBB127_1194
; %bb.1185:
	v_cndmask_b32_e64 v2, 0, 1.0, s[60:61]
	s_mov_b32 s62, 0x47800000
	v_cmp_gt_u32_e32 vcc, s62, v2
                                        ; implicit-def: $vgpr3
	s_and_saveexec_b64 s[62:63], vcc
	s_xor_b64 s[62:63], exec, s[62:63]
	s_cbranch_execz .LBB127_1191
; %bb.1186:
	s_mov_b32 s64, 0x387fffff
	v_cmp_lt_u32_e32 vcc, s64, v2
                                        ; implicit-def: $vgpr3
	s_and_saveexec_b64 s[64:65], vcc
	s_xor_b64 s[64:65], exec, s[64:65]
	s_cbranch_execz .LBB127_1188
; %bb.1187:
	s_waitcnt vmcnt(0)
	v_bfe_u32 v3, v2, 21, 1
	s_mov_b32 s66, 0x80fffff
	v_add3_u32 v2, v2, v3, s66
	v_lshrrev_b32_e32 v3, 21, v2
                                        ; implicit-def: $vgpr2
.LBB127_1188:
	s_andn2_saveexec_b64 s[64:65], s[64:65]
	s_cbranch_execz .LBB127_1190
; %bb.1189:
	s_waitcnt vmcnt(0)
	v_add_f32_e32 v3, 0x43000000, v2
.LBB127_1190:
	s_or_b64 exec, exec, s[64:65]
                                        ; implicit-def: $vgpr2
.LBB127_1191:
	s_andn2_saveexec_b64 s[62:63], s[62:63]
	s_cbranch_execz .LBB127_1193
; %bb.1192:
	s_mov_b32 s64, 0x7f800000
	s_waitcnt vmcnt(0)
	v_mov_b32_e32 v3, 0x7c
	v_mov_b32_e32 v4, 0x7f
	v_cmp_lt_u32_e32 vcc, s64, v2
	v_cndmask_b32_e32 v3, v3, v4, vcc
.LBB127_1193:
	s_or_b64 exec, exec, s[62:63]
	s_waitcnt vmcnt(0)
	global_store_byte v[0:1], v3, off
.LBB127_1194:
	s_mov_b64 s[64:65], 0
	s_mov_b64 s[62:63], -1
.LBB127_1195:
	s_andn2_b64 vcc, exec, s[64:65]
	s_cbranch_vccnz .LBB127_1203
; %bb.1196:
	s_cmp_gt_i32 s74, 14
	s_mov_b64 s[64:65], -1
	s_cbranch_scc0 .LBB127_1200
; %bb.1197:
	s_cmp_eq_u32 s74, 15
	s_mov_b64 s[0:1], -1
	s_cbranch_scc0 .LBB127_1199
; %bb.1198:
	v_cndmask_b32_e64 v2, 0, 1.0, s[60:61]
	s_waitcnt vmcnt(0)
	v_bfe_u32 v3, v2, 16, 1
	s_movk_i32 s0, 0x7fff
	v_add3_u32 v2, v2, v3, s0
	global_store_short_d16_hi v[0:1], v2, off
	s_mov_b64 s[62:63], -1
	s_mov_b64 s[0:1], 0
.LBB127_1199:
	s_mov_b64 s[64:65], 0
.LBB127_1200:
	s_and_b64 vcc, exec, s[64:65]
	s_cbranch_vccz .LBB127_1203
; %bb.1201:
	s_cmp_eq_u32 s74, 11
	s_mov_b64 s[0:1], -1
	s_cbranch_scc0 .LBB127_1203
; %bb.1202:
	v_cndmask_b32_e64 v2, 0, 1, s[60:61]
	s_mov_b64 s[62:63], -1
	s_mov_b64 s[0:1], 0
	global_store_byte v[0:1], v2, off
.LBB127_1203:
	s_mov_b64 s[64:65], 0
.LBB127_1204:
	s_and_b64 vcc, exec, s[64:65]
	s_cbranch_vccz .LBB127_1243
; %bb.1205:
	s_and_b32 s64, 0xffff, s69
	s_cmp_lt_i32 s64, 5
	s_mov_b64 s[62:63], -1
	s_cbranch_scc1 .LBB127_1226
; %bb.1206:
	s_cmp_lt_i32 s64, 8
	s_cbranch_scc1 .LBB127_1216
; %bb.1207:
	s_cmp_lt_i32 s64, 9
	s_cbranch_scc1 .LBB127_1213
; %bb.1208:
	s_cmp_gt_i32 s64, 9
	s_cbranch_scc0 .LBB127_1210
; %bb.1209:
	v_cndmask_b32_e64 v2, 0, 1, s[60:61]
	s_waitcnt vmcnt(0)
	v_cvt_f64_u32_e32 v[2:3], v2
	v_mov_b32_e32 v4, 0
	v_mov_b32_e32 v5, v4
	s_mov_b64 s[62:63], 0
	global_store_dwordx4 v[0:1], v[2:5], off
.LBB127_1210:
	s_andn2_b64 vcc, exec, s[62:63]
	s_cbranch_vccnz .LBB127_1212
; %bb.1211:
	v_cndmask_b32_e64 v2, 0, 1.0, s[60:61]
	s_waitcnt vmcnt(0)
	v_mov_b32_e32 v3, 0
	global_store_dwordx2 v[0:1], v[2:3], off
.LBB127_1212:
	s_mov_b64 s[62:63], 0
.LBB127_1213:
	s_andn2_b64 vcc, exec, s[62:63]
	s_cbranch_vccnz .LBB127_1215
; %bb.1214:
	v_cndmask_b32_e64 v2, 0, 1.0, s[60:61]
	v_cvt_f16_f32_e32 v2, v2
	global_store_dword v[0:1], v2, off
.LBB127_1215:
	s_mov_b64 s[62:63], 0
.LBB127_1216:
	s_andn2_b64 vcc, exec, s[62:63]
	s_cbranch_vccnz .LBB127_1225
; %bb.1217:
	s_cmp_lt_i32 s64, 6
	s_mov_b64 s[62:63], -1
	s_cbranch_scc1 .LBB127_1223
; %bb.1218:
	s_cmp_gt_i32 s64, 6
	s_cbranch_scc0 .LBB127_1220
; %bb.1219:
	v_cndmask_b32_e64 v2, 0, 1, s[60:61]
	s_waitcnt vmcnt(0)
	v_cvt_f64_u32_e32 v[2:3], v2
	s_mov_b64 s[62:63], 0
	global_store_dwordx2 v[0:1], v[2:3], off
.LBB127_1220:
	s_andn2_b64 vcc, exec, s[62:63]
	s_cbranch_vccnz .LBB127_1222
; %bb.1221:
	v_cndmask_b32_e64 v2, 0, 1.0, s[60:61]
	global_store_dword v[0:1], v2, off
.LBB127_1222:
	s_mov_b64 s[62:63], 0
.LBB127_1223:
	s_andn2_b64 vcc, exec, s[62:63]
	s_cbranch_vccnz .LBB127_1225
; %bb.1224:
	v_cndmask_b32_e64 v2, 0, 1.0, s[60:61]
	v_cvt_f16_f32_e32 v2, v2
	global_store_short v[0:1], v2, off
.LBB127_1225:
	s_mov_b64 s[62:63], 0
.LBB127_1226:
	s_andn2_b64 vcc, exec, s[62:63]
	s_cbranch_vccnz .LBB127_1242
; %bb.1227:
	s_cmp_lt_i32 s64, 2
	s_mov_b64 s[62:63], -1
	s_cbranch_scc1 .LBB127_1237
; %bb.1228:
	s_cmp_lt_i32 s64, 3
	s_cbranch_scc1 .LBB127_1234
; %bb.1229:
	s_cmp_gt_i32 s64, 3
	s_cbranch_scc0 .LBB127_1231
; %bb.1230:
	s_mov_b32 s62, 0
	v_cndmask_b32_e64 v2, 0, 1, s[60:61]
	s_waitcnt vmcnt(0)
	v_mov_b32_e32 v3, s62
	s_mov_b64 s[62:63], 0
	global_store_dwordx2 v[0:1], v[2:3], off
.LBB127_1231:
	s_andn2_b64 vcc, exec, s[62:63]
	s_cbranch_vccnz .LBB127_1233
; %bb.1232:
	v_cndmask_b32_e64 v2, 0, 1, s[60:61]
	global_store_dword v[0:1], v2, off
.LBB127_1233:
	s_mov_b64 s[62:63], 0
.LBB127_1234:
	s_andn2_b64 vcc, exec, s[62:63]
	s_cbranch_vccnz .LBB127_1236
; %bb.1235:
	v_cndmask_b32_e64 v2, 0, 1, s[60:61]
	global_store_short v[0:1], v2, off
.LBB127_1236:
	s_mov_b64 s[62:63], 0
.LBB127_1237:
	s_andn2_b64 vcc, exec, s[62:63]
	s_cbranch_vccnz .LBB127_1242
; %bb.1238:
	s_mov_b64 s[62:63], -1
	s_cmp_gt_i32 s64, 0
	v_cndmask_b32_e64 v2, 0, 1, s[60:61]
	s_cbranch_scc0 .LBB127_1240
; %bb.1239:
	s_mov_b64 s[62:63], 0
	global_store_byte v[0:1], v2, off
.LBB127_1240:
	s_andn2_b64 vcc, exec, s[62:63]
	s_cbranch_vccnz .LBB127_1242
; %bb.1241:
	global_store_byte v[0:1], v2, off
.LBB127_1242:
	s_mov_b64 s[62:63], -1
.LBB127_1243:
	s_andn2_b64 vcc, exec, s[62:63]
	s_cbranch_vccnz .LBB127_1255
; %bb.1244:
	v_add_u32_e32 v8, 0x80, v8
	s_mov_b64 s[62:63], -1
.LBB127_1245:
	s_andn2_b64 s[60:61], s[50:51], exec
	s_and_b64 s[0:1], s[0:1], exec
	s_or_b64 s[60:61], s[60:61], s[0:1]
	s_andn2_b64 s[0:1], s[48:49], exec
	s_and_b64 s[58:59], s[58:59], exec
	s_or_b64 s[58:59], s[0:1], s[58:59]
	;; [unrolled: 3-line block ×3, first 2 shown]
	s_orn2_b64 s[66:67], s[62:63], exec
.LBB127_1246:
	s_or_b64 exec, exec, s[54:55]
	s_mov_b64 s[62:63], 0
	s_mov_b64 s[56:57], 0
	;; [unrolled: 1-line block ×3, first 2 shown]
                                        ; implicit-def: $sgpr74
                                        ; implicit-def: $vgpr3_vgpr4
                                        ; implicit-def: $vgpr0
                                        ; implicit-def: $vgpr2
                                        ; implicit-def: $vgpr5
	s_and_saveexec_b64 s[54:55], s[66:67]
	s_cbranch_execz .LBB127_1341
; %bb.1247:
	v_cmp_gt_i32_e32 vcc, s68, v8
	s_mov_b64 s[66:67], s[0:1]
	s_mov_b64 s[68:69], 0
                                        ; implicit-def: $sgpr74
                                        ; implicit-def: $vgpr3_vgpr4
                                        ; implicit-def: $vgpr0
                                        ; implicit-def: $vgpr2
                                        ; implicit-def: $vgpr5
	s_and_saveexec_b64 s[56:57], vcc
	s_cbranch_execz .LBB127_1340
; %bb.1248:
	s_andn2_b64 vcc, exec, s[24:25]
	s_cbranch_vccnz .LBB127_1254
; %bb.1249:
	s_andn2_b64 vcc, exec, s[36:37]
	s_cbranch_vccnz .LBB127_1256
; %bb.1250:
	s_add_i32 s36, s73, 1
	s_and_b32 s62, s36, 30
	s_add_u32 s36, s2, 0xffffffe8
	s_addc_u32 s37, s3, -1
	v_mov_b32_e32 v2, 0
	v_mov_b32_e32 v4, 0
	;; [unrolled: 1-line block ×4, first 2 shown]
.LBB127_1251:                           ; =>This Inner Loop Header: Depth=1
	s_load_dwordx4 s[64:67], s[36:37], 0x1c
	s_load_dwordx2 s[68:69], s[36:37], 0x2c
	s_load_dwordx2 s[74:75], s[36:37], 0xec
	s_load_dwordx4 s[76:79], s[36:37], 0xdc
	s_add_u32 s36, s36, 24
	s_waitcnt vmcnt(0) lgkmcnt(0)
	v_mul_hi_u32 v3, s65, v1
	s_addc_u32 s37, s37, 0
	s_add_i32 s62, s62, -2
	s_cmp_eq_u32 s62, 0
	v_add_u32_e32 v3, v1, v3
	v_lshrrev_b32_e32 v3, s66, v3
	v_mul_lo_u32 v5, v3, s64
	v_mul_hi_u32 v6, s68, v3
	v_sub_u32_e32 v5, v1, v5
	v_add_u32_e32 v1, v3, v6
	v_lshrrev_b32_e32 v1, s69, v1
	v_mul_lo_u32 v9, v1, s67
	v_mul_lo_u32 v6, v5, s76
	;; [unrolled: 1-line block ×4, first 2 shown]
	v_sub_u32_e32 v3, v3, v9
	v_mul_lo_u32 v9, v3, s79
	v_mul_lo_u32 v10, v3, s74
	;; [unrolled: 1-line block ×3, first 2 shown]
	v_add3_u32 v0, v6, v0, v9
	v_add3_u32 v4, v7, v4, v10
	;; [unrolled: 1-line block ×3, first 2 shown]
	s_cbranch_scc0 .LBB127_1251
; %bb.1252:
	s_bitcmp1_b32 s73, 0
	s_cselect_b64 s[62:63], -1, 0
	s_and_b64 vcc, exec, s[62:63]
	s_cbranch_vccnz .LBB127_1257
; %bb.1253:
	s_load_dwordx2 s[62:63], s[36:37], 0x1c
	s_load_dword s66, s[36:37], 0x24
	s_load_dwordx2 s[64:65], s[36:37], 0xdc
	s_waitcnt lgkmcnt(0)
	v_mul_hi_u32 v3, s63, v1
	v_add_u32_e32 v3, v1, v3
	v_lshrrev_b32_e32 v3, s66, v3
	v_mul_lo_u32 v3, v3, s62
	s_load_dword s62, s[36:37], 0xe4
	v_sub_u32_e32 v3, v1, v3
	v_mad_u64_u32 v[0:1], s[36:37], v3, s64, v[0:1]
	v_mad_u64_u32 v[4:5], s[36:37], v3, s65, v[4:5]
	s_waitcnt lgkmcnt(0)
	v_mad_u64_u32 v[2:3], s[36:37], v3, s62, v[2:3]
	s_branch .LBB127_1257
.LBB127_1254:
	s_mov_b64 s[36:37], -1
                                        ; implicit-def: $vgpr0
                                        ; implicit-def: $vgpr4
                                        ; implicit-def: $vgpr2
	s_branch .LBB127_1258
.LBB127_1255:
	s_mov_b64 s[62:63], 0
	s_branch .LBB127_981
.LBB127_1256:
	v_mov_b32_e32 v0, 0
	v_mov_b32_e32 v4, 0
	;; [unrolled: 1-line block ×3, first 2 shown]
.LBB127_1257:
	s_mov_b64 s[36:37], 0
.LBB127_1258:
	s_andn2_b64 vcc, exec, s[36:37]
	s_cbranch_vccnz .LBB127_1261
; %bb.1259:
	v_mul_hi_u32 v0, s17, v8
	s_andn2_b64 vcc, exec, s[34:35]
	v_add_u32_e32 v0, v8, v0
	v_lshrrev_b32_e32 v1, s18, v0
	v_mul_lo_u32 v0, v1, s16
	v_sub_u32_e32 v2, v8, v0
	v_mul_lo_u32 v0, v2, s20
	v_mul_lo_u32 v4, v2, s21
	;; [unrolled: 1-line block ×3, first 2 shown]
	s_cbranch_vccnz .LBB127_1261
; %bb.1260:
	s_waitcnt vmcnt(0)
	v_mul_hi_u32 v3, s30, v1
	v_add_u32_e32 v3, v1, v3
	v_lshrrev_b32_e32 v3, s31, v3
	v_mul_lo_u32 v3, v3, s19
	v_sub_u32_e32 v3, v1, v3
	v_mad_u64_u32 v[0:1], s[16:17], v3, s23, v[0:1]
	v_mad_u64_u32 v[4:5], s[16:17], v3, s28, v[4:5]
	;; [unrolled: 1-line block ×3, first 2 shown]
.LBB127_1261:
	v_mov_b32_e32 v1, s11
	s_and_b32 s74, s72, 0xff
	s_waitcnt vmcnt(0)
	v_add_co_u32_e32 v3, vcc, s10, v4
	s_cmp_lt_i32 s74, 11
	v_addc_co_u32_e32 v4, vcc, 0, v1, vcc
	s_cbranch_scc1 .LBB127_1268
; %bb.1262:
	s_and_b32 s28, 0xffff, s74
	s_cmp_gt_i32 s28, 25
	s_mov_b64 s[16:17], 0
	s_cbranch_scc0 .LBB127_1269
; %bb.1263:
	s_cmp_gt_i32 s28, 28
	s_cbranch_scc0 .LBB127_1270
; %bb.1264:
	s_cmp_gt_i32 s28, 43
	;; [unrolled: 3-line block ×3, first 2 shown]
	s_cbranch_scc0 .LBB127_1272
; %bb.1266:
	s_cmp_eq_u32 s28, 46
	s_mov_b64 s[20:21], 0
	s_cbranch_scc0 .LBB127_1275
; %bb.1267:
	global_load_dword v1, v[3:4], off
	s_mov_b64 s[10:11], 0
	s_mov_b64 s[18:19], -1
	s_waitcnt vmcnt(0)
	v_lshlrev_b32_e32 v1, 16, v1
	v_cvt_f16_f32_e32 v5, v1
	s_branch .LBB127_1276
.LBB127_1268:
	s_mov_b64 s[20:21], -1
	s_mov_b64 s[18:19], 0
	s_mov_b64 s[16:17], 0
	;; [unrolled: 1-line block ×3, first 2 shown]
                                        ; implicit-def: $vgpr5
	s_branch .LBB127_1339
.LBB127_1269:
	s_mov_b64 s[20:21], -1
	s_mov_b64 s[18:19], 0
	s_mov_b64 s[10:11], s[0:1]
                                        ; implicit-def: $vgpr5
	s_branch .LBB127_1305
.LBB127_1270:
	s_mov_b64 s[20:21], -1
	s_mov_b64 s[18:19], 0
	s_mov_b64 s[10:11], s[0:1]
                                        ; implicit-def: $vgpr5
	s_branch .LBB127_1286
.LBB127_1271:
	s_mov_b64 s[20:21], -1
	s_mov_b64 s[18:19], 0
	s_mov_b64 s[10:11], s[0:1]
                                        ; implicit-def: $vgpr5
	s_branch .LBB127_1281
.LBB127_1272:
	s_mov_b64 s[20:21], -1
	s_mov_b64 s[18:19], 0
	s_mov_b64 s[10:11], s[0:1]
                                        ; implicit-def: $vgpr5
	s_branch .LBB127_1276
.LBB127_1273:
	s_andn2_saveexec_b64 s[66:67], s[66:67]
	s_cbranch_execz .LBB127_1156
.LBB127_1274:
	v_add_f32_e32 v2, 0x46000000, v3
	v_and_b32_e32 v2, 0xff, v2
	v_cmp_ne_u32_e32 vcc, 0, v2
	s_andn2_b64 s[64:65], s[64:65], exec
	s_and_b64 s[76:77], vcc, exec
	s_or_b64 s[64:65], s[64:65], s[76:77]
	s_or_b64 exec, exec, s[66:67]
	v_mov_b32_e32 v4, 0
	s_and_saveexec_b64 s[66:67], s[64:65]
	s_cbranch_execnz .LBB127_1157
	s_branch .LBB127_1158
.LBB127_1275:
	s_mov_b64 s[10:11], -1
                                        ; implicit-def: $vgpr5
	s_mov_b64 s[18:19], 0
.LBB127_1276:
	s_and_b64 vcc, exec, s[20:21]
	s_cbranch_vccz .LBB127_1280
; %bb.1277:
	s_cmp_eq_u32 s28, 44
	s_cbranch_scc0 .LBB127_1279
; %bb.1278:
	global_load_ubyte v1, v[3:4], off
	s_movk_i32 s18, 0xff
	v_mov_b32_e32 v6, 0x7e00
	s_mov_b64 s[10:11], 0
	s_waitcnt vmcnt(0)
	v_lshlrev_b32_e32 v5, 23, v1
	v_cvt_f16_f32_e32 v5, v5
	v_cmp_ne_u32_e32 vcc, s18, v1
	s_mov_b64 s[18:19], -1
	v_cndmask_b32_e32 v5, v6, v5, vcc
	v_cmp_ne_u32_e32 vcc, 0, v1
	v_cndmask_b32_e32 v5, 0, v5, vcc
	s_branch .LBB127_1280
.LBB127_1279:
	s_mov_b64 s[10:11], -1
                                        ; implicit-def: $vgpr5
.LBB127_1280:
	s_mov_b64 s[20:21], 0
.LBB127_1281:
	s_and_b64 vcc, exec, s[20:21]
	s_cbranch_vccz .LBB127_1285
; %bb.1282:
	s_cmp_eq_u32 s28, 29
	s_cbranch_scc0 .LBB127_1284
; %bb.1283:
	global_load_dwordx2 v[5:6], v[3:4], off
	s_mov_b64 s[10:11], 0
	s_mov_b64 s[18:19], -1
	s_mov_b64 s[20:21], 0
	s_waitcnt vmcnt(0)
	v_ffbh_u32_e32 v1, v6
	v_min_u32_e32 v1, 32, v1
	v_lshlrev_b64 v[5:6], v1, v[5:6]
	v_sub_u32_e32 v1, 32, v1
	v_min_u32_e32 v5, 1, v5
	v_or_b32_e32 v5, v6, v5
	v_cvt_f32_u32_e32 v5, v5
	v_ldexp_f32 v1, v5, v1
	v_cvt_f16_f32_e32 v5, v1
	s_branch .LBB127_1286
.LBB127_1284:
	s_mov_b64 s[10:11], -1
                                        ; implicit-def: $vgpr5
.LBB127_1285:
	s_mov_b64 s[20:21], 0
.LBB127_1286:
	s_and_b64 vcc, exec, s[20:21]
	s_cbranch_vccz .LBB127_1304
; %bb.1287:
	s_cmp_lt_i32 s28, 27
	s_cbranch_scc1 .LBB127_1290
; %bb.1288:
	s_cmp_gt_i32 s28, 27
	s_cbranch_scc0 .LBB127_1291
; %bb.1289:
	global_load_dword v1, v[3:4], off
	s_mov_b64 s[18:19], 0
	s_waitcnt vmcnt(0)
	v_cvt_f32_u32_e32 v1, v1
	v_cvt_f16_f32_e32 v5, v1
	s_branch .LBB127_1292
.LBB127_1290:
	s_mov_b64 s[18:19], -1
                                        ; implicit-def: $vgpr5
	s_branch .LBB127_1295
.LBB127_1291:
	s_mov_b64 s[18:19], -1
                                        ; implicit-def: $vgpr5
.LBB127_1292:
	s_andn2_b64 vcc, exec, s[18:19]
	s_cbranch_vccnz .LBB127_1294
; %bb.1293:
	global_load_ushort v1, v[3:4], off
	s_waitcnt vmcnt(0)
	v_cvt_f16_u16_e32 v5, v1
.LBB127_1294:
	s_mov_b64 s[18:19], 0
.LBB127_1295:
	s_andn2_b64 vcc, exec, s[18:19]
	s_cbranch_vccnz .LBB127_1303
; %bb.1296:
	global_load_ubyte v1, v[3:4], off
	s_movk_i32 s18, 0x7f
	s_waitcnt vmcnt(0)
	v_cmp_lt_i16_e32 vcc, s18, v1
	s_mov_b64 s[18:19], 0
	s_and_saveexec_b64 s[20:21], vcc
	s_xor_b64 s[20:21], exec, s[20:21]
	s_cbranch_execz .LBB127_1317
; %bb.1297:
	s_movk_i32 s18, 0x80
	v_cmp_eq_u16_e32 vcc, s18, v1
	s_mov_b64 s[18:19], -1
	s_and_saveexec_b64 s[22:23], vcc
; %bb.1298:
	s_xor_b64 s[18:19], exec, -1
; %bb.1299:
	s_or_b64 exec, exec, s[22:23]
	s_and_b64 s[18:19], s[18:19], exec
	s_or_saveexec_b64 s[20:21], s[20:21]
	v_mov_b32_e32 v5, 0x7e00
	s_xor_b64 exec, exec, s[20:21]
	s_cbranch_execnz .LBB127_1318
.LBB127_1300:
	s_or_b64 exec, exec, s[20:21]
	s_and_saveexec_b64 s[20:21], s[18:19]
	s_cbranch_execz .LBB127_1302
.LBB127_1301:
	v_lshlrev_b32_e32 v5, 24, v1
	v_and_b32_e32 v1, 0xffff, v1
	v_and_b32_e32 v6, 7, v1
	v_ffbh_u32_e32 v8, v6
	v_min_u32_e32 v8, 32, v8
	v_subrev_u32_e32 v9, 28, v8
	v_bfe_u32 v7, v1, 3, 4
	v_lshlrev_b32_e32 v1, v9, v1
	v_sub_u32_e32 v8, 29, v8
	v_and_b32_e32 v1, 7, v1
	v_cmp_eq_u32_e32 vcc, 0, v7
	v_cndmask_b32_e32 v7, v7, v8, vcc
	v_cndmask_b32_e32 v1, v6, v1, vcc
	v_mov_b32_e32 v6, 0x3b800000
	v_lshlrev_b32_e32 v1, 20, v1
	v_and_b32_e32 v5, 0x80000000, v5
	v_lshl_add_u32 v6, v7, 23, v6
	v_or3_b32 v1, v5, v6, v1
	v_cvt_f16_f32_e32 v5, v1
.LBB127_1302:
	s_or_b64 exec, exec, s[20:21]
.LBB127_1303:
	s_mov_b64 s[18:19], -1
.LBB127_1304:
	s_mov_b64 s[20:21], 0
.LBB127_1305:
	s_and_b64 vcc, exec, s[20:21]
	s_cbranch_vccz .LBB127_1338
; %bb.1306:
	s_cmp_gt_i32 s28, 22
	s_cbranch_scc0 .LBB127_1316
; %bb.1307:
	s_cmp_lt_i32 s28, 24
	s_cbranch_scc1 .LBB127_1319
; %bb.1308:
	s_cmp_gt_i32 s28, 24
	s_cbranch_scc0 .LBB127_1320
; %bb.1309:
	global_load_ubyte v1, v[3:4], off
	s_movk_i32 s16, 0x7f
	s_waitcnt vmcnt(0)
	v_cmp_lt_i16_e32 vcc, s16, v1
	s_mov_b64 s[16:17], 0
	s_and_saveexec_b64 s[18:19], vcc
	s_xor_b64 s[18:19], exec, s[18:19]
	s_cbranch_execz .LBB127_1332
; %bb.1310:
	s_movk_i32 s16, 0x80
	v_cmp_eq_u16_e32 vcc, s16, v1
	s_mov_b64 s[16:17], -1
	s_and_saveexec_b64 s[20:21], vcc
; %bb.1311:
	s_xor_b64 s[16:17], exec, -1
; %bb.1312:
	s_or_b64 exec, exec, s[20:21]
	s_and_b64 s[16:17], s[16:17], exec
	s_or_saveexec_b64 s[18:19], s[18:19]
	v_mov_b32_e32 v5, 0x7e00
	s_xor_b64 exec, exec, s[18:19]
	s_cbranch_execnz .LBB127_1333
.LBB127_1313:
	s_or_b64 exec, exec, s[18:19]
	s_and_saveexec_b64 s[18:19], s[16:17]
	s_cbranch_execz .LBB127_1315
.LBB127_1314:
	v_lshlrev_b32_e32 v5, 24, v1
	v_and_b32_e32 v1, 0xffff, v1
	v_and_b32_e32 v6, 3, v1
	v_ffbh_u32_e32 v8, v6
	v_min_u32_e32 v8, 32, v8
	v_subrev_u32_e32 v9, 29, v8
	v_bfe_u32 v7, v1, 2, 5
	v_lshlrev_b32_e32 v1, v9, v1
	v_sub_u32_e32 v8, 30, v8
	v_and_b32_e32 v1, 3, v1
	v_cmp_eq_u32_e32 vcc, 0, v7
	v_cndmask_b32_e32 v7, v7, v8, vcc
	v_cndmask_b32_e32 v1, v6, v1, vcc
	v_mov_b32_e32 v6, 0x37800000
	v_lshlrev_b32_e32 v1, 21, v1
	v_and_b32_e32 v5, 0x80000000, v5
	v_lshl_add_u32 v6, v7, 23, v6
	v_or3_b32 v1, v5, v6, v1
	v_cvt_f16_f32_e32 v5, v1
.LBB127_1315:
	s_or_b64 exec, exec, s[18:19]
	s_mov_b64 s[16:17], 0
	s_branch .LBB127_1321
.LBB127_1316:
	s_mov_b64 s[16:17], -1
                                        ; implicit-def: $vgpr5
	s_branch .LBB127_1327
.LBB127_1317:
	s_or_saveexec_b64 s[20:21], s[20:21]
	v_mov_b32_e32 v5, 0x7e00
	s_xor_b64 exec, exec, s[20:21]
	s_cbranch_execz .LBB127_1300
.LBB127_1318:
	v_cmp_ne_u16_e32 vcc, 0, v1
	s_andn2_b64 s[18:19], s[18:19], exec
	s_and_b64 s[22:23], vcc, exec
	s_or_b64 s[18:19], s[18:19], s[22:23]
	v_mov_b32_e32 v5, v1
	s_or_b64 exec, exec, s[20:21]
	s_and_saveexec_b64 s[20:21], s[18:19]
	s_cbranch_execnz .LBB127_1301
	s_branch .LBB127_1302
.LBB127_1319:
	s_mov_b64 s[16:17], -1
                                        ; implicit-def: $vgpr5
	s_branch .LBB127_1324
.LBB127_1320:
	s_mov_b64 s[16:17], -1
                                        ; implicit-def: $vgpr5
.LBB127_1321:
	s_and_b64 vcc, exec, s[16:17]
	s_cbranch_vccz .LBB127_1323
; %bb.1322:
	global_load_ubyte v1, v[3:4], off
	s_mov_b32 s16, 0x7f800000
	s_waitcnt vmcnt(0)
	v_lshlrev_b32_e32 v1, 24, v1
	v_and_b32_e32 v5, 0x7f000000, v1
	v_ffbh_u32_e32 v6, v5
	v_min_u32_e32 v6, 32, v6
	v_sub_u32_e64 v6, v6, 4 clamp
	v_lshlrev_b32_e32 v8, v6, v5
	v_lshlrev_b32_e32 v6, 23, v6
	v_lshrrev_b32_e32 v8, 4, v8
	v_add_u32_e32 v7, 0x1000000, v5
	v_sub_u32_e32 v6, v8, v6
	v_ashrrev_i32_e32 v7, 8, v7
	v_add_u32_e32 v6, 0x3c000000, v6
	v_and_or_b32 v6, v7, s16, v6
	v_cmp_ne_u32_e32 vcc, 0, v5
	v_cndmask_b32_e32 v5, 0, v6, vcc
	s_brev_b32 s16, 1
	v_and_or_b32 v1, v1, s16, v5
	v_cvt_f16_f32_e32 v5, v1
.LBB127_1323:
	s_mov_b64 s[16:17], 0
.LBB127_1324:
	s_andn2_b64 vcc, exec, s[16:17]
	s_cbranch_vccnz .LBB127_1326
; %bb.1325:
	global_load_ubyte v1, v[3:4], off
	s_movk_i32 s16, 0x7f00
	s_brev_b32 s17, 16
	s_waitcnt vmcnt(0)
	v_lshlrev_b16_e32 v5, 8, v1
	v_lshlrev_b32_e32 v1, 25, v1
	v_lshrrev_b32_e32 v6, 4, v1
	v_and_or_b32 v7, v5, s16, 0.5
	v_or_b32_e32 v6, 0x70000000, v6
	v_add_f32_e32 v7, -0.5, v7
	v_mul_f32_e32 v6, 0x7800000, v6
	v_cmp_gt_u32_e32 vcc, s17, v1
	v_bfe_i32 v5, v5, 0, 16
	v_cndmask_b32_e32 v1, v6, v7, vcc
	s_brev_b32 s16, 1
	v_and_or_b32 v1, v5, s16, v1
	v_cvt_f16_f32_e32 v5, v1
.LBB127_1326:
	s_mov_b64 s[16:17], 0
	s_mov_b64 s[18:19], -1
.LBB127_1327:
	s_andn2_b64 vcc, exec, s[16:17]
	s_mov_b64 s[16:17], 0
	s_cbranch_vccnz .LBB127_1338
; %bb.1328:
	s_cmp_gt_i32 s28, 14
	s_cbranch_scc0 .LBB127_1331
; %bb.1329:
	s_cmp_eq_u32 s28, 15
	s_cbranch_scc0 .LBB127_1334
; %bb.1330:
	global_load_ushort v1, v[3:4], off
	s_mov_b64 s[10:11], 0
	s_mov_b64 s[18:19], -1
	s_waitcnt vmcnt(0)
	v_lshlrev_b32_e32 v1, 16, v1
	v_cvt_f16_f32_e32 v5, v1
	s_branch .LBB127_1335
.LBB127_1331:
	s_mov_b64 s[20:21], -1
                                        ; implicit-def: $vgpr5
	s_branch .LBB127_1336
.LBB127_1332:
	s_or_saveexec_b64 s[18:19], s[18:19]
	v_mov_b32_e32 v5, 0x7e00
	s_xor_b64 exec, exec, s[18:19]
	s_cbranch_execz .LBB127_1313
.LBB127_1333:
	v_cmp_ne_u16_e32 vcc, 0, v1
	s_andn2_b64 s[16:17], s[16:17], exec
	s_and_b64 s[20:21], vcc, exec
	s_or_b64 s[16:17], s[16:17], s[20:21]
	v_mov_b32_e32 v5, v1
	s_or_b64 exec, exec, s[18:19]
	s_and_saveexec_b64 s[18:19], s[16:17]
	s_cbranch_execnz .LBB127_1314
	s_branch .LBB127_1315
.LBB127_1334:
	s_mov_b64 s[10:11], -1
                                        ; implicit-def: $vgpr5
.LBB127_1335:
	s_mov_b64 s[20:21], 0
.LBB127_1336:
	s_and_b64 vcc, exec, s[20:21]
	s_cbranch_vccz .LBB127_1338
; %bb.1337:
	s_cmp_lg_u32 s28, 11
	s_cselect_b64 s[20:21], -1, 0
	s_andn2_b64 s[10:11], s[10:11], exec
	s_and_b64 s[20:21], s[20:21], exec
	s_mov_b64 s[16:17], -1
	s_or_b64 s[10:11], s[10:11], s[20:21]
.LBB127_1338:
	s_mov_b64 s[20:21], 0
.LBB127_1339:
	s_and_b64 s[62:63], s[16:17], exec
	s_andn2_b64 s[16:17], s[0:1], exec
	s_and_b64 s[10:11], s[10:11], exec
	s_and_b64 s[64:65], s[18:19], exec
	;; [unrolled: 1-line block ×3, first 2 shown]
	s_or_b64 s[66:67], s[16:17], s[10:11]
.LBB127_1340:
	s_or_b64 exec, exec, s[56:57]
	s_andn2_b64 s[0:1], s[0:1], exec
	s_and_b64 s[10:11], s[66:67], exec
	s_and_b64 s[64:65], s[64:65], exec
	;; [unrolled: 1-line block ×4, first 2 shown]
	s_or_b64 s[0:1], s[0:1], s[10:11]
.LBB127_1341:
	s_or_b64 exec, exec, s[54:55]
	s_andn2_b64 s[10:11], s[50:51], exec
	s_and_b64 s[16:17], s[60:61], exec
	s_or_b64 s[50:51], s[10:11], s[16:17]
	s_andn2_b64 s[10:11], s[48:49], exec
	s_and_b64 s[16:17], s[58:59], exec
	s_or_b64 s[48:49], s[10:11], s[16:17]
	s_andn2_b64 s[10:11], s[46:47], exec
	s_and_b64 s[0:1], s[0:1], exec
	s_and_b64 s[58:59], s[64:65], exec
	;; [unrolled: 1-line block ×4, first 2 shown]
	s_or_b64 s[46:47], s[10:11], s[0:1]
.LBB127_1342:
	s_or_b64 exec, exec, s[52:53]
	s_andn2_b64 s[0:1], s[38:39], exec
	s_and_b64 s[10:11], s[50:51], exec
	s_or_b64 s[38:39], s[0:1], s[10:11]
	s_andn2_b64 s[0:1], s[40:41], exec
	s_and_b64 s[10:11], s[48:49], exec
	s_or_b64 s[40:41], s[0:1], s[10:11]
	s_andn2_b64 s[0:1], s[42:43], exec
	s_and_b64 s[10:11], s[46:47], exec
	s_and_b64 s[50:51], s[58:59], exec
	;; [unrolled: 1-line block ×4, first 2 shown]
	s_or_b64 s[42:43], s[0:1], s[10:11]
	s_or_b64 exec, exec, s[44:45]
	s_mov_b64 s[10:11], 0
	s_and_saveexec_b64 s[0:1], s[42:43]
	s_cbranch_execz .LBB127_419
.LBB127_1343:
	s_mov_b64 s[10:11], exec
	s_andn2_b64 s[48:49], s[48:49], exec
	s_trap 2
	s_or_b64 exec, exec, s[0:1]
	s_and_saveexec_b64 s[0:1], s[48:49]
	s_xor_b64 s[0:1], exec, s[0:1]
	s_cbranch_execnz .LBB127_420
.LBB127_1344:
	s_or_b64 exec, exec, s[0:1]
	s_and_saveexec_b64 s[0:1], s[52:53]
	s_cbranch_execz .LBB127_1390
.LBB127_1345:
	s_sext_i32_i16 s16, s74
	s_cmp_lt_i32 s16, 5
	s_cbranch_scc1 .LBB127_1350
; %bb.1346:
	s_cmp_lt_i32 s16, 8
	s_cbranch_scc1 .LBB127_1351
; %bb.1347:
	;; [unrolled: 3-line block ×3, first 2 shown]
	s_cmp_gt_i32 s16, 9
	s_cbranch_scc0 .LBB127_1353
; %bb.1349:
	s_waitcnt vmcnt(0)
	global_load_dwordx2 v[5:6], v[3:4], off
	s_movk_i32 s16, 0x1ff
	s_movk_i32 s17, 0xffe
	v_mov_b32_e32 v1, 0x7c00
	v_mov_b32_e32 v7, 0x7e00
	s_movk_i32 s18, 0x40f
	s_mov_b32 s19, 0x8000
	s_waitcnt vmcnt(0)
	v_and_or_b32 v5, v6, s16, v5
	v_cmp_ne_u32_e32 vcc, 0, v5
	v_lshrrev_b32_e32 v8, 8, v6
	v_bfe_u32 v9, v6, 20, 11
	v_cndmask_b32_e64 v5, 0, 1, vcc
	v_sub_u32_e32 v10, 0x3f1, v9
	v_and_or_b32 v5, v8, s17, v5
	v_add_u32_e32 v9, 0xfffffc10, v9
	v_med3_i32 v8, v10, 0, 13
	v_or_b32_e32 v10, 0x1000, v5
	v_cmp_ne_u32_e32 vcc, 0, v5
	v_lshl_or_b32 v11, v9, 12, v5
	v_cndmask_b32_e32 v5, v1, v7, vcc
	v_lshrrev_b32_e32 v7, v8, v10
	v_lshlrev_b32_e32 v8, v8, v7
	v_cmp_ne_u32_e32 vcc, v8, v10
	v_cndmask_b32_e64 v8, 0, 1, vcc
	v_or_b32_e32 v7, v7, v8
	v_cmp_gt_i32_e32 vcc, 1, v9
	v_cndmask_b32_e32 v7, v11, v7, vcc
	v_and_b32_e32 v8, 7, v7
	v_cmp_lt_i32_e32 vcc, 5, v8
	v_cndmask_b32_e64 v10, 0, 1, vcc
	v_cmp_eq_u32_e32 vcc, 3, v8
	v_cndmask_b32_e64 v8, 0, 1, vcc
	v_lshrrev_b32_e32 v7, 2, v7
	v_or_b32_e32 v8, v8, v10
	v_add_u32_e32 v7, v7, v8
	v_cmp_gt_i32_e32 vcc, 31, v9
	v_cndmask_b32_e32 v1, v1, v7, vcc
	v_cmp_eq_u32_e32 vcc, s18, v9
	v_lshrrev_b32_e32 v6, 16, v6
	v_cndmask_b32_e32 v1, v1, v5, vcc
	v_and_or_b32 v5, v6, s19, v1
	s_mov_b64 s[16:17], 0
	s_branch .LBB127_1354
.LBB127_1350:
                                        ; implicit-def: $vgpr5
	s_branch .LBB127_1371
.LBB127_1351:
                                        ; implicit-def: $vgpr5
	s_branch .LBB127_1360
.LBB127_1352:
	s_mov_b64 s[16:17], -1
                                        ; implicit-def: $vgpr5
	s_branch .LBB127_1357
.LBB127_1353:
	s_mov_b64 s[16:17], -1
                                        ; implicit-def: $vgpr5
.LBB127_1354:
	s_andn2_b64 vcc, exec, s[16:17]
	s_cbranch_vccnz .LBB127_1356
; %bb.1355:
	s_waitcnt vmcnt(0)
	global_load_dword v1, v[3:4], off
	s_waitcnt vmcnt(0)
	v_cvt_f16_f32_e32 v5, v1
.LBB127_1356:
	s_mov_b64 s[16:17], 0
.LBB127_1357:
	s_andn2_b64 vcc, exec, s[16:17]
	s_cbranch_vccnz .LBB127_1359
; %bb.1358:
	s_waitcnt vmcnt(0)
	global_load_dword v5, v[3:4], off
.LBB127_1359:
	s_cbranch_execnz .LBB127_1370
.LBB127_1360:
	s_sext_i32_i16 s16, s74
	s_cmp_lt_i32 s16, 6
	s_cbranch_scc1 .LBB127_1363
; %bb.1361:
	s_cmp_gt_i32 s16, 6
	s_cbranch_scc0 .LBB127_1364
; %bb.1362:
	s_waitcnt vmcnt(0)
	global_load_dwordx2 v[5:6], v[3:4], off
	s_movk_i32 s16, 0x1ff
	s_movk_i32 s17, 0xffe
	v_mov_b32_e32 v1, 0x7c00
	v_mov_b32_e32 v7, 0x7e00
	s_movk_i32 s18, 0x40f
	s_mov_b32 s19, 0x8000
	s_waitcnt vmcnt(0)
	v_and_or_b32 v5, v6, s16, v5
	v_cmp_ne_u32_e32 vcc, 0, v5
	v_lshrrev_b32_e32 v8, 8, v6
	v_bfe_u32 v9, v6, 20, 11
	v_cndmask_b32_e64 v5, 0, 1, vcc
	v_sub_u32_e32 v10, 0x3f1, v9
	v_and_or_b32 v5, v8, s17, v5
	v_add_u32_e32 v9, 0xfffffc10, v9
	v_med3_i32 v8, v10, 0, 13
	v_or_b32_e32 v10, 0x1000, v5
	v_cmp_ne_u32_e32 vcc, 0, v5
	v_lshl_or_b32 v11, v9, 12, v5
	v_cndmask_b32_e32 v5, v1, v7, vcc
	v_lshrrev_b32_e32 v7, v8, v10
	v_lshlrev_b32_e32 v8, v8, v7
	v_cmp_ne_u32_e32 vcc, v8, v10
	v_cndmask_b32_e64 v8, 0, 1, vcc
	v_or_b32_e32 v7, v7, v8
	v_cmp_gt_i32_e32 vcc, 1, v9
	v_cndmask_b32_e32 v7, v11, v7, vcc
	v_and_b32_e32 v8, 7, v7
	v_cmp_lt_i32_e32 vcc, 5, v8
	v_cndmask_b32_e64 v10, 0, 1, vcc
	v_cmp_eq_u32_e32 vcc, 3, v8
	v_cndmask_b32_e64 v8, 0, 1, vcc
	v_lshrrev_b32_e32 v7, 2, v7
	v_or_b32_e32 v8, v8, v10
	v_add_u32_e32 v7, v7, v8
	v_cmp_gt_i32_e32 vcc, 31, v9
	v_cndmask_b32_e32 v1, v1, v7, vcc
	v_cmp_eq_u32_e32 vcc, s18, v9
	v_lshrrev_b32_e32 v6, 16, v6
	v_cndmask_b32_e32 v1, v1, v5, vcc
	v_and_or_b32 v5, v6, s19, v1
	s_mov_b64 s[16:17], 0
	s_branch .LBB127_1365
.LBB127_1363:
	s_mov_b64 s[16:17], -1
                                        ; implicit-def: $vgpr5
	s_branch .LBB127_1368
.LBB127_1364:
	s_mov_b64 s[16:17], -1
                                        ; implicit-def: $vgpr5
.LBB127_1365:
	s_andn2_b64 vcc, exec, s[16:17]
	s_cbranch_vccnz .LBB127_1367
; %bb.1366:
	s_waitcnt vmcnt(0)
	global_load_dword v1, v[3:4], off
	s_waitcnt vmcnt(0)
	v_cvt_f16_f32_e32 v5, v1
.LBB127_1367:
	s_mov_b64 s[16:17], 0
.LBB127_1368:
	s_andn2_b64 vcc, exec, s[16:17]
	s_cbranch_vccnz .LBB127_1370
; %bb.1369:
	s_waitcnt vmcnt(0)
	global_load_ushort v5, v[3:4], off
.LBB127_1370:
	s_cbranch_execnz .LBB127_1389
.LBB127_1371:
	s_sext_i32_i16 s16, s74
	s_cmp_lt_i32 s16, 2
	s_cbranch_scc1 .LBB127_1375
; %bb.1372:
	s_cmp_lt_i32 s16, 3
	s_cbranch_scc1 .LBB127_1376
; %bb.1373:
	s_cmp_gt_i32 s16, 3
	s_cbranch_scc0 .LBB127_1377
; %bb.1374:
	s_waitcnt vmcnt(0)
	global_load_dwordx2 v[5:6], v[3:4], off
	s_mov_b64 s[16:17], 0
	s_waitcnt vmcnt(0)
	v_xor_b32_e32 v7, v5, v6
	v_ffbh_i32_e32 v1, v6
	v_ashrrev_i32_e32 v7, 31, v7
	v_add_u32_e32 v1, -1, v1
	v_add_u32_e32 v7, 32, v7
	v_min_u32_e32 v1, v1, v7
	v_lshlrev_b64 v[5:6], v1, v[5:6]
	v_sub_u32_e32 v1, 32, v1
	v_min_u32_e32 v5, 1, v5
	v_or_b32_e32 v5, v6, v5
	v_cvt_f32_i32_e32 v5, v5
	v_ldexp_f32 v1, v5, v1
	v_cvt_f16_f32_e32 v5, v1
	s_branch .LBB127_1378
.LBB127_1375:
                                        ; implicit-def: $vgpr5
	s_branch .LBB127_1384
.LBB127_1376:
	s_mov_b64 s[16:17], -1
                                        ; implicit-def: $vgpr5
	s_branch .LBB127_1381
.LBB127_1377:
	s_mov_b64 s[16:17], -1
                                        ; implicit-def: $vgpr5
.LBB127_1378:
	s_andn2_b64 vcc, exec, s[16:17]
	s_cbranch_vccnz .LBB127_1380
; %bb.1379:
	s_waitcnt vmcnt(0)
	global_load_dword v1, v[3:4], off
	s_waitcnt vmcnt(0)
	v_cvt_f32_i32_e32 v1, v1
	v_cvt_f16_f32_e32 v5, v1
.LBB127_1380:
	s_mov_b64 s[16:17], 0
.LBB127_1381:
	s_andn2_b64 vcc, exec, s[16:17]
	s_cbranch_vccnz .LBB127_1383
; %bb.1382:
	s_waitcnt vmcnt(0)
	global_load_ushort v1, v[3:4], off
	s_waitcnt vmcnt(0)
	v_cvt_f16_i16_e32 v5, v1
.LBB127_1383:
	s_cbranch_execnz .LBB127_1389
.LBB127_1384:
	s_sext_i32_i16 s16, s74
	s_cmp_gt_i32 s16, 0
	s_cbranch_scc0 .LBB127_1386
; %bb.1385:
	s_waitcnt vmcnt(0)
	global_load_sbyte v1, v[3:4], off
	s_mov_b64 s[16:17], 0
	s_waitcnt vmcnt(0)
	v_cvt_f16_i16_e32 v5, v1
	s_branch .LBB127_1387
.LBB127_1386:
	s_mov_b64 s[16:17], -1
                                        ; implicit-def: $vgpr5
.LBB127_1387:
	s_andn2_b64 vcc, exec, s[16:17]
	s_cbranch_vccnz .LBB127_1389
; %bb.1388:
	s_waitcnt vmcnt(0)
	global_load_ubyte v1, v[3:4], off
	s_waitcnt vmcnt(0)
	v_cvt_f16_u16_e32 v5, v1
.LBB127_1389:
	s_or_b64 s[50:51], s[50:51], exec
.LBB127_1390:
	s_or_b64 exec, exec, s[0:1]
	s_mov_b64 s[16:17], 0
	s_mov_b64 s[20:21], 0
	;; [unrolled: 1-line block ×3, first 2 shown]
                                        ; implicit-def: $sgpr28
                                        ; implicit-def: $vgpr3_vgpr4
                                        ; implicit-def: $vgpr6
	s_and_saveexec_b64 s[0:1], s[50:51]
	s_cbranch_execz .LBB127_1398
; %bb.1391:
	v_mov_b32_e32 v1, s13
	s_and_b32 s28, s71, 0xff
	s_waitcnt vmcnt(0)
	v_add_co_u32_e32 v3, vcc, s12, v2
	s_cmp_lt_i32 s28, 11
	v_addc_co_u32_e32 v4, vcc, 0, v1, vcc
	s_cbranch_scc1 .LBB127_1401
; %bb.1392:
	s_and_b32 s29, 0xffff, s28
	s_cmp_gt_i32 s29, 25
	s_cbranch_scc0 .LBB127_1402
; %bb.1393:
	s_cmp_gt_i32 s29, 28
	s_cbranch_scc0 .LBB127_1403
; %bb.1394:
	;; [unrolled: 3-line block ×4, first 2 shown]
	s_cmp_eq_u32 s29, 46
	s_cbranch_scc0 .LBB127_1406
; %bb.1397:
	global_load_dword v1, v[3:4], off
	s_mov_b64 s[12:13], 0
	s_mov_b64 s[18:19], -1
	s_waitcnt vmcnt(0)
	v_lshlrev_b32_e32 v1, 16, v1
	v_cvt_f16_f32_e32 v6, v1
	s_branch .LBB127_1408
.LBB127_1398:
	s_or_b64 exec, exec, s[0:1]
	s_and_saveexec_b64 s[0:1], s[40:41]
	s_cbranch_execnz .LBB127_1471
.LBB127_1399:
	s_or_b64 exec, exec, s[0:1]
	s_and_saveexec_b64 s[0:1], s[16:17]
	s_xor_b64 s[0:1], exec, s[0:1]
	s_cbranch_execz .LBB127_1472
.LBB127_1400:
	s_waitcnt vmcnt(0)
	global_load_ubyte v1, v[3:4], off
	v_mov_b32_e32 v2, 0x3c00
	s_or_b64 s[18:19], s[18:19], exec
	s_waitcnt vmcnt(0)
	v_cmp_ne_u16_e32 vcc, 0, v1
	v_cndmask_b32_e32 v6, 0, v2, vcc
	s_or_b64 exec, exec, s[0:1]
	s_and_saveexec_b64 s[0:1], s[20:21]
	s_cbranch_execz .LBB127_1518
	s_branch .LBB127_1473
.LBB127_1401:
	s_mov_b64 s[20:21], -1
                                        ; implicit-def: $vgpr6
	s_mov_b64 s[12:13], s[40:41]
	s_branch .LBB127_1470
.LBB127_1402:
	s_mov_b64 s[12:13], s[40:41]
                                        ; implicit-def: $vgpr6
	s_cbranch_execnz .LBB127_1437
	s_branch .LBB127_1469
.LBB127_1403:
	s_mov_b64 s[20:21], -1
	s_mov_b64 s[12:13], s[40:41]
                                        ; implicit-def: $vgpr6
	s_branch .LBB127_1418
.LBB127_1404:
	s_mov_b64 s[20:21], -1
	s_mov_b64 s[12:13], s[40:41]
                                        ; implicit-def: $vgpr6
	s_branch .LBB127_1413
.LBB127_1405:
	s_mov_b64 s[20:21], -1
	s_mov_b64 s[12:13], s[40:41]
	s_branch .LBB127_1407
.LBB127_1406:
	s_mov_b64 s[12:13], -1
.LBB127_1407:
                                        ; implicit-def: $vgpr6
.LBB127_1408:
	s_and_b64 vcc, exec, s[20:21]
	s_cbranch_vccz .LBB127_1412
; %bb.1409:
	s_cmp_eq_u32 s29, 44
	s_cbranch_scc0 .LBB127_1411
; %bb.1410:
	global_load_ubyte v1, v[3:4], off
	s_movk_i32 s18, 0xff
	v_mov_b32_e32 v6, 0x7e00
	s_mov_b64 s[12:13], 0
	s_waitcnt vmcnt(0)
	v_lshlrev_b32_e32 v2, 23, v1
	v_cvt_f16_f32_e32 v2, v2
	v_cmp_ne_u32_e32 vcc, s18, v1
	s_mov_b64 s[18:19], -1
	v_cndmask_b32_e32 v2, v6, v2, vcc
	v_cmp_ne_u32_e32 vcc, 0, v1
	v_cndmask_b32_e32 v6, 0, v2, vcc
	s_branch .LBB127_1412
.LBB127_1411:
	s_mov_b64 s[12:13], -1
                                        ; implicit-def: $vgpr6
.LBB127_1412:
	s_mov_b64 s[20:21], 0
.LBB127_1413:
	s_and_b64 vcc, exec, s[20:21]
	s_cbranch_vccz .LBB127_1417
; %bb.1414:
	s_cmp_eq_u32 s29, 29
	s_cbranch_scc0 .LBB127_1416
; %bb.1415:
	global_load_dwordx2 v[1:2], v[3:4], off
	s_mov_b64 s[12:13], 0
	s_mov_b64 s[18:19], -1
	s_mov_b64 s[20:21], 0
	s_waitcnt vmcnt(0)
	v_ffbh_u32_e32 v6, v2
	v_min_u32_e32 v6, 32, v6
	v_lshlrev_b64 v[1:2], v6, v[1:2]
	v_min_u32_e32 v1, 1, v1
	v_or_b32_e32 v1, v2, v1
	v_cvt_f32_u32_e32 v1, v1
	v_sub_u32_e32 v2, 32, v6
	v_ldexp_f32 v1, v1, v2
	v_cvt_f16_f32_e32 v6, v1
	s_branch .LBB127_1418
.LBB127_1416:
	s_mov_b64 s[12:13], -1
                                        ; implicit-def: $vgpr6
.LBB127_1417:
	s_mov_b64 s[20:21], 0
.LBB127_1418:
	s_and_b64 vcc, exec, s[20:21]
	s_cbranch_vccz .LBB127_1436
; %bb.1419:
	s_cmp_lt_i32 s29, 27
	s_cbranch_scc1 .LBB127_1422
; %bb.1420:
	s_cmp_gt_i32 s29, 27
	s_cbranch_scc0 .LBB127_1423
; %bb.1421:
	global_load_dword v1, v[3:4], off
	s_mov_b64 s[18:19], 0
	s_waitcnt vmcnt(0)
	v_cvt_f32_u32_e32 v1, v1
	v_cvt_f16_f32_e32 v6, v1
	s_branch .LBB127_1424
.LBB127_1422:
	s_mov_b64 s[18:19], -1
                                        ; implicit-def: $vgpr6
	s_branch .LBB127_1427
.LBB127_1423:
	s_mov_b64 s[18:19], -1
                                        ; implicit-def: $vgpr6
.LBB127_1424:
	s_andn2_b64 vcc, exec, s[18:19]
	s_cbranch_vccnz .LBB127_1426
; %bb.1425:
	global_load_ushort v1, v[3:4], off
	s_waitcnt vmcnt(0)
	v_cvt_f16_u16_e32 v6, v1
.LBB127_1426:
	s_mov_b64 s[18:19], 0
.LBB127_1427:
	s_andn2_b64 vcc, exec, s[18:19]
	s_cbranch_vccnz .LBB127_1435
; %bb.1428:
	global_load_ubyte v1, v[3:4], off
	s_movk_i32 s18, 0x7f
	s_waitcnt vmcnt(0)
	v_cmp_lt_i16_e32 vcc, s18, v1
	s_mov_b64 s[18:19], 0
	s_and_saveexec_b64 s[20:21], vcc
	s_xor_b64 s[20:21], exec, s[20:21]
	s_cbranch_execz .LBB127_1448
; %bb.1429:
	s_movk_i32 s18, 0x80
	v_cmp_eq_u16_e32 vcc, s18, v1
	s_mov_b64 s[18:19], -1
	s_and_saveexec_b64 s[22:23], vcc
; %bb.1430:
	s_xor_b64 s[18:19], exec, -1
; %bb.1431:
	s_or_b64 exec, exec, s[22:23]
	s_and_b64 s[18:19], s[18:19], exec
	s_or_saveexec_b64 s[20:21], s[20:21]
	v_mov_b32_e32 v6, 0x7e00
	s_xor_b64 exec, exec, s[20:21]
	s_cbranch_execnz .LBB127_1449
.LBB127_1432:
	s_or_b64 exec, exec, s[20:21]
	s_and_saveexec_b64 s[20:21], s[18:19]
	s_cbranch_execz .LBB127_1434
.LBB127_1433:
	v_lshlrev_b32_e32 v2, 24, v1
	v_and_b32_e32 v1, 0xffff, v1
	v_and_b32_e32 v6, 7, v1
	v_ffbh_u32_e32 v8, v6
	v_min_u32_e32 v8, 32, v8
	v_subrev_u32_e32 v9, 28, v8
	v_bfe_u32 v7, v1, 3, 4
	v_lshlrev_b32_e32 v1, v9, v1
	v_sub_u32_e32 v8, 29, v8
	v_and_b32_e32 v1, 7, v1
	v_cmp_eq_u32_e32 vcc, 0, v7
	v_cndmask_b32_e32 v7, v7, v8, vcc
	v_cndmask_b32_e32 v1, v6, v1, vcc
	v_mov_b32_e32 v6, 0x3b800000
	v_lshlrev_b32_e32 v1, 20, v1
	v_and_b32_e32 v2, 0x80000000, v2
	v_lshl_add_u32 v6, v7, 23, v6
	v_or3_b32 v1, v2, v6, v1
	v_cvt_f16_f32_e32 v6, v1
.LBB127_1434:
	s_or_b64 exec, exec, s[20:21]
.LBB127_1435:
	s_mov_b64 s[18:19], -1
.LBB127_1436:
	s_branch .LBB127_1469
.LBB127_1437:
	s_cmp_gt_i32 s29, 22
	s_cbranch_scc0 .LBB127_1447
; %bb.1438:
	s_cmp_lt_i32 s29, 24
	s_cbranch_scc1 .LBB127_1450
; %bb.1439:
	s_cmp_gt_i32 s29, 24
	s_cbranch_scc0 .LBB127_1451
; %bb.1440:
	global_load_ubyte v1, v[3:4], off
	s_movk_i32 s16, 0x7f
	s_waitcnt vmcnt(0)
	v_cmp_lt_i16_e32 vcc, s16, v1
	s_mov_b64 s[16:17], 0
	s_and_saveexec_b64 s[18:19], vcc
	s_xor_b64 s[18:19], exec, s[18:19]
	s_cbranch_execz .LBB127_1463
; %bb.1441:
	s_movk_i32 s16, 0x80
	v_cmp_eq_u16_e32 vcc, s16, v1
	s_mov_b64 s[16:17], -1
	s_and_saveexec_b64 s[20:21], vcc
; %bb.1442:
	s_xor_b64 s[16:17], exec, -1
; %bb.1443:
	s_or_b64 exec, exec, s[20:21]
	s_and_b64 s[16:17], s[16:17], exec
	s_or_saveexec_b64 s[18:19], s[18:19]
	v_mov_b32_e32 v6, 0x7e00
	s_xor_b64 exec, exec, s[18:19]
	s_cbranch_execnz .LBB127_1464
.LBB127_1444:
	s_or_b64 exec, exec, s[18:19]
	s_and_saveexec_b64 s[18:19], s[16:17]
	s_cbranch_execz .LBB127_1446
.LBB127_1445:
	v_lshlrev_b32_e32 v2, 24, v1
	v_and_b32_e32 v1, 0xffff, v1
	v_and_b32_e32 v6, 3, v1
	v_ffbh_u32_e32 v8, v6
	v_min_u32_e32 v8, 32, v8
	v_subrev_u32_e32 v9, 29, v8
	v_bfe_u32 v7, v1, 2, 5
	v_lshlrev_b32_e32 v1, v9, v1
	v_sub_u32_e32 v8, 30, v8
	v_and_b32_e32 v1, 3, v1
	v_cmp_eq_u32_e32 vcc, 0, v7
	v_cndmask_b32_e32 v7, v7, v8, vcc
	v_cndmask_b32_e32 v1, v6, v1, vcc
	v_mov_b32_e32 v6, 0x37800000
	v_lshlrev_b32_e32 v1, 21, v1
	v_and_b32_e32 v2, 0x80000000, v2
	v_lshl_add_u32 v6, v7, 23, v6
	v_or3_b32 v1, v2, v6, v1
	v_cvt_f16_f32_e32 v6, v1
.LBB127_1446:
	s_or_b64 exec, exec, s[18:19]
	s_mov_b64 s[16:17], 0
	s_branch .LBB127_1452
.LBB127_1447:
	s_mov_b64 s[16:17], -1
                                        ; implicit-def: $vgpr6
	s_branch .LBB127_1458
.LBB127_1448:
	s_or_saveexec_b64 s[20:21], s[20:21]
	v_mov_b32_e32 v6, 0x7e00
	s_xor_b64 exec, exec, s[20:21]
	s_cbranch_execz .LBB127_1432
.LBB127_1449:
	v_cmp_ne_u16_e32 vcc, 0, v1
	s_andn2_b64 s[18:19], s[18:19], exec
	s_and_b64 s[22:23], vcc, exec
	s_or_b64 s[18:19], s[18:19], s[22:23]
	v_mov_b32_e32 v6, v1
	s_or_b64 exec, exec, s[20:21]
	s_and_saveexec_b64 s[20:21], s[18:19]
	s_cbranch_execnz .LBB127_1433
	s_branch .LBB127_1434
.LBB127_1450:
	s_mov_b64 s[16:17], -1
                                        ; implicit-def: $vgpr6
	s_branch .LBB127_1455
.LBB127_1451:
	s_mov_b64 s[16:17], -1
                                        ; implicit-def: $vgpr6
.LBB127_1452:
	s_and_b64 vcc, exec, s[16:17]
	s_cbranch_vccz .LBB127_1454
; %bb.1453:
	global_load_ubyte v1, v[3:4], off
	s_mov_b32 s16, 0x7f800000
	s_waitcnt vmcnt(0)
	v_lshlrev_b32_e32 v1, 24, v1
	v_and_b32_e32 v2, 0x7f000000, v1
	v_ffbh_u32_e32 v6, v2
	v_min_u32_e32 v6, 32, v6
	v_sub_u32_e64 v6, v6, 4 clamp
	v_lshlrev_b32_e32 v8, v6, v2
	v_lshlrev_b32_e32 v6, 23, v6
	v_lshrrev_b32_e32 v8, 4, v8
	v_add_u32_e32 v7, 0x1000000, v2
	v_sub_u32_e32 v6, v8, v6
	v_ashrrev_i32_e32 v7, 8, v7
	v_add_u32_e32 v6, 0x3c000000, v6
	v_and_or_b32 v6, v7, s16, v6
	v_cmp_ne_u32_e32 vcc, 0, v2
	v_cndmask_b32_e32 v2, 0, v6, vcc
	s_brev_b32 s16, 1
	v_and_or_b32 v1, v1, s16, v2
	v_cvt_f16_f32_e32 v6, v1
.LBB127_1454:
	s_mov_b64 s[16:17], 0
.LBB127_1455:
	s_andn2_b64 vcc, exec, s[16:17]
	s_cbranch_vccnz .LBB127_1457
; %bb.1456:
	global_load_ubyte v1, v[3:4], off
	s_movk_i32 s16, 0x7f00
	s_brev_b32 s17, 16
	s_waitcnt vmcnt(0)
	v_lshlrev_b16_e32 v2, 8, v1
	v_lshlrev_b32_e32 v1, 25, v1
	v_lshrrev_b32_e32 v6, 4, v1
	v_and_or_b32 v7, v2, s16, 0.5
	v_or_b32_e32 v6, 0x70000000, v6
	v_add_f32_e32 v7, -0.5, v7
	v_mul_f32_e32 v6, 0x7800000, v6
	v_cmp_gt_u32_e32 vcc, s17, v1
	v_bfe_i32 v2, v2, 0, 16
	v_cndmask_b32_e32 v1, v6, v7, vcc
	s_brev_b32 s16, 1
	v_and_or_b32 v1, v2, s16, v1
	v_cvt_f16_f32_e32 v6, v1
.LBB127_1457:
	s_mov_b64 s[16:17], 0
	s_mov_b64 s[18:19], -1
.LBB127_1458:
	s_andn2_b64 vcc, exec, s[16:17]
	s_mov_b64 s[16:17], 0
	s_cbranch_vccnz .LBB127_1469
; %bb.1459:
	s_cmp_gt_i32 s29, 14
	s_cbranch_scc0 .LBB127_1462
; %bb.1460:
	s_cmp_eq_u32 s29, 15
	s_cbranch_scc0 .LBB127_1465
; %bb.1461:
	global_load_ushort v1, v[3:4], off
	s_mov_b64 s[12:13], 0
	s_mov_b64 s[18:19], -1
	s_waitcnt vmcnt(0)
	v_lshlrev_b32_e32 v1, 16, v1
	v_cvt_f16_f32_e32 v6, v1
	s_branch .LBB127_1466
.LBB127_1462:
	s_mov_b64 s[20:21], -1
                                        ; implicit-def: $vgpr6
	s_branch .LBB127_1467
.LBB127_1463:
	s_or_saveexec_b64 s[18:19], s[18:19]
	v_mov_b32_e32 v6, 0x7e00
	s_xor_b64 exec, exec, s[18:19]
	s_cbranch_execz .LBB127_1444
.LBB127_1464:
	v_cmp_ne_u16_e32 vcc, 0, v1
	s_andn2_b64 s[16:17], s[16:17], exec
	s_and_b64 s[20:21], vcc, exec
	s_or_b64 s[16:17], s[16:17], s[20:21]
	v_mov_b32_e32 v6, v1
	s_or_b64 exec, exec, s[18:19]
	s_and_saveexec_b64 s[18:19], s[16:17]
	s_cbranch_execnz .LBB127_1445
	s_branch .LBB127_1446
.LBB127_1465:
	s_mov_b64 s[12:13], -1
                                        ; implicit-def: $vgpr6
.LBB127_1466:
	s_mov_b64 s[20:21], 0
.LBB127_1467:
	s_and_b64 vcc, exec, s[20:21]
	s_cbranch_vccz .LBB127_1469
; %bb.1468:
	s_cmp_lg_u32 s29, 11
	s_cselect_b64 s[20:21], -1, 0
	s_andn2_b64 s[12:13], s[12:13], exec
	s_and_b64 s[20:21], s[20:21], exec
	s_mov_b64 s[16:17], -1
	s_or_b64 s[12:13], s[12:13], s[20:21]
.LBB127_1469:
	s_mov_b64 s[20:21], 0
.LBB127_1470:
	s_andn2_b64 s[22:23], s[40:41], exec
	s_and_b64 s[12:13], s[12:13], exec
	s_and_b64 s[18:19], s[18:19], exec
	;; [unrolled: 1-line block ×4, first 2 shown]
	s_or_b64 s[40:41], s[22:23], s[12:13]
	s_or_b64 exec, exec, s[0:1]
	s_and_saveexec_b64 s[0:1], s[40:41]
	s_cbranch_execz .LBB127_1399
.LBB127_1471:
	s_or_b64 s[10:11], s[10:11], exec
	s_andn2_b64 s[16:17], s[16:17], exec
	s_trap 2
	s_or_b64 exec, exec, s[0:1]
	s_and_saveexec_b64 s[0:1], s[16:17]
	s_xor_b64 s[0:1], exec, s[0:1]
	s_cbranch_execnz .LBB127_1400
.LBB127_1472:
	s_or_b64 exec, exec, s[0:1]
	s_and_saveexec_b64 s[0:1], s[20:21]
	s_cbranch_execz .LBB127_1518
.LBB127_1473:
	s_sext_i32_i16 s12, s28
	s_cmp_lt_i32 s12, 5
	s_cbranch_scc1 .LBB127_1478
; %bb.1474:
	s_cmp_lt_i32 s12, 8
	s_cbranch_scc1 .LBB127_1479
; %bb.1475:
	;; [unrolled: 3-line block ×3, first 2 shown]
	s_cmp_gt_i32 s12, 9
	s_cbranch_scc0 .LBB127_1481
; %bb.1477:
	s_waitcnt vmcnt(0)
	global_load_dwordx2 v[1:2], v[3:4], off
	s_movk_i32 s12, 0x1ff
	s_movk_i32 s13, 0xffe
	v_mov_b32_e32 v6, 0x7c00
	v_mov_b32_e32 v7, 0x7e00
	s_movk_i32 s16, 0x40f
	s_mov_b32 s17, 0x8000
	s_waitcnt vmcnt(0)
	v_and_or_b32 v1, v2, s12, v1
	v_cmp_ne_u32_e32 vcc, 0, v1
	v_lshrrev_b32_e32 v8, 8, v2
	v_bfe_u32 v9, v2, 20, 11
	v_cndmask_b32_e64 v1, 0, 1, vcc
	v_sub_u32_e32 v10, 0x3f1, v9
	v_and_or_b32 v1, v8, s13, v1
	v_add_u32_e32 v9, 0xfffffc10, v9
	v_med3_i32 v8, v10, 0, 13
	v_or_b32_e32 v10, 0x1000, v1
	v_cmp_ne_u32_e32 vcc, 0, v1
	v_lshl_or_b32 v11, v9, 12, v1
	v_cndmask_b32_e32 v1, v6, v7, vcc
	v_lshrrev_b32_e32 v7, v8, v10
	v_lshlrev_b32_e32 v8, v8, v7
	v_cmp_ne_u32_e32 vcc, v8, v10
	v_cndmask_b32_e64 v8, 0, 1, vcc
	v_or_b32_e32 v7, v7, v8
	v_cmp_gt_i32_e32 vcc, 1, v9
	v_cndmask_b32_e32 v7, v11, v7, vcc
	v_and_b32_e32 v8, 7, v7
	v_cmp_lt_i32_e32 vcc, 5, v8
	v_cndmask_b32_e64 v10, 0, 1, vcc
	v_cmp_eq_u32_e32 vcc, 3, v8
	v_cndmask_b32_e64 v8, 0, 1, vcc
	v_lshrrev_b32_e32 v7, 2, v7
	v_or_b32_e32 v8, v8, v10
	v_add_u32_e32 v7, v7, v8
	v_cmp_gt_i32_e32 vcc, 31, v9
	v_cndmask_b32_e32 v6, v6, v7, vcc
	v_cmp_eq_u32_e32 vcc, s16, v9
	v_lshrrev_b32_e32 v2, 16, v2
	v_cndmask_b32_e32 v1, v6, v1, vcc
	v_and_or_b32 v6, v2, s17, v1
	s_mov_b64 s[12:13], 0
	s_branch .LBB127_1482
.LBB127_1478:
                                        ; implicit-def: $vgpr6
	s_branch .LBB127_1499
.LBB127_1479:
                                        ; implicit-def: $vgpr6
	s_branch .LBB127_1488
.LBB127_1480:
	s_mov_b64 s[12:13], -1
                                        ; implicit-def: $vgpr6
	s_branch .LBB127_1485
.LBB127_1481:
	s_mov_b64 s[12:13], -1
                                        ; implicit-def: $vgpr6
.LBB127_1482:
	s_andn2_b64 vcc, exec, s[12:13]
	s_cbranch_vccnz .LBB127_1484
; %bb.1483:
	s_waitcnt vmcnt(0)
	global_load_dword v1, v[3:4], off
	s_waitcnt vmcnt(0)
	v_cvt_f16_f32_e32 v6, v1
.LBB127_1484:
	s_mov_b64 s[12:13], 0
.LBB127_1485:
	s_andn2_b64 vcc, exec, s[12:13]
	s_cbranch_vccnz .LBB127_1487
; %bb.1486:
	s_waitcnt vmcnt(0)
	global_load_dword v6, v[3:4], off
.LBB127_1487:
	s_cbranch_execnz .LBB127_1498
.LBB127_1488:
	s_sext_i32_i16 s12, s28
	s_cmp_lt_i32 s12, 6
	s_cbranch_scc1 .LBB127_1491
; %bb.1489:
	s_cmp_gt_i32 s12, 6
	s_cbranch_scc0 .LBB127_1492
; %bb.1490:
	s_waitcnt vmcnt(0)
	global_load_dwordx2 v[1:2], v[3:4], off
	s_movk_i32 s12, 0x1ff
	s_movk_i32 s13, 0xffe
	v_mov_b32_e32 v6, 0x7c00
	v_mov_b32_e32 v7, 0x7e00
	s_movk_i32 s16, 0x40f
	s_mov_b32 s17, 0x8000
	s_waitcnt vmcnt(0)
	v_and_or_b32 v1, v2, s12, v1
	v_cmp_ne_u32_e32 vcc, 0, v1
	v_lshrrev_b32_e32 v8, 8, v2
	v_bfe_u32 v9, v2, 20, 11
	v_cndmask_b32_e64 v1, 0, 1, vcc
	v_sub_u32_e32 v10, 0x3f1, v9
	v_and_or_b32 v1, v8, s13, v1
	v_add_u32_e32 v9, 0xfffffc10, v9
	v_med3_i32 v8, v10, 0, 13
	v_or_b32_e32 v10, 0x1000, v1
	v_cmp_ne_u32_e32 vcc, 0, v1
	v_lshl_or_b32 v11, v9, 12, v1
	v_cndmask_b32_e32 v1, v6, v7, vcc
	v_lshrrev_b32_e32 v7, v8, v10
	v_lshlrev_b32_e32 v8, v8, v7
	v_cmp_ne_u32_e32 vcc, v8, v10
	v_cndmask_b32_e64 v8, 0, 1, vcc
	v_or_b32_e32 v7, v7, v8
	v_cmp_gt_i32_e32 vcc, 1, v9
	v_cndmask_b32_e32 v7, v11, v7, vcc
	v_and_b32_e32 v8, 7, v7
	v_cmp_lt_i32_e32 vcc, 5, v8
	v_cndmask_b32_e64 v10, 0, 1, vcc
	v_cmp_eq_u32_e32 vcc, 3, v8
	v_cndmask_b32_e64 v8, 0, 1, vcc
	v_lshrrev_b32_e32 v7, 2, v7
	v_or_b32_e32 v8, v8, v10
	v_add_u32_e32 v7, v7, v8
	v_cmp_gt_i32_e32 vcc, 31, v9
	v_cndmask_b32_e32 v6, v6, v7, vcc
	v_cmp_eq_u32_e32 vcc, s16, v9
	v_lshrrev_b32_e32 v2, 16, v2
	v_cndmask_b32_e32 v1, v6, v1, vcc
	v_and_or_b32 v6, v2, s17, v1
	s_mov_b64 s[12:13], 0
	s_branch .LBB127_1493
.LBB127_1491:
	s_mov_b64 s[12:13], -1
                                        ; implicit-def: $vgpr6
	s_branch .LBB127_1496
.LBB127_1492:
	s_mov_b64 s[12:13], -1
                                        ; implicit-def: $vgpr6
.LBB127_1493:
	s_andn2_b64 vcc, exec, s[12:13]
	s_cbranch_vccnz .LBB127_1495
; %bb.1494:
	s_waitcnt vmcnt(0)
	global_load_dword v1, v[3:4], off
	s_waitcnt vmcnt(0)
	v_cvt_f16_f32_e32 v6, v1
.LBB127_1495:
	s_mov_b64 s[12:13], 0
.LBB127_1496:
	s_andn2_b64 vcc, exec, s[12:13]
	s_cbranch_vccnz .LBB127_1498
; %bb.1497:
	s_waitcnt vmcnt(0)
	global_load_ushort v6, v[3:4], off
.LBB127_1498:
	s_cbranch_execnz .LBB127_1517
.LBB127_1499:
	s_sext_i32_i16 s12, s28
	s_cmp_lt_i32 s12, 2
	s_cbranch_scc1 .LBB127_1503
; %bb.1500:
	s_cmp_lt_i32 s12, 3
	s_cbranch_scc1 .LBB127_1504
; %bb.1501:
	s_cmp_gt_i32 s12, 3
	s_cbranch_scc0 .LBB127_1505
; %bb.1502:
	s_waitcnt vmcnt(0)
	global_load_dwordx2 v[1:2], v[3:4], off
	s_mov_b64 s[12:13], 0
	s_waitcnt vmcnt(0)
	v_xor_b32_e32 v7, v1, v2
	v_ffbh_i32_e32 v6, v2
	v_ashrrev_i32_e32 v7, 31, v7
	v_add_u32_e32 v6, -1, v6
	v_add_u32_e32 v7, 32, v7
	v_min_u32_e32 v6, v6, v7
	v_lshlrev_b64 v[1:2], v6, v[1:2]
	v_min_u32_e32 v1, 1, v1
	v_or_b32_e32 v1, v2, v1
	v_cvt_f32_i32_e32 v1, v1
	v_sub_u32_e32 v2, 32, v6
	v_ldexp_f32 v1, v1, v2
	v_cvt_f16_f32_e32 v6, v1
	s_branch .LBB127_1506
.LBB127_1503:
                                        ; implicit-def: $vgpr6
	s_branch .LBB127_1512
.LBB127_1504:
	s_mov_b64 s[12:13], -1
                                        ; implicit-def: $vgpr6
	s_branch .LBB127_1509
.LBB127_1505:
	s_mov_b64 s[12:13], -1
                                        ; implicit-def: $vgpr6
.LBB127_1506:
	s_andn2_b64 vcc, exec, s[12:13]
	s_cbranch_vccnz .LBB127_1508
; %bb.1507:
	s_waitcnt vmcnt(0)
	global_load_dword v1, v[3:4], off
	s_waitcnt vmcnt(0)
	v_cvt_f32_i32_e32 v1, v1
	v_cvt_f16_f32_e32 v6, v1
.LBB127_1508:
	s_mov_b64 s[12:13], 0
.LBB127_1509:
	s_andn2_b64 vcc, exec, s[12:13]
	s_cbranch_vccnz .LBB127_1511
; %bb.1510:
	s_waitcnt vmcnt(0)
	global_load_ushort v1, v[3:4], off
	s_waitcnt vmcnt(0)
	v_cvt_f16_i16_e32 v6, v1
.LBB127_1511:
	s_cbranch_execnz .LBB127_1517
.LBB127_1512:
	s_sext_i32_i16 s12, s28
	s_cmp_gt_i32 s12, 0
	s_cbranch_scc0 .LBB127_1514
; %bb.1513:
	s_waitcnt vmcnt(0)
	global_load_sbyte v1, v[3:4], off
	s_mov_b64 s[12:13], 0
	s_waitcnt vmcnt(0)
	v_cvt_f16_i16_e32 v6, v1
	s_branch .LBB127_1515
.LBB127_1514:
	s_mov_b64 s[12:13], -1
                                        ; implicit-def: $vgpr6
.LBB127_1515:
	s_andn2_b64 vcc, exec, s[12:13]
	s_cbranch_vccnz .LBB127_1517
; %bb.1516:
	s_waitcnt vmcnt(0)
	global_load_ubyte v1, v[3:4], off
	s_waitcnt vmcnt(0)
	v_cvt_f16_u16_e32 v6, v1
.LBB127_1517:
	s_or_b64 s[18:19], s[18:19], exec
.LBB127_1518:
	s_or_b64 exec, exec, s[0:1]
	s_mov_b64 s[22:23], 0
	s_mov_b64 s[20:21], 0
                                        ; implicit-def: $sgpr12_sgpr13
                                        ; implicit-def: $sgpr28
                                        ; implicit-def: $vgpr1_vgpr2
	s_and_saveexec_b64 s[16:17], s[18:19]
	s_cbranch_execz .LBB127_1523
; %bb.1519:
	s_cmp_lt_i32 s14, 1
	s_mov_b64 s[0:1], 0
	s_cbranch_scc1 .LBB127_1526
; %bb.1520:
	s_cmp_gt_i32 s14, 1
	s_cbranch_scc0 .LBB127_1527
; %bb.1521:
	s_cmp_eq_u32 s14, 2
	s_cbranch_scc0 .LBB127_1528
; %bb.1522:
	s_waitcnt vmcnt(0)
	v_cmp_le_f16_e64 s[12:13], v5, v6
	s_mov_b64 s[18:19], 0
	s_branch .LBB127_1530
.LBB127_1523:
	s_or_b64 exec, exec, s[16:17]
	s_and_saveexec_b64 s[0:1], s[38:39]
	s_cbranch_execnz .LBB127_1615
.LBB127_1524:
	s_or_b64 exec, exec, s[0:1]
	s_and_saveexec_b64 s[0:1], s[22:23]
	s_xor_b64 s[0:1], exec, s[0:1]
	s_cbranch_execz .LBB127_1616
.LBB127_1525:
	v_cndmask_b32_e64 v0, 0, 1, s[12:13]
	global_store_byte v[1:2], v0, off
	s_or_b64 exec, exec, s[0:1]
	s_and_saveexec_b64 s[0:1], s[20:21]
	s_xor_b64 s[0:1], exec, s[0:1]
	s_cbranch_execz .LBB127_1654
	s_branch .LBB127_1617
.LBB127_1526:
                                        ; implicit-def: $sgpr12_sgpr13
	s_mov_b64 s[18:19], 0
	s_cbranch_execnz .LBB127_1533
	s_branch .LBB127_1534
.LBB127_1527:
	s_mov_b64 s[20:21], -1
	s_mov_b64 s[18:19], 0
	s_branch .LBB127_1529
.LBB127_1528:
	s_mov_b64 s[18:19], -1
.LBB127_1529:
                                        ; implicit-def: $sgpr12_sgpr13
.LBB127_1530:
	s_and_b64 vcc, exec, s[20:21]
	s_cbranch_vccz .LBB127_1532
; %bb.1531:
	s_waitcnt vmcnt(0)
	v_cmp_gt_f16_e32 vcc, v5, v6
	s_andn2_b64 s[12:13], s[12:13], exec
	s_and_b64 s[20:21], vcc, exec
	s_or_b64 s[12:13], s[12:13], s[20:21]
.LBB127_1532:
	s_branch .LBB127_1534
.LBB127_1533:
	s_cmp_lg_u32 s14, 0
	s_mov_b64 s[0:1], -1
	s_cselect_b64 s[18:19], -1, 0
.LBB127_1534:
	s_andn2_b64 vcc, exec, s[18:19]
	s_cbranch_vccnz .LBB127_1536
; %bb.1535:
	s_waitcnt vmcnt(0)
	v_cmp_lt_f16_e32 vcc, v5, v6
	s_andn2_b64 s[12:13], s[12:13], exec
	s_and_b64 s[18:19], vcc, exec
	s_or_b64 s[12:13], s[12:13], s[18:19]
	s_cbranch_execz .LBB127_1537
	s_branch .LBB127_1538
.LBB127_1536:
	s_andn2_b64 vcc, exec, s[0:1]
	s_cbranch_vccnz .LBB127_1538
.LBB127_1537:
	s_waitcnt vmcnt(0)
	v_cmp_ge_f16_e32 vcc, v5, v6
	s_andn2_b64 s[0:1], s[12:13], exec
	s_and_b64 s[12:13], vcc, exec
	s_or_b64 s[12:13], s[0:1], s[12:13]
.LBB127_1538:
	v_mov_b32_e32 v2, s9
	s_and_b32 s28, s15, 0xff
	v_add_co_u32_e32 v1, vcc, s8, v0
	s_cmp_lt_i32 s28, 11
	v_addc_co_u32_e32 v2, vcc, 0, v2, vcc
	s_cbranch_scc1 .LBB127_1612
; %bb.1539:
	s_and_b32 s22, 0xffff, s28
	s_mov_b64 s[14:15], -1
	s_cmp_gt_i32 s22, 25
	s_mov_b64 s[0:1], s[38:39]
	s_cbranch_scc0 .LBB127_1572
; %bb.1540:
	s_mov_b64 s[8:9], -1
	s_cmp_gt_i32 s22, 28
	s_mov_b64 s[0:1], s[38:39]
	s_cbranch_scc0 .LBB127_1556
; %bb.1541:
	s_cmp_gt_i32 s22, 43
	s_mov_b64 s[0:1], s[38:39]
	s_cbranch_scc0 .LBB127_1552
; %bb.1542:
	s_cmp_gt_i32 s22, 45
	s_mov_b64 s[0:1], s[38:39]
	s_cbranch_scc0 .LBB127_1546
; %bb.1543:
	s_cmp_eq_u32 s22, 46
	s_mov_b64 s[0:1], -1
	s_cbranch_scc0 .LBB127_1545
; %bb.1544:
	v_cndmask_b32_e64 v0, 0, 1.0, s[12:13]
	s_waitcnt vmcnt(0)
	v_bfe_u32 v3, v0, 16, 1
	s_movk_i32 s0, 0x7fff
	v_add3_u32 v0, v0, v3, s0
	v_lshrrev_b32_e32 v0, 16, v0
	global_store_dword v[1:2], v0, off
	s_mov_b64 s[0:1], 0
.LBB127_1545:
	s_mov_b64 s[8:9], 0
.LBB127_1546:
	s_and_b64 vcc, exec, s[8:9]
	s_cbranch_vccz .LBB127_1551
; %bb.1547:
	s_cmp_eq_u32 s22, 44
	s_mov_b64 s[0:1], -1
	s_cbranch_scc0 .LBB127_1551
; %bb.1548:
	s_waitcnt vmcnt(0)
	v_cndmask_b32_e64 v3, 0, 1.0, s[12:13]
	v_lshrrev_b32_e32 v0, 23, v3
	s_movk_i32 s0, 0xff
	v_cmp_ne_u32_e32 vcc, s0, v0
	v_mov_b32_e32 v4, 0xff
	s_and_saveexec_b64 s[8:9], vcc
; %bb.1549:
	s_mov_b32 s0, 0x3fffff
	v_and_b32_e32 v4, 0x400000, v3
	v_and_or_b32 v3, v3, s0, v0
	v_cmp_ne_u32_e32 vcc, 0, v4
	v_cmp_ne_u32_e64 s[0:1], 0, v3
	s_and_b64 s[0:1], vcc, s[0:1]
	v_cndmask_b32_e64 v3, 0, 1, s[0:1]
	v_add_u32_e32 v4, v0, v3
; %bb.1550:
	s_or_b64 exec, exec, s[8:9]
	s_mov_b64 s[0:1], 0
	global_store_byte v[1:2], v4, off
.LBB127_1551:
	s_mov_b64 s[8:9], 0
.LBB127_1552:
	s_and_b64 vcc, exec, s[8:9]
	s_cbranch_vccz .LBB127_1555
; %bb.1553:
	s_cmp_eq_u32 s22, 29
	s_mov_b64 s[0:1], -1
	s_cbranch_scc0 .LBB127_1555
; %bb.1554:
	s_mov_b32 s0, 0
	s_waitcnt vmcnt(0)
	v_cndmask_b32_e64 v3, 0, 1, s[12:13]
	v_mov_b32_e32 v4, s0
	global_store_dwordx2 v[1:2], v[3:4], off
	s_mov_b64 s[0:1], 0
.LBB127_1555:
	s_mov_b64 s[8:9], 0
.LBB127_1556:
	s_and_b64 vcc, exec, s[8:9]
	s_cbranch_vccz .LBB127_1571
; %bb.1557:
	s_cmp_lt_i32 s22, 27
	s_mov_b64 s[8:9], -1
	s_cbranch_scc1 .LBB127_1563
; %bb.1558:
	s_cmp_gt_i32 s22, 27
	s_cbranch_scc0 .LBB127_1560
; %bb.1559:
	v_cndmask_b32_e64 v0, 0, 1, s[12:13]
	s_mov_b64 s[8:9], 0
	global_store_dword v[1:2], v0, off
.LBB127_1560:
	s_andn2_b64 vcc, exec, s[8:9]
	s_cbranch_vccnz .LBB127_1562
; %bb.1561:
	v_cndmask_b32_e64 v0, 0, 1, s[12:13]
	global_store_short v[1:2], v0, off
.LBB127_1562:
	s_mov_b64 s[8:9], 0
.LBB127_1563:
	s_andn2_b64 vcc, exec, s[8:9]
	s_cbranch_vccnz .LBB127_1571
; %bb.1564:
	s_waitcnt vmcnt(0)
	v_cndmask_b32_e64 v3, 0, 1.0, s[12:13]
	s_mov_b32 s8, 0x43800000
	v_cmp_gt_u32_e32 vcc, s8, v3
	v_mov_b32_e32 v4, 0x80
	s_and_saveexec_b64 s[8:9], vcc
	s_cbranch_execz .LBB127_1570
; %bb.1565:
	s_mov_b32 s14, 0x3bffffff
	v_cmp_lt_u32_e32 vcc, s14, v3
	s_mov_b64 s[14:15], 0
                                        ; implicit-def: $vgpr0
	s_and_saveexec_b64 s[18:19], vcc
	s_xor_b64 s[18:19], exec, s[18:19]
	s_cbranch_execz .LBB127_1713
; %bb.1566:
	v_bfe_u32 v0, v3, 20, 1
	s_mov_b32 s20, 0x487ffff
	v_add3_u32 v0, v3, v0, s20
	s_mov_b64 s[14:15], exec
	v_lshrrev_b32_e32 v0, 20, v0
                                        ; implicit-def: $vgpr3
	s_andn2_saveexec_b64 s[18:19], s[18:19]
	s_cbranch_execnz .LBB127_1714
.LBB127_1567:
	s_or_b64 exec, exec, s[18:19]
	v_mov_b32_e32 v4, 0
	s_and_saveexec_b64 s[18:19], s[14:15]
.LBB127_1568:
	v_mov_b32_e32 v4, v0
.LBB127_1569:
	s_or_b64 exec, exec, s[18:19]
.LBB127_1570:
	s_or_b64 exec, exec, s[8:9]
	global_store_byte v[1:2], v4, off
.LBB127_1571:
	s_mov_b64 s[14:15], 0
.LBB127_1572:
	s_mov_b64 s[8:9], 0
	s_and_b64 vcc, exec, s[14:15]
	s_cbranch_vccz .LBB127_1613
; %bb.1573:
	s_cmp_gt_i32 s22, 22
	s_mov_b64 s[14:15], -1
	s_cbranch_scc0 .LBB127_1605
; %bb.1574:
	s_cmp_lt_i32 s22, 24
	s_cbranch_scc1 .LBB127_1594
; %bb.1575:
	s_cmp_gt_i32 s22, 24
	s_cbranch_scc0 .LBB127_1583
; %bb.1576:
	s_waitcnt vmcnt(0)
	v_cndmask_b32_e64 v3, 0, 1.0, s[12:13]
	s_mov_b32 s14, 0x47800000
	v_cmp_gt_u32_e32 vcc, s14, v3
	v_mov_b32_e32 v4, 0x80
	s_and_saveexec_b64 s[14:15], vcc
	s_cbranch_execz .LBB127_1582
; %bb.1577:
	s_mov_b32 s18, 0x37ffffff
	v_cmp_lt_u32_e32 vcc, s18, v3
	s_mov_b64 s[18:19], 0
                                        ; implicit-def: $vgpr0
	s_and_saveexec_b64 s[20:21], vcc
	s_xor_b64 s[20:21], exec, s[20:21]
	s_cbranch_execz .LBB127_1838
; %bb.1578:
	v_bfe_u32 v0, v3, 21, 1
	s_mov_b32 s23, 0x88fffff
	v_add3_u32 v0, v3, v0, s23
	s_mov_b64 s[18:19], exec
	v_lshrrev_b32_e32 v0, 21, v0
                                        ; implicit-def: $vgpr3
	s_andn2_saveexec_b64 s[20:21], s[20:21]
	s_cbranch_execnz .LBB127_1839
.LBB127_1579:
	s_or_b64 exec, exec, s[20:21]
	v_mov_b32_e32 v4, 0
	s_and_saveexec_b64 s[20:21], s[18:19]
.LBB127_1580:
	v_mov_b32_e32 v4, v0
.LBB127_1581:
	s_or_b64 exec, exec, s[20:21]
.LBB127_1582:
	s_or_b64 exec, exec, s[14:15]
	s_mov_b64 s[14:15], 0
	global_store_byte v[1:2], v4, off
.LBB127_1583:
	s_and_b64 vcc, exec, s[14:15]
	s_cbranch_vccz .LBB127_1593
; %bb.1584:
	v_cndmask_b32_e64 v0, 0, 1.0, s[12:13]
	s_mov_b32 s14, 0x43f00000
	v_cmp_gt_u32_e32 vcc, s14, v0
                                        ; implicit-def: $vgpr3
	s_and_saveexec_b64 s[14:15], vcc
	s_xor_b64 s[14:15], exec, s[14:15]
	s_cbranch_execz .LBB127_1590
; %bb.1585:
	s_mov_b32 s18, 0x3c7fffff
	v_cmp_lt_u32_e32 vcc, s18, v0
                                        ; implicit-def: $vgpr3
	s_and_saveexec_b64 s[18:19], vcc
	s_xor_b64 s[18:19], exec, s[18:19]
	s_cbranch_execz .LBB127_1587
; %bb.1586:
	s_waitcnt vmcnt(0)
	v_bfe_u32 v3, v0, 20, 1
	s_mov_b32 s20, 0x407ffff
	v_add3_u32 v0, v0, v3, s20
	v_lshrrev_b32_e32 v3, 20, v0
	v_and_b32_e32 v0, 0xff00000, v0
	s_mov_b32 s20, 0x7f00000
	v_mov_b32_e32 v4, 0x7e
	v_cmp_ne_u32_e32 vcc, s20, v0
	v_cndmask_b32_e32 v3, v4, v3, vcc
                                        ; implicit-def: $vgpr0
.LBB127_1587:
	s_andn2_saveexec_b64 s[18:19], s[18:19]
	s_cbranch_execz .LBB127_1589
; %bb.1588:
	s_waitcnt vmcnt(0)
	v_add_f32_e32 v3, 0x46800000, v0
.LBB127_1589:
	s_or_b64 exec, exec, s[18:19]
                                        ; implicit-def: $vgpr0
.LBB127_1590:
	s_andn2_saveexec_b64 s[14:15], s[14:15]
	s_cbranch_execz .LBB127_1592
; %bb.1591:
	s_mov_b32 s18, 0x7f800000
	s_waitcnt vmcnt(0)
	v_mov_b32_e32 v3, 0x7e
	v_mov_b32_e32 v4, 0x7f
	v_cmp_lt_u32_e32 vcc, s18, v0
	v_cndmask_b32_e32 v3, v3, v4, vcc
.LBB127_1592:
	s_or_b64 exec, exec, s[14:15]
	s_waitcnt vmcnt(0)
	global_store_byte v[1:2], v3, off
.LBB127_1593:
	s_mov_b64 s[14:15], 0
.LBB127_1594:
	s_andn2_b64 vcc, exec, s[14:15]
	s_cbranch_vccnz .LBB127_1604
; %bb.1595:
	v_cndmask_b32_e64 v0, 0, 1.0, s[12:13]
	s_mov_b32 s14, 0x47800000
	v_cmp_gt_u32_e32 vcc, s14, v0
                                        ; implicit-def: $vgpr3
	s_and_saveexec_b64 s[14:15], vcc
	s_xor_b64 s[14:15], exec, s[14:15]
	s_cbranch_execz .LBB127_1601
; %bb.1596:
	s_mov_b32 s18, 0x387fffff
	v_cmp_lt_u32_e32 vcc, s18, v0
                                        ; implicit-def: $vgpr3
	s_and_saveexec_b64 s[18:19], vcc
	s_xor_b64 s[18:19], exec, s[18:19]
	s_cbranch_execz .LBB127_1598
; %bb.1597:
	s_waitcnt vmcnt(0)
	v_bfe_u32 v3, v0, 21, 1
	s_mov_b32 s20, 0x80fffff
	v_add3_u32 v0, v0, v3, s20
	v_lshrrev_b32_e32 v3, 21, v0
                                        ; implicit-def: $vgpr0
.LBB127_1598:
	s_andn2_saveexec_b64 s[18:19], s[18:19]
	s_cbranch_execz .LBB127_1600
; %bb.1599:
	s_waitcnt vmcnt(0)
	v_add_f32_e32 v3, 0x43000000, v0
.LBB127_1600:
	s_or_b64 exec, exec, s[18:19]
                                        ; implicit-def: $vgpr0
.LBB127_1601:
	s_andn2_saveexec_b64 s[14:15], s[14:15]
	s_cbranch_execz .LBB127_1603
; %bb.1602:
	s_mov_b32 s18, 0x7f800000
	s_waitcnt vmcnt(0)
	v_mov_b32_e32 v3, 0x7c
	v_mov_b32_e32 v4, 0x7f
	v_cmp_lt_u32_e32 vcc, s18, v0
	v_cndmask_b32_e32 v3, v3, v4, vcc
.LBB127_1603:
	s_or_b64 exec, exec, s[14:15]
	s_waitcnt vmcnt(0)
	global_store_byte v[1:2], v3, off
.LBB127_1604:
	s_mov_b64 s[14:15], 0
.LBB127_1605:
	s_andn2_b64 vcc, exec, s[14:15]
	s_mov_b64 s[14:15], 0
	s_cbranch_vccnz .LBB127_1614
; %bb.1606:
	s_cmp_gt_i32 s22, 14
	s_mov_b64 s[18:19], -1
	s_cbranch_scc0 .LBB127_1610
; %bb.1607:
	s_cmp_eq_u32 s22, 15
	s_mov_b64 s[0:1], -1
	s_cbranch_scc0 .LBB127_1609
; %bb.1608:
	v_cndmask_b32_e64 v0, 0, 1.0, s[12:13]
	s_waitcnt vmcnt(0)
	v_bfe_u32 v3, v0, 16, 1
	s_movk_i32 s0, 0x7fff
	v_add3_u32 v0, v0, v3, s0
	global_store_short_d16_hi v[1:2], v0, off
	s_mov_b64 s[0:1], 0
.LBB127_1609:
	s_mov_b64 s[18:19], 0
.LBB127_1610:
	s_and_b64 vcc, exec, s[18:19]
	s_cbranch_vccz .LBB127_1614
; %bb.1611:
	s_cmp_lg_u32 s22, 11
	s_cselect_b64 s[18:19], -1, 0
	s_andn2_b64 s[0:1], s[0:1], exec
	s_and_b64 s[18:19], s[18:19], exec
	s_mov_b64 s[14:15], -1
	s_or_b64 s[0:1], s[0:1], s[18:19]
	s_branch .LBB127_1614
.LBB127_1612:
	s_mov_b64 s[14:15], 0
	s_mov_b64 s[8:9], -1
	s_mov_b64 s[0:1], s[38:39]
	s_branch .LBB127_1614
.LBB127_1613:
	s_mov_b64 s[14:15], 0
.LBB127_1614:
	s_and_b64 s[20:21], s[8:9], exec
	s_andn2_b64 s[8:9], s[38:39], exec
	s_and_b64 s[0:1], s[0:1], exec
	s_and_b64 s[22:23], s[14:15], exec
	s_or_b64 s[38:39], s[8:9], s[0:1]
	s_or_b64 exec, exec, s[16:17]
	s_and_saveexec_b64 s[0:1], s[38:39]
	s_cbranch_execz .LBB127_1524
.LBB127_1615:
	s_or_b64 s[10:11], s[10:11], exec
	s_andn2_b64 s[22:23], s[22:23], exec
	s_trap 2
	s_or_b64 exec, exec, s[0:1]
	s_and_saveexec_b64 s[0:1], s[22:23]
	s_xor_b64 s[0:1], exec, s[0:1]
	s_cbranch_execnz .LBB127_1525
.LBB127_1616:
	s_or_b64 exec, exec, s[0:1]
	s_and_saveexec_b64 s[0:1], s[20:21]
	s_xor_b64 s[0:1], exec, s[0:1]
	s_cbranch_execz .LBB127_1654
.LBB127_1617:
	s_sext_i32_i16 s14, s28
	s_cmp_lt_i32 s14, 5
	s_mov_b64 s[8:9], -1
	s_cbranch_scc1 .LBB127_1638
; %bb.1618:
	s_cmp_lt_i32 s14, 8
	s_cbranch_scc1 .LBB127_1628
; %bb.1619:
	s_cmp_lt_i32 s14, 9
	s_cbranch_scc1 .LBB127_1625
; %bb.1620:
	s_cmp_gt_i32 s14, 9
	s_cbranch_scc0 .LBB127_1622
; %bb.1621:
	v_cndmask_b32_e64 v0, 0, 1, s[12:13]
	s_waitcnt vmcnt(0)
	v_cvt_f64_u32_e32 v[3:4], v0
	v_mov_b32_e32 v5, 0
	v_mov_b32_e32 v6, v5
	s_mov_b64 s[8:9], 0
	global_store_dwordx4 v[1:2], v[3:6], off
.LBB127_1622:
	s_andn2_b64 vcc, exec, s[8:9]
	s_cbranch_vccnz .LBB127_1624
; %bb.1623:
	s_waitcnt vmcnt(0)
	v_cndmask_b32_e64 v3, 0, 1.0, s[12:13]
	v_mov_b32_e32 v4, 0
	global_store_dwordx2 v[1:2], v[3:4], off
.LBB127_1624:
	s_mov_b64 s[8:9], 0
.LBB127_1625:
	s_andn2_b64 vcc, exec, s[8:9]
	s_cbranch_vccnz .LBB127_1627
; %bb.1626:
	v_cndmask_b32_e64 v0, 0, 1.0, s[12:13]
	v_cvt_f16_f32_e32 v0, v0
	global_store_dword v[1:2], v0, off
.LBB127_1627:
	s_mov_b64 s[8:9], 0
.LBB127_1628:
	s_andn2_b64 vcc, exec, s[8:9]
	s_cbranch_vccnz .LBB127_1637
; %bb.1629:
	s_sext_i32_i16 s14, s28
	s_cmp_lt_i32 s14, 6
	s_mov_b64 s[8:9], -1
	s_cbranch_scc1 .LBB127_1635
; %bb.1630:
	s_cmp_gt_i32 s14, 6
	s_cbranch_scc0 .LBB127_1632
; %bb.1631:
	v_cndmask_b32_e64 v0, 0, 1, s[12:13]
	s_waitcnt vmcnt(0)
	v_cvt_f64_u32_e32 v[3:4], v0
	s_mov_b64 s[8:9], 0
	global_store_dwordx2 v[1:2], v[3:4], off
.LBB127_1632:
	s_andn2_b64 vcc, exec, s[8:9]
	s_cbranch_vccnz .LBB127_1634
; %bb.1633:
	v_cndmask_b32_e64 v0, 0, 1.0, s[12:13]
	global_store_dword v[1:2], v0, off
.LBB127_1634:
	s_mov_b64 s[8:9], 0
.LBB127_1635:
	s_andn2_b64 vcc, exec, s[8:9]
	s_cbranch_vccnz .LBB127_1637
; %bb.1636:
	v_cndmask_b32_e64 v0, 0, 1.0, s[12:13]
	v_cvt_f16_f32_e32 v0, v0
	global_store_short v[1:2], v0, off
.LBB127_1637:
	s_mov_b64 s[8:9], 0
.LBB127_1638:
	s_andn2_b64 vcc, exec, s[8:9]
	s_cbranch_vccnz .LBB127_1654
; %bb.1639:
	s_sext_i32_i16 s14, s28
	s_cmp_lt_i32 s14, 2
	s_mov_b64 s[8:9], -1
	s_cbranch_scc1 .LBB127_1649
; %bb.1640:
	s_cmp_lt_i32 s14, 3
	s_cbranch_scc1 .LBB127_1646
; %bb.1641:
	s_cmp_gt_i32 s14, 3
	s_cbranch_scc0 .LBB127_1643
; %bb.1642:
	s_mov_b32 s8, 0
	s_waitcnt vmcnt(0)
	v_cndmask_b32_e64 v3, 0, 1, s[12:13]
	v_mov_b32_e32 v4, s8
	s_mov_b64 s[8:9], 0
	global_store_dwordx2 v[1:2], v[3:4], off
.LBB127_1643:
	s_andn2_b64 vcc, exec, s[8:9]
	s_cbranch_vccnz .LBB127_1645
; %bb.1644:
	v_cndmask_b32_e64 v0, 0, 1, s[12:13]
	global_store_dword v[1:2], v0, off
.LBB127_1645:
	s_mov_b64 s[8:9], 0
.LBB127_1646:
	s_andn2_b64 vcc, exec, s[8:9]
	s_cbranch_vccnz .LBB127_1648
; %bb.1647:
	v_cndmask_b32_e64 v0, 0, 1, s[12:13]
	global_store_short v[1:2], v0, off
.LBB127_1648:
	s_mov_b64 s[8:9], 0
.LBB127_1649:
	s_andn2_b64 vcc, exec, s[8:9]
	s_cbranch_vccnz .LBB127_1654
; %bb.1650:
	s_sext_i32_i16 s14, s28
	s_mov_b64 s[8:9], -1
	s_cmp_gt_i32 s14, 0
	v_cndmask_b32_e64 v0, 0, 1, s[12:13]
	s_cbranch_scc0 .LBB127_1652
; %bb.1651:
	s_mov_b64 s[8:9], 0
	global_store_byte v[1:2], v0, off
.LBB127_1652:
	s_andn2_b64 vcc, exec, s[8:9]
	s_cbranch_vccnz .LBB127_1654
; %bb.1653:
	global_store_byte v[1:2], v0, off
.LBB127_1654:
	s_or_b64 exec, exec, s[0:1]
	s_and_b64 s[12:13], s[10:11], exec
                                        ; implicit-def: $vgpr23
                                        ; implicit-def: $vgpr8
.LBB127_1655:
	s_or_saveexec_b64 s[14:15], s[26:27]
	s_mov_b64 s[0:1], 0
                                        ; implicit-def: $sgpr10_sgpr11
                                        ; implicit-def: $vgpr0_vgpr1
                                        ; implicit-def: $sgpr26
	s_xor_b64 exec, exec, s[14:15]
	s_cbranch_execz .LBB127_2791
; %bb.1656:
	v_cndmask_b32_e64 v0, 0, 1, s[24:25]
	v_cmp_ne_u32_e64 s[0:1], 1, v0
	s_andn2_b64 vcc, exec, s[24:25]
	s_cbranch_vccnz .LBB127_1662
; %bb.1657:
	s_cmp_lg_u32 s33, 0
	s_cbranch_scc0 .LBB127_1663
; %bb.1658:
	s_min_u32 s8, s70, 15
	s_add_i32 s6, s8, 1
	s_and_b32 s9, s6, 30
	s_add_u32 s6, s2, 0xffffffe8
	s_addc_u32 s7, s3, -1
	v_mov_b32_e32 v19, 0
	v_mov_b32_e32 v21, 0
	s_waitcnt vmcnt(0)
	v_mov_b32_e32 v6, 0
	v_mov_b32_e32 v0, v8
.LBB127_1659:                           ; =>This Inner Loop Header: Depth=1
	s_load_dwordx4 s[16:19], s[6:7], 0x1c
	s_load_dwordx2 s[10:11], s[6:7], 0x2c
	s_load_dwordx2 s[24:25], s[6:7], 0xec
	s_load_dwordx4 s[20:23], s[6:7], 0xdc
	s_add_u32 s6, s6, 24
	s_waitcnt lgkmcnt(0)
	v_mul_hi_u32 v1, s17, v0
	s_addc_u32 s7, s7, 0
	s_add_i32 s9, s9, -2
	s_cmp_lg_u32 s9, 0
	v_add_u32_e32 v1, v0, v1
	v_lshrrev_b32_e32 v1, s18, v1
	v_mul_lo_u32 v2, v1, s16
	v_mul_hi_u32 v3, s10, v1
	v_sub_u32_e32 v2, v0, v2
	v_add_u32_e32 v0, v1, v3
	v_lshrrev_b32_e32 v0, s11, v0
	v_mul_lo_u32 v5, v0, s19
	v_mul_lo_u32 v3, v2, s20
	;; [unrolled: 1-line block ×4, first 2 shown]
	v_sub_u32_e32 v1, v1, v5
	v_mul_lo_u32 v5, v1, s23
	v_mul_lo_u32 v7, v1, s24
	;; [unrolled: 1-line block ×3, first 2 shown]
	v_add3_u32 v6, v3, v6, v5
	v_add3_u32 v21, v4, v21, v7
	v_add3_u32 v19, v2, v19, v1
	s_cbranch_scc1 .LBB127_1659
; %bb.1660:
	s_bitcmp1_b32 s8, 0
	s_cselect_b64 s[8:9], -1, 0
	s_and_b64 vcc, exec, s[8:9]
	s_cbranch_vccnz .LBB127_1664
; %bb.1661:
	s_load_dwordx2 s[8:9], s[6:7], 0x1c
	s_load_dword s16, s[6:7], 0x24
	s_load_dwordx2 s[10:11], s[6:7], 0xdc
	s_waitcnt lgkmcnt(0)
	v_mul_hi_u32 v1, s9, v0
	v_add_u32_e32 v1, v0, v1
	v_lshrrev_b32_e32 v1, s16, v1
	v_mul_lo_u32 v1, v1, s8
	s_load_dword s8, s[6:7], 0xe4
	v_sub_u32_e32 v0, v0, v1
	v_mad_u64_u32 v[6:7], s[6:7], v0, s10, v[6:7]
	v_mad_u64_u32 v[21:22], s[6:7], v0, s11, v[21:22]
	s_waitcnt lgkmcnt(0)
	v_mad_u64_u32 v[19:20], s[6:7], v0, s8, v[19:20]
	s_cbranch_execz .LBB127_1665
	s_branch .LBB127_1667
.LBB127_1662:
                                        ; implicit-def: $vgpr6
                                        ; implicit-def: $vgpr21
                                        ; implicit-def: $vgpr19
	s_branch .LBB127_1665
.LBB127_1663:
	s_waitcnt vmcnt(0)
	v_mov_b32_e32 v6, 0
	v_mov_b32_e32 v21, 0
	v_mov_b32_e32 v19, 0
.LBB127_1664:
	s_cbranch_execnz .LBB127_1667
.LBB127_1665:
	s_load_dwordx4 s[8:11], s[2:3], 0x4
	s_load_dwordx4 s[16:19], s[2:3], 0xc4
	s_cmp_lt_u32 s33, 2
	s_waitcnt lgkmcnt(0)
	v_mul_hi_u32 v0, s9, v8
	v_add_u32_e32 v0, v8, v0
	v_lshrrev_b32_e32 v0, s10, v0
	v_mul_lo_u32 v1, v0, s8
	v_sub_u32_e32 v1, v8, v1
	s_waitcnt vmcnt(0)
	v_mul_lo_u32 v6, v1, s16
	v_mul_lo_u32 v21, v1, s17
	;; [unrolled: 1-line block ×3, first 2 shown]
	s_cbranch_scc1 .LBB127_1667
; %bb.1666:
	s_load_dwordx4 s[8:11], s[2:3], 0x10
	s_load_dwordx4 s[16:19], s[2:3], 0xd0
	s_waitcnt lgkmcnt(0)
	v_mul_hi_u32 v1, s9, v0
	v_add_u32_e32 v1, v0, v1
	v_lshrrev_b32_e32 v1, s10, v1
	v_mul_lo_u32 v1, v1, s8
	v_sub_u32_e32 v0, v0, v1
	v_mad_u64_u32 v[6:7], s[6:7], v0, s16, v[6:7]
	v_mad_u64_u32 v[21:22], s[6:7], v0, s17, v[21:22]
	;; [unrolled: 1-line block ×3, first 2 shown]
.LBB127_1667:
	s_and_b64 vcc, exec, s[0:1]
	v_add_u32_e32 v0, 0x80, v8
	s_cbranch_vccnz .LBB127_1673
; %bb.1668:
	s_cmp_lg_u32 s33, 0
	s_cbranch_scc0 .LBB127_1674
; %bb.1669:
	s_min_u32 s8, s70, 15
	s_add_i32 s6, s8, 1
	s_and_b32 s9, s6, 30
	s_add_u32 s6, s2, 0xffffffe8
	s_addc_u32 s7, s3, -1
	v_mov_b32_e32 v15, 0
	v_mov_b32_e32 v17, 0
	;; [unrolled: 1-line block ×4, first 2 shown]
.LBB127_1670:                           ; =>This Inner Loop Header: Depth=1
	s_load_dwordx4 s[16:19], s[6:7], 0x1c
	s_load_dwordx2 s[10:11], s[6:7], 0x2c
	s_load_dwordx2 s[24:25], s[6:7], 0xec
	s_load_dwordx4 s[20:23], s[6:7], 0xdc
	s_add_u32 s6, s6, 24
	s_waitcnt lgkmcnt(0)
	v_mul_hi_u32 v2, s17, v1
	s_addc_u32 s7, s7, 0
	s_add_i32 s9, s9, -2
	s_cmp_lg_u32 s9, 0
	v_add_u32_e32 v2, v1, v2
	v_lshrrev_b32_e32 v2, s18, v2
	s_waitcnt vmcnt(0)
	v_mul_lo_u32 v3, v2, s16
	v_mul_hi_u32 v5, s10, v2
	v_sub_u32_e32 v3, v1, v3
	v_add_u32_e32 v1, v2, v5
	v_lshrrev_b32_e32 v1, s11, v1
	v_mul_lo_u32 v9, v1, s19
	v_mul_lo_u32 v5, v3, s20
	;; [unrolled: 1-line block ×4, first 2 shown]
	v_sub_u32_e32 v2, v2, v9
	v_mul_lo_u32 v9, v2, s23
	v_mul_lo_u32 v10, v2, s24
	;; [unrolled: 1-line block ×3, first 2 shown]
	v_add3_u32 v4, v5, v4, v9
	v_add3_u32 v17, v7, v17, v10
	v_add3_u32 v15, v3, v15, v2
	s_cbranch_scc1 .LBB127_1670
; %bb.1671:
	s_bitcmp1_b32 s8, 0
	s_cselect_b64 s[8:9], -1, 0
	s_and_b64 vcc, exec, s[8:9]
	s_cbranch_vccnz .LBB127_1675
; %bb.1672:
	s_load_dwordx2 s[8:9], s[6:7], 0x1c
	s_load_dword s16, s[6:7], 0x24
	s_load_dwordx2 s[10:11], s[6:7], 0xdc
	s_waitcnt lgkmcnt(0)
	v_mul_hi_u32 v2, s9, v1
	v_add_u32_e32 v2, v1, v2
	v_lshrrev_b32_e32 v2, s16, v2
	v_mul_lo_u32 v2, v2, s8
	s_load_dword s8, s[6:7], 0xe4
	v_sub_u32_e32 v1, v1, v2
	v_mad_u64_u32 v[4:5], s[6:7], v1, s10, v[4:5]
	v_mad_u64_u32 v[17:18], s[6:7], v1, s11, v[17:18]
	s_waitcnt lgkmcnt(0)
	v_mad_u64_u32 v[15:16], s[6:7], v1, s8, v[15:16]
	s_cbranch_execz .LBB127_1676
	s_branch .LBB127_1678
.LBB127_1673:
                                        ; implicit-def: $vgpr4
                                        ; implicit-def: $vgpr17
                                        ; implicit-def: $vgpr15
	s_branch .LBB127_1676
.LBB127_1674:
	v_mov_b32_e32 v4, 0
	v_mov_b32_e32 v17, 0
	;; [unrolled: 1-line block ×3, first 2 shown]
.LBB127_1675:
	s_cbranch_execnz .LBB127_1678
.LBB127_1676:
	s_load_dwordx4 s[8:11], s[2:3], 0x4
	s_load_dwordx4 s[16:19], s[2:3], 0xc4
	s_cmp_lt_u32 s33, 2
	s_waitcnt lgkmcnt(0)
	v_mul_hi_u32 v1, s9, v0
	v_add_u32_e32 v1, v0, v1
	v_lshrrev_b32_e32 v1, s10, v1
	v_mul_lo_u32 v2, v1, s8
	v_sub_u32_e32 v0, v0, v2
	v_mul_lo_u32 v4, v0, s16
	v_mul_lo_u32 v17, v0, s17
	;; [unrolled: 1-line block ×3, first 2 shown]
	s_cbranch_scc1 .LBB127_1678
; %bb.1677:
	s_load_dwordx4 s[8:11], s[2:3], 0x10
	s_load_dwordx4 s[16:19], s[2:3], 0xd0
	s_waitcnt lgkmcnt(0)
	v_mul_hi_u32 v0, s9, v1
	v_add_u32_e32 v0, v1, v0
	v_lshrrev_b32_e32 v0, s10, v0
	v_mul_lo_u32 v0, v0, s8
	v_sub_u32_e32 v0, v1, v0
	s_waitcnt vmcnt(0)
	v_mad_u64_u32 v[4:5], s[6:7], v0, s16, v[4:5]
	v_mad_u64_u32 v[17:18], s[6:7], v0, s17, v[17:18]
	;; [unrolled: 1-line block ×3, first 2 shown]
.LBB127_1678:
	s_and_b64 vcc, exec, s[0:1]
	v_add_u32_e32 v0, 0x100, v8
	s_cbranch_vccnz .LBB127_1684
; %bb.1679:
	s_cmp_lg_u32 s33, 0
	s_cbranch_scc0 .LBB127_1685
; %bb.1680:
	s_min_u32 s8, s70, 15
	s_add_i32 s6, s8, 1
	s_and_b32 s9, s6, 30
	s_add_u32 s6, s2, 0xffffffe8
	s_addc_u32 s7, s3, -1
	v_mov_b32_e32 v11, 0
	v_mov_b32_e32 v13, 0
	;; [unrolled: 1-line block ×4, first 2 shown]
.LBB127_1681:                           ; =>This Inner Loop Header: Depth=1
	s_load_dwordx4 s[16:19], s[6:7], 0x1c
	s_load_dwordx2 s[10:11], s[6:7], 0x2c
	s_load_dwordx2 s[24:25], s[6:7], 0xec
	s_load_dwordx4 s[20:23], s[6:7], 0xdc
	s_add_u32 s6, s6, 24
	s_waitcnt vmcnt(0) lgkmcnt(0)
	v_mul_hi_u32 v3, s17, v1
	s_addc_u32 s7, s7, 0
	s_add_i32 s9, s9, -2
	s_cmp_lg_u32 s9, 0
	v_add_u32_e32 v3, v1, v3
	v_lshrrev_b32_e32 v3, s18, v3
	v_mul_lo_u32 v5, v3, s16
	v_mul_hi_u32 v7, s10, v3
	v_sub_u32_e32 v5, v1, v5
	v_add_u32_e32 v1, v3, v7
	v_lshrrev_b32_e32 v1, s11, v1
	v_mul_lo_u32 v9, v1, s19
	v_mul_lo_u32 v7, v5, s20
	;; [unrolled: 1-line block ×4, first 2 shown]
	v_sub_u32_e32 v3, v3, v9
	v_mul_lo_u32 v9, v3, s23
	v_mul_lo_u32 v10, v3, s24
	v_mul_lo_u32 v3, v3, s25
	v_add3_u32 v2, v7, v2, v9
	v_add3_u32 v13, v8, v13, v10
	;; [unrolled: 1-line block ×3, first 2 shown]
	s_cbranch_scc1 .LBB127_1681
; %bb.1682:
	s_bitcmp1_b32 s8, 0
	s_cselect_b64 s[8:9], -1, 0
	s_and_b64 vcc, exec, s[8:9]
	s_cbranch_vccnz .LBB127_1686
; %bb.1683:
	s_load_dwordx2 s[8:9], s[6:7], 0x1c
	s_load_dword s16, s[6:7], 0x24
	s_load_dwordx2 s[10:11], s[6:7], 0xdc
	s_waitcnt lgkmcnt(0)
	v_mul_hi_u32 v3, s9, v1
	v_add_u32_e32 v3, v1, v3
	v_lshrrev_b32_e32 v3, s16, v3
	v_mul_lo_u32 v3, v3, s8
	s_load_dword s8, s[6:7], 0xe4
	v_sub_u32_e32 v1, v1, v3
	v_mad_u64_u32 v[2:3], s[6:7], v1, s10, v[2:3]
	v_mad_u64_u32 v[13:14], s[6:7], v1, s11, v[13:14]
	s_waitcnt lgkmcnt(0)
	v_mad_u64_u32 v[11:12], s[6:7], v1, s8, v[11:12]
	s_cbranch_execz .LBB127_1687
	s_branch .LBB127_1689
.LBB127_1684:
                                        ; implicit-def: $vgpr2
                                        ; implicit-def: $vgpr13
                                        ; implicit-def: $vgpr11
	s_branch .LBB127_1687
.LBB127_1685:
	v_mov_b32_e32 v2, 0
	v_mov_b32_e32 v13, 0
	;; [unrolled: 1-line block ×3, first 2 shown]
.LBB127_1686:
	s_cbranch_execnz .LBB127_1689
.LBB127_1687:
	s_load_dwordx4 s[8:11], s[2:3], 0x4
	s_load_dwordx4 s[16:19], s[2:3], 0xc4
	s_cmp_lt_u32 s33, 2
	s_waitcnt lgkmcnt(0)
	v_mul_hi_u32 v1, s9, v0
	v_add_u32_e32 v1, v0, v1
	v_lshrrev_b32_e32 v1, s10, v1
	v_mul_lo_u32 v2, v1, s8
	v_sub_u32_e32 v0, v0, v2
	v_mul_lo_u32 v2, v0, s16
	v_mul_lo_u32 v13, v0, s17
	;; [unrolled: 1-line block ×3, first 2 shown]
	s_cbranch_scc1 .LBB127_1689
; %bb.1688:
	s_load_dwordx4 s[8:11], s[2:3], 0x10
	s_load_dwordx4 s[16:19], s[2:3], 0xd0
	s_waitcnt lgkmcnt(0)
	v_mul_hi_u32 v0, s9, v1
	v_add_u32_e32 v0, v1, v0
	v_lshrrev_b32_e32 v0, s10, v0
	v_mul_lo_u32 v0, v0, s8
	v_sub_u32_e32 v0, v1, v0
	s_waitcnt vmcnt(0)
	v_mad_u64_u32 v[2:3], s[6:7], v0, s16, v[2:3]
	v_mad_u64_u32 v[13:14], s[6:7], v0, s17, v[13:14]
	;; [unrolled: 1-line block ×3, first 2 shown]
.LBB127_1689:
	s_and_b64 vcc, exec, s[0:1]
	s_cbranch_vccnz .LBB127_1695
; %bb.1690:
	s_cmp_lg_u32 s33, 0
	s_cbranch_scc0 .LBB127_1696
; %bb.1691:
	s_min_u32 s6, s70, 15
	s_add_i32 s0, s6, 1
	s_and_b32 s7, s0, 30
	s_add_u32 s0, s2, 0xffffffe8
	s_addc_u32 s1, s3, -1
	v_mov_b32_e32 v7, 0
	v_mov_b32_e32 v9, 0
	;; [unrolled: 1-line block ×4, first 2 shown]
.LBB127_1692:                           ; =>This Inner Loop Header: Depth=1
	s_load_dwordx4 s[8:11], s[0:1], 0x1c
	s_load_dwordx2 s[20:21], s[0:1], 0x2c
	s_load_dwordx2 s[22:23], s[0:1], 0xec
	s_load_dwordx4 s[16:19], s[0:1], 0xdc
	s_add_u32 s0, s0, 24
	s_waitcnt vmcnt(0) lgkmcnt(0)
	v_mul_hi_u32 v3, s9, v1
	s_addc_u32 s1, s1, 0
	s_add_i32 s7, s7, -2
	s_cmp_lg_u32 s7, 0
	v_add_u32_e32 v3, v1, v3
	v_lshrrev_b32_e32 v3, s10, v3
	v_mul_lo_u32 v5, v3, s8
	v_mul_hi_u32 v8, s20, v3
	v_sub_u32_e32 v5, v1, v5
	v_add_u32_e32 v1, v3, v8
	v_lshrrev_b32_e32 v1, s21, v1
	v_mul_lo_u32 v12, v1, s11
	v_mul_lo_u32 v8, v5, s16
	v_mul_lo_u32 v10, v5, s17
	v_mul_lo_u32 v5, v5, s18
	v_sub_u32_e32 v3, v3, v12
	v_mul_lo_u32 v12, v3, s19
	v_mul_lo_u32 v14, v3, s22
	;; [unrolled: 1-line block ×3, first 2 shown]
	v_add3_u32 v0, v8, v0, v12
	v_add3_u32 v9, v10, v9, v14
	;; [unrolled: 1-line block ×3, first 2 shown]
	s_cbranch_scc1 .LBB127_1692
; %bb.1693:
	s_bitcmp1_b32 s6, 0
	s_cselect_b64 s[6:7], -1, 0
	s_and_b64 vcc, exec, s[6:7]
	s_cbranch_vccnz .LBB127_1697
; %bb.1694:
	s_load_dwordx2 s[6:7], s[0:1], 0x1c
	s_load_dword s10, s[0:1], 0x24
	s_load_dwordx2 s[8:9], s[0:1], 0xdc
	s_waitcnt lgkmcnt(0)
	v_mul_hi_u32 v3, s7, v1
	v_add_u32_e32 v3, v1, v3
	v_lshrrev_b32_e32 v3, s10, v3
	v_mul_lo_u32 v3, v3, s6
	s_load_dword s6, s[0:1], 0xe4
	v_sub_u32_e32 v3, v1, v3
	v_mad_u64_u32 v[0:1], s[0:1], v3, s8, v[0:1]
	v_mad_u64_u32 v[9:10], s[0:1], v3, s9, v[9:10]
	s_waitcnt lgkmcnt(0)
	v_mad_u64_u32 v[7:8], s[0:1], v3, s6, v[7:8]
	s_cbranch_execz .LBB127_1698
	s_branch .LBB127_1700
.LBB127_1695:
                                        ; implicit-def: $vgpr0
                                        ; implicit-def: $vgpr9
                                        ; implicit-def: $vgpr7
	s_branch .LBB127_1698
.LBB127_1696:
	v_mov_b32_e32 v0, 0
	v_mov_b32_e32 v9, 0
	;; [unrolled: 1-line block ×3, first 2 shown]
.LBB127_1697:
	s_cbranch_execnz .LBB127_1700
.LBB127_1698:
	s_load_dwordx4 s[8:11], s[2:3], 0x4
	s_load_dwordx4 s[16:19], s[2:3], 0xc4
	s_cmp_lt_u32 s33, 2
	s_waitcnt lgkmcnt(0)
	v_mul_hi_u32 v0, s9, v23
	v_add_u32_e32 v0, v23, v0
	v_lshrrev_b32_e32 v1, s10, v0
	v_mul_lo_u32 v0, v1, s8
	s_waitcnt vmcnt(0)
	v_sub_u32_e32 v3, v23, v0
	v_mul_lo_u32 v0, v3, s16
	v_mul_lo_u32 v9, v3, s17
	;; [unrolled: 1-line block ×3, first 2 shown]
	s_cbranch_scc1 .LBB127_1700
; %bb.1699:
	s_load_dwordx4 s[8:11], s[2:3], 0x10
	s_load_dwordx4 s[16:19], s[2:3], 0xd0
	s_waitcnt lgkmcnt(0)
	v_mul_hi_u32 v3, s9, v1
	v_add_u32_e32 v3, v1, v3
	v_lshrrev_b32_e32 v3, s10, v3
	v_mul_lo_u32 v3, v3, s8
	v_sub_u32_e32 v3, v1, v3
	v_mad_u64_u32 v[0:1], s[0:1], v3, s16, v[0:1]
	v_mad_u64_u32 v[9:10], s[0:1], v3, s17, v[9:10]
	;; [unrolled: 1-line block ×3, first 2 shown]
.LBB127_1700:
	s_load_dwordx4 s[8:11], s[2:3], 0x188
	s_load_dword s24, s[4:5], 0x1ac
	s_waitcnt lgkmcnt(0)
	v_mov_b32_e32 v1, s11
	s_bfe_u32 s20, s24, 0x80008
	v_add_co_u32_e32 v20, vcc, s10, v21
	s_cmp_lt_i32 s20, 11
	v_addc_co_u32_e32 v21, vcc, 0, v1, vcc
	s_cbranch_scc1 .LBB127_1707
; %bb.1701:
	s_and_b32 s21, 0xffff, s20
	s_cmp_gt_i32 s21, 25
	s_mov_b64 s[6:7], 0
	s_cbranch_scc0 .LBB127_1709
; %bb.1702:
	s_cmp_gt_i32 s21, 28
	s_cbranch_scc0 .LBB127_1710
; %bb.1703:
	s_cmp_gt_i32 s21, 43
	;; [unrolled: 3-line block ×3, first 2 shown]
	s_cbranch_scc0 .LBB127_1712
; %bb.1705:
	s_cmp_eq_u32 s21, 46
	s_mov_b64 s[4:5], 0
	s_cbranch_scc0 .LBB127_1715
; %bb.1706:
	global_load_dword v1, v[20:21], off
	s_mov_b64 s[0:1], 0
	s_mov_b64 s[16:17], -1
	s_waitcnt vmcnt(0)
	v_lshlrev_b32_e32 v1, 16, v1
	v_cvt_f16_f32_e32 v1, v1
	s_branch .LBB127_1716
.LBB127_1707:
	s_mov_b64 s[16:17], 0
                                        ; implicit-def: $vgpr1
	s_mov_b64 s[4:5], s[12:13]
	s_cbranch_execnz .LBB127_1779
.LBB127_1708:
	s_andn2_b64 vcc, exec, s[16:17]
	s_cbranch_vccz .LBB127_1824
	s_branch .LBB127_2788
.LBB127_1709:
	s_mov_b64 s[16:17], 0
	s_mov_b64 s[0:1], 0
                                        ; implicit-def: $vgpr1
	s_cbranch_execnz .LBB127_1744
	s_branch .LBB127_1775
.LBB127_1710:
	s_mov_b64 s[4:5], -1
	s_mov_b64 s[16:17], 0
	s_mov_b64 s[0:1], 0
                                        ; implicit-def: $vgpr1
	s_branch .LBB127_1725
.LBB127_1711:
	s_mov_b64 s[16:17], 0
	s_mov_b64 s[0:1], 0
                                        ; implicit-def: $vgpr1
	s_cbranch_execnz .LBB127_1721
	s_branch .LBB127_1724
.LBB127_1712:
	s_mov_b64 s[4:5], -1
	s_mov_b64 s[16:17], 0
	s_mov_b64 s[0:1], 0
                                        ; implicit-def: $vgpr1
	s_branch .LBB127_1716
.LBB127_1713:
	s_andn2_saveexec_b64 s[18:19], s[18:19]
	s_cbranch_execz .LBB127_1567
.LBB127_1714:
	v_add_f32_e32 v0, 0x46000000, v3
	v_and_b32_e32 v0, 0xff, v0
	v_cmp_ne_u32_e32 vcc, 0, v0
	s_andn2_b64 s[14:15], s[14:15], exec
	s_and_b64 s[20:21], vcc, exec
	s_or_b64 s[14:15], s[14:15], s[20:21]
	s_or_b64 exec, exec, s[18:19]
	v_mov_b32_e32 v4, 0
	s_and_saveexec_b64 s[18:19], s[14:15]
	s_cbranch_execnz .LBB127_1568
	s_branch .LBB127_1569
.LBB127_1715:
	s_mov_b64 s[0:1], -1
                                        ; implicit-def: $vgpr1
	s_mov_b64 s[16:17], 0
.LBB127_1716:
	s_and_b64 vcc, exec, s[4:5]
	s_cbranch_vccz .LBB127_1719
; %bb.1717:
	s_cmp_eq_u32 s21, 44
	s_cbranch_scc0 .LBB127_1720
; %bb.1718:
	global_load_ubyte v1, v[20:21], off
	s_movk_i32 s4, 0xff
	s_waitcnt vmcnt(1)
	v_mov_b32_e32 v5, 0x7e00
	s_mov_b64 s[0:1], 0
	s_mov_b64 s[16:17], -1
	s_waitcnt vmcnt(0)
	v_lshlrev_b32_e32 v3, 23, v1
	v_cvt_f16_f32_e32 v3, v3
	v_cmp_ne_u32_e32 vcc, s4, v1
	v_cndmask_b32_e32 v3, v5, v3, vcc
	v_cmp_ne_u32_e32 vcc, 0, v1
	v_cndmask_b32_e32 v1, 0, v3, vcc
.LBB127_1719:
	s_branch .LBB127_1724
.LBB127_1720:
	s_mov_b64 s[0:1], -1
                                        ; implicit-def: $vgpr1
	s_branch .LBB127_1724
.LBB127_1721:
	s_cmp_eq_u32 s21, 29
	s_cbranch_scc0 .LBB127_1723
; %bb.1722:
	global_load_dwordx2 v[22:23], v[20:21], off
	s_mov_b64 s[0:1], 0
	s_mov_b64 s[16:17], -1
	s_mov_b64 s[4:5], 0
	s_waitcnt vmcnt(0)
	v_ffbh_u32_e32 v1, v23
	v_min_u32_e32 v1, 32, v1
	v_lshlrev_b64 v[22:23], v1, v[22:23]
	v_sub_u32_e32 v1, 32, v1
	v_min_u32_e32 v3, 1, v22
	v_or_b32_e32 v3, v23, v3
	v_cvt_f32_u32_e32 v3, v3
	v_ldexp_f32 v1, v3, v1
	v_cvt_f16_f32_e32 v1, v1
	s_branch .LBB127_1725
.LBB127_1723:
	s_mov_b64 s[0:1], -1
                                        ; implicit-def: $vgpr1
.LBB127_1724:
	s_mov_b64 s[4:5], 0
.LBB127_1725:
	s_and_b64 vcc, exec, s[4:5]
	s_cbranch_vccz .LBB127_1743
; %bb.1726:
	s_cmp_lt_i32 s21, 27
	s_cbranch_scc1 .LBB127_1729
; %bb.1727:
	s_cmp_gt_i32 s21, 27
	s_cbranch_scc0 .LBB127_1730
; %bb.1728:
	global_load_dword v1, v[20:21], off
	s_mov_b64 s[4:5], 0
	s_waitcnt vmcnt(0)
	v_cvt_f32_u32_e32 v1, v1
	v_cvt_f16_f32_e32 v1, v1
	s_branch .LBB127_1731
.LBB127_1729:
	s_mov_b64 s[4:5], -1
                                        ; implicit-def: $vgpr1
	s_branch .LBB127_1734
.LBB127_1730:
	s_mov_b64 s[4:5], -1
                                        ; implicit-def: $vgpr1
.LBB127_1731:
	s_andn2_b64 vcc, exec, s[4:5]
	s_cbranch_vccnz .LBB127_1733
; %bb.1732:
	global_load_ushort v1, v[20:21], off
	s_waitcnt vmcnt(0)
	v_cvt_f16_u16_e32 v1, v1
.LBB127_1733:
	s_mov_b64 s[4:5], 0
.LBB127_1734:
	s_andn2_b64 vcc, exec, s[4:5]
	s_cbranch_vccnz .LBB127_1742
; %bb.1735:
	global_load_ubyte v3, v[20:21], off
	s_movk_i32 s4, 0x7f
	s_waitcnt vmcnt(0)
	v_cmp_lt_i16_e32 vcc, s4, v3
	s_mov_b64 s[4:5], 0
	s_and_saveexec_b64 s[16:17], vcc
	s_xor_b64 s[16:17], exec, s[16:17]
	s_cbranch_execz .LBB127_1755
; %bb.1736:
	s_movk_i32 s4, 0x80
	v_cmp_eq_u16_e32 vcc, s4, v3
	s_mov_b64 s[4:5], -1
	s_and_saveexec_b64 s[18:19], vcc
; %bb.1737:
	s_xor_b64 s[4:5], exec, -1
; %bb.1738:
	s_or_b64 exec, exec, s[18:19]
	s_and_b64 s[4:5], s[4:5], exec
	s_or_saveexec_b64 s[16:17], s[16:17]
	v_mov_b32_e32 v1, 0x7e00
	s_xor_b64 exec, exec, s[16:17]
	s_cbranch_execnz .LBB127_1756
.LBB127_1739:
	s_or_b64 exec, exec, s[16:17]
	s_and_saveexec_b64 s[16:17], s[4:5]
	s_cbranch_execz .LBB127_1741
.LBB127_1740:
	v_lshlrev_b32_e32 v1, 24, v3
	v_and_b32_e32 v3, 0xffff, v3
	v_and_b32_e32 v5, 7, v3
	v_ffbh_u32_e32 v10, v5
	v_min_u32_e32 v10, 32, v10
	v_subrev_u32_e32 v12, 28, v10
	v_bfe_u32 v8, v3, 3, 4
	v_lshlrev_b32_e32 v3, v12, v3
	v_sub_u32_e32 v10, 29, v10
	v_and_b32_e32 v3, 7, v3
	v_cmp_eq_u32_e32 vcc, 0, v8
	v_cndmask_b32_e32 v8, v8, v10, vcc
	v_cndmask_b32_e32 v3, v5, v3, vcc
	v_mov_b32_e32 v5, 0x3b800000
	v_lshlrev_b32_e32 v3, 20, v3
	v_and_b32_e32 v1, 0x80000000, v1
	v_lshl_add_u32 v5, v8, 23, v5
	v_or3_b32 v1, v1, v5, v3
	v_cvt_f16_f32_e32 v1, v1
.LBB127_1741:
	s_or_b64 exec, exec, s[16:17]
.LBB127_1742:
	s_mov_b64 s[16:17], -1
.LBB127_1743:
	s_branch .LBB127_1775
.LBB127_1744:
	s_cmp_gt_i32 s21, 22
	s_cbranch_scc0 .LBB127_1754
; %bb.1745:
	s_cmp_lt_i32 s21, 24
	s_cbranch_scc1 .LBB127_1757
; %bb.1746:
	s_cmp_gt_i32 s21, 24
	s_cbranch_scc0 .LBB127_1758
; %bb.1747:
	global_load_ubyte v3, v[20:21], off
	s_movk_i32 s4, 0x7f
	s_waitcnt vmcnt(0)
	v_cmp_lt_i16_e32 vcc, s4, v3
	s_mov_b64 s[4:5], 0
	s_and_saveexec_b64 s[6:7], vcc
	s_xor_b64 s[6:7], exec, s[6:7]
	s_cbranch_execz .LBB127_1769
; %bb.1748:
	s_movk_i32 s4, 0x80
	v_cmp_eq_u16_e32 vcc, s4, v3
	s_mov_b64 s[4:5], -1
	s_and_saveexec_b64 s[16:17], vcc
; %bb.1749:
	s_xor_b64 s[4:5], exec, -1
; %bb.1750:
	s_or_b64 exec, exec, s[16:17]
	s_and_b64 s[4:5], s[4:5], exec
	s_or_saveexec_b64 s[6:7], s[6:7]
	v_mov_b32_e32 v1, 0x7e00
	s_xor_b64 exec, exec, s[6:7]
	s_cbranch_execnz .LBB127_1770
.LBB127_1751:
	s_or_b64 exec, exec, s[6:7]
	s_and_saveexec_b64 s[6:7], s[4:5]
	s_cbranch_execz .LBB127_1753
.LBB127_1752:
	v_lshlrev_b32_e32 v1, 24, v3
	v_and_b32_e32 v3, 0xffff, v3
	v_and_b32_e32 v5, 3, v3
	v_ffbh_u32_e32 v10, v5
	v_min_u32_e32 v10, 32, v10
	v_subrev_u32_e32 v12, 29, v10
	v_bfe_u32 v8, v3, 2, 5
	v_lshlrev_b32_e32 v3, v12, v3
	v_sub_u32_e32 v10, 30, v10
	v_and_b32_e32 v3, 3, v3
	v_cmp_eq_u32_e32 vcc, 0, v8
	v_cndmask_b32_e32 v8, v8, v10, vcc
	v_cndmask_b32_e32 v3, v5, v3, vcc
	v_mov_b32_e32 v5, 0x37800000
	v_lshlrev_b32_e32 v3, 21, v3
	v_and_b32_e32 v1, 0x80000000, v1
	v_lshl_add_u32 v5, v8, 23, v5
	v_or3_b32 v1, v1, v5, v3
	v_cvt_f16_f32_e32 v1, v1
.LBB127_1753:
	s_or_b64 exec, exec, s[6:7]
	s_mov_b64 s[4:5], 0
	s_branch .LBB127_1759
.LBB127_1754:
                                        ; implicit-def: $vgpr1
	s_mov_b64 s[6:7], 0
	s_branch .LBB127_1765
.LBB127_1755:
	s_or_saveexec_b64 s[16:17], s[16:17]
	v_mov_b32_e32 v1, 0x7e00
	s_xor_b64 exec, exec, s[16:17]
	s_cbranch_execz .LBB127_1739
.LBB127_1756:
	v_cmp_ne_u16_e32 vcc, 0, v3
	s_andn2_b64 s[4:5], s[4:5], exec
	s_and_b64 s[18:19], vcc, exec
	s_or_b64 s[4:5], s[4:5], s[18:19]
	v_mov_b32_e32 v1, v3
	s_or_b64 exec, exec, s[16:17]
	s_and_saveexec_b64 s[16:17], s[4:5]
	s_cbranch_execnz .LBB127_1740
	s_branch .LBB127_1741
.LBB127_1757:
	s_mov_b64 s[4:5], -1
                                        ; implicit-def: $vgpr1
	s_branch .LBB127_1762
.LBB127_1758:
	s_mov_b64 s[4:5], -1
                                        ; implicit-def: $vgpr1
.LBB127_1759:
	s_and_b64 vcc, exec, s[4:5]
	s_cbranch_vccz .LBB127_1761
; %bb.1760:
	global_load_ubyte v1, v[20:21], off
	s_mov_b32 s4, 0x7f800000
	s_waitcnt vmcnt(0)
	v_lshlrev_b32_e32 v1, 24, v1
	v_and_b32_e32 v3, 0x7f000000, v1
	v_ffbh_u32_e32 v5, v3
	v_min_u32_e32 v5, 32, v5
	v_sub_u32_e64 v5, v5, 4 clamp
	v_lshlrev_b32_e32 v10, v5, v3
	v_lshlrev_b32_e32 v5, 23, v5
	v_lshrrev_b32_e32 v10, 4, v10
	v_add_u32_e32 v8, 0x1000000, v3
	v_sub_u32_e32 v5, v10, v5
	v_ashrrev_i32_e32 v8, 8, v8
	v_add_u32_e32 v5, 0x3c000000, v5
	v_and_or_b32 v5, v8, s4, v5
	v_cmp_ne_u32_e32 vcc, 0, v3
	v_cndmask_b32_e32 v3, 0, v5, vcc
	s_brev_b32 s4, 1
	v_and_or_b32 v1, v1, s4, v3
	v_cvt_f16_f32_e32 v1, v1
.LBB127_1761:
	s_mov_b64 s[4:5], 0
.LBB127_1762:
	s_andn2_b64 vcc, exec, s[4:5]
	s_cbranch_vccnz .LBB127_1764
; %bb.1763:
	global_load_ubyte v1, v[20:21], off
	s_movk_i32 s4, 0x7f00
	s_brev_b32 s5, 16
	s_waitcnt vmcnt(0)
	v_lshlrev_b16_e32 v3, 8, v1
	v_lshlrev_b32_e32 v1, 25, v1
	v_lshrrev_b32_e32 v5, 4, v1
	v_and_or_b32 v8, v3, s4, 0.5
	v_or_b32_e32 v5, 0x70000000, v5
	v_add_f32_e32 v8, -0.5, v8
	v_mul_f32_e32 v5, 0x7800000, v5
	v_cmp_gt_u32_e32 vcc, s5, v1
	v_bfe_i32 v3, v3, 0, 16
	v_cndmask_b32_e32 v1, v5, v8, vcc
	s_brev_b32 s4, 1
	v_and_or_b32 v1, v3, s4, v1
	v_cvt_f16_f32_e32 v1, v1
.LBB127_1764:
	s_mov_b64 s[16:17], -1
	s_mov_b64 s[6:7], 0
	s_cbranch_execnz .LBB127_1775
.LBB127_1765:
	s_cmp_gt_i32 s21, 14
	s_cbranch_scc0 .LBB127_1768
; %bb.1766:
	s_cmp_eq_u32 s21, 15
	s_cbranch_scc0 .LBB127_1771
; %bb.1767:
	global_load_ushort v1, v[20:21], off
	s_mov_b64 s[0:1], 0
	s_mov_b64 s[16:17], -1
	s_waitcnt vmcnt(0)
	v_lshlrev_b32_e32 v1, 16, v1
	v_cvt_f16_f32_e32 v1, v1
	s_branch .LBB127_1772
.LBB127_1768:
	s_mov_b64 s[4:5], -1
                                        ; implicit-def: $vgpr1
	s_branch .LBB127_1773
.LBB127_1769:
	s_or_saveexec_b64 s[6:7], s[6:7]
	v_mov_b32_e32 v1, 0x7e00
	s_xor_b64 exec, exec, s[6:7]
	s_cbranch_execz .LBB127_1751
.LBB127_1770:
	v_cmp_ne_u16_e32 vcc, 0, v3
	s_andn2_b64 s[4:5], s[4:5], exec
	s_and_b64 s[16:17], vcc, exec
	s_or_b64 s[4:5], s[4:5], s[16:17]
	v_mov_b32_e32 v1, v3
	s_or_b64 exec, exec, s[6:7]
	s_and_saveexec_b64 s[6:7], s[4:5]
	s_cbranch_execnz .LBB127_1752
	s_branch .LBB127_1753
.LBB127_1771:
	s_mov_b64 s[0:1], -1
                                        ; implicit-def: $vgpr1
.LBB127_1772:
	s_mov_b64 s[4:5], 0
.LBB127_1773:
	s_and_b64 vcc, exec, s[4:5]
	s_cbranch_vccz .LBB127_1775
; %bb.1774:
	s_cmp_lg_u32 s21, 11
	s_mov_b64 s[6:7], -1
	s_cselect_b64 s[0:1], -1, 0
.LBB127_1775:
	s_and_b64 vcc, exec, s[0:1]
	s_mov_b64 s[4:5], s[12:13]
	s_cbranch_vccnz .LBB127_1836
; %bb.1776:
	s_andn2_b64 vcc, exec, s[6:7]
	s_cbranch_vccnz .LBB127_1778
.LBB127_1777:
	global_load_ubyte v1, v[20:21], off
	s_waitcnt vmcnt(1)
	v_mov_b32_e32 v3, 0x3c00
	s_mov_b64 s[16:17], -1
	s_waitcnt vmcnt(0)
	v_cmp_ne_u16_e32 vcc, 0, v1
	v_cndmask_b32_e32 v1, 0, v3, vcc
.LBB127_1778:
	s_branch .LBB127_1708
.LBB127_1779:
	s_and_b32 s6, 0xffff, s20
	s_cmp_lt_i32 s6, 5
	s_cbranch_scc1 .LBB127_1784
; %bb.1780:
	s_cmp_lt_i32 s6, 8
	s_cbranch_scc1 .LBB127_1785
; %bb.1781:
	;; [unrolled: 3-line block ×3, first 2 shown]
	s_cmp_gt_i32 s6, 9
	s_cbranch_scc0 .LBB127_1787
; %bb.1783:
	global_load_dwordx2 v[22:23], v[20:21], off
	s_movk_i32 s0, 0x1ff
	s_movk_i32 s1, 0xffe
	v_mov_b32_e32 v1, 0x7c00
	s_waitcnt vmcnt(1)
	v_mov_b32_e32 v3, 0x7e00
	s_movk_i32 s7, 0x40f
	s_mov_b32 s16, 0x8000
	s_waitcnt vmcnt(0)
	v_and_or_b32 v5, v23, s0, v22
	v_cmp_ne_u32_e32 vcc, 0, v5
	v_lshrrev_b32_e32 v8, 8, v23
	v_bfe_u32 v10, v23, 20, 11
	v_cndmask_b32_e64 v5, 0, 1, vcc
	v_sub_u32_e32 v14, 0x3f1, v10
	v_and_or_b32 v5, v8, s1, v5
	v_add_u32_e32 v10, 0xfffffc10, v10
	v_med3_i32 v8, v14, 0, 13
	v_or_b32_e32 v14, 0x1000, v5
	v_lshl_or_b32 v16, v10, 12, v5
	v_cmp_ne_u32_e32 vcc, 0, v5
	v_lshrrev_b32_e32 v5, v8, v14
	v_lshlrev_b32_e32 v8, v8, v5
	v_cndmask_b32_e32 v3, v1, v3, vcc
	v_cmp_ne_u32_e32 vcc, v8, v14
	v_cndmask_b32_e64 v8, 0, 1, vcc
	v_or_b32_e32 v5, v5, v8
	v_cmp_gt_i32_e32 vcc, 1, v10
	v_cndmask_b32_e32 v5, v16, v5, vcc
	v_and_b32_e32 v8, 7, v5
	v_cmp_lt_i32_e32 vcc, 5, v8
	v_cndmask_b32_e64 v14, 0, 1, vcc
	v_cmp_eq_u32_e32 vcc, 3, v8
	v_cndmask_b32_e64 v8, 0, 1, vcc
	v_lshrrev_b32_e32 v5, 2, v5
	v_or_b32_e32 v8, v8, v14
	v_add_u32_e32 v5, v5, v8
	v_cmp_gt_i32_e32 vcc, 31, v10
	v_cndmask_b32_e32 v1, v1, v5, vcc
	v_cmp_eq_u32_e32 vcc, s7, v10
	v_lshrrev_b32_e32 v12, 16, v23
	v_cndmask_b32_e32 v1, v1, v3, vcc
	v_and_or_b32 v1, v12, s16, v1
	s_mov_b64 s[0:1], 0
	s_branch .LBB127_1788
.LBB127_1784:
                                        ; implicit-def: $vgpr1
	s_branch .LBB127_1805
.LBB127_1785:
                                        ; implicit-def: $vgpr1
	s_branch .LBB127_1794
.LBB127_1786:
	s_mov_b64 s[0:1], -1
                                        ; implicit-def: $vgpr1
	s_branch .LBB127_1791
.LBB127_1787:
	s_mov_b64 s[0:1], -1
                                        ; implicit-def: $vgpr1
.LBB127_1788:
	s_andn2_b64 vcc, exec, s[0:1]
	s_cbranch_vccnz .LBB127_1790
; %bb.1789:
	global_load_dword v1, v[20:21], off
	s_waitcnt vmcnt(0)
	v_cvt_f16_f32_e32 v1, v1
.LBB127_1790:
	s_mov_b64 s[0:1], 0
.LBB127_1791:
	s_andn2_b64 vcc, exec, s[0:1]
	s_cbranch_vccnz .LBB127_1793
; %bb.1792:
	global_load_dword v1, v[20:21], off
.LBB127_1793:
	s_cbranch_execnz .LBB127_1804
.LBB127_1794:
	s_cmp_lt_i32 s6, 6
	s_cbranch_scc1 .LBB127_1797
; %bb.1795:
	s_cmp_gt_i32 s6, 6
	s_cbranch_scc0 .LBB127_1798
; %bb.1796:
	global_load_dwordx2 v[22:23], v[20:21], off
	s_movk_i32 s0, 0x1ff
	s_movk_i32 s1, 0xffe
	s_waitcnt vmcnt(1)
	v_mov_b32_e32 v1, 0x7c00
	v_mov_b32_e32 v3, 0x7e00
	s_movk_i32 s7, 0x40f
	s_mov_b32 s16, 0x8000
	s_waitcnt vmcnt(0)
	v_and_or_b32 v5, v23, s0, v22
	v_cmp_ne_u32_e32 vcc, 0, v5
	v_lshrrev_b32_e32 v8, 8, v23
	v_bfe_u32 v10, v23, 20, 11
	v_cndmask_b32_e64 v5, 0, 1, vcc
	v_sub_u32_e32 v14, 0x3f1, v10
	v_and_or_b32 v5, v8, s1, v5
	v_add_u32_e32 v10, 0xfffffc10, v10
	v_med3_i32 v8, v14, 0, 13
	v_or_b32_e32 v14, 0x1000, v5
	v_lshl_or_b32 v16, v10, 12, v5
	v_cmp_ne_u32_e32 vcc, 0, v5
	v_lshrrev_b32_e32 v5, v8, v14
	v_lshlrev_b32_e32 v8, v8, v5
	v_cndmask_b32_e32 v3, v1, v3, vcc
	v_cmp_ne_u32_e32 vcc, v8, v14
	v_cndmask_b32_e64 v8, 0, 1, vcc
	v_or_b32_e32 v5, v5, v8
	v_cmp_gt_i32_e32 vcc, 1, v10
	v_cndmask_b32_e32 v5, v16, v5, vcc
	v_and_b32_e32 v8, 7, v5
	v_cmp_lt_i32_e32 vcc, 5, v8
	v_cndmask_b32_e64 v14, 0, 1, vcc
	v_cmp_eq_u32_e32 vcc, 3, v8
	v_cndmask_b32_e64 v8, 0, 1, vcc
	v_lshrrev_b32_e32 v5, 2, v5
	v_or_b32_e32 v8, v8, v14
	v_add_u32_e32 v5, v5, v8
	v_cmp_gt_i32_e32 vcc, 31, v10
	v_cndmask_b32_e32 v1, v1, v5, vcc
	v_cmp_eq_u32_e32 vcc, s7, v10
	v_lshrrev_b32_e32 v12, 16, v23
	v_cndmask_b32_e32 v1, v1, v3, vcc
	v_and_or_b32 v1, v12, s16, v1
	s_mov_b64 s[0:1], 0
	s_branch .LBB127_1799
.LBB127_1797:
	s_mov_b64 s[0:1], -1
                                        ; implicit-def: $vgpr1
	s_branch .LBB127_1802
.LBB127_1798:
	s_mov_b64 s[0:1], -1
                                        ; implicit-def: $vgpr1
.LBB127_1799:
	s_andn2_b64 vcc, exec, s[0:1]
	s_cbranch_vccnz .LBB127_1801
; %bb.1800:
	global_load_dword v1, v[20:21], off
	s_waitcnt vmcnt(0)
	v_cvt_f16_f32_e32 v1, v1
.LBB127_1801:
	s_mov_b64 s[0:1], 0
.LBB127_1802:
	s_andn2_b64 vcc, exec, s[0:1]
	s_cbranch_vccnz .LBB127_1804
; %bb.1803:
	global_load_ushort v1, v[20:21], off
.LBB127_1804:
	s_cbranch_execnz .LBB127_1823
.LBB127_1805:
	s_cmp_lt_i32 s6, 2
	s_cbranch_scc1 .LBB127_1809
; %bb.1806:
	s_cmp_lt_i32 s6, 3
	s_cbranch_scc1 .LBB127_1810
; %bb.1807:
	s_cmp_gt_i32 s6, 3
	s_cbranch_scc0 .LBB127_1811
; %bb.1808:
	global_load_dwordx2 v[22:23], v[20:21], off
	s_mov_b64 s[0:1], 0
	s_waitcnt vmcnt(0)
	v_xor_b32_e32 v3, v22, v23
	v_ffbh_i32_e32 v1, v23
	v_ashrrev_i32_e32 v3, 31, v3
	v_add_u32_e32 v1, -1, v1
	v_add_u32_e32 v3, 32, v3
	v_min_u32_e32 v1, v1, v3
	v_lshlrev_b64 v[22:23], v1, v[22:23]
	v_sub_u32_e32 v1, 32, v1
	v_min_u32_e32 v3, 1, v22
	v_or_b32_e32 v3, v23, v3
	v_cvt_f32_i32_e32 v3, v3
	v_ldexp_f32 v1, v3, v1
	v_cvt_f16_f32_e32 v1, v1
	s_branch .LBB127_1812
.LBB127_1809:
                                        ; implicit-def: $vgpr1
	s_branch .LBB127_1818
.LBB127_1810:
	s_mov_b64 s[0:1], -1
                                        ; implicit-def: $vgpr1
	s_branch .LBB127_1815
.LBB127_1811:
	s_mov_b64 s[0:1], -1
                                        ; implicit-def: $vgpr1
.LBB127_1812:
	s_andn2_b64 vcc, exec, s[0:1]
	s_cbranch_vccnz .LBB127_1814
; %bb.1813:
	global_load_dword v1, v[20:21], off
	s_waitcnt vmcnt(0)
	v_cvt_f32_i32_e32 v1, v1
	v_cvt_f16_f32_e32 v1, v1
.LBB127_1814:
	s_mov_b64 s[0:1], 0
.LBB127_1815:
	s_andn2_b64 vcc, exec, s[0:1]
	s_cbranch_vccnz .LBB127_1817
; %bb.1816:
	global_load_ushort v1, v[20:21], off
	s_waitcnt vmcnt(0)
	v_cvt_f16_i16_e32 v1, v1
.LBB127_1817:
	s_cbranch_execnz .LBB127_1823
.LBB127_1818:
	s_cmp_gt_i32 s6, 0
	s_cbranch_scc0 .LBB127_1820
; %bb.1819:
	global_load_sbyte v1, v[20:21], off
	s_mov_b64 s[0:1], 0
	s_waitcnt vmcnt(0)
	v_cvt_f16_i16_e32 v1, v1
	s_branch .LBB127_1821
.LBB127_1820:
	s_mov_b64 s[0:1], -1
                                        ; implicit-def: $vgpr1
.LBB127_1821:
	s_andn2_b64 vcc, exec, s[0:1]
	s_cbranch_vccnz .LBB127_1823
; %bb.1822:
	global_load_ubyte v1, v[20:21], off
	s_waitcnt vmcnt(0)
	v_cvt_f16_u16_e32 v1, v1
.LBB127_1823:
.LBB127_1824:
	s_load_dwordx2 s[0:1], s[2:3], 0x198
	s_bfe_u32 s25, s24, 0x80010
	s_cmp_lt_i32 s25, 11
	s_waitcnt vmcnt(0) lgkmcnt(0)
	v_mov_b32_e32 v3, s1
	v_add_co_u32_e32 v18, vcc, s0, v19
	v_addc_co_u32_e32 v19, vcc, 0, v3, vcc
	s_cbranch_scc1 .LBB127_1831
; %bb.1825:
	s_and_b32 s26, 0xffff, s25
	s_cmp_gt_i32 s26, 25
	s_mov_b64 s[16:17], 0
	s_cbranch_scc0 .LBB127_1833
; %bb.1826:
	s_cmp_gt_i32 s26, 28
	s_cbranch_scc0 .LBB127_1834
; %bb.1827:
	s_cmp_gt_i32 s26, 43
	;; [unrolled: 3-line block ×3, first 2 shown]
	s_cbranch_scc0 .LBB127_1837
; %bb.1829:
	s_cmp_eq_u32 s26, 46
	s_mov_b64 s[20:21], 0
	s_cbranch_scc0 .LBB127_1840
; %bb.1830:
	global_load_dword v3, v[18:19], off
	s_mov_b64 s[6:7], 0
	s_mov_b64 s[18:19], -1
	s_waitcnt vmcnt(0)
	v_lshlrev_b32_e32 v3, 16, v3
	v_cvt_f16_f32_e32 v3, v3
	s_branch .LBB127_1841
.LBB127_1831:
	s_mov_b64 s[18:19], 0
                                        ; implicit-def: $vgpr3
	s_cbranch_execnz .LBB127_1906
.LBB127_1832:
	s_andn2_b64 vcc, exec, s[18:19]
	s_cbranch_vccnz .LBB127_2788
	s_branch .LBB127_1953
.LBB127_1833:
	s_mov_b64 s[18:19], 0
	s_mov_b64 s[6:7], 0
                                        ; implicit-def: $vgpr3
	s_cbranch_execnz .LBB127_1870
	s_branch .LBB127_1902
.LBB127_1834:
	s_mov_b64 s[20:21], -1
	s_mov_b64 s[18:19], 0
	s_mov_b64 s[6:7], 0
                                        ; implicit-def: $vgpr3
	s_branch .LBB127_1851
.LBB127_1835:
	s_mov_b64 s[20:21], -1
	s_mov_b64 s[18:19], 0
	s_mov_b64 s[6:7], 0
                                        ; implicit-def: $vgpr3
	s_branch .LBB127_1846
.LBB127_1836:
	s_or_b64 s[4:5], s[12:13], exec
	s_trap 2
	s_cbranch_execz .LBB127_1777
	s_branch .LBB127_1778
.LBB127_1837:
	s_mov_b64 s[20:21], -1
	s_mov_b64 s[18:19], 0
	s_mov_b64 s[6:7], 0
                                        ; implicit-def: $vgpr3
	s_branch .LBB127_1841
.LBB127_1838:
	s_andn2_saveexec_b64 s[20:21], s[20:21]
	s_cbranch_execz .LBB127_1579
.LBB127_1839:
	v_add_f32_e32 v0, 0x42800000, v3
	v_and_b32_e32 v0, 0xff, v0
	v_cmp_ne_u32_e32 vcc, 0, v0
	s_andn2_b64 s[18:19], s[18:19], exec
	s_and_b64 s[30:31], vcc, exec
	s_or_b64 s[18:19], s[18:19], s[30:31]
	s_or_b64 exec, exec, s[20:21]
	v_mov_b32_e32 v4, 0
	s_and_saveexec_b64 s[20:21], s[18:19]
	s_cbranch_execnz .LBB127_1580
	s_branch .LBB127_1581
.LBB127_1840:
	s_mov_b64 s[6:7], -1
                                        ; implicit-def: $vgpr3
	s_mov_b64 s[18:19], 0
.LBB127_1841:
	s_and_b64 vcc, exec, s[20:21]
	s_cbranch_vccz .LBB127_1845
; %bb.1842:
	s_cmp_eq_u32 s26, 44
	s_cbranch_scc0 .LBB127_1844
; %bb.1843:
	global_load_ubyte v3, v[18:19], off
	s_movk_i32 s18, 0xff
	v_mov_b32_e32 v8, 0x7e00
	s_mov_b64 s[6:7], 0
	s_waitcnt vmcnt(0)
	v_lshlrev_b32_e32 v5, 23, v3
	v_cvt_f16_f32_e32 v5, v5
	v_cmp_ne_u32_e32 vcc, s18, v3
	s_mov_b64 s[18:19], -1
	v_cndmask_b32_e32 v5, v8, v5, vcc
	v_cmp_ne_u32_e32 vcc, 0, v3
	v_cndmask_b32_e32 v3, 0, v5, vcc
	s_branch .LBB127_1845
.LBB127_1844:
	s_mov_b64 s[6:7], -1
                                        ; implicit-def: $vgpr3
.LBB127_1845:
	s_mov_b64 s[20:21], 0
.LBB127_1846:
	s_and_b64 vcc, exec, s[20:21]
	s_cbranch_vccz .LBB127_1850
; %bb.1847:
	s_cmp_eq_u32 s26, 29
	s_cbranch_scc0 .LBB127_1849
; %bb.1848:
	global_load_dwordx2 v[20:21], v[18:19], off
	s_mov_b64 s[6:7], 0
	s_mov_b64 s[18:19], -1
	s_mov_b64 s[20:21], 0
	s_waitcnt vmcnt(0)
	v_ffbh_u32_e32 v3, v21
	v_min_u32_e32 v3, 32, v3
	v_lshlrev_b64 v[20:21], v3, v[20:21]
	v_sub_u32_e32 v3, 32, v3
	v_min_u32_e32 v5, 1, v20
	v_or_b32_e32 v5, v21, v5
	v_cvt_f32_u32_e32 v5, v5
	v_ldexp_f32 v3, v5, v3
	v_cvt_f16_f32_e32 v3, v3
	s_branch .LBB127_1851
.LBB127_1849:
	s_mov_b64 s[6:7], -1
                                        ; implicit-def: $vgpr3
.LBB127_1850:
	s_mov_b64 s[20:21], 0
.LBB127_1851:
	s_and_b64 vcc, exec, s[20:21]
	s_cbranch_vccz .LBB127_1869
; %bb.1852:
	s_cmp_lt_i32 s26, 27
	s_cbranch_scc1 .LBB127_1855
; %bb.1853:
	s_cmp_gt_i32 s26, 27
	s_cbranch_scc0 .LBB127_1856
; %bb.1854:
	global_load_dword v3, v[18:19], off
	s_mov_b64 s[18:19], 0
	s_waitcnt vmcnt(0)
	v_cvt_f32_u32_e32 v3, v3
	v_cvt_f16_f32_e32 v3, v3
	s_branch .LBB127_1857
.LBB127_1855:
	s_mov_b64 s[18:19], -1
                                        ; implicit-def: $vgpr3
	s_branch .LBB127_1860
.LBB127_1856:
	s_mov_b64 s[18:19], -1
                                        ; implicit-def: $vgpr3
.LBB127_1857:
	s_andn2_b64 vcc, exec, s[18:19]
	s_cbranch_vccnz .LBB127_1859
; %bb.1858:
	global_load_ushort v3, v[18:19], off
	s_waitcnt vmcnt(0)
	v_cvt_f16_u16_e32 v3, v3
.LBB127_1859:
	s_mov_b64 s[18:19], 0
.LBB127_1860:
	s_andn2_b64 vcc, exec, s[18:19]
	s_cbranch_vccnz .LBB127_1868
; %bb.1861:
	global_load_ubyte v5, v[18:19], off
	s_movk_i32 s18, 0x7f
	s_waitcnt vmcnt(0)
	v_cmp_lt_i16_e32 vcc, s18, v5
	s_mov_b64 s[18:19], 0
	s_and_saveexec_b64 s[20:21], vcc
	s_xor_b64 s[20:21], exec, s[20:21]
	s_cbranch_execz .LBB127_1881
; %bb.1862:
	s_movk_i32 s18, 0x80
	v_cmp_eq_u16_e32 vcc, s18, v5
	s_mov_b64 s[18:19], -1
	s_and_saveexec_b64 s[22:23], vcc
; %bb.1863:
	s_xor_b64 s[18:19], exec, -1
; %bb.1864:
	s_or_b64 exec, exec, s[22:23]
	s_and_b64 s[18:19], s[18:19], exec
	s_or_saveexec_b64 s[20:21], s[20:21]
	v_mov_b32_e32 v3, 0x7e00
	s_xor_b64 exec, exec, s[20:21]
	s_cbranch_execnz .LBB127_1882
.LBB127_1865:
	s_or_b64 exec, exec, s[20:21]
	s_and_saveexec_b64 s[20:21], s[18:19]
	s_cbranch_execz .LBB127_1867
.LBB127_1866:
	v_lshlrev_b32_e32 v3, 24, v5
	v_and_b32_e32 v5, 0xffff, v5
	v_and_b32_e32 v8, 7, v5
	v_ffbh_u32_e32 v12, v8
	v_min_u32_e32 v12, 32, v12
	v_subrev_u32_e32 v14, 28, v12
	v_bfe_u32 v10, v5, 3, 4
	v_lshlrev_b32_e32 v5, v14, v5
	v_sub_u32_e32 v12, 29, v12
	v_and_b32_e32 v5, 7, v5
	v_cmp_eq_u32_e32 vcc, 0, v10
	v_cndmask_b32_e32 v10, v10, v12, vcc
	v_cndmask_b32_e32 v5, v8, v5, vcc
	v_mov_b32_e32 v8, 0x3b800000
	v_lshlrev_b32_e32 v5, 20, v5
	v_and_b32_e32 v3, 0x80000000, v3
	v_lshl_add_u32 v8, v10, 23, v8
	v_or3_b32 v3, v3, v8, v5
	v_cvt_f16_f32_e32 v3, v3
.LBB127_1867:
	s_or_b64 exec, exec, s[20:21]
.LBB127_1868:
	s_mov_b64 s[18:19], -1
.LBB127_1869:
	s_branch .LBB127_1902
.LBB127_1870:
	s_cmp_gt_i32 s26, 22
	s_cbranch_scc0 .LBB127_1880
; %bb.1871:
	s_cmp_lt_i32 s26, 24
	s_cbranch_scc1 .LBB127_1883
; %bb.1872:
	s_cmp_gt_i32 s26, 24
	s_cbranch_scc0 .LBB127_1884
; %bb.1873:
	global_load_ubyte v5, v[18:19], off
	s_movk_i32 s16, 0x7f
	s_waitcnt vmcnt(0)
	v_cmp_lt_i16_e32 vcc, s16, v5
	s_mov_b64 s[16:17], 0
	s_and_saveexec_b64 s[18:19], vcc
	s_xor_b64 s[18:19], exec, s[18:19]
	s_cbranch_execz .LBB127_1896
; %bb.1874:
	s_movk_i32 s16, 0x80
	v_cmp_eq_u16_e32 vcc, s16, v5
	s_mov_b64 s[16:17], -1
	s_and_saveexec_b64 s[20:21], vcc
; %bb.1875:
	s_xor_b64 s[16:17], exec, -1
; %bb.1876:
	s_or_b64 exec, exec, s[20:21]
	s_and_b64 s[16:17], s[16:17], exec
	s_or_saveexec_b64 s[18:19], s[18:19]
	v_mov_b32_e32 v3, 0x7e00
	s_xor_b64 exec, exec, s[18:19]
	s_cbranch_execnz .LBB127_1897
.LBB127_1877:
	s_or_b64 exec, exec, s[18:19]
	s_and_saveexec_b64 s[18:19], s[16:17]
	s_cbranch_execz .LBB127_1879
.LBB127_1878:
	v_lshlrev_b32_e32 v3, 24, v5
	v_and_b32_e32 v5, 0xffff, v5
	v_and_b32_e32 v8, 3, v5
	v_ffbh_u32_e32 v12, v8
	v_min_u32_e32 v12, 32, v12
	v_subrev_u32_e32 v14, 29, v12
	v_bfe_u32 v10, v5, 2, 5
	v_lshlrev_b32_e32 v5, v14, v5
	v_sub_u32_e32 v12, 30, v12
	v_and_b32_e32 v5, 3, v5
	v_cmp_eq_u32_e32 vcc, 0, v10
	v_cndmask_b32_e32 v10, v10, v12, vcc
	v_cndmask_b32_e32 v5, v8, v5, vcc
	v_mov_b32_e32 v8, 0x37800000
	v_lshlrev_b32_e32 v5, 21, v5
	v_and_b32_e32 v3, 0x80000000, v3
	v_lshl_add_u32 v8, v10, 23, v8
	v_or3_b32 v3, v3, v8, v5
	v_cvt_f16_f32_e32 v3, v3
.LBB127_1879:
	s_or_b64 exec, exec, s[18:19]
	s_mov_b64 s[16:17], 0
	s_branch .LBB127_1885
.LBB127_1880:
	s_mov_b64 s[16:17], -1
                                        ; implicit-def: $vgpr3
	s_branch .LBB127_1891
.LBB127_1881:
	s_or_saveexec_b64 s[20:21], s[20:21]
	v_mov_b32_e32 v3, 0x7e00
	s_xor_b64 exec, exec, s[20:21]
	s_cbranch_execz .LBB127_1865
.LBB127_1882:
	v_cmp_ne_u16_e32 vcc, 0, v5
	s_andn2_b64 s[18:19], s[18:19], exec
	s_and_b64 s[22:23], vcc, exec
	s_or_b64 s[18:19], s[18:19], s[22:23]
	v_mov_b32_e32 v3, v5
	s_or_b64 exec, exec, s[20:21]
	s_and_saveexec_b64 s[20:21], s[18:19]
	s_cbranch_execnz .LBB127_1866
	s_branch .LBB127_1867
.LBB127_1883:
	s_mov_b64 s[16:17], -1
                                        ; implicit-def: $vgpr3
	s_branch .LBB127_1888
.LBB127_1884:
	s_mov_b64 s[16:17], -1
                                        ; implicit-def: $vgpr3
.LBB127_1885:
	s_and_b64 vcc, exec, s[16:17]
	s_cbranch_vccz .LBB127_1887
; %bb.1886:
	global_load_ubyte v3, v[18:19], off
	s_mov_b32 s16, 0x7f800000
	s_waitcnt vmcnt(0)
	v_lshlrev_b32_e32 v3, 24, v3
	v_and_b32_e32 v5, 0x7f000000, v3
	v_ffbh_u32_e32 v8, v5
	v_min_u32_e32 v8, 32, v8
	v_sub_u32_e64 v8, v8, 4 clamp
	v_lshlrev_b32_e32 v12, v8, v5
	v_lshlrev_b32_e32 v8, 23, v8
	v_lshrrev_b32_e32 v12, 4, v12
	v_add_u32_e32 v10, 0x1000000, v5
	v_sub_u32_e32 v8, v12, v8
	v_ashrrev_i32_e32 v10, 8, v10
	v_add_u32_e32 v8, 0x3c000000, v8
	v_and_or_b32 v8, v10, s16, v8
	v_cmp_ne_u32_e32 vcc, 0, v5
	v_cndmask_b32_e32 v5, 0, v8, vcc
	s_brev_b32 s16, 1
	v_and_or_b32 v3, v3, s16, v5
	v_cvt_f16_f32_e32 v3, v3
.LBB127_1887:
	s_mov_b64 s[16:17], 0
.LBB127_1888:
	s_andn2_b64 vcc, exec, s[16:17]
	s_cbranch_vccnz .LBB127_1890
; %bb.1889:
	global_load_ubyte v3, v[18:19], off
	s_movk_i32 s16, 0x7f00
	s_brev_b32 s17, 16
	s_waitcnt vmcnt(0)
	v_lshlrev_b16_e32 v5, 8, v3
	v_lshlrev_b32_e32 v3, 25, v3
	v_lshrrev_b32_e32 v8, 4, v3
	v_and_or_b32 v10, v5, s16, 0.5
	v_or_b32_e32 v8, 0x70000000, v8
	v_add_f32_e32 v10, -0.5, v10
	v_mul_f32_e32 v8, 0x7800000, v8
	v_cmp_gt_u32_e32 vcc, s17, v3
	v_bfe_i32 v5, v5, 0, 16
	v_cndmask_b32_e32 v3, v8, v10, vcc
	s_brev_b32 s16, 1
	v_and_or_b32 v3, v5, s16, v3
	v_cvt_f16_f32_e32 v3, v3
.LBB127_1890:
	s_mov_b64 s[16:17], 0
	s_mov_b64 s[18:19], -1
.LBB127_1891:
	s_andn2_b64 vcc, exec, s[16:17]
	s_mov_b64 s[16:17], 0
	s_cbranch_vccnz .LBB127_1902
; %bb.1892:
	s_cmp_gt_i32 s26, 14
	s_cbranch_scc0 .LBB127_1895
; %bb.1893:
	s_cmp_eq_u32 s26, 15
	s_cbranch_scc0 .LBB127_1898
; %bb.1894:
	global_load_ushort v3, v[18:19], off
	s_mov_b64 s[6:7], 0
	s_mov_b64 s[18:19], -1
	s_waitcnt vmcnt(0)
	v_lshlrev_b32_e32 v3, 16, v3
	v_cvt_f16_f32_e32 v3, v3
	s_branch .LBB127_1899
.LBB127_1895:
	s_mov_b64 s[20:21], -1
                                        ; implicit-def: $vgpr3
	s_branch .LBB127_1900
.LBB127_1896:
	s_or_saveexec_b64 s[18:19], s[18:19]
	v_mov_b32_e32 v3, 0x7e00
	s_xor_b64 exec, exec, s[18:19]
	s_cbranch_execz .LBB127_1877
.LBB127_1897:
	v_cmp_ne_u16_e32 vcc, 0, v5
	s_andn2_b64 s[16:17], s[16:17], exec
	s_and_b64 s[20:21], vcc, exec
	s_or_b64 s[16:17], s[16:17], s[20:21]
	v_mov_b32_e32 v3, v5
	s_or_b64 exec, exec, s[18:19]
	s_and_saveexec_b64 s[18:19], s[16:17]
	s_cbranch_execnz .LBB127_1878
	s_branch .LBB127_1879
.LBB127_1898:
	s_mov_b64 s[6:7], -1
                                        ; implicit-def: $vgpr3
.LBB127_1899:
	s_mov_b64 s[20:21], 0
.LBB127_1900:
	s_and_b64 vcc, exec, s[20:21]
	s_cbranch_vccz .LBB127_1902
; %bb.1901:
	s_cmp_lg_u32 s26, 11
	s_mov_b64 s[16:17], -1
	s_cselect_b64 s[6:7], -1, 0
.LBB127_1902:
	s_and_b64 vcc, exec, s[6:7]
	s_cbranch_vccnz .LBB127_1981
; %bb.1903:
	s_andn2_b64 vcc, exec, s[16:17]
	s_cbranch_vccnz .LBB127_1905
.LBB127_1904:
	global_load_ubyte v3, v[18:19], off
	v_mov_b32_e32 v5, 0x3c00
	s_mov_b64 s[18:19], -1
	s_waitcnt vmcnt(0)
	v_cmp_ne_u16_e32 vcc, 0, v3
	v_cndmask_b32_e32 v3, 0, v5, vcc
.LBB127_1905:
	s_branch .LBB127_1832
.LBB127_1906:
	s_and_b32 s16, 0xffff, s25
	s_cmp_lt_i32 s16, 5
	s_cbranch_scc1 .LBB127_1911
; %bb.1907:
	s_cmp_lt_i32 s16, 8
	s_cbranch_scc1 .LBB127_1912
; %bb.1908:
	;; [unrolled: 3-line block ×3, first 2 shown]
	s_cmp_gt_i32 s16, 9
	s_cbranch_scc0 .LBB127_1914
; %bb.1910:
	global_load_dwordx2 v[20:21], v[18:19], off
	s_movk_i32 s6, 0x1ff
	s_movk_i32 s7, 0xffe
	v_mov_b32_e32 v3, 0x7c00
	v_mov_b32_e32 v5, 0x7e00
	s_movk_i32 s17, 0x40f
	s_mov_b32 s18, 0x8000
	s_waitcnt vmcnt(0)
	v_and_or_b32 v8, v21, s6, v20
	v_cmp_ne_u32_e32 vcc, 0, v8
	v_lshrrev_b32_e32 v10, 8, v21
	v_bfe_u32 v12, v21, 20, 11
	v_cndmask_b32_e64 v8, 0, 1, vcc
	v_sub_u32_e32 v16, 0x3f1, v12
	v_and_or_b32 v8, v10, s7, v8
	v_add_u32_e32 v12, 0xfffffc10, v12
	v_med3_i32 v10, v16, 0, 13
	v_or_b32_e32 v16, 0x1000, v8
	v_lshl_or_b32 v20, v12, 12, v8
	v_cmp_ne_u32_e32 vcc, 0, v8
	v_lshrrev_b32_e32 v8, v10, v16
	v_lshlrev_b32_e32 v10, v10, v8
	v_cndmask_b32_e32 v5, v3, v5, vcc
	v_cmp_ne_u32_e32 vcc, v10, v16
	v_cndmask_b32_e64 v10, 0, 1, vcc
	v_or_b32_e32 v8, v8, v10
	v_cmp_gt_i32_e32 vcc, 1, v12
	v_cndmask_b32_e32 v8, v20, v8, vcc
	v_and_b32_e32 v10, 7, v8
	v_cmp_lt_i32_e32 vcc, 5, v10
	v_cndmask_b32_e64 v16, 0, 1, vcc
	v_cmp_eq_u32_e32 vcc, 3, v10
	v_cndmask_b32_e64 v10, 0, 1, vcc
	v_lshrrev_b32_e32 v8, 2, v8
	v_or_b32_e32 v10, v10, v16
	v_add_u32_e32 v8, v8, v10
	v_cmp_gt_i32_e32 vcc, 31, v12
	v_cndmask_b32_e32 v3, v3, v8, vcc
	v_cmp_eq_u32_e32 vcc, s17, v12
	v_lshrrev_b32_e32 v14, 16, v21
	v_cndmask_b32_e32 v3, v3, v5, vcc
	v_and_or_b32 v3, v14, s18, v3
	s_mov_b64 s[6:7], 0
	s_branch .LBB127_1915
.LBB127_1911:
                                        ; implicit-def: $vgpr3
	s_branch .LBB127_1933
.LBB127_1912:
	s_mov_b64 s[6:7], -1
                                        ; implicit-def: $vgpr3
	s_branch .LBB127_1921
.LBB127_1913:
	s_mov_b64 s[6:7], -1
                                        ; implicit-def: $vgpr3
	s_branch .LBB127_1918
.LBB127_1914:
	s_mov_b64 s[6:7], -1
                                        ; implicit-def: $vgpr3
.LBB127_1915:
	s_andn2_b64 vcc, exec, s[6:7]
	s_cbranch_vccnz .LBB127_1917
; %bb.1916:
	global_load_dword v3, v[18:19], off
	s_waitcnt vmcnt(0)
	v_cvt_f16_f32_e32 v3, v3
.LBB127_1917:
	s_mov_b64 s[6:7], 0
.LBB127_1918:
	s_andn2_b64 vcc, exec, s[6:7]
	s_cbranch_vccnz .LBB127_1920
; %bb.1919:
	global_load_dword v3, v[18:19], off
.LBB127_1920:
	s_mov_b64 s[6:7], 0
.LBB127_1921:
	s_andn2_b64 vcc, exec, s[6:7]
	s_cbranch_vccnz .LBB127_1932
; %bb.1922:
	s_cmp_lt_i32 s16, 6
	s_cbranch_scc1 .LBB127_1925
; %bb.1923:
	s_cmp_gt_i32 s16, 6
	s_cbranch_scc0 .LBB127_1926
; %bb.1924:
	global_load_dwordx2 v[20:21], v[18:19], off
	s_movk_i32 s6, 0x1ff
	s_movk_i32 s7, 0xffe
	s_waitcnt vmcnt(1)
	v_mov_b32_e32 v3, 0x7c00
	v_mov_b32_e32 v5, 0x7e00
	s_movk_i32 s17, 0x40f
	s_mov_b32 s18, 0x8000
	s_waitcnt vmcnt(0)
	v_and_or_b32 v8, v21, s6, v20
	v_cmp_ne_u32_e32 vcc, 0, v8
	v_lshrrev_b32_e32 v10, 8, v21
	v_bfe_u32 v12, v21, 20, 11
	v_cndmask_b32_e64 v8, 0, 1, vcc
	v_sub_u32_e32 v16, 0x3f1, v12
	v_and_or_b32 v8, v10, s7, v8
	v_add_u32_e32 v12, 0xfffffc10, v12
	v_med3_i32 v10, v16, 0, 13
	v_or_b32_e32 v16, 0x1000, v8
	v_lshl_or_b32 v20, v12, 12, v8
	v_cmp_ne_u32_e32 vcc, 0, v8
	v_lshrrev_b32_e32 v8, v10, v16
	v_lshlrev_b32_e32 v10, v10, v8
	v_cndmask_b32_e32 v5, v3, v5, vcc
	v_cmp_ne_u32_e32 vcc, v10, v16
	v_cndmask_b32_e64 v10, 0, 1, vcc
	v_or_b32_e32 v8, v8, v10
	v_cmp_gt_i32_e32 vcc, 1, v12
	v_cndmask_b32_e32 v8, v20, v8, vcc
	v_and_b32_e32 v10, 7, v8
	v_cmp_lt_i32_e32 vcc, 5, v10
	v_cndmask_b32_e64 v16, 0, 1, vcc
	v_cmp_eq_u32_e32 vcc, 3, v10
	v_cndmask_b32_e64 v10, 0, 1, vcc
	v_lshrrev_b32_e32 v8, 2, v8
	v_or_b32_e32 v10, v10, v16
	v_add_u32_e32 v8, v8, v10
	v_cmp_gt_i32_e32 vcc, 31, v12
	v_cndmask_b32_e32 v3, v3, v8, vcc
	v_cmp_eq_u32_e32 vcc, s17, v12
	v_lshrrev_b32_e32 v14, 16, v21
	v_cndmask_b32_e32 v3, v3, v5, vcc
	v_and_or_b32 v3, v14, s18, v3
	s_mov_b64 s[6:7], 0
	s_branch .LBB127_1927
.LBB127_1925:
	s_mov_b64 s[6:7], -1
                                        ; implicit-def: $vgpr3
	s_branch .LBB127_1930
.LBB127_1926:
	s_mov_b64 s[6:7], -1
                                        ; implicit-def: $vgpr3
.LBB127_1927:
	s_andn2_b64 vcc, exec, s[6:7]
	s_cbranch_vccnz .LBB127_1929
; %bb.1928:
	global_load_dword v3, v[18:19], off
	s_waitcnt vmcnt(0)
	v_cvt_f16_f32_e32 v3, v3
.LBB127_1929:
	s_mov_b64 s[6:7], 0
.LBB127_1930:
	s_andn2_b64 vcc, exec, s[6:7]
	s_cbranch_vccnz .LBB127_1932
; %bb.1931:
	global_load_ushort v3, v[18:19], off
.LBB127_1932:
	s_cbranch_execnz .LBB127_1952
.LBB127_1933:
	s_cmp_lt_i32 s16, 2
	s_cbranch_scc1 .LBB127_1937
; %bb.1934:
	s_cmp_lt_i32 s16, 3
	s_cbranch_scc1 .LBB127_1938
; %bb.1935:
	s_cmp_gt_i32 s16, 3
	s_cbranch_scc0 .LBB127_1939
; %bb.1936:
	global_load_dwordx2 v[20:21], v[18:19], off
	s_mov_b64 s[6:7], 0
	s_waitcnt vmcnt(0)
	v_xor_b32_e32 v5, v20, v21
	v_ffbh_i32_e32 v3, v21
	v_ashrrev_i32_e32 v5, 31, v5
	v_add_u32_e32 v3, -1, v3
	v_add_u32_e32 v5, 32, v5
	v_min_u32_e32 v3, v3, v5
	v_lshlrev_b64 v[20:21], v3, v[20:21]
	v_sub_u32_e32 v3, 32, v3
	v_min_u32_e32 v5, 1, v20
	v_or_b32_e32 v5, v21, v5
	v_cvt_f32_i32_e32 v5, v5
	v_ldexp_f32 v3, v5, v3
	v_cvt_f16_f32_e32 v3, v3
	s_branch .LBB127_1940
.LBB127_1937:
	s_mov_b64 s[6:7], -1
                                        ; implicit-def: $vgpr3
	s_branch .LBB127_1946
.LBB127_1938:
	s_mov_b64 s[6:7], -1
                                        ; implicit-def: $vgpr3
	s_branch .LBB127_1943
.LBB127_1939:
	s_mov_b64 s[6:7], -1
                                        ; implicit-def: $vgpr3
.LBB127_1940:
	s_andn2_b64 vcc, exec, s[6:7]
	s_cbranch_vccnz .LBB127_1942
; %bb.1941:
	global_load_dword v3, v[18:19], off
	s_waitcnt vmcnt(0)
	v_cvt_f32_i32_e32 v3, v3
	v_cvt_f16_f32_e32 v3, v3
.LBB127_1942:
	s_mov_b64 s[6:7], 0
.LBB127_1943:
	s_andn2_b64 vcc, exec, s[6:7]
	s_cbranch_vccnz .LBB127_1945
; %bb.1944:
	global_load_ushort v3, v[18:19], off
	s_waitcnt vmcnt(0)
	v_cvt_f16_i16_e32 v3, v3
.LBB127_1945:
	s_mov_b64 s[6:7], 0
.LBB127_1946:
	s_andn2_b64 vcc, exec, s[6:7]
	s_cbranch_vccnz .LBB127_1952
; %bb.1947:
	s_cmp_gt_i32 s16, 0
	s_cbranch_scc0 .LBB127_1949
; %bb.1948:
	global_load_sbyte v3, v[18:19], off
	s_mov_b64 s[6:7], 0
	s_waitcnt vmcnt(0)
	v_cvt_f16_i16_e32 v3, v3
	s_branch .LBB127_1950
.LBB127_1949:
	s_mov_b64 s[6:7], -1
                                        ; implicit-def: $vgpr3
.LBB127_1950:
	s_andn2_b64 vcc, exec, s[6:7]
	s_cbranch_vccnz .LBB127_1952
; %bb.1951:
	global_load_ubyte v3, v[18:19], off
	s_waitcnt vmcnt(0)
	v_cvt_f16_u16_e32 v3, v3
.LBB127_1952:
.LBB127_1953:
	s_load_dword s28, s[2:3], 0x1a0
	s_mov_b64 s[16:17], 0
	s_waitcnt lgkmcnt(0)
	s_cmp_lt_i32 s28, 1
	s_cbranch_scc1 .LBB127_1957
; %bb.1954:
	s_cmp_gt_i32 s28, 1
	s_cbranch_scc0 .LBB127_1958
; %bb.1955:
	s_cmp_eq_u32 s28, 2
	s_cbranch_scc0 .LBB127_1959
; %bb.1956:
	s_waitcnt vmcnt(0)
	v_cmp_le_f16_e64 s[6:7], v1, v3
	s_mov_b64 s[18:19], 0
	s_branch .LBB127_1960
.LBB127_1957:
                                        ; implicit-def: $sgpr6_sgpr7
	s_mov_b64 s[18:19], 0
	s_cbranch_execnz .LBB127_1964
	s_branch .LBB127_1965
.LBB127_1958:
	s_mov_b64 s[20:21], -1
	s_mov_b64 s[18:19], 0
                                        ; implicit-def: $sgpr6_sgpr7
	s_branch .LBB127_1961
.LBB127_1959:
	s_mov_b64 s[18:19], -1
                                        ; implicit-def: $sgpr6_sgpr7
.LBB127_1960:
	s_mov_b64 s[20:21], 0
.LBB127_1961:
	s_and_b64 vcc, exec, s[20:21]
	s_cbranch_vccz .LBB127_1963
; %bb.1962:
	s_waitcnt vmcnt(0)
	v_cmp_gt_f16_e32 vcc, v1, v3
	s_andn2_b64 s[6:7], s[6:7], exec
	s_and_b64 s[20:21], vcc, exec
	s_or_b64 s[6:7], s[6:7], s[20:21]
.LBB127_1963:
	s_branch .LBB127_1965
.LBB127_1964:
	s_cmp_lg_u32 s28, 0
	s_mov_b64 s[16:17], -1
	s_cselect_b64 s[18:19], -1, 0
.LBB127_1965:
	s_andn2_b64 vcc, exec, s[18:19]
	s_cbranch_vccnz .LBB127_1967
; %bb.1966:
	s_waitcnt vmcnt(0)
	v_cmp_lt_f16_e32 vcc, v1, v3
	s_andn2_b64 s[6:7], s[6:7], exec
	s_and_b64 s[18:19], vcc, exec
	s_or_b64 s[6:7], s[6:7], s[18:19]
	s_cbranch_execz .LBB127_1968
	s_branch .LBB127_1969
.LBB127_1967:
	s_andn2_b64 vcc, exec, s[16:17]
	s_cbranch_vccnz .LBB127_1969
.LBB127_1968:
	s_waitcnt vmcnt(0)
	v_cmp_ge_f16_e32 vcc, v1, v3
	s_andn2_b64 s[6:7], s[6:7], exec
	s_and_b64 s[16:17], vcc, exec
	s_or_b64 s[6:7], s[6:7], s[16:17]
.LBB127_1969:
	s_lshr_b32 s16, s24, 8
	s_lshr_b32 s26, s24, 16
	v_mov_b32_e32 v1, s11
	s_and_b32 s29, s16, 0xff
	v_add_co_u32_e32 v16, vcc, s10, v17
	s_cmp_lt_i32 s29, 11
	v_addc_co_u32_e32 v17, vcc, 0, v1, vcc
	s_cbranch_scc1 .LBB127_1976
; %bb.1970:
	s_and_b32 s27, 0xffff, s29
	s_cmp_gt_i32 s27, 25
	s_mov_b64 s[18:19], 0
	s_cbranch_scc0 .LBB127_1978
; %bb.1971:
	s_cmp_gt_i32 s27, 28
	s_cbranch_scc0 .LBB127_1979
; %bb.1972:
	s_cmp_gt_i32 s27, 43
	;; [unrolled: 3-line block ×3, first 2 shown]
	s_cbranch_scc0 .LBB127_1982
; %bb.1974:
	s_cmp_eq_u32 s27, 46
	s_mov_b64 s[22:23], 0
	s_cbranch_scc0 .LBB127_1983
; %bb.1975:
	global_load_dword v1, v[16:17], off
	s_mov_b64 s[16:17], 0
	s_mov_b64 s[20:21], -1
	s_waitcnt vmcnt(0)
	v_lshlrev_b32_e32 v1, 16, v1
	v_cvt_f16_f32_e32 v1, v1
	s_branch .LBB127_1984
.LBB127_1976:
	s_mov_b64 s[20:21], 0
                                        ; implicit-def: $vgpr1
	s_cbranch_execnz .LBB127_2050
.LBB127_1977:
	s_andn2_b64 vcc, exec, s[20:21]
	s_cbranch_vccnz .LBB127_2788
	s_branch .LBB127_2098
.LBB127_1978:
	s_mov_b64 s[22:23], -1
	s_mov_b64 s[20:21], 0
	s_mov_b64 s[16:17], 0
                                        ; implicit-def: $vgpr1
	s_branch .LBB127_2013
.LBB127_1979:
	s_mov_b64 s[22:23], -1
	s_mov_b64 s[20:21], 0
	s_mov_b64 s[16:17], 0
                                        ; implicit-def: $vgpr1
	s_branch .LBB127_1994
.LBB127_1980:
	s_mov_b64 s[22:23], -1
	s_mov_b64 s[20:21], 0
	s_mov_b64 s[16:17], 0
                                        ; implicit-def: $vgpr1
	s_branch .LBB127_1989
.LBB127_1981:
	s_trap 2
	s_or_b64 s[4:5], s[4:5], exec
	s_cbranch_execz .LBB127_1904
	s_branch .LBB127_1905
.LBB127_1982:
	s_mov_b64 s[22:23], -1
	s_mov_b64 s[20:21], 0
	s_mov_b64 s[16:17], 0
                                        ; implicit-def: $vgpr1
	s_branch .LBB127_1984
.LBB127_1983:
	s_mov_b64 s[16:17], -1
                                        ; implicit-def: $vgpr1
	s_mov_b64 s[20:21], 0
.LBB127_1984:
	s_and_b64 vcc, exec, s[22:23]
	s_cbranch_vccz .LBB127_1988
; %bb.1985:
	s_cmp_eq_u32 s27, 44
	s_cbranch_scc0 .LBB127_1987
; %bb.1986:
	global_load_ubyte v1, v[16:17], off
	s_movk_i32 s20, 0xff
	v_mov_b32_e32 v5, 0x7e00
	s_mov_b64 s[16:17], 0
	s_waitcnt vmcnt(0)
	v_lshlrev_b32_e32 v3, 23, v1
	v_cvt_f16_f32_e32 v3, v3
	v_cmp_ne_u32_e32 vcc, s20, v1
	s_mov_b64 s[20:21], -1
	v_cndmask_b32_e32 v3, v5, v3, vcc
	v_cmp_ne_u32_e32 vcc, 0, v1
	v_cndmask_b32_e32 v1, 0, v3, vcc
	s_branch .LBB127_1988
.LBB127_1987:
	s_mov_b64 s[16:17], -1
                                        ; implicit-def: $vgpr1
.LBB127_1988:
	s_mov_b64 s[22:23], 0
.LBB127_1989:
	s_and_b64 vcc, exec, s[22:23]
	s_cbranch_vccz .LBB127_1993
; %bb.1990:
	s_cmp_eq_u32 s27, 29
	s_cbranch_scc0 .LBB127_1992
; %bb.1991:
	global_load_dwordx2 v[18:19], v[16:17], off
	s_mov_b64 s[16:17], 0
	s_mov_b64 s[20:21], -1
	s_mov_b64 s[22:23], 0
	s_waitcnt vmcnt(0)
	v_ffbh_u32_e32 v1, v19
	v_min_u32_e32 v1, 32, v1
	v_lshlrev_b64 v[18:19], v1, v[18:19]
	v_sub_u32_e32 v1, 32, v1
	v_min_u32_e32 v3, 1, v18
	v_or_b32_e32 v3, v19, v3
	v_cvt_f32_u32_e32 v3, v3
	v_ldexp_f32 v1, v3, v1
	v_cvt_f16_f32_e32 v1, v1
	s_branch .LBB127_1994
.LBB127_1992:
	s_mov_b64 s[16:17], -1
                                        ; implicit-def: $vgpr1
.LBB127_1993:
	s_mov_b64 s[22:23], 0
.LBB127_1994:
	s_and_b64 vcc, exec, s[22:23]
	s_cbranch_vccz .LBB127_2012
; %bb.1995:
	s_cmp_lt_i32 s27, 27
	s_cbranch_scc1 .LBB127_1998
; %bb.1996:
	s_cmp_gt_i32 s27, 27
	s_cbranch_scc0 .LBB127_1999
; %bb.1997:
	global_load_dword v1, v[16:17], off
	s_mov_b64 s[20:21], 0
	s_waitcnt vmcnt(0)
	v_cvt_f32_u32_e32 v1, v1
	v_cvt_f16_f32_e32 v1, v1
	s_branch .LBB127_2000
.LBB127_1998:
	s_mov_b64 s[20:21], -1
                                        ; implicit-def: $vgpr1
	s_branch .LBB127_2003
.LBB127_1999:
	s_mov_b64 s[20:21], -1
                                        ; implicit-def: $vgpr1
.LBB127_2000:
	s_andn2_b64 vcc, exec, s[20:21]
	s_cbranch_vccnz .LBB127_2002
; %bb.2001:
	global_load_ushort v1, v[16:17], off
	s_waitcnt vmcnt(0)
	v_cvt_f16_u16_e32 v1, v1
.LBB127_2002:
	s_mov_b64 s[20:21], 0
.LBB127_2003:
	s_andn2_b64 vcc, exec, s[20:21]
	s_cbranch_vccnz .LBB127_2011
; %bb.2004:
	global_load_ubyte v3, v[16:17], off
	s_movk_i32 s20, 0x7f
	s_waitcnt vmcnt(0)
	v_cmp_lt_i16_e32 vcc, s20, v3
	s_mov_b64 s[20:21], 0
	s_and_saveexec_b64 s[22:23], vcc
	s_xor_b64 s[22:23], exec, s[22:23]
	s_cbranch_execz .LBB127_2025
; %bb.2005:
	s_movk_i32 s20, 0x80
	v_cmp_eq_u16_e32 vcc, s20, v3
	s_mov_b64 s[20:21], -1
	s_and_saveexec_b64 s[24:25], vcc
; %bb.2006:
	s_xor_b64 s[20:21], exec, -1
; %bb.2007:
	s_or_b64 exec, exec, s[24:25]
	s_and_b64 s[20:21], s[20:21], exec
	s_or_saveexec_b64 s[22:23], s[22:23]
	v_mov_b32_e32 v1, 0x7e00
	s_xor_b64 exec, exec, s[22:23]
	s_cbranch_execnz .LBB127_2026
.LBB127_2008:
	s_or_b64 exec, exec, s[22:23]
	s_and_saveexec_b64 s[22:23], s[20:21]
	s_cbranch_execz .LBB127_2010
.LBB127_2009:
	v_lshlrev_b32_e32 v1, 24, v3
	v_and_b32_e32 v3, 0xffff, v3
	v_and_b32_e32 v5, 7, v3
	v_ffbh_u32_e32 v10, v5
	v_min_u32_e32 v10, 32, v10
	v_subrev_u32_e32 v12, 28, v10
	v_bfe_u32 v8, v3, 3, 4
	v_lshlrev_b32_e32 v3, v12, v3
	v_sub_u32_e32 v10, 29, v10
	v_and_b32_e32 v3, 7, v3
	v_cmp_eq_u32_e32 vcc, 0, v8
	v_cndmask_b32_e32 v8, v8, v10, vcc
	v_cndmask_b32_e32 v3, v5, v3, vcc
	v_mov_b32_e32 v5, 0x3b800000
	v_lshlrev_b32_e32 v3, 20, v3
	v_and_b32_e32 v1, 0x80000000, v1
	v_lshl_add_u32 v5, v8, 23, v5
	v_or3_b32 v1, v1, v5, v3
	v_cvt_f16_f32_e32 v1, v1
.LBB127_2010:
	s_or_b64 exec, exec, s[22:23]
.LBB127_2011:
	s_mov_b64 s[20:21], -1
.LBB127_2012:
	s_mov_b64 s[22:23], 0
.LBB127_2013:
	s_and_b64 vcc, exec, s[22:23]
	s_cbranch_vccz .LBB127_2046
; %bb.2014:
	s_cmp_gt_i32 s27, 22
	s_cbranch_scc0 .LBB127_2024
; %bb.2015:
	s_cmp_lt_i32 s27, 24
	s_cbranch_scc1 .LBB127_2027
; %bb.2016:
	s_cmp_gt_i32 s27, 24
	s_cbranch_scc0 .LBB127_2028
; %bb.2017:
	global_load_ubyte v3, v[16:17], off
	s_movk_i32 s18, 0x7f
	s_waitcnt vmcnt(0)
	v_cmp_lt_i16_e32 vcc, s18, v3
	s_mov_b64 s[18:19], 0
	s_and_saveexec_b64 s[20:21], vcc
	s_xor_b64 s[20:21], exec, s[20:21]
	s_cbranch_execz .LBB127_2040
; %bb.2018:
	s_movk_i32 s18, 0x80
	v_cmp_eq_u16_e32 vcc, s18, v3
	s_mov_b64 s[18:19], -1
	s_and_saveexec_b64 s[22:23], vcc
; %bb.2019:
	s_xor_b64 s[18:19], exec, -1
; %bb.2020:
	s_or_b64 exec, exec, s[22:23]
	s_and_b64 s[18:19], s[18:19], exec
	s_or_saveexec_b64 s[20:21], s[20:21]
	v_mov_b32_e32 v1, 0x7e00
	s_xor_b64 exec, exec, s[20:21]
	s_cbranch_execnz .LBB127_2041
.LBB127_2021:
	s_or_b64 exec, exec, s[20:21]
	s_and_saveexec_b64 s[20:21], s[18:19]
	s_cbranch_execz .LBB127_2023
.LBB127_2022:
	v_lshlrev_b32_e32 v1, 24, v3
	v_and_b32_e32 v3, 0xffff, v3
	v_and_b32_e32 v5, 3, v3
	v_ffbh_u32_e32 v10, v5
	v_min_u32_e32 v10, 32, v10
	v_subrev_u32_e32 v12, 29, v10
	v_bfe_u32 v8, v3, 2, 5
	v_lshlrev_b32_e32 v3, v12, v3
	v_sub_u32_e32 v10, 30, v10
	v_and_b32_e32 v3, 3, v3
	v_cmp_eq_u32_e32 vcc, 0, v8
	v_cndmask_b32_e32 v8, v8, v10, vcc
	v_cndmask_b32_e32 v3, v5, v3, vcc
	v_mov_b32_e32 v5, 0x37800000
	v_lshlrev_b32_e32 v3, 21, v3
	v_and_b32_e32 v1, 0x80000000, v1
	v_lshl_add_u32 v5, v8, 23, v5
	v_or3_b32 v1, v1, v5, v3
	v_cvt_f16_f32_e32 v1, v1
.LBB127_2023:
	s_or_b64 exec, exec, s[20:21]
	s_mov_b64 s[18:19], 0
	s_branch .LBB127_2029
.LBB127_2024:
	s_mov_b64 s[18:19], -1
                                        ; implicit-def: $vgpr1
	s_branch .LBB127_2035
.LBB127_2025:
	s_or_saveexec_b64 s[22:23], s[22:23]
	v_mov_b32_e32 v1, 0x7e00
	s_xor_b64 exec, exec, s[22:23]
	s_cbranch_execz .LBB127_2008
.LBB127_2026:
	v_cmp_ne_u16_e32 vcc, 0, v3
	s_andn2_b64 s[20:21], s[20:21], exec
	s_and_b64 s[24:25], vcc, exec
	s_or_b64 s[20:21], s[20:21], s[24:25]
	v_mov_b32_e32 v1, v3
	s_or_b64 exec, exec, s[22:23]
	s_and_saveexec_b64 s[22:23], s[20:21]
	s_cbranch_execnz .LBB127_2009
	s_branch .LBB127_2010
.LBB127_2027:
	s_mov_b64 s[18:19], -1
                                        ; implicit-def: $vgpr1
	s_branch .LBB127_2032
.LBB127_2028:
	s_mov_b64 s[18:19], -1
                                        ; implicit-def: $vgpr1
.LBB127_2029:
	s_and_b64 vcc, exec, s[18:19]
	s_cbranch_vccz .LBB127_2031
; %bb.2030:
	global_load_ubyte v1, v[16:17], off
	s_mov_b32 s18, 0x7f800000
	s_waitcnt vmcnt(0)
	v_lshlrev_b32_e32 v1, 24, v1
	v_and_b32_e32 v3, 0x7f000000, v1
	v_ffbh_u32_e32 v5, v3
	v_min_u32_e32 v5, 32, v5
	v_sub_u32_e64 v5, v5, 4 clamp
	v_lshlrev_b32_e32 v10, v5, v3
	v_lshlrev_b32_e32 v5, 23, v5
	v_lshrrev_b32_e32 v10, 4, v10
	v_add_u32_e32 v8, 0x1000000, v3
	v_sub_u32_e32 v5, v10, v5
	v_ashrrev_i32_e32 v8, 8, v8
	v_add_u32_e32 v5, 0x3c000000, v5
	v_and_or_b32 v5, v8, s18, v5
	v_cmp_ne_u32_e32 vcc, 0, v3
	v_cndmask_b32_e32 v3, 0, v5, vcc
	s_brev_b32 s18, 1
	v_and_or_b32 v1, v1, s18, v3
	v_cvt_f16_f32_e32 v1, v1
.LBB127_2031:
	s_mov_b64 s[18:19], 0
.LBB127_2032:
	s_andn2_b64 vcc, exec, s[18:19]
	s_cbranch_vccnz .LBB127_2034
; %bb.2033:
	global_load_ubyte v1, v[16:17], off
	s_movk_i32 s18, 0x7f00
	s_brev_b32 s19, 16
	s_waitcnt vmcnt(0)
	v_lshlrev_b16_e32 v3, 8, v1
	v_lshlrev_b32_e32 v1, 25, v1
	v_lshrrev_b32_e32 v5, 4, v1
	v_and_or_b32 v8, v3, s18, 0.5
	v_or_b32_e32 v5, 0x70000000, v5
	v_add_f32_e32 v8, -0.5, v8
	v_mul_f32_e32 v5, 0x7800000, v5
	v_cmp_gt_u32_e32 vcc, s19, v1
	v_bfe_i32 v3, v3, 0, 16
	v_cndmask_b32_e32 v1, v5, v8, vcc
	s_brev_b32 s18, 1
	v_and_or_b32 v1, v3, s18, v1
	v_cvt_f16_f32_e32 v1, v1
.LBB127_2034:
	s_mov_b64 s[18:19], 0
	s_mov_b64 s[20:21], -1
.LBB127_2035:
	s_andn2_b64 vcc, exec, s[18:19]
	s_mov_b64 s[18:19], 0
	s_cbranch_vccnz .LBB127_2046
; %bb.2036:
	s_cmp_gt_i32 s27, 14
	s_cbranch_scc0 .LBB127_2039
; %bb.2037:
	s_cmp_eq_u32 s27, 15
	s_cbranch_scc0 .LBB127_2042
; %bb.2038:
	global_load_ushort v1, v[16:17], off
	s_mov_b64 s[16:17], 0
	s_mov_b64 s[20:21], -1
	s_waitcnt vmcnt(0)
	v_lshlrev_b32_e32 v1, 16, v1
	v_cvt_f16_f32_e32 v1, v1
	s_branch .LBB127_2043
.LBB127_2039:
	s_mov_b64 s[22:23], -1
                                        ; implicit-def: $vgpr1
	s_branch .LBB127_2044
.LBB127_2040:
	s_or_saveexec_b64 s[20:21], s[20:21]
	v_mov_b32_e32 v1, 0x7e00
	s_xor_b64 exec, exec, s[20:21]
	s_cbranch_execz .LBB127_2021
.LBB127_2041:
	v_cmp_ne_u16_e32 vcc, 0, v3
	s_andn2_b64 s[18:19], s[18:19], exec
	s_and_b64 s[22:23], vcc, exec
	s_or_b64 s[18:19], s[18:19], s[22:23]
	v_mov_b32_e32 v1, v3
	s_or_b64 exec, exec, s[20:21]
	s_and_saveexec_b64 s[20:21], s[18:19]
	s_cbranch_execnz .LBB127_2022
	s_branch .LBB127_2023
.LBB127_2042:
	s_mov_b64 s[16:17], -1
                                        ; implicit-def: $vgpr1
.LBB127_2043:
	s_mov_b64 s[22:23], 0
.LBB127_2044:
	s_and_b64 vcc, exec, s[22:23]
	s_cbranch_vccz .LBB127_2046
; %bb.2045:
	s_cmp_lg_u32 s27, 11
	s_mov_b64 s[18:19], -1
	s_cselect_b64 s[16:17], -1, 0
.LBB127_2046:
	s_and_b64 vcc, exec, s[16:17]
	s_cbranch_vccnz .LBB127_2109
; %bb.2047:
	s_andn2_b64 vcc, exec, s[18:19]
	s_cbranch_vccnz .LBB127_2049
.LBB127_2048:
	global_load_ubyte v1, v[16:17], off
	s_waitcnt vmcnt(1)
	v_mov_b32_e32 v3, 0x3c00
	s_mov_b64 s[20:21], -1
	s_waitcnt vmcnt(0)
	v_cmp_ne_u16_e32 vcc, 0, v1
	v_cndmask_b32_e32 v1, 0, v3, vcc
.LBB127_2049:
	s_branch .LBB127_1977
.LBB127_2050:
	s_and_b32 s18, 0xffff, s29
	s_cmp_lt_i32 s18, 5
	s_cbranch_scc1 .LBB127_2055
; %bb.2051:
	s_cmp_lt_i32 s18, 8
	s_cbranch_scc1 .LBB127_2056
; %bb.2052:
	;; [unrolled: 3-line block ×3, first 2 shown]
	s_cmp_gt_i32 s18, 9
	s_cbranch_scc0 .LBB127_2058
; %bb.2054:
	global_load_dwordx2 v[18:19], v[16:17], off
	s_movk_i32 s16, 0x1ff
	s_movk_i32 s17, 0xffe
	v_mov_b32_e32 v1, 0x7c00
	s_waitcnt vmcnt(1)
	v_mov_b32_e32 v3, 0x7e00
	s_movk_i32 s19, 0x40f
	s_mov_b32 s20, 0x8000
	s_waitcnt vmcnt(0)
	v_and_or_b32 v5, v19, s16, v18
	v_cmp_ne_u32_e32 vcc, 0, v5
	v_lshrrev_b32_e32 v8, 8, v19
	v_bfe_u32 v10, v19, 20, 11
	v_cndmask_b32_e64 v5, 0, 1, vcc
	v_sub_u32_e32 v14, 0x3f1, v10
	v_and_or_b32 v5, v8, s17, v5
	v_add_u32_e32 v10, 0xfffffc10, v10
	v_med3_i32 v8, v14, 0, 13
	v_or_b32_e32 v14, 0x1000, v5
	v_lshl_or_b32 v18, v10, 12, v5
	v_cmp_ne_u32_e32 vcc, 0, v5
	v_lshrrev_b32_e32 v5, v8, v14
	v_lshlrev_b32_e32 v8, v8, v5
	v_cndmask_b32_e32 v3, v1, v3, vcc
	v_cmp_ne_u32_e32 vcc, v8, v14
	v_cndmask_b32_e64 v8, 0, 1, vcc
	v_or_b32_e32 v5, v5, v8
	v_cmp_gt_i32_e32 vcc, 1, v10
	v_cndmask_b32_e32 v5, v18, v5, vcc
	v_and_b32_e32 v8, 7, v5
	v_cmp_lt_i32_e32 vcc, 5, v8
	v_cndmask_b32_e64 v14, 0, 1, vcc
	v_cmp_eq_u32_e32 vcc, 3, v8
	v_cndmask_b32_e64 v8, 0, 1, vcc
	v_lshrrev_b32_e32 v5, 2, v5
	v_or_b32_e32 v8, v8, v14
	v_add_u32_e32 v5, v5, v8
	v_cmp_gt_i32_e32 vcc, 31, v10
	v_cndmask_b32_e32 v1, v1, v5, vcc
	v_cmp_eq_u32_e32 vcc, s19, v10
	v_lshrrev_b32_e32 v12, 16, v19
	v_cndmask_b32_e32 v1, v1, v3, vcc
	v_and_or_b32 v1, v12, s20, v1
	s_mov_b64 s[16:17], 0
	s_branch .LBB127_2059
.LBB127_2055:
	s_mov_b64 s[16:17], -1
                                        ; implicit-def: $vgpr1
	s_branch .LBB127_2077
.LBB127_2056:
	s_mov_b64 s[16:17], -1
                                        ; implicit-def: $vgpr1
	s_branch .LBB127_2065
.LBB127_2057:
	s_mov_b64 s[16:17], -1
                                        ; implicit-def: $vgpr1
	s_branch .LBB127_2062
.LBB127_2058:
	s_mov_b64 s[16:17], -1
                                        ; implicit-def: $vgpr1
.LBB127_2059:
	s_andn2_b64 vcc, exec, s[16:17]
	s_cbranch_vccnz .LBB127_2061
; %bb.2060:
	global_load_dword v1, v[16:17], off
	s_waitcnt vmcnt(0)
	v_cvt_f16_f32_e32 v1, v1
.LBB127_2061:
	s_mov_b64 s[16:17], 0
.LBB127_2062:
	s_andn2_b64 vcc, exec, s[16:17]
	s_cbranch_vccnz .LBB127_2064
; %bb.2063:
	global_load_dword v1, v[16:17], off
.LBB127_2064:
	s_mov_b64 s[16:17], 0
.LBB127_2065:
	s_andn2_b64 vcc, exec, s[16:17]
	s_cbranch_vccnz .LBB127_2076
; %bb.2066:
	s_cmp_lt_i32 s18, 6
	s_cbranch_scc1 .LBB127_2069
; %bb.2067:
	s_cmp_gt_i32 s18, 6
	s_cbranch_scc0 .LBB127_2070
; %bb.2068:
	global_load_dwordx2 v[18:19], v[16:17], off
	s_movk_i32 s16, 0x1ff
	s_movk_i32 s17, 0xffe
	s_waitcnt vmcnt(1)
	v_mov_b32_e32 v1, 0x7c00
	v_mov_b32_e32 v3, 0x7e00
	s_movk_i32 s19, 0x40f
	s_mov_b32 s20, 0x8000
	s_waitcnt vmcnt(0)
	v_and_or_b32 v5, v19, s16, v18
	v_cmp_ne_u32_e32 vcc, 0, v5
	v_lshrrev_b32_e32 v8, 8, v19
	v_bfe_u32 v10, v19, 20, 11
	v_cndmask_b32_e64 v5, 0, 1, vcc
	v_sub_u32_e32 v14, 0x3f1, v10
	v_and_or_b32 v5, v8, s17, v5
	v_add_u32_e32 v10, 0xfffffc10, v10
	v_med3_i32 v8, v14, 0, 13
	v_or_b32_e32 v14, 0x1000, v5
	v_lshl_or_b32 v18, v10, 12, v5
	v_cmp_ne_u32_e32 vcc, 0, v5
	v_lshrrev_b32_e32 v5, v8, v14
	v_lshlrev_b32_e32 v8, v8, v5
	v_cndmask_b32_e32 v3, v1, v3, vcc
	v_cmp_ne_u32_e32 vcc, v8, v14
	v_cndmask_b32_e64 v8, 0, 1, vcc
	v_or_b32_e32 v5, v5, v8
	v_cmp_gt_i32_e32 vcc, 1, v10
	v_cndmask_b32_e32 v5, v18, v5, vcc
	v_and_b32_e32 v8, 7, v5
	v_cmp_lt_i32_e32 vcc, 5, v8
	v_cndmask_b32_e64 v14, 0, 1, vcc
	v_cmp_eq_u32_e32 vcc, 3, v8
	v_cndmask_b32_e64 v8, 0, 1, vcc
	v_lshrrev_b32_e32 v5, 2, v5
	v_or_b32_e32 v8, v8, v14
	v_add_u32_e32 v5, v5, v8
	v_cmp_gt_i32_e32 vcc, 31, v10
	v_cndmask_b32_e32 v1, v1, v5, vcc
	v_cmp_eq_u32_e32 vcc, s19, v10
	v_lshrrev_b32_e32 v12, 16, v19
	v_cndmask_b32_e32 v1, v1, v3, vcc
	v_and_or_b32 v1, v12, s20, v1
	s_mov_b64 s[16:17], 0
	s_branch .LBB127_2071
.LBB127_2069:
	s_mov_b64 s[16:17], -1
                                        ; implicit-def: $vgpr1
	s_branch .LBB127_2074
.LBB127_2070:
	s_mov_b64 s[16:17], -1
                                        ; implicit-def: $vgpr1
.LBB127_2071:
	s_andn2_b64 vcc, exec, s[16:17]
	s_cbranch_vccnz .LBB127_2073
; %bb.2072:
	global_load_dword v1, v[16:17], off
	s_waitcnt vmcnt(0)
	v_cvt_f16_f32_e32 v1, v1
.LBB127_2073:
	s_mov_b64 s[16:17], 0
.LBB127_2074:
	s_andn2_b64 vcc, exec, s[16:17]
	s_cbranch_vccnz .LBB127_2076
; %bb.2075:
	global_load_ushort v1, v[16:17], off
.LBB127_2076:
	s_mov_b64 s[16:17], 0
.LBB127_2077:
	s_andn2_b64 vcc, exec, s[16:17]
	s_cbranch_vccnz .LBB127_2097
; %bb.2078:
	s_cmp_lt_i32 s18, 2
	s_cbranch_scc1 .LBB127_2082
; %bb.2079:
	s_cmp_lt_i32 s18, 3
	s_cbranch_scc1 .LBB127_2083
; %bb.2080:
	s_cmp_gt_i32 s18, 3
	s_cbranch_scc0 .LBB127_2084
; %bb.2081:
	global_load_dwordx2 v[18:19], v[16:17], off
	s_mov_b64 s[16:17], 0
	s_waitcnt vmcnt(0)
	v_xor_b32_e32 v3, v18, v19
	v_ffbh_i32_e32 v1, v19
	v_ashrrev_i32_e32 v3, 31, v3
	v_add_u32_e32 v1, -1, v1
	v_add_u32_e32 v3, 32, v3
	v_min_u32_e32 v1, v1, v3
	v_lshlrev_b64 v[18:19], v1, v[18:19]
	v_sub_u32_e32 v1, 32, v1
	v_min_u32_e32 v3, 1, v18
	v_or_b32_e32 v3, v19, v3
	v_cvt_f32_i32_e32 v3, v3
	v_ldexp_f32 v1, v3, v1
	v_cvt_f16_f32_e32 v1, v1
	s_branch .LBB127_2085
.LBB127_2082:
	s_mov_b64 s[16:17], -1
                                        ; implicit-def: $vgpr1
	s_branch .LBB127_2091
.LBB127_2083:
	s_mov_b64 s[16:17], -1
                                        ; implicit-def: $vgpr1
	s_branch .LBB127_2088
.LBB127_2084:
	s_mov_b64 s[16:17], -1
                                        ; implicit-def: $vgpr1
.LBB127_2085:
	s_andn2_b64 vcc, exec, s[16:17]
	s_cbranch_vccnz .LBB127_2087
; %bb.2086:
	global_load_dword v1, v[16:17], off
	s_waitcnt vmcnt(0)
	v_cvt_f32_i32_e32 v1, v1
	v_cvt_f16_f32_e32 v1, v1
.LBB127_2087:
	s_mov_b64 s[16:17], 0
.LBB127_2088:
	s_andn2_b64 vcc, exec, s[16:17]
	s_cbranch_vccnz .LBB127_2090
; %bb.2089:
	global_load_ushort v1, v[16:17], off
	s_waitcnt vmcnt(0)
	v_cvt_f16_i16_e32 v1, v1
.LBB127_2090:
	s_mov_b64 s[16:17], 0
.LBB127_2091:
	s_andn2_b64 vcc, exec, s[16:17]
	s_cbranch_vccnz .LBB127_2097
; %bb.2092:
	s_cmp_gt_i32 s18, 0
	s_cbranch_scc0 .LBB127_2094
; %bb.2093:
	global_load_sbyte v1, v[16:17], off
	s_mov_b64 s[16:17], 0
	s_waitcnt vmcnt(0)
	v_cvt_f16_i16_e32 v1, v1
	s_branch .LBB127_2095
.LBB127_2094:
	s_mov_b64 s[16:17], -1
                                        ; implicit-def: $vgpr1
.LBB127_2095:
	s_andn2_b64 vcc, exec, s[16:17]
	s_cbranch_vccnz .LBB127_2097
; %bb.2096:
	global_load_ubyte v1, v[16:17], off
	s_waitcnt vmcnt(0)
	v_cvt_f16_u16_e32 v1, v1
.LBB127_2097:
.LBB127_2098:
	s_waitcnt vmcnt(0)
	v_mov_b32_e32 v3, s1
	s_and_b32 s30, s26, 0xff
	v_add_co_u32_e32 v14, vcc, s0, v15
	s_cmp_lt_i32 s30, 11
	v_addc_co_u32_e32 v15, vcc, 0, v3, vcc
	s_cbranch_scc1 .LBB127_2105
; %bb.2099:
	s_and_b32 s26, 0xffff, s30
	s_cmp_gt_i32 s26, 25
	s_mov_b64 s[18:19], 0
	s_cbranch_scc0 .LBB127_2106
; %bb.2100:
	s_cmp_gt_i32 s26, 28
	s_cbranch_scc0 .LBB127_2107
; %bb.2101:
	s_cmp_gt_i32 s26, 43
	;; [unrolled: 3-line block ×3, first 2 shown]
	s_cbranch_scc0 .LBB127_2110
; %bb.2103:
	s_cmp_eq_u32 s26, 46
	s_mov_b64 s[22:23], 0
	s_cbranch_scc0 .LBB127_2111
; %bb.2104:
	global_load_dword v3, v[14:15], off
	s_mov_b64 s[16:17], 0
	s_mov_b64 s[20:21], -1
	s_waitcnt vmcnt(0)
	v_lshlrev_b32_e32 v3, 16, v3
	v_cvt_f16_f32_e32 v3, v3
	s_branch .LBB127_2112
.LBB127_2105:
	s_mov_b64 s[16:17], -1
	s_mov_b64 s[20:21], 0
                                        ; implicit-def: $vgpr3
	s_branch .LBB127_2178
.LBB127_2106:
	s_mov_b64 s[22:23], -1
	s_mov_b64 s[20:21], 0
	s_mov_b64 s[16:17], 0
                                        ; implicit-def: $vgpr3
	s_branch .LBB127_2141
.LBB127_2107:
	s_mov_b64 s[22:23], -1
	s_mov_b64 s[20:21], 0
	s_mov_b64 s[16:17], 0
                                        ; implicit-def: $vgpr3
	s_branch .LBB127_2122
.LBB127_2108:
	s_mov_b64 s[22:23], -1
	s_mov_b64 s[20:21], 0
	s_mov_b64 s[16:17], 0
                                        ; implicit-def: $vgpr3
	s_branch .LBB127_2117
.LBB127_2109:
	s_trap 2
	s_or_b64 s[4:5], s[4:5], exec
	s_cbranch_execz .LBB127_2048
	s_branch .LBB127_2049
.LBB127_2110:
	s_mov_b64 s[22:23], -1
	s_mov_b64 s[20:21], 0
	s_mov_b64 s[16:17], 0
                                        ; implicit-def: $vgpr3
	s_branch .LBB127_2112
.LBB127_2111:
	s_mov_b64 s[16:17], -1
                                        ; implicit-def: $vgpr3
	s_mov_b64 s[20:21], 0
.LBB127_2112:
	s_and_b64 vcc, exec, s[22:23]
	s_cbranch_vccz .LBB127_2116
; %bb.2113:
	s_cmp_eq_u32 s26, 44
	s_cbranch_scc0 .LBB127_2115
; %bb.2114:
	global_load_ubyte v3, v[14:15], off
	s_movk_i32 s20, 0xff
	v_mov_b32_e32 v8, 0x7e00
	s_mov_b64 s[16:17], 0
	s_waitcnt vmcnt(0)
	v_lshlrev_b32_e32 v5, 23, v3
	v_cvt_f16_f32_e32 v5, v5
	v_cmp_ne_u32_e32 vcc, s20, v3
	s_mov_b64 s[20:21], -1
	v_cndmask_b32_e32 v5, v8, v5, vcc
	v_cmp_ne_u32_e32 vcc, 0, v3
	v_cndmask_b32_e32 v3, 0, v5, vcc
	s_branch .LBB127_2116
.LBB127_2115:
	s_mov_b64 s[16:17], -1
                                        ; implicit-def: $vgpr3
.LBB127_2116:
	s_mov_b64 s[22:23], 0
.LBB127_2117:
	s_and_b64 vcc, exec, s[22:23]
	s_cbranch_vccz .LBB127_2121
; %bb.2118:
	s_cmp_eq_u32 s26, 29
	s_cbranch_scc0 .LBB127_2120
; %bb.2119:
	global_load_dwordx2 v[16:17], v[14:15], off
	s_mov_b64 s[16:17], 0
	s_mov_b64 s[20:21], -1
	s_mov_b64 s[22:23], 0
	s_waitcnt vmcnt(0)
	v_ffbh_u32_e32 v3, v17
	v_min_u32_e32 v3, 32, v3
	v_lshlrev_b64 v[16:17], v3, v[16:17]
	v_sub_u32_e32 v3, 32, v3
	v_min_u32_e32 v5, 1, v16
	v_or_b32_e32 v5, v17, v5
	v_cvt_f32_u32_e32 v5, v5
	v_ldexp_f32 v3, v5, v3
	v_cvt_f16_f32_e32 v3, v3
	s_branch .LBB127_2122
.LBB127_2120:
	s_mov_b64 s[16:17], -1
                                        ; implicit-def: $vgpr3
.LBB127_2121:
	s_mov_b64 s[22:23], 0
.LBB127_2122:
	s_and_b64 vcc, exec, s[22:23]
	s_cbranch_vccz .LBB127_2140
; %bb.2123:
	s_cmp_lt_i32 s26, 27
	s_cbranch_scc1 .LBB127_2126
; %bb.2124:
	s_cmp_gt_i32 s26, 27
	s_cbranch_scc0 .LBB127_2127
; %bb.2125:
	global_load_dword v3, v[14:15], off
	s_mov_b64 s[20:21], 0
	s_waitcnt vmcnt(0)
	v_cvt_f32_u32_e32 v3, v3
	v_cvt_f16_f32_e32 v3, v3
	s_branch .LBB127_2128
.LBB127_2126:
	s_mov_b64 s[20:21], -1
                                        ; implicit-def: $vgpr3
	s_branch .LBB127_2131
.LBB127_2127:
	s_mov_b64 s[20:21], -1
                                        ; implicit-def: $vgpr3
.LBB127_2128:
	s_andn2_b64 vcc, exec, s[20:21]
	s_cbranch_vccnz .LBB127_2130
; %bb.2129:
	global_load_ushort v3, v[14:15], off
	s_waitcnt vmcnt(0)
	v_cvt_f16_u16_e32 v3, v3
.LBB127_2130:
	s_mov_b64 s[20:21], 0
.LBB127_2131:
	s_andn2_b64 vcc, exec, s[20:21]
	s_cbranch_vccnz .LBB127_2139
; %bb.2132:
	global_load_ubyte v5, v[14:15], off
	s_movk_i32 s20, 0x7f
	s_waitcnt vmcnt(0)
	v_cmp_lt_i16_e32 vcc, s20, v5
	s_mov_b64 s[20:21], 0
	s_and_saveexec_b64 s[22:23], vcc
	s_xor_b64 s[22:23], exec, s[22:23]
	s_cbranch_execz .LBB127_2153
; %bb.2133:
	s_movk_i32 s20, 0x80
	v_cmp_eq_u16_e32 vcc, s20, v5
	s_mov_b64 s[20:21], -1
	s_and_saveexec_b64 s[24:25], vcc
; %bb.2134:
	s_xor_b64 s[20:21], exec, -1
; %bb.2135:
	s_or_b64 exec, exec, s[24:25]
	s_and_b64 s[20:21], s[20:21], exec
	s_or_saveexec_b64 s[22:23], s[22:23]
	v_mov_b32_e32 v3, 0x7e00
	s_xor_b64 exec, exec, s[22:23]
	s_cbranch_execnz .LBB127_2154
.LBB127_2136:
	s_or_b64 exec, exec, s[22:23]
	s_and_saveexec_b64 s[22:23], s[20:21]
	s_cbranch_execz .LBB127_2138
.LBB127_2137:
	v_lshlrev_b32_e32 v3, 24, v5
	v_and_b32_e32 v5, 0xffff, v5
	v_and_b32_e32 v8, 7, v5
	v_ffbh_u32_e32 v12, v8
	v_min_u32_e32 v12, 32, v12
	v_subrev_u32_e32 v16, 28, v12
	v_bfe_u32 v10, v5, 3, 4
	v_lshlrev_b32_e32 v5, v16, v5
	v_sub_u32_e32 v12, 29, v12
	v_and_b32_e32 v5, 7, v5
	v_cmp_eq_u32_e32 vcc, 0, v10
	v_cndmask_b32_e32 v10, v10, v12, vcc
	v_cndmask_b32_e32 v5, v8, v5, vcc
	v_mov_b32_e32 v8, 0x3b800000
	v_lshlrev_b32_e32 v5, 20, v5
	v_and_b32_e32 v3, 0x80000000, v3
	v_lshl_add_u32 v8, v10, 23, v8
	v_or3_b32 v3, v3, v8, v5
	v_cvt_f16_f32_e32 v3, v3
.LBB127_2138:
	s_or_b64 exec, exec, s[22:23]
.LBB127_2139:
	s_mov_b64 s[20:21], -1
.LBB127_2140:
	s_mov_b64 s[22:23], 0
.LBB127_2141:
	s_and_b64 vcc, exec, s[22:23]
	s_cbranch_vccz .LBB127_2174
; %bb.2142:
	s_cmp_gt_i32 s26, 22
	s_cbranch_scc0 .LBB127_2152
; %bb.2143:
	s_cmp_lt_i32 s26, 24
	s_cbranch_scc1 .LBB127_2155
; %bb.2144:
	s_cmp_gt_i32 s26, 24
	s_cbranch_scc0 .LBB127_2156
; %bb.2145:
	global_load_ubyte v5, v[14:15], off
	s_movk_i32 s18, 0x7f
	s_waitcnt vmcnt(0)
	v_cmp_lt_i16_e32 vcc, s18, v5
	s_mov_b64 s[18:19], 0
	s_and_saveexec_b64 s[20:21], vcc
	s_xor_b64 s[20:21], exec, s[20:21]
	s_cbranch_execz .LBB127_2168
; %bb.2146:
	s_movk_i32 s18, 0x80
	v_cmp_eq_u16_e32 vcc, s18, v5
	s_mov_b64 s[18:19], -1
	s_and_saveexec_b64 s[22:23], vcc
; %bb.2147:
	s_xor_b64 s[18:19], exec, -1
; %bb.2148:
	s_or_b64 exec, exec, s[22:23]
	s_and_b64 s[18:19], s[18:19], exec
	s_or_saveexec_b64 s[20:21], s[20:21]
	v_mov_b32_e32 v3, 0x7e00
	s_xor_b64 exec, exec, s[20:21]
	s_cbranch_execnz .LBB127_2169
.LBB127_2149:
	s_or_b64 exec, exec, s[20:21]
	s_and_saveexec_b64 s[20:21], s[18:19]
	s_cbranch_execz .LBB127_2151
.LBB127_2150:
	v_lshlrev_b32_e32 v3, 24, v5
	v_and_b32_e32 v5, 0xffff, v5
	v_and_b32_e32 v8, 3, v5
	v_ffbh_u32_e32 v12, v8
	v_min_u32_e32 v12, 32, v12
	v_subrev_u32_e32 v16, 29, v12
	v_bfe_u32 v10, v5, 2, 5
	v_lshlrev_b32_e32 v5, v16, v5
	v_sub_u32_e32 v12, 30, v12
	v_and_b32_e32 v5, 3, v5
	v_cmp_eq_u32_e32 vcc, 0, v10
	v_cndmask_b32_e32 v10, v10, v12, vcc
	v_cndmask_b32_e32 v5, v8, v5, vcc
	v_mov_b32_e32 v8, 0x37800000
	v_lshlrev_b32_e32 v5, 21, v5
	v_and_b32_e32 v3, 0x80000000, v3
	v_lshl_add_u32 v8, v10, 23, v8
	v_or3_b32 v3, v3, v8, v5
	v_cvt_f16_f32_e32 v3, v3
.LBB127_2151:
	s_or_b64 exec, exec, s[20:21]
	s_mov_b64 s[18:19], 0
	s_branch .LBB127_2157
.LBB127_2152:
	s_mov_b64 s[18:19], -1
                                        ; implicit-def: $vgpr3
	s_branch .LBB127_2163
.LBB127_2153:
	s_or_saveexec_b64 s[22:23], s[22:23]
	v_mov_b32_e32 v3, 0x7e00
	s_xor_b64 exec, exec, s[22:23]
	s_cbranch_execz .LBB127_2136
.LBB127_2154:
	v_cmp_ne_u16_e32 vcc, 0, v5
	s_andn2_b64 s[20:21], s[20:21], exec
	s_and_b64 s[24:25], vcc, exec
	s_or_b64 s[20:21], s[20:21], s[24:25]
	v_mov_b32_e32 v3, v5
	s_or_b64 exec, exec, s[22:23]
	s_and_saveexec_b64 s[22:23], s[20:21]
	s_cbranch_execnz .LBB127_2137
	s_branch .LBB127_2138
.LBB127_2155:
	s_mov_b64 s[18:19], -1
                                        ; implicit-def: $vgpr3
	s_branch .LBB127_2160
.LBB127_2156:
	s_mov_b64 s[18:19], -1
                                        ; implicit-def: $vgpr3
.LBB127_2157:
	s_and_b64 vcc, exec, s[18:19]
	s_cbranch_vccz .LBB127_2159
; %bb.2158:
	global_load_ubyte v3, v[14:15], off
	s_mov_b32 s18, 0x7f800000
	s_waitcnt vmcnt(0)
	v_lshlrev_b32_e32 v3, 24, v3
	v_and_b32_e32 v5, 0x7f000000, v3
	v_ffbh_u32_e32 v8, v5
	v_min_u32_e32 v8, 32, v8
	v_sub_u32_e64 v8, v8, 4 clamp
	v_lshlrev_b32_e32 v12, v8, v5
	v_lshlrev_b32_e32 v8, 23, v8
	v_lshrrev_b32_e32 v12, 4, v12
	v_add_u32_e32 v10, 0x1000000, v5
	v_sub_u32_e32 v8, v12, v8
	v_ashrrev_i32_e32 v10, 8, v10
	v_add_u32_e32 v8, 0x3c000000, v8
	v_and_or_b32 v8, v10, s18, v8
	v_cmp_ne_u32_e32 vcc, 0, v5
	v_cndmask_b32_e32 v5, 0, v8, vcc
	s_brev_b32 s18, 1
	v_and_or_b32 v3, v3, s18, v5
	v_cvt_f16_f32_e32 v3, v3
.LBB127_2159:
	s_mov_b64 s[18:19], 0
.LBB127_2160:
	s_andn2_b64 vcc, exec, s[18:19]
	s_cbranch_vccnz .LBB127_2162
; %bb.2161:
	global_load_ubyte v3, v[14:15], off
	s_movk_i32 s18, 0x7f00
	s_brev_b32 s19, 16
	s_waitcnt vmcnt(0)
	v_lshlrev_b16_e32 v5, 8, v3
	v_lshlrev_b32_e32 v3, 25, v3
	v_lshrrev_b32_e32 v8, 4, v3
	v_and_or_b32 v10, v5, s18, 0.5
	v_or_b32_e32 v8, 0x70000000, v8
	v_add_f32_e32 v10, -0.5, v10
	v_mul_f32_e32 v8, 0x7800000, v8
	v_cmp_gt_u32_e32 vcc, s19, v3
	v_bfe_i32 v5, v5, 0, 16
	v_cndmask_b32_e32 v3, v8, v10, vcc
	s_brev_b32 s18, 1
	v_and_or_b32 v3, v5, s18, v3
	v_cvt_f16_f32_e32 v3, v3
.LBB127_2162:
	s_mov_b64 s[18:19], 0
	s_mov_b64 s[20:21], -1
.LBB127_2163:
	s_andn2_b64 vcc, exec, s[18:19]
	s_mov_b64 s[18:19], 0
	s_cbranch_vccnz .LBB127_2174
; %bb.2164:
	s_cmp_gt_i32 s26, 14
	s_cbranch_scc0 .LBB127_2167
; %bb.2165:
	s_cmp_eq_u32 s26, 15
	s_cbranch_scc0 .LBB127_2170
; %bb.2166:
	global_load_ushort v3, v[14:15], off
	s_mov_b64 s[16:17], 0
	s_mov_b64 s[20:21], -1
	s_waitcnt vmcnt(0)
	v_lshlrev_b32_e32 v3, 16, v3
	v_cvt_f16_f32_e32 v3, v3
	s_branch .LBB127_2171
.LBB127_2167:
	s_mov_b64 s[22:23], -1
                                        ; implicit-def: $vgpr3
	s_branch .LBB127_2172
.LBB127_2168:
	s_or_saveexec_b64 s[20:21], s[20:21]
	v_mov_b32_e32 v3, 0x7e00
	s_xor_b64 exec, exec, s[20:21]
	s_cbranch_execz .LBB127_2149
.LBB127_2169:
	v_cmp_ne_u16_e32 vcc, 0, v5
	s_andn2_b64 s[18:19], s[18:19], exec
	s_and_b64 s[22:23], vcc, exec
	s_or_b64 s[18:19], s[18:19], s[22:23]
	v_mov_b32_e32 v3, v5
	s_or_b64 exec, exec, s[20:21]
	s_and_saveexec_b64 s[20:21], s[18:19]
	s_cbranch_execnz .LBB127_2150
	s_branch .LBB127_2151
.LBB127_2170:
	s_mov_b64 s[16:17], -1
                                        ; implicit-def: $vgpr3
.LBB127_2171:
	s_mov_b64 s[22:23], 0
.LBB127_2172:
	s_and_b64 vcc, exec, s[22:23]
	s_cbranch_vccz .LBB127_2174
; %bb.2173:
	s_cmp_lg_u32 s26, 11
	s_mov_b64 s[18:19], -1
	s_cselect_b64 s[16:17], -1, 0
.LBB127_2174:
	s_and_b64 vcc, exec, s[16:17]
	s_cbranch_vccnz .LBB127_2256
; %bb.2175:
	s_andn2_b64 vcc, exec, s[18:19]
	s_cbranch_vccnz .LBB127_2177
.LBB127_2176:
	global_load_ubyte v3, v[14:15], off
	v_mov_b32_e32 v5, 0x3c00
	s_mov_b64 s[20:21], -1
	s_waitcnt vmcnt(0)
	v_cmp_ne_u16_e32 vcc, 0, v3
	v_cndmask_b32_e32 v3, 0, v5, vcc
.LBB127_2177:
	s_mov_b64 s[16:17], 0
.LBB127_2178:
	s_and_b64 vcc, exec, s[16:17]
	s_cbranch_vccz .LBB127_2227
; %bb.2179:
	s_and_b32 s18, 0xffff, s30
	s_cmp_lt_i32 s18, 5
	s_cbranch_scc1 .LBB127_2184
; %bb.2180:
	s_cmp_lt_i32 s18, 8
	s_cbranch_scc1 .LBB127_2185
; %bb.2181:
	;; [unrolled: 3-line block ×3, first 2 shown]
	s_cmp_gt_i32 s18, 9
	s_cbranch_scc0 .LBB127_2187
; %bb.2183:
	global_load_dwordx2 v[16:17], v[14:15], off
	s_movk_i32 s16, 0x1ff
	s_movk_i32 s17, 0xffe
	v_mov_b32_e32 v3, 0x7c00
	v_mov_b32_e32 v5, 0x7e00
	s_movk_i32 s19, 0x40f
	s_mov_b32 s20, 0x8000
	s_waitcnt vmcnt(0)
	v_and_or_b32 v8, v17, s16, v16
	v_cmp_ne_u32_e32 vcc, 0, v8
	v_lshrrev_b32_e32 v10, 8, v17
	v_bfe_u32 v12, v17, 20, 11
	v_cndmask_b32_e64 v8, 0, 1, vcc
	v_lshrrev_b32_e32 v16, 16, v17
	v_sub_u32_e32 v17, 0x3f1, v12
	v_and_or_b32 v8, v10, s17, v8
	v_add_u32_e32 v12, 0xfffffc10, v12
	v_med3_i32 v10, v17, 0, 13
	v_or_b32_e32 v17, 0x1000, v8
	v_lshl_or_b32 v18, v12, 12, v8
	v_cmp_ne_u32_e32 vcc, 0, v8
	v_lshrrev_b32_e32 v8, v10, v17
	v_lshlrev_b32_e32 v10, v10, v8
	v_cndmask_b32_e32 v5, v3, v5, vcc
	v_cmp_ne_u32_e32 vcc, v10, v17
	v_cndmask_b32_e64 v10, 0, 1, vcc
	v_or_b32_e32 v8, v8, v10
	v_cmp_gt_i32_e32 vcc, 1, v12
	v_cndmask_b32_e32 v8, v18, v8, vcc
	v_and_b32_e32 v10, 7, v8
	v_cmp_lt_i32_e32 vcc, 5, v10
	v_cndmask_b32_e64 v17, 0, 1, vcc
	v_cmp_eq_u32_e32 vcc, 3, v10
	v_cndmask_b32_e64 v10, 0, 1, vcc
	v_lshrrev_b32_e32 v8, 2, v8
	v_or_b32_e32 v10, v10, v17
	v_add_u32_e32 v8, v8, v10
	v_cmp_gt_i32_e32 vcc, 31, v12
	v_cndmask_b32_e32 v3, v3, v8, vcc
	v_cmp_eq_u32_e32 vcc, s19, v12
	v_cndmask_b32_e32 v3, v3, v5, vcc
	v_and_or_b32 v3, v16, s20, v3
	s_mov_b64 s[16:17], 0
	s_branch .LBB127_2188
.LBB127_2184:
	s_mov_b64 s[16:17], -1
                                        ; implicit-def: $vgpr3
	s_branch .LBB127_2206
.LBB127_2185:
	s_mov_b64 s[16:17], -1
                                        ; implicit-def: $vgpr3
	s_branch .LBB127_2194
.LBB127_2186:
	s_mov_b64 s[16:17], -1
                                        ; implicit-def: $vgpr3
	s_branch .LBB127_2191
.LBB127_2187:
	s_mov_b64 s[16:17], -1
                                        ; implicit-def: $vgpr3
.LBB127_2188:
	s_andn2_b64 vcc, exec, s[16:17]
	s_cbranch_vccnz .LBB127_2190
; %bb.2189:
	global_load_dword v3, v[14:15], off
	s_waitcnt vmcnt(0)
	v_cvt_f16_f32_e32 v3, v3
.LBB127_2190:
	s_mov_b64 s[16:17], 0
.LBB127_2191:
	s_andn2_b64 vcc, exec, s[16:17]
	s_cbranch_vccnz .LBB127_2193
; %bb.2192:
	global_load_dword v3, v[14:15], off
.LBB127_2193:
	s_mov_b64 s[16:17], 0
.LBB127_2194:
	s_andn2_b64 vcc, exec, s[16:17]
	s_cbranch_vccnz .LBB127_2205
; %bb.2195:
	s_cmp_lt_i32 s18, 6
	s_cbranch_scc1 .LBB127_2198
; %bb.2196:
	s_cmp_gt_i32 s18, 6
	s_cbranch_scc0 .LBB127_2199
; %bb.2197:
	global_load_dwordx2 v[16:17], v[14:15], off
	s_movk_i32 s16, 0x1ff
	s_movk_i32 s17, 0xffe
	s_waitcnt vmcnt(1)
	v_mov_b32_e32 v3, 0x7c00
	v_mov_b32_e32 v5, 0x7e00
	s_movk_i32 s19, 0x40f
	s_mov_b32 s20, 0x8000
	s_waitcnt vmcnt(0)
	v_and_or_b32 v8, v17, s16, v16
	v_cmp_ne_u32_e32 vcc, 0, v8
	v_lshrrev_b32_e32 v10, 8, v17
	v_bfe_u32 v12, v17, 20, 11
	v_cndmask_b32_e64 v8, 0, 1, vcc
	v_lshrrev_b32_e32 v16, 16, v17
	v_sub_u32_e32 v17, 0x3f1, v12
	v_and_or_b32 v8, v10, s17, v8
	v_add_u32_e32 v12, 0xfffffc10, v12
	v_med3_i32 v10, v17, 0, 13
	v_or_b32_e32 v17, 0x1000, v8
	v_lshl_or_b32 v18, v12, 12, v8
	v_cmp_ne_u32_e32 vcc, 0, v8
	v_lshrrev_b32_e32 v8, v10, v17
	v_lshlrev_b32_e32 v10, v10, v8
	v_cndmask_b32_e32 v5, v3, v5, vcc
	v_cmp_ne_u32_e32 vcc, v10, v17
	v_cndmask_b32_e64 v10, 0, 1, vcc
	v_or_b32_e32 v8, v8, v10
	v_cmp_gt_i32_e32 vcc, 1, v12
	v_cndmask_b32_e32 v8, v18, v8, vcc
	v_and_b32_e32 v10, 7, v8
	v_cmp_lt_i32_e32 vcc, 5, v10
	v_cndmask_b32_e64 v17, 0, 1, vcc
	v_cmp_eq_u32_e32 vcc, 3, v10
	v_cndmask_b32_e64 v10, 0, 1, vcc
	v_lshrrev_b32_e32 v8, 2, v8
	v_or_b32_e32 v10, v10, v17
	v_add_u32_e32 v8, v8, v10
	v_cmp_gt_i32_e32 vcc, 31, v12
	v_cndmask_b32_e32 v3, v3, v8, vcc
	v_cmp_eq_u32_e32 vcc, s19, v12
	v_cndmask_b32_e32 v3, v3, v5, vcc
	v_and_or_b32 v3, v16, s20, v3
	s_mov_b64 s[16:17], 0
	s_branch .LBB127_2200
.LBB127_2198:
	s_mov_b64 s[16:17], -1
                                        ; implicit-def: $vgpr3
	s_branch .LBB127_2203
.LBB127_2199:
	s_mov_b64 s[16:17], -1
                                        ; implicit-def: $vgpr3
.LBB127_2200:
	s_andn2_b64 vcc, exec, s[16:17]
	s_cbranch_vccnz .LBB127_2202
; %bb.2201:
	global_load_dword v3, v[14:15], off
	s_waitcnt vmcnt(0)
	v_cvt_f16_f32_e32 v3, v3
.LBB127_2202:
	s_mov_b64 s[16:17], 0
.LBB127_2203:
	s_andn2_b64 vcc, exec, s[16:17]
	s_cbranch_vccnz .LBB127_2205
; %bb.2204:
	global_load_ushort v3, v[14:15], off
.LBB127_2205:
	s_mov_b64 s[16:17], 0
.LBB127_2206:
	s_andn2_b64 vcc, exec, s[16:17]
	s_cbranch_vccnz .LBB127_2226
; %bb.2207:
	s_cmp_lt_i32 s18, 2
	s_cbranch_scc1 .LBB127_2211
; %bb.2208:
	s_cmp_lt_i32 s18, 3
	s_cbranch_scc1 .LBB127_2212
; %bb.2209:
	s_cmp_gt_i32 s18, 3
	s_cbranch_scc0 .LBB127_2213
; %bb.2210:
	global_load_dwordx2 v[16:17], v[14:15], off
	s_mov_b64 s[16:17], 0
	s_waitcnt vmcnt(0)
	v_xor_b32_e32 v5, v16, v17
	v_ffbh_i32_e32 v3, v17
	v_ashrrev_i32_e32 v5, 31, v5
	v_add_u32_e32 v3, -1, v3
	v_add_u32_e32 v5, 32, v5
	v_min_u32_e32 v3, v3, v5
	v_lshlrev_b64 v[16:17], v3, v[16:17]
	v_sub_u32_e32 v3, 32, v3
	v_min_u32_e32 v5, 1, v16
	v_or_b32_e32 v5, v17, v5
	v_cvt_f32_i32_e32 v5, v5
	v_ldexp_f32 v3, v5, v3
	v_cvt_f16_f32_e32 v3, v3
	s_branch .LBB127_2214
.LBB127_2211:
	s_mov_b64 s[16:17], -1
                                        ; implicit-def: $vgpr3
	s_branch .LBB127_2220
.LBB127_2212:
	s_mov_b64 s[16:17], -1
                                        ; implicit-def: $vgpr3
	s_branch .LBB127_2217
.LBB127_2213:
	s_mov_b64 s[16:17], -1
                                        ; implicit-def: $vgpr3
.LBB127_2214:
	s_andn2_b64 vcc, exec, s[16:17]
	s_cbranch_vccnz .LBB127_2216
; %bb.2215:
	global_load_dword v3, v[14:15], off
	s_waitcnt vmcnt(0)
	v_cvt_f32_i32_e32 v3, v3
	v_cvt_f16_f32_e32 v3, v3
.LBB127_2216:
	s_mov_b64 s[16:17], 0
.LBB127_2217:
	s_andn2_b64 vcc, exec, s[16:17]
	s_cbranch_vccnz .LBB127_2219
; %bb.2218:
	global_load_ushort v3, v[14:15], off
	s_waitcnt vmcnt(0)
	v_cvt_f16_i16_e32 v3, v3
.LBB127_2219:
	s_mov_b64 s[16:17], 0
.LBB127_2220:
	s_andn2_b64 vcc, exec, s[16:17]
	s_cbranch_vccnz .LBB127_2226
; %bb.2221:
	s_cmp_gt_i32 s18, 0
	s_cbranch_scc0 .LBB127_2223
; %bb.2222:
	global_load_sbyte v3, v[14:15], off
	s_mov_b64 s[16:17], 0
	s_waitcnt vmcnt(0)
	v_cvt_f16_i16_e32 v3, v3
	s_branch .LBB127_2224
.LBB127_2223:
	s_mov_b64 s[16:17], -1
                                        ; implicit-def: $vgpr3
.LBB127_2224:
	s_andn2_b64 vcc, exec, s[16:17]
	s_cbranch_vccnz .LBB127_2226
; %bb.2225:
	global_load_ubyte v3, v[14:15], off
	s_waitcnt vmcnt(0)
	v_cvt_f16_u16_e32 v3, v3
.LBB127_2226:
	s_mov_b64 s[20:21], -1
.LBB127_2227:
	s_andn2_b64 vcc, exec, s[20:21]
	s_cbranch_vccnz .LBB127_2788
; %bb.2228:
	s_cmp_lt_i32 s28, 1
	s_mov_b64 s[18:19], 0
	s_cbranch_scc1 .LBB127_2232
; %bb.2229:
	s_cmp_gt_i32 s28, 1
	s_cbranch_scc0 .LBB127_2233
; %bb.2230:
	s_cmp_eq_u32 s28, 2
	s_cbranch_scc0 .LBB127_2234
; %bb.2231:
	s_waitcnt vmcnt(0)
	v_cmp_le_f16_e64 s[16:17], v1, v3
	s_mov_b64 s[20:21], 0
	s_branch .LBB127_2235
.LBB127_2232:
	s_mov_b64 s[22:23], -1
                                        ; implicit-def: $sgpr16_sgpr17
	s_mov_b64 s[20:21], 0
	s_branch .LBB127_2239
.LBB127_2233:
	s_mov_b64 s[22:23], -1
	s_mov_b64 s[20:21], 0
                                        ; implicit-def: $sgpr16_sgpr17
	s_branch .LBB127_2236
.LBB127_2234:
	s_mov_b64 s[20:21], -1
                                        ; implicit-def: $sgpr16_sgpr17
.LBB127_2235:
	s_mov_b64 s[22:23], 0
.LBB127_2236:
	s_and_b64 vcc, exec, s[22:23]
	s_cbranch_vccz .LBB127_2238
; %bb.2237:
	s_waitcnt vmcnt(0)
	v_cmp_gt_f16_e32 vcc, v1, v3
	s_andn2_b64 s[16:17], s[16:17], exec
	s_and_b64 s[22:23], vcc, exec
	s_or_b64 s[16:17], s[16:17], s[22:23]
.LBB127_2238:
	s_mov_b64 s[22:23], 0
.LBB127_2239:
	s_and_b64 vcc, exec, s[22:23]
	s_cbranch_vccz .LBB127_2250
; %bb.2240:
	s_cmp_lg_u32 s28, 0
	s_mov_b64 s[18:19], -1
	s_cselect_b64 s[20:21], -1, 0
	s_andn2_b64 vcc, exec, s[20:21]
	s_cbranch_vccz .LBB127_2251
.LBB127_2241:
	s_andn2_b64 vcc, exec, s[18:19]
	s_cbranch_vccnz .LBB127_2243
.LBB127_2242:
	s_waitcnt vmcnt(0)
	v_cmp_ge_f16_e32 vcc, v1, v3
	s_andn2_b64 s[16:17], s[16:17], exec
	s_and_b64 s[18:19], vcc, exec
	s_or_b64 s[16:17], s[16:17], s[18:19]
.LBB127_2243:
	v_mov_b32_e32 v1, s11
	v_add_co_u32_e32 v12, vcc, s10, v13
	s_cmp_lt_i32 s29, 11
	v_addc_co_u32_e32 v13, vcc, 0, v1, vcc
	s_cbranch_scc1 .LBB127_2252
; %bb.2244:
	s_and_b32 s31, 0xffff, s29
	s_cmp_gt_i32 s31, 25
	s_mov_b64 s[20:21], 0
	s_cbranch_scc0 .LBB127_2253
; %bb.2245:
	s_cmp_gt_i32 s31, 28
	s_cbranch_scc0 .LBB127_2254
; %bb.2246:
	s_cmp_gt_i32 s31, 43
	;; [unrolled: 3-line block ×3, first 2 shown]
	s_cbranch_scc0 .LBB127_2257
; %bb.2248:
	s_cmp_eq_u32 s31, 46
	s_mov_b64 s[24:25], 0
	s_cbranch_scc0 .LBB127_2258
; %bb.2249:
	global_load_dword v1, v[12:13], off
	s_mov_b64 s[18:19], 0
	s_mov_b64 s[22:23], -1
	s_waitcnt vmcnt(0)
	v_lshlrev_b32_e32 v1, 16, v1
	v_cvt_f16_f32_e32 v1, v1
	s_branch .LBB127_2259
.LBB127_2250:
	s_andn2_b64 vcc, exec, s[20:21]
	s_cbranch_vccnz .LBB127_2241
.LBB127_2251:
	s_waitcnt vmcnt(0)
	v_cmp_lt_f16_e32 vcc, v1, v3
	s_andn2_b64 s[16:17], s[16:17], exec
	s_and_b64 s[20:21], vcc, exec
	s_or_b64 s[16:17], s[16:17], s[20:21]
	s_cbranch_execz .LBB127_2242
	s_branch .LBB127_2243
.LBB127_2252:
	s_mov_b64 s[18:19], -1
	s_mov_b64 s[22:23], 0
                                        ; implicit-def: $vgpr1
	s_branch .LBB127_2325
.LBB127_2253:
	s_mov_b64 s[24:25], -1
	s_mov_b64 s[22:23], 0
	s_mov_b64 s[18:19], 0
                                        ; implicit-def: $vgpr1
	s_branch .LBB127_2288
.LBB127_2254:
	s_mov_b64 s[24:25], -1
	s_mov_b64 s[22:23], 0
	s_mov_b64 s[18:19], 0
                                        ; implicit-def: $vgpr1
	s_branch .LBB127_2269
.LBB127_2255:
	s_mov_b64 s[24:25], -1
	s_mov_b64 s[22:23], 0
	s_mov_b64 s[18:19], 0
                                        ; implicit-def: $vgpr1
	s_branch .LBB127_2264
.LBB127_2256:
	s_trap 2
	s_or_b64 s[4:5], s[4:5], exec
	s_cbranch_execz .LBB127_2176
	s_branch .LBB127_2177
.LBB127_2257:
	s_mov_b64 s[24:25], -1
	s_mov_b64 s[22:23], 0
	s_mov_b64 s[18:19], 0
                                        ; implicit-def: $vgpr1
	s_branch .LBB127_2259
.LBB127_2258:
	s_mov_b64 s[18:19], -1
                                        ; implicit-def: $vgpr1
	s_mov_b64 s[22:23], 0
.LBB127_2259:
	s_and_b64 vcc, exec, s[24:25]
	s_cbranch_vccz .LBB127_2263
; %bb.2260:
	s_cmp_eq_u32 s31, 44
	s_cbranch_scc0 .LBB127_2262
; %bb.2261:
	global_load_ubyte v1, v[12:13], off
	s_movk_i32 s22, 0xff
	v_mov_b32_e32 v5, 0x7e00
	s_mov_b64 s[18:19], 0
	s_waitcnt vmcnt(0)
	v_lshlrev_b32_e32 v3, 23, v1
	v_cvt_f16_f32_e32 v3, v3
	v_cmp_ne_u32_e32 vcc, s22, v1
	s_mov_b64 s[22:23], -1
	v_cndmask_b32_e32 v3, v5, v3, vcc
	v_cmp_ne_u32_e32 vcc, 0, v1
	v_cndmask_b32_e32 v1, 0, v3, vcc
	s_branch .LBB127_2263
.LBB127_2262:
	s_mov_b64 s[18:19], -1
                                        ; implicit-def: $vgpr1
.LBB127_2263:
	s_mov_b64 s[24:25], 0
.LBB127_2264:
	s_and_b64 vcc, exec, s[24:25]
	s_cbranch_vccz .LBB127_2268
; %bb.2265:
	s_cmp_eq_u32 s31, 29
	s_cbranch_scc0 .LBB127_2267
; %bb.2266:
	global_load_dwordx2 v[14:15], v[12:13], off
	s_mov_b64 s[18:19], 0
	s_mov_b64 s[22:23], -1
	s_mov_b64 s[24:25], 0
	s_waitcnt vmcnt(0)
	v_ffbh_u32_e32 v1, v15
	v_min_u32_e32 v1, 32, v1
	v_lshlrev_b64 v[14:15], v1, v[14:15]
	v_sub_u32_e32 v1, 32, v1
	v_min_u32_e32 v3, 1, v14
	v_or_b32_e32 v3, v15, v3
	v_cvt_f32_u32_e32 v3, v3
	v_ldexp_f32 v1, v3, v1
	v_cvt_f16_f32_e32 v1, v1
	s_branch .LBB127_2269
.LBB127_2267:
	s_mov_b64 s[18:19], -1
                                        ; implicit-def: $vgpr1
.LBB127_2268:
	s_mov_b64 s[24:25], 0
.LBB127_2269:
	s_and_b64 vcc, exec, s[24:25]
	s_cbranch_vccz .LBB127_2287
; %bb.2270:
	s_cmp_lt_i32 s31, 27
	s_cbranch_scc1 .LBB127_2273
; %bb.2271:
	s_cmp_gt_i32 s31, 27
	s_cbranch_scc0 .LBB127_2274
; %bb.2272:
	global_load_dword v1, v[12:13], off
	s_mov_b64 s[22:23], 0
	s_waitcnt vmcnt(0)
	v_cvt_f32_u32_e32 v1, v1
	v_cvt_f16_f32_e32 v1, v1
	s_branch .LBB127_2275
.LBB127_2273:
	s_mov_b64 s[22:23], -1
                                        ; implicit-def: $vgpr1
	s_branch .LBB127_2278
.LBB127_2274:
	s_mov_b64 s[22:23], -1
                                        ; implicit-def: $vgpr1
.LBB127_2275:
	s_andn2_b64 vcc, exec, s[22:23]
	s_cbranch_vccnz .LBB127_2277
; %bb.2276:
	global_load_ushort v1, v[12:13], off
	s_waitcnt vmcnt(0)
	v_cvt_f16_u16_e32 v1, v1
.LBB127_2277:
	s_mov_b64 s[22:23], 0
.LBB127_2278:
	s_andn2_b64 vcc, exec, s[22:23]
	s_cbranch_vccnz .LBB127_2286
; %bb.2279:
	global_load_ubyte v3, v[12:13], off
	s_movk_i32 s22, 0x7f
	s_waitcnt vmcnt(0)
	v_cmp_lt_i16_e32 vcc, s22, v3
	s_mov_b64 s[22:23], 0
	s_and_saveexec_b64 s[24:25], vcc
	s_xor_b64 s[24:25], exec, s[24:25]
	s_cbranch_execz .LBB127_2300
; %bb.2280:
	s_movk_i32 s22, 0x80
	v_cmp_eq_u16_e32 vcc, s22, v3
	s_mov_b64 s[22:23], -1
	s_and_saveexec_b64 s[26:27], vcc
; %bb.2281:
	s_xor_b64 s[22:23], exec, -1
; %bb.2282:
	s_or_b64 exec, exec, s[26:27]
	s_and_b64 s[22:23], s[22:23], exec
	s_or_saveexec_b64 s[24:25], s[24:25]
	v_mov_b32_e32 v1, 0x7e00
	s_xor_b64 exec, exec, s[24:25]
	s_cbranch_execnz .LBB127_2301
.LBB127_2283:
	s_or_b64 exec, exec, s[24:25]
	s_and_saveexec_b64 s[24:25], s[22:23]
	s_cbranch_execz .LBB127_2285
.LBB127_2284:
	v_lshlrev_b32_e32 v1, 24, v3
	v_and_b32_e32 v3, 0xffff, v3
	v_and_b32_e32 v5, 7, v3
	v_ffbh_u32_e32 v10, v5
	v_min_u32_e32 v10, 32, v10
	v_subrev_u32_e32 v14, 28, v10
	v_bfe_u32 v8, v3, 3, 4
	v_lshlrev_b32_e32 v3, v14, v3
	v_sub_u32_e32 v10, 29, v10
	v_and_b32_e32 v3, 7, v3
	v_cmp_eq_u32_e32 vcc, 0, v8
	v_cndmask_b32_e32 v8, v8, v10, vcc
	v_cndmask_b32_e32 v3, v5, v3, vcc
	v_mov_b32_e32 v5, 0x3b800000
	v_lshlrev_b32_e32 v3, 20, v3
	v_and_b32_e32 v1, 0x80000000, v1
	v_lshl_add_u32 v5, v8, 23, v5
	v_or3_b32 v1, v1, v5, v3
	v_cvt_f16_f32_e32 v1, v1
.LBB127_2285:
	s_or_b64 exec, exec, s[24:25]
.LBB127_2286:
	s_mov_b64 s[22:23], -1
.LBB127_2287:
	s_mov_b64 s[24:25], 0
.LBB127_2288:
	s_and_b64 vcc, exec, s[24:25]
	s_cbranch_vccz .LBB127_2321
; %bb.2289:
	s_cmp_gt_i32 s31, 22
	s_cbranch_scc0 .LBB127_2299
; %bb.2290:
	s_cmp_lt_i32 s31, 24
	s_cbranch_scc1 .LBB127_2302
; %bb.2291:
	s_cmp_gt_i32 s31, 24
	s_cbranch_scc0 .LBB127_2303
; %bb.2292:
	global_load_ubyte v3, v[12:13], off
	s_movk_i32 s20, 0x7f
	s_waitcnt vmcnt(0)
	v_cmp_lt_i16_e32 vcc, s20, v3
	s_mov_b64 s[20:21], 0
	s_and_saveexec_b64 s[22:23], vcc
	s_xor_b64 s[22:23], exec, s[22:23]
	s_cbranch_execz .LBB127_2315
; %bb.2293:
	s_movk_i32 s20, 0x80
	v_cmp_eq_u16_e32 vcc, s20, v3
	s_mov_b64 s[20:21], -1
	s_and_saveexec_b64 s[24:25], vcc
; %bb.2294:
	s_xor_b64 s[20:21], exec, -1
; %bb.2295:
	s_or_b64 exec, exec, s[24:25]
	s_and_b64 s[20:21], s[20:21], exec
	s_or_saveexec_b64 s[22:23], s[22:23]
	v_mov_b32_e32 v1, 0x7e00
	s_xor_b64 exec, exec, s[22:23]
	s_cbranch_execnz .LBB127_2316
.LBB127_2296:
	s_or_b64 exec, exec, s[22:23]
	s_and_saveexec_b64 s[22:23], s[20:21]
	s_cbranch_execz .LBB127_2298
.LBB127_2297:
	v_lshlrev_b32_e32 v1, 24, v3
	v_and_b32_e32 v3, 0xffff, v3
	v_and_b32_e32 v5, 3, v3
	v_ffbh_u32_e32 v10, v5
	v_min_u32_e32 v10, 32, v10
	v_subrev_u32_e32 v14, 29, v10
	v_bfe_u32 v8, v3, 2, 5
	v_lshlrev_b32_e32 v3, v14, v3
	v_sub_u32_e32 v10, 30, v10
	v_and_b32_e32 v3, 3, v3
	v_cmp_eq_u32_e32 vcc, 0, v8
	v_cndmask_b32_e32 v8, v8, v10, vcc
	v_cndmask_b32_e32 v3, v5, v3, vcc
	v_mov_b32_e32 v5, 0x37800000
	v_lshlrev_b32_e32 v3, 21, v3
	v_and_b32_e32 v1, 0x80000000, v1
	v_lshl_add_u32 v5, v8, 23, v5
	v_or3_b32 v1, v1, v5, v3
	v_cvt_f16_f32_e32 v1, v1
.LBB127_2298:
	s_or_b64 exec, exec, s[22:23]
	s_mov_b64 s[20:21], 0
	s_branch .LBB127_2304
.LBB127_2299:
	s_mov_b64 s[20:21], -1
                                        ; implicit-def: $vgpr1
	s_branch .LBB127_2310
.LBB127_2300:
	s_or_saveexec_b64 s[24:25], s[24:25]
	v_mov_b32_e32 v1, 0x7e00
	s_xor_b64 exec, exec, s[24:25]
	s_cbranch_execz .LBB127_2283
.LBB127_2301:
	v_cmp_ne_u16_e32 vcc, 0, v3
	s_andn2_b64 s[22:23], s[22:23], exec
	s_and_b64 s[26:27], vcc, exec
	s_or_b64 s[22:23], s[22:23], s[26:27]
	v_mov_b32_e32 v1, v3
	s_or_b64 exec, exec, s[24:25]
	s_and_saveexec_b64 s[24:25], s[22:23]
	s_cbranch_execnz .LBB127_2284
	s_branch .LBB127_2285
.LBB127_2302:
	s_mov_b64 s[20:21], -1
                                        ; implicit-def: $vgpr1
	s_branch .LBB127_2307
.LBB127_2303:
	s_mov_b64 s[20:21], -1
                                        ; implicit-def: $vgpr1
.LBB127_2304:
	s_and_b64 vcc, exec, s[20:21]
	s_cbranch_vccz .LBB127_2306
; %bb.2305:
	global_load_ubyte v1, v[12:13], off
	s_mov_b32 s20, 0x7f800000
	s_waitcnt vmcnt(0)
	v_lshlrev_b32_e32 v1, 24, v1
	v_and_b32_e32 v3, 0x7f000000, v1
	v_ffbh_u32_e32 v5, v3
	v_min_u32_e32 v5, 32, v5
	v_sub_u32_e64 v5, v5, 4 clamp
	v_lshlrev_b32_e32 v10, v5, v3
	v_lshlrev_b32_e32 v5, 23, v5
	v_lshrrev_b32_e32 v10, 4, v10
	v_add_u32_e32 v8, 0x1000000, v3
	v_sub_u32_e32 v5, v10, v5
	v_ashrrev_i32_e32 v8, 8, v8
	v_add_u32_e32 v5, 0x3c000000, v5
	v_and_or_b32 v5, v8, s20, v5
	v_cmp_ne_u32_e32 vcc, 0, v3
	v_cndmask_b32_e32 v3, 0, v5, vcc
	s_brev_b32 s20, 1
	v_and_or_b32 v1, v1, s20, v3
	v_cvt_f16_f32_e32 v1, v1
.LBB127_2306:
	s_mov_b64 s[20:21], 0
.LBB127_2307:
	s_andn2_b64 vcc, exec, s[20:21]
	s_cbranch_vccnz .LBB127_2309
; %bb.2308:
	global_load_ubyte v1, v[12:13], off
	s_movk_i32 s20, 0x7f00
	s_brev_b32 s21, 16
	s_waitcnt vmcnt(0)
	v_lshlrev_b16_e32 v3, 8, v1
	v_lshlrev_b32_e32 v1, 25, v1
	v_lshrrev_b32_e32 v5, 4, v1
	v_and_or_b32 v8, v3, s20, 0.5
	v_or_b32_e32 v5, 0x70000000, v5
	v_add_f32_e32 v8, -0.5, v8
	v_mul_f32_e32 v5, 0x7800000, v5
	v_cmp_gt_u32_e32 vcc, s21, v1
	v_bfe_i32 v3, v3, 0, 16
	v_cndmask_b32_e32 v1, v5, v8, vcc
	s_brev_b32 s20, 1
	v_and_or_b32 v1, v3, s20, v1
	v_cvt_f16_f32_e32 v1, v1
.LBB127_2309:
	s_mov_b64 s[20:21], 0
	s_mov_b64 s[22:23], -1
.LBB127_2310:
	s_andn2_b64 vcc, exec, s[20:21]
	s_mov_b64 s[20:21], 0
	s_cbranch_vccnz .LBB127_2321
; %bb.2311:
	s_cmp_gt_i32 s31, 14
	s_cbranch_scc0 .LBB127_2314
; %bb.2312:
	s_cmp_eq_u32 s31, 15
	s_cbranch_scc0 .LBB127_2317
; %bb.2313:
	global_load_ushort v1, v[12:13], off
	s_mov_b64 s[18:19], 0
	s_mov_b64 s[22:23], -1
	s_waitcnt vmcnt(0)
	v_lshlrev_b32_e32 v1, 16, v1
	v_cvt_f16_f32_e32 v1, v1
	s_branch .LBB127_2318
.LBB127_2314:
	s_mov_b64 s[24:25], -1
                                        ; implicit-def: $vgpr1
	s_branch .LBB127_2319
.LBB127_2315:
	s_or_saveexec_b64 s[22:23], s[22:23]
	v_mov_b32_e32 v1, 0x7e00
	s_xor_b64 exec, exec, s[22:23]
	s_cbranch_execz .LBB127_2296
.LBB127_2316:
	v_cmp_ne_u16_e32 vcc, 0, v3
	s_andn2_b64 s[20:21], s[20:21], exec
	s_and_b64 s[24:25], vcc, exec
	s_or_b64 s[20:21], s[20:21], s[24:25]
	v_mov_b32_e32 v1, v3
	s_or_b64 exec, exec, s[22:23]
	s_and_saveexec_b64 s[22:23], s[20:21]
	s_cbranch_execnz .LBB127_2297
	s_branch .LBB127_2298
.LBB127_2317:
	s_mov_b64 s[18:19], -1
                                        ; implicit-def: $vgpr1
.LBB127_2318:
	s_mov_b64 s[24:25], 0
.LBB127_2319:
	s_and_b64 vcc, exec, s[24:25]
	s_cbranch_vccz .LBB127_2321
; %bb.2320:
	s_cmp_lg_u32 s31, 11
	s_mov_b64 s[20:21], -1
	s_cselect_b64 s[18:19], -1, 0
.LBB127_2321:
	s_and_b64 vcc, exec, s[18:19]
	s_cbranch_vccnz .LBB127_2386
; %bb.2322:
	s_andn2_b64 vcc, exec, s[20:21]
	s_cbranch_vccnz .LBB127_2324
.LBB127_2323:
	global_load_ubyte v1, v[12:13], off
	s_waitcnt vmcnt(1)
	v_mov_b32_e32 v3, 0x3c00
	s_mov_b64 s[22:23], -1
	s_waitcnt vmcnt(0)
	v_cmp_ne_u16_e32 vcc, 0, v1
	v_cndmask_b32_e32 v1, 0, v3, vcc
.LBB127_2324:
	s_mov_b64 s[18:19], 0
.LBB127_2325:
	s_and_b64 vcc, exec, s[18:19]
	s_cbranch_vccz .LBB127_2374
; %bb.2326:
	s_and_b32 s20, 0xffff, s29
	s_cmp_lt_i32 s20, 5
	s_cbranch_scc1 .LBB127_2331
; %bb.2327:
	s_cmp_lt_i32 s20, 8
	s_cbranch_scc1 .LBB127_2332
; %bb.2328:
	;; [unrolled: 3-line block ×3, first 2 shown]
	s_cmp_gt_i32 s20, 9
	s_cbranch_scc0 .LBB127_2334
; %bb.2330:
	global_load_dwordx2 v[14:15], v[12:13], off
	s_movk_i32 s18, 0x1ff
	s_movk_i32 s19, 0xffe
	v_mov_b32_e32 v1, 0x7c00
	s_waitcnt vmcnt(1)
	v_mov_b32_e32 v3, 0x7e00
	s_movk_i32 s21, 0x40f
	s_mov_b32 s22, 0x8000
	s_waitcnt vmcnt(0)
	v_and_or_b32 v5, v15, s18, v14
	v_cmp_ne_u32_e32 vcc, 0, v5
	v_lshrrev_b32_e32 v8, 8, v15
	v_bfe_u32 v10, v15, 20, 11
	v_cndmask_b32_e64 v5, 0, 1, vcc
	v_lshrrev_b32_e32 v14, 16, v15
	v_sub_u32_e32 v15, 0x3f1, v10
	v_and_or_b32 v5, v8, s19, v5
	v_add_u32_e32 v10, 0xfffffc10, v10
	v_med3_i32 v8, v15, 0, 13
	v_or_b32_e32 v15, 0x1000, v5
	v_lshl_or_b32 v16, v10, 12, v5
	v_cmp_ne_u32_e32 vcc, 0, v5
	v_lshrrev_b32_e32 v5, v8, v15
	v_lshlrev_b32_e32 v8, v8, v5
	v_cndmask_b32_e32 v3, v1, v3, vcc
	v_cmp_ne_u32_e32 vcc, v8, v15
	v_cndmask_b32_e64 v8, 0, 1, vcc
	v_or_b32_e32 v5, v5, v8
	v_cmp_gt_i32_e32 vcc, 1, v10
	v_cndmask_b32_e32 v5, v16, v5, vcc
	v_and_b32_e32 v8, 7, v5
	v_cmp_lt_i32_e32 vcc, 5, v8
	v_cndmask_b32_e64 v15, 0, 1, vcc
	v_cmp_eq_u32_e32 vcc, 3, v8
	v_cndmask_b32_e64 v8, 0, 1, vcc
	v_lshrrev_b32_e32 v5, 2, v5
	v_or_b32_e32 v8, v8, v15
	v_add_u32_e32 v5, v5, v8
	v_cmp_gt_i32_e32 vcc, 31, v10
	v_cndmask_b32_e32 v1, v1, v5, vcc
	v_cmp_eq_u32_e32 vcc, s21, v10
	v_cndmask_b32_e32 v1, v1, v3, vcc
	v_and_or_b32 v1, v14, s22, v1
	s_mov_b64 s[18:19], 0
	s_branch .LBB127_2335
.LBB127_2331:
	s_mov_b64 s[18:19], -1
                                        ; implicit-def: $vgpr1
	s_branch .LBB127_2353
.LBB127_2332:
	s_mov_b64 s[18:19], -1
                                        ; implicit-def: $vgpr1
	s_branch .LBB127_2341
.LBB127_2333:
	s_mov_b64 s[18:19], -1
                                        ; implicit-def: $vgpr1
	s_branch .LBB127_2338
.LBB127_2334:
	s_mov_b64 s[18:19], -1
                                        ; implicit-def: $vgpr1
.LBB127_2335:
	s_andn2_b64 vcc, exec, s[18:19]
	s_cbranch_vccnz .LBB127_2337
; %bb.2336:
	global_load_dword v1, v[12:13], off
	s_waitcnt vmcnt(0)
	v_cvt_f16_f32_e32 v1, v1
.LBB127_2337:
	s_mov_b64 s[18:19], 0
.LBB127_2338:
	s_andn2_b64 vcc, exec, s[18:19]
	s_cbranch_vccnz .LBB127_2340
; %bb.2339:
	global_load_dword v1, v[12:13], off
.LBB127_2340:
	s_mov_b64 s[18:19], 0
.LBB127_2341:
	s_andn2_b64 vcc, exec, s[18:19]
	s_cbranch_vccnz .LBB127_2352
; %bb.2342:
	s_cmp_lt_i32 s20, 6
	s_cbranch_scc1 .LBB127_2345
; %bb.2343:
	s_cmp_gt_i32 s20, 6
	s_cbranch_scc0 .LBB127_2346
; %bb.2344:
	global_load_dwordx2 v[14:15], v[12:13], off
	s_movk_i32 s18, 0x1ff
	s_movk_i32 s19, 0xffe
	s_waitcnt vmcnt(1)
	v_mov_b32_e32 v1, 0x7c00
	v_mov_b32_e32 v3, 0x7e00
	s_movk_i32 s21, 0x40f
	s_mov_b32 s22, 0x8000
	s_waitcnt vmcnt(0)
	v_and_or_b32 v5, v15, s18, v14
	v_cmp_ne_u32_e32 vcc, 0, v5
	v_lshrrev_b32_e32 v8, 8, v15
	v_bfe_u32 v10, v15, 20, 11
	v_cndmask_b32_e64 v5, 0, 1, vcc
	v_lshrrev_b32_e32 v14, 16, v15
	v_sub_u32_e32 v15, 0x3f1, v10
	v_and_or_b32 v5, v8, s19, v5
	v_add_u32_e32 v10, 0xfffffc10, v10
	v_med3_i32 v8, v15, 0, 13
	v_or_b32_e32 v15, 0x1000, v5
	v_lshl_or_b32 v16, v10, 12, v5
	v_cmp_ne_u32_e32 vcc, 0, v5
	v_lshrrev_b32_e32 v5, v8, v15
	v_lshlrev_b32_e32 v8, v8, v5
	v_cndmask_b32_e32 v3, v1, v3, vcc
	v_cmp_ne_u32_e32 vcc, v8, v15
	v_cndmask_b32_e64 v8, 0, 1, vcc
	v_or_b32_e32 v5, v5, v8
	v_cmp_gt_i32_e32 vcc, 1, v10
	v_cndmask_b32_e32 v5, v16, v5, vcc
	v_and_b32_e32 v8, 7, v5
	v_cmp_lt_i32_e32 vcc, 5, v8
	v_cndmask_b32_e64 v15, 0, 1, vcc
	v_cmp_eq_u32_e32 vcc, 3, v8
	v_cndmask_b32_e64 v8, 0, 1, vcc
	v_lshrrev_b32_e32 v5, 2, v5
	v_or_b32_e32 v8, v8, v15
	v_add_u32_e32 v5, v5, v8
	v_cmp_gt_i32_e32 vcc, 31, v10
	v_cndmask_b32_e32 v1, v1, v5, vcc
	v_cmp_eq_u32_e32 vcc, s21, v10
	v_cndmask_b32_e32 v1, v1, v3, vcc
	v_and_or_b32 v1, v14, s22, v1
	s_mov_b64 s[18:19], 0
	s_branch .LBB127_2347
.LBB127_2345:
	s_mov_b64 s[18:19], -1
                                        ; implicit-def: $vgpr1
	s_branch .LBB127_2350
.LBB127_2346:
	s_mov_b64 s[18:19], -1
                                        ; implicit-def: $vgpr1
.LBB127_2347:
	s_andn2_b64 vcc, exec, s[18:19]
	s_cbranch_vccnz .LBB127_2349
; %bb.2348:
	global_load_dword v1, v[12:13], off
	s_waitcnt vmcnt(0)
	v_cvt_f16_f32_e32 v1, v1
.LBB127_2349:
	s_mov_b64 s[18:19], 0
.LBB127_2350:
	s_andn2_b64 vcc, exec, s[18:19]
	s_cbranch_vccnz .LBB127_2352
; %bb.2351:
	global_load_ushort v1, v[12:13], off
.LBB127_2352:
	s_mov_b64 s[18:19], 0
.LBB127_2353:
	s_andn2_b64 vcc, exec, s[18:19]
	s_cbranch_vccnz .LBB127_2373
; %bb.2354:
	s_cmp_lt_i32 s20, 2
	s_cbranch_scc1 .LBB127_2358
; %bb.2355:
	s_cmp_lt_i32 s20, 3
	s_cbranch_scc1 .LBB127_2359
; %bb.2356:
	s_cmp_gt_i32 s20, 3
	s_cbranch_scc0 .LBB127_2360
; %bb.2357:
	global_load_dwordx2 v[14:15], v[12:13], off
	s_mov_b64 s[18:19], 0
	s_waitcnt vmcnt(0)
	v_xor_b32_e32 v3, v14, v15
	v_ffbh_i32_e32 v1, v15
	v_ashrrev_i32_e32 v3, 31, v3
	v_add_u32_e32 v1, -1, v1
	v_add_u32_e32 v3, 32, v3
	v_min_u32_e32 v1, v1, v3
	v_lshlrev_b64 v[14:15], v1, v[14:15]
	v_sub_u32_e32 v1, 32, v1
	v_min_u32_e32 v3, 1, v14
	v_or_b32_e32 v3, v15, v3
	v_cvt_f32_i32_e32 v3, v3
	v_ldexp_f32 v1, v3, v1
	v_cvt_f16_f32_e32 v1, v1
	s_branch .LBB127_2361
.LBB127_2358:
	s_mov_b64 s[18:19], -1
                                        ; implicit-def: $vgpr1
	s_branch .LBB127_2367
.LBB127_2359:
	s_mov_b64 s[18:19], -1
                                        ; implicit-def: $vgpr1
	s_branch .LBB127_2364
.LBB127_2360:
	s_mov_b64 s[18:19], -1
                                        ; implicit-def: $vgpr1
.LBB127_2361:
	s_andn2_b64 vcc, exec, s[18:19]
	s_cbranch_vccnz .LBB127_2363
; %bb.2362:
	global_load_dword v1, v[12:13], off
	s_waitcnt vmcnt(0)
	v_cvt_f32_i32_e32 v1, v1
	v_cvt_f16_f32_e32 v1, v1
.LBB127_2363:
	s_mov_b64 s[18:19], 0
.LBB127_2364:
	s_andn2_b64 vcc, exec, s[18:19]
	s_cbranch_vccnz .LBB127_2366
; %bb.2365:
	global_load_ushort v1, v[12:13], off
	s_waitcnt vmcnt(0)
	v_cvt_f16_i16_e32 v1, v1
.LBB127_2366:
	s_mov_b64 s[18:19], 0
.LBB127_2367:
	s_andn2_b64 vcc, exec, s[18:19]
	s_cbranch_vccnz .LBB127_2373
; %bb.2368:
	s_cmp_gt_i32 s20, 0
	s_cbranch_scc0 .LBB127_2370
; %bb.2369:
	global_load_sbyte v1, v[12:13], off
	s_mov_b64 s[18:19], 0
	s_waitcnt vmcnt(0)
	v_cvt_f16_i16_e32 v1, v1
	s_branch .LBB127_2371
.LBB127_2370:
	s_mov_b64 s[18:19], -1
                                        ; implicit-def: $vgpr1
.LBB127_2371:
	s_andn2_b64 vcc, exec, s[18:19]
	s_cbranch_vccnz .LBB127_2373
; %bb.2372:
	global_load_ubyte v1, v[12:13], off
	s_waitcnt vmcnt(0)
	v_cvt_f16_u16_e32 v1, v1
.LBB127_2373:
	s_mov_b64 s[22:23], -1
.LBB127_2374:
	s_andn2_b64 vcc, exec, s[22:23]
	s_cbranch_vccnz .LBB127_2788
; %bb.2375:
	s_waitcnt vmcnt(0)
	v_mov_b32_e32 v3, s1
	v_add_co_u32_e32 v10, vcc, s0, v11
	s_cmp_lt_i32 s30, 11
	v_addc_co_u32_e32 v11, vcc, 0, v3, vcc
	s_cbranch_scc1 .LBB127_2382
; %bb.2376:
	s_and_b32 s31, 0xffff, s30
	s_cmp_gt_i32 s31, 25
	s_mov_b64 s[20:21], 0
	s_cbranch_scc0 .LBB127_2383
; %bb.2377:
	s_cmp_gt_i32 s31, 28
	s_cbranch_scc0 .LBB127_2384
; %bb.2378:
	s_cmp_gt_i32 s31, 43
	;; [unrolled: 3-line block ×3, first 2 shown]
	s_cbranch_scc0 .LBB127_2387
; %bb.2380:
	s_cmp_eq_u32 s31, 46
	s_mov_b64 s[24:25], 0
	s_cbranch_scc0 .LBB127_2390
; %bb.2381:
	global_load_dword v3, v[10:11], off
	s_mov_b64 s[18:19], 0
	s_mov_b64 s[22:23], -1
	s_waitcnt vmcnt(0)
	v_lshlrev_b32_e32 v3, 16, v3
	v_cvt_f16_f32_e32 v3, v3
	s_branch .LBB127_2391
.LBB127_2382:
	s_mov_b64 s[18:19], -1
	s_mov_b64 s[22:23], 0
                                        ; implicit-def: $vgpr3
	s_branch .LBB127_2457
.LBB127_2383:
	s_mov_b64 s[24:25], -1
	s_mov_b64 s[22:23], 0
	s_mov_b64 s[18:19], 0
                                        ; implicit-def: $vgpr3
	s_branch .LBB127_2420
.LBB127_2384:
	s_mov_b64 s[24:25], -1
	s_mov_b64 s[22:23], 0
	s_mov_b64 s[18:19], 0
                                        ; implicit-def: $vgpr3
	s_branch .LBB127_2401
.LBB127_2385:
	s_mov_b64 s[24:25], -1
	s_mov_b64 s[22:23], 0
	s_mov_b64 s[18:19], 0
                                        ; implicit-def: $vgpr3
	s_branch .LBB127_2396
.LBB127_2386:
	s_trap 2
	s_or_b64 s[4:5], s[4:5], exec
	s_cbranch_execz .LBB127_2323
	s_branch .LBB127_2324
.LBB127_2387:
	s_mov_b64 s[24:25], -1
	s_mov_b64 s[22:23], 0
	s_mov_b64 s[18:19], 0
                                        ; implicit-def: $vgpr3
	s_branch .LBB127_2391
.LBB127_2388:
	s_andn2_saveexec_b64 s[66:67], s[66:67]
	s_cbranch_execz .LBB127_1169
.LBB127_2389:
	v_add_f32_e32 v2, 0x42800000, v3
	v_and_b32_e32 v2, 0xff, v2
	v_cmp_ne_u32_e32 vcc, 0, v2
	s_andn2_b64 s[64:65], s[64:65], exec
	s_and_b64 s[76:77], vcc, exec
	s_or_b64 s[64:65], s[64:65], s[76:77]
	s_or_b64 exec, exec, s[66:67]
	v_mov_b32_e32 v4, 0
	s_and_saveexec_b64 s[66:67], s[64:65]
	s_cbranch_execnz .LBB127_1170
	s_branch .LBB127_1171
.LBB127_2390:
	s_mov_b64 s[18:19], -1
                                        ; implicit-def: $vgpr3
	s_mov_b64 s[22:23], 0
.LBB127_2391:
	s_and_b64 vcc, exec, s[24:25]
	s_cbranch_vccz .LBB127_2395
; %bb.2392:
	s_cmp_eq_u32 s31, 44
	s_cbranch_scc0 .LBB127_2394
; %bb.2393:
	global_load_ubyte v3, v[10:11], off
	s_movk_i32 s22, 0xff
	v_mov_b32_e32 v8, 0x7e00
	s_mov_b64 s[18:19], 0
	s_waitcnt vmcnt(0)
	v_lshlrev_b32_e32 v5, 23, v3
	v_cvt_f16_f32_e32 v5, v5
	v_cmp_ne_u32_e32 vcc, s22, v3
	s_mov_b64 s[22:23], -1
	v_cndmask_b32_e32 v5, v8, v5, vcc
	v_cmp_ne_u32_e32 vcc, 0, v3
	v_cndmask_b32_e32 v3, 0, v5, vcc
	s_branch .LBB127_2395
.LBB127_2394:
	s_mov_b64 s[18:19], -1
                                        ; implicit-def: $vgpr3
.LBB127_2395:
	s_mov_b64 s[24:25], 0
.LBB127_2396:
	s_and_b64 vcc, exec, s[24:25]
	s_cbranch_vccz .LBB127_2400
; %bb.2397:
	s_cmp_eq_u32 s31, 29
	s_cbranch_scc0 .LBB127_2399
; %bb.2398:
	global_load_dwordx2 v[12:13], v[10:11], off
	s_mov_b64 s[18:19], 0
	s_mov_b64 s[22:23], -1
	s_mov_b64 s[24:25], 0
	s_waitcnt vmcnt(0)
	v_ffbh_u32_e32 v3, v13
	v_min_u32_e32 v3, 32, v3
	v_lshlrev_b64 v[12:13], v3, v[12:13]
	v_sub_u32_e32 v3, 32, v3
	v_min_u32_e32 v5, 1, v12
	v_or_b32_e32 v5, v13, v5
	v_cvt_f32_u32_e32 v5, v5
	v_ldexp_f32 v3, v5, v3
	v_cvt_f16_f32_e32 v3, v3
	s_branch .LBB127_2401
.LBB127_2399:
	s_mov_b64 s[18:19], -1
                                        ; implicit-def: $vgpr3
.LBB127_2400:
	s_mov_b64 s[24:25], 0
.LBB127_2401:
	s_and_b64 vcc, exec, s[24:25]
	s_cbranch_vccz .LBB127_2419
; %bb.2402:
	s_cmp_lt_i32 s31, 27
	s_cbranch_scc1 .LBB127_2405
; %bb.2403:
	s_cmp_gt_i32 s31, 27
	s_cbranch_scc0 .LBB127_2406
; %bb.2404:
	global_load_dword v3, v[10:11], off
	s_mov_b64 s[22:23], 0
	s_waitcnt vmcnt(0)
	v_cvt_f32_u32_e32 v3, v3
	v_cvt_f16_f32_e32 v3, v3
	s_branch .LBB127_2407
.LBB127_2405:
	s_mov_b64 s[22:23], -1
                                        ; implicit-def: $vgpr3
	s_branch .LBB127_2410
.LBB127_2406:
	s_mov_b64 s[22:23], -1
                                        ; implicit-def: $vgpr3
.LBB127_2407:
	s_andn2_b64 vcc, exec, s[22:23]
	s_cbranch_vccnz .LBB127_2409
; %bb.2408:
	global_load_ushort v3, v[10:11], off
	s_waitcnt vmcnt(0)
	v_cvt_f16_u16_e32 v3, v3
.LBB127_2409:
	s_mov_b64 s[22:23], 0
.LBB127_2410:
	s_andn2_b64 vcc, exec, s[22:23]
	s_cbranch_vccnz .LBB127_2418
; %bb.2411:
	global_load_ubyte v5, v[10:11], off
	s_movk_i32 s22, 0x7f
	s_waitcnt vmcnt(0)
	v_cmp_lt_i16_e32 vcc, s22, v5
	s_mov_b64 s[22:23], 0
	s_and_saveexec_b64 s[24:25], vcc
	s_xor_b64 s[24:25], exec, s[24:25]
	s_cbranch_execz .LBB127_2432
; %bb.2412:
	s_movk_i32 s22, 0x80
	v_cmp_eq_u16_e32 vcc, s22, v5
	s_mov_b64 s[22:23], -1
	s_and_saveexec_b64 s[26:27], vcc
; %bb.2413:
	s_xor_b64 s[22:23], exec, -1
; %bb.2414:
	s_or_b64 exec, exec, s[26:27]
	s_and_b64 s[22:23], s[22:23], exec
	s_or_saveexec_b64 s[24:25], s[24:25]
	v_mov_b32_e32 v3, 0x7e00
	s_xor_b64 exec, exec, s[24:25]
	s_cbranch_execnz .LBB127_2433
.LBB127_2415:
	s_or_b64 exec, exec, s[24:25]
	s_and_saveexec_b64 s[24:25], s[22:23]
	s_cbranch_execz .LBB127_2417
.LBB127_2416:
	v_lshlrev_b32_e32 v3, 24, v5
	v_and_b32_e32 v5, 0xffff, v5
	v_and_b32_e32 v8, 7, v5
	v_ffbh_u32_e32 v13, v8
	v_min_u32_e32 v13, 32, v13
	v_subrev_u32_e32 v14, 28, v13
	v_bfe_u32 v12, v5, 3, 4
	v_lshlrev_b32_e32 v5, v14, v5
	v_sub_u32_e32 v13, 29, v13
	v_and_b32_e32 v5, 7, v5
	v_cmp_eq_u32_e32 vcc, 0, v12
	v_cndmask_b32_e32 v12, v12, v13, vcc
	v_cndmask_b32_e32 v5, v8, v5, vcc
	v_mov_b32_e32 v8, 0x3b800000
	v_lshlrev_b32_e32 v5, 20, v5
	v_and_b32_e32 v3, 0x80000000, v3
	v_lshl_add_u32 v8, v12, 23, v8
	v_or3_b32 v3, v3, v8, v5
	v_cvt_f16_f32_e32 v3, v3
.LBB127_2417:
	s_or_b64 exec, exec, s[24:25]
.LBB127_2418:
	s_mov_b64 s[22:23], -1
.LBB127_2419:
	s_mov_b64 s[24:25], 0
.LBB127_2420:
	s_and_b64 vcc, exec, s[24:25]
	s_cbranch_vccz .LBB127_2453
; %bb.2421:
	s_cmp_gt_i32 s31, 22
	s_cbranch_scc0 .LBB127_2431
; %bb.2422:
	s_cmp_lt_i32 s31, 24
	s_cbranch_scc1 .LBB127_2434
; %bb.2423:
	s_cmp_gt_i32 s31, 24
	s_cbranch_scc0 .LBB127_2435
; %bb.2424:
	global_load_ubyte v5, v[10:11], off
	s_movk_i32 s20, 0x7f
	s_waitcnt vmcnt(0)
	v_cmp_lt_i16_e32 vcc, s20, v5
	s_mov_b64 s[20:21], 0
	s_and_saveexec_b64 s[22:23], vcc
	s_xor_b64 s[22:23], exec, s[22:23]
	s_cbranch_execz .LBB127_2447
; %bb.2425:
	s_movk_i32 s20, 0x80
	v_cmp_eq_u16_e32 vcc, s20, v5
	s_mov_b64 s[20:21], -1
	s_and_saveexec_b64 s[24:25], vcc
; %bb.2426:
	s_xor_b64 s[20:21], exec, -1
; %bb.2427:
	s_or_b64 exec, exec, s[24:25]
	s_and_b64 s[20:21], s[20:21], exec
	s_or_saveexec_b64 s[22:23], s[22:23]
	v_mov_b32_e32 v3, 0x7e00
	s_xor_b64 exec, exec, s[22:23]
	s_cbranch_execnz .LBB127_2448
.LBB127_2428:
	s_or_b64 exec, exec, s[22:23]
	s_and_saveexec_b64 s[22:23], s[20:21]
	s_cbranch_execz .LBB127_2430
.LBB127_2429:
	v_lshlrev_b32_e32 v3, 24, v5
	v_and_b32_e32 v5, 0xffff, v5
	v_and_b32_e32 v8, 3, v5
	v_ffbh_u32_e32 v13, v8
	v_min_u32_e32 v13, 32, v13
	v_subrev_u32_e32 v14, 29, v13
	v_bfe_u32 v12, v5, 2, 5
	v_lshlrev_b32_e32 v5, v14, v5
	v_sub_u32_e32 v13, 30, v13
	v_and_b32_e32 v5, 3, v5
	v_cmp_eq_u32_e32 vcc, 0, v12
	v_cndmask_b32_e32 v12, v12, v13, vcc
	v_cndmask_b32_e32 v5, v8, v5, vcc
	v_mov_b32_e32 v8, 0x37800000
	v_lshlrev_b32_e32 v5, 21, v5
	v_and_b32_e32 v3, 0x80000000, v3
	v_lshl_add_u32 v8, v12, 23, v8
	v_or3_b32 v3, v3, v8, v5
	v_cvt_f16_f32_e32 v3, v3
.LBB127_2430:
	s_or_b64 exec, exec, s[22:23]
	s_mov_b64 s[20:21], 0
	s_branch .LBB127_2436
.LBB127_2431:
	s_mov_b64 s[20:21], -1
                                        ; implicit-def: $vgpr3
	s_branch .LBB127_2442
.LBB127_2432:
	s_or_saveexec_b64 s[24:25], s[24:25]
	v_mov_b32_e32 v3, 0x7e00
	s_xor_b64 exec, exec, s[24:25]
	s_cbranch_execz .LBB127_2415
.LBB127_2433:
	v_cmp_ne_u16_e32 vcc, 0, v5
	s_andn2_b64 s[22:23], s[22:23], exec
	s_and_b64 s[26:27], vcc, exec
	s_or_b64 s[22:23], s[22:23], s[26:27]
	v_mov_b32_e32 v3, v5
	s_or_b64 exec, exec, s[24:25]
	s_and_saveexec_b64 s[24:25], s[22:23]
	s_cbranch_execnz .LBB127_2416
	s_branch .LBB127_2417
.LBB127_2434:
	s_mov_b64 s[20:21], -1
                                        ; implicit-def: $vgpr3
	s_branch .LBB127_2439
.LBB127_2435:
	s_mov_b64 s[20:21], -1
                                        ; implicit-def: $vgpr3
.LBB127_2436:
	s_and_b64 vcc, exec, s[20:21]
	s_cbranch_vccz .LBB127_2438
; %bb.2437:
	global_load_ubyte v3, v[10:11], off
	s_mov_b32 s20, 0x7f800000
	s_waitcnt vmcnt(0)
	v_lshlrev_b32_e32 v3, 24, v3
	v_and_b32_e32 v5, 0x7f000000, v3
	v_ffbh_u32_e32 v8, v5
	v_min_u32_e32 v8, 32, v8
	v_sub_u32_e64 v8, v8, 4 clamp
	v_lshlrev_b32_e32 v13, v8, v5
	v_lshlrev_b32_e32 v8, 23, v8
	v_lshrrev_b32_e32 v13, 4, v13
	v_add_u32_e32 v12, 0x1000000, v5
	v_sub_u32_e32 v8, v13, v8
	v_ashrrev_i32_e32 v12, 8, v12
	v_add_u32_e32 v8, 0x3c000000, v8
	v_and_or_b32 v8, v12, s20, v8
	v_cmp_ne_u32_e32 vcc, 0, v5
	v_cndmask_b32_e32 v5, 0, v8, vcc
	s_brev_b32 s20, 1
	v_and_or_b32 v3, v3, s20, v5
	v_cvt_f16_f32_e32 v3, v3
.LBB127_2438:
	s_mov_b64 s[20:21], 0
.LBB127_2439:
	s_andn2_b64 vcc, exec, s[20:21]
	s_cbranch_vccnz .LBB127_2441
; %bb.2440:
	global_load_ubyte v3, v[10:11], off
	s_movk_i32 s20, 0x7f00
	s_brev_b32 s21, 16
	s_waitcnt vmcnt(0)
	v_lshlrev_b16_e32 v5, 8, v3
	v_lshlrev_b32_e32 v3, 25, v3
	v_lshrrev_b32_e32 v8, 4, v3
	v_and_or_b32 v12, v5, s20, 0.5
	v_or_b32_e32 v8, 0x70000000, v8
	v_add_f32_e32 v12, -0.5, v12
	v_mul_f32_e32 v8, 0x7800000, v8
	v_cmp_gt_u32_e32 vcc, s21, v3
	v_bfe_i32 v5, v5, 0, 16
	v_cndmask_b32_e32 v3, v8, v12, vcc
	s_brev_b32 s20, 1
	v_and_or_b32 v3, v5, s20, v3
	v_cvt_f16_f32_e32 v3, v3
.LBB127_2441:
	s_mov_b64 s[20:21], 0
	s_mov_b64 s[22:23], -1
.LBB127_2442:
	s_andn2_b64 vcc, exec, s[20:21]
	s_mov_b64 s[20:21], 0
	s_cbranch_vccnz .LBB127_2453
; %bb.2443:
	s_cmp_gt_i32 s31, 14
	s_cbranch_scc0 .LBB127_2446
; %bb.2444:
	s_cmp_eq_u32 s31, 15
	s_cbranch_scc0 .LBB127_2449
; %bb.2445:
	global_load_ushort v3, v[10:11], off
	s_mov_b64 s[18:19], 0
	s_mov_b64 s[22:23], -1
	s_waitcnt vmcnt(0)
	v_lshlrev_b32_e32 v3, 16, v3
	v_cvt_f16_f32_e32 v3, v3
	s_branch .LBB127_2450
.LBB127_2446:
	s_mov_b64 s[24:25], -1
                                        ; implicit-def: $vgpr3
	s_branch .LBB127_2451
.LBB127_2447:
	s_or_saveexec_b64 s[22:23], s[22:23]
	v_mov_b32_e32 v3, 0x7e00
	s_xor_b64 exec, exec, s[22:23]
	s_cbranch_execz .LBB127_2428
.LBB127_2448:
	v_cmp_ne_u16_e32 vcc, 0, v5
	s_andn2_b64 s[20:21], s[20:21], exec
	s_and_b64 s[24:25], vcc, exec
	s_or_b64 s[20:21], s[20:21], s[24:25]
	v_mov_b32_e32 v3, v5
	s_or_b64 exec, exec, s[22:23]
	s_and_saveexec_b64 s[22:23], s[20:21]
	s_cbranch_execnz .LBB127_2429
	s_branch .LBB127_2430
.LBB127_2449:
	s_mov_b64 s[18:19], -1
                                        ; implicit-def: $vgpr3
.LBB127_2450:
	s_mov_b64 s[24:25], 0
.LBB127_2451:
	s_and_b64 vcc, exec, s[24:25]
	s_cbranch_vccz .LBB127_2453
; %bb.2452:
	s_cmp_lg_u32 s31, 11
	s_mov_b64 s[20:21], -1
	s_cselect_b64 s[18:19], -1, 0
.LBB127_2453:
	s_and_b64 vcc, exec, s[18:19]
	s_cbranch_vccnz .LBB127_2535
; %bb.2454:
	s_andn2_b64 vcc, exec, s[20:21]
	s_cbranch_vccnz .LBB127_2456
.LBB127_2455:
	global_load_ubyte v3, v[10:11], off
	v_mov_b32_e32 v5, 0x3c00
	s_mov_b64 s[22:23], -1
	s_waitcnt vmcnt(0)
	v_cmp_ne_u16_e32 vcc, 0, v3
	v_cndmask_b32_e32 v3, 0, v5, vcc
.LBB127_2456:
	s_mov_b64 s[18:19], 0
.LBB127_2457:
	s_and_b64 vcc, exec, s[18:19]
	s_cbranch_vccz .LBB127_2506
; %bb.2458:
	s_and_b32 s20, 0xffff, s30
	s_cmp_lt_i32 s20, 5
	s_cbranch_scc1 .LBB127_2463
; %bb.2459:
	s_cmp_lt_i32 s20, 8
	s_cbranch_scc1 .LBB127_2464
; %bb.2460:
	;; [unrolled: 3-line block ×3, first 2 shown]
	s_cmp_gt_i32 s20, 9
	s_cbranch_scc0 .LBB127_2466
; %bb.2462:
	global_load_dwordx2 v[12:13], v[10:11], off
	s_movk_i32 s18, 0x1ff
	s_movk_i32 s19, 0xffe
	v_mov_b32_e32 v3, 0x7c00
	v_mov_b32_e32 v5, 0x7e00
	s_movk_i32 s21, 0x40f
	s_mov_b32 s22, 0x8000
	s_waitcnt vmcnt(0)
	v_and_or_b32 v8, v13, s18, v12
	v_cmp_ne_u32_e32 vcc, 0, v8
	v_lshrrev_b32_e32 v12, 8, v13
	v_bfe_u32 v14, v13, 20, 11
	v_cndmask_b32_e64 v8, 0, 1, vcc
	v_sub_u32_e32 v15, 0x3f1, v14
	v_and_or_b32 v8, v12, s19, v8
	v_add_u32_e32 v14, 0xfffffc10, v14
	v_med3_i32 v12, v15, 0, 13
	v_or_b32_e32 v15, 0x1000, v8
	v_lshl_or_b32 v16, v14, 12, v8
	v_cmp_ne_u32_e32 vcc, 0, v8
	v_lshrrev_b32_e32 v8, v12, v15
	v_lshlrev_b32_e32 v12, v12, v8
	v_cndmask_b32_e32 v5, v3, v5, vcc
	v_cmp_ne_u32_e32 vcc, v12, v15
	v_cndmask_b32_e64 v12, 0, 1, vcc
	v_or_b32_e32 v8, v8, v12
	v_cmp_gt_i32_e32 vcc, 1, v14
	v_cndmask_b32_e32 v8, v16, v8, vcc
	v_and_b32_e32 v12, 7, v8
	v_cmp_lt_i32_e32 vcc, 5, v12
	v_cndmask_b32_e64 v15, 0, 1, vcc
	v_cmp_eq_u32_e32 vcc, 3, v12
	v_cndmask_b32_e64 v12, 0, 1, vcc
	v_lshrrev_b32_e32 v8, 2, v8
	v_or_b32_e32 v12, v12, v15
	v_add_u32_e32 v8, v8, v12
	v_cmp_gt_i32_e32 vcc, 31, v14
	v_cndmask_b32_e32 v3, v3, v8, vcc
	v_cmp_eq_u32_e32 vcc, s21, v14
	v_lshrrev_b32_e32 v13, 16, v13
	v_cndmask_b32_e32 v3, v3, v5, vcc
	v_and_or_b32 v3, v13, s22, v3
	s_mov_b64 s[18:19], 0
	s_branch .LBB127_2467
.LBB127_2463:
	s_mov_b64 s[18:19], -1
                                        ; implicit-def: $vgpr3
	s_branch .LBB127_2485
.LBB127_2464:
	s_mov_b64 s[18:19], -1
                                        ; implicit-def: $vgpr3
	s_branch .LBB127_2473
.LBB127_2465:
	s_mov_b64 s[18:19], -1
                                        ; implicit-def: $vgpr3
	s_branch .LBB127_2470
.LBB127_2466:
	s_mov_b64 s[18:19], -1
                                        ; implicit-def: $vgpr3
.LBB127_2467:
	s_andn2_b64 vcc, exec, s[18:19]
	s_cbranch_vccnz .LBB127_2469
; %bb.2468:
	global_load_dword v3, v[10:11], off
	s_waitcnt vmcnt(0)
	v_cvt_f16_f32_e32 v3, v3
.LBB127_2469:
	s_mov_b64 s[18:19], 0
.LBB127_2470:
	s_andn2_b64 vcc, exec, s[18:19]
	s_cbranch_vccnz .LBB127_2472
; %bb.2471:
	global_load_dword v3, v[10:11], off
.LBB127_2472:
	s_mov_b64 s[18:19], 0
.LBB127_2473:
	s_andn2_b64 vcc, exec, s[18:19]
	s_cbranch_vccnz .LBB127_2484
; %bb.2474:
	s_cmp_lt_i32 s20, 6
	s_cbranch_scc1 .LBB127_2477
; %bb.2475:
	s_cmp_gt_i32 s20, 6
	s_cbranch_scc0 .LBB127_2478
; %bb.2476:
	global_load_dwordx2 v[12:13], v[10:11], off
	s_movk_i32 s18, 0x1ff
	s_movk_i32 s19, 0xffe
	s_waitcnt vmcnt(1)
	v_mov_b32_e32 v3, 0x7c00
	v_mov_b32_e32 v5, 0x7e00
	s_movk_i32 s21, 0x40f
	s_mov_b32 s22, 0x8000
	s_waitcnt vmcnt(0)
	v_and_or_b32 v8, v13, s18, v12
	v_cmp_ne_u32_e32 vcc, 0, v8
	v_lshrrev_b32_e32 v12, 8, v13
	v_bfe_u32 v14, v13, 20, 11
	v_cndmask_b32_e64 v8, 0, 1, vcc
	v_sub_u32_e32 v15, 0x3f1, v14
	v_and_or_b32 v8, v12, s19, v8
	v_add_u32_e32 v14, 0xfffffc10, v14
	v_med3_i32 v12, v15, 0, 13
	v_or_b32_e32 v15, 0x1000, v8
	v_lshl_or_b32 v16, v14, 12, v8
	v_cmp_ne_u32_e32 vcc, 0, v8
	v_lshrrev_b32_e32 v8, v12, v15
	v_lshlrev_b32_e32 v12, v12, v8
	v_cndmask_b32_e32 v5, v3, v5, vcc
	v_cmp_ne_u32_e32 vcc, v12, v15
	v_cndmask_b32_e64 v12, 0, 1, vcc
	v_or_b32_e32 v8, v8, v12
	v_cmp_gt_i32_e32 vcc, 1, v14
	v_cndmask_b32_e32 v8, v16, v8, vcc
	v_and_b32_e32 v12, 7, v8
	v_cmp_lt_i32_e32 vcc, 5, v12
	v_cndmask_b32_e64 v15, 0, 1, vcc
	v_cmp_eq_u32_e32 vcc, 3, v12
	v_cndmask_b32_e64 v12, 0, 1, vcc
	v_lshrrev_b32_e32 v8, 2, v8
	v_or_b32_e32 v12, v12, v15
	v_add_u32_e32 v8, v8, v12
	v_cmp_gt_i32_e32 vcc, 31, v14
	v_cndmask_b32_e32 v3, v3, v8, vcc
	v_cmp_eq_u32_e32 vcc, s21, v14
	v_lshrrev_b32_e32 v13, 16, v13
	v_cndmask_b32_e32 v3, v3, v5, vcc
	v_and_or_b32 v3, v13, s22, v3
	s_mov_b64 s[18:19], 0
	s_branch .LBB127_2479
.LBB127_2477:
	s_mov_b64 s[18:19], -1
                                        ; implicit-def: $vgpr3
	s_branch .LBB127_2482
.LBB127_2478:
	s_mov_b64 s[18:19], -1
                                        ; implicit-def: $vgpr3
.LBB127_2479:
	s_andn2_b64 vcc, exec, s[18:19]
	s_cbranch_vccnz .LBB127_2481
; %bb.2480:
	global_load_dword v3, v[10:11], off
	s_waitcnt vmcnt(0)
	v_cvt_f16_f32_e32 v3, v3
.LBB127_2481:
	s_mov_b64 s[18:19], 0
.LBB127_2482:
	s_andn2_b64 vcc, exec, s[18:19]
	s_cbranch_vccnz .LBB127_2484
; %bb.2483:
	global_load_ushort v3, v[10:11], off
.LBB127_2484:
	s_mov_b64 s[18:19], 0
.LBB127_2485:
	s_andn2_b64 vcc, exec, s[18:19]
	s_cbranch_vccnz .LBB127_2505
; %bb.2486:
	s_cmp_lt_i32 s20, 2
	s_cbranch_scc1 .LBB127_2490
; %bb.2487:
	s_cmp_lt_i32 s20, 3
	s_cbranch_scc1 .LBB127_2491
; %bb.2488:
	s_cmp_gt_i32 s20, 3
	s_cbranch_scc0 .LBB127_2492
; %bb.2489:
	global_load_dwordx2 v[12:13], v[10:11], off
	s_mov_b64 s[18:19], 0
	s_waitcnt vmcnt(0)
	v_xor_b32_e32 v5, v12, v13
	v_ffbh_i32_e32 v3, v13
	v_ashrrev_i32_e32 v5, 31, v5
	v_add_u32_e32 v3, -1, v3
	v_add_u32_e32 v5, 32, v5
	v_min_u32_e32 v3, v3, v5
	v_lshlrev_b64 v[12:13], v3, v[12:13]
	v_sub_u32_e32 v3, 32, v3
	v_min_u32_e32 v5, 1, v12
	v_or_b32_e32 v5, v13, v5
	v_cvt_f32_i32_e32 v5, v5
	v_ldexp_f32 v3, v5, v3
	v_cvt_f16_f32_e32 v3, v3
	s_branch .LBB127_2493
.LBB127_2490:
	s_mov_b64 s[18:19], -1
                                        ; implicit-def: $vgpr3
	s_branch .LBB127_2499
.LBB127_2491:
	s_mov_b64 s[18:19], -1
                                        ; implicit-def: $vgpr3
	s_branch .LBB127_2496
.LBB127_2492:
	s_mov_b64 s[18:19], -1
                                        ; implicit-def: $vgpr3
.LBB127_2493:
	s_andn2_b64 vcc, exec, s[18:19]
	s_cbranch_vccnz .LBB127_2495
; %bb.2494:
	global_load_dword v3, v[10:11], off
	s_waitcnt vmcnt(0)
	v_cvt_f32_i32_e32 v3, v3
	v_cvt_f16_f32_e32 v3, v3
.LBB127_2495:
	s_mov_b64 s[18:19], 0
.LBB127_2496:
	s_andn2_b64 vcc, exec, s[18:19]
	s_cbranch_vccnz .LBB127_2498
; %bb.2497:
	global_load_ushort v3, v[10:11], off
	s_waitcnt vmcnt(0)
	v_cvt_f16_i16_e32 v3, v3
.LBB127_2498:
	s_mov_b64 s[18:19], 0
.LBB127_2499:
	s_andn2_b64 vcc, exec, s[18:19]
	s_cbranch_vccnz .LBB127_2505
; %bb.2500:
	s_cmp_gt_i32 s20, 0
	s_cbranch_scc0 .LBB127_2502
; %bb.2501:
	global_load_sbyte v3, v[10:11], off
	s_mov_b64 s[18:19], 0
	s_waitcnt vmcnt(0)
	v_cvt_f16_i16_e32 v3, v3
	s_branch .LBB127_2503
.LBB127_2502:
	s_mov_b64 s[18:19], -1
                                        ; implicit-def: $vgpr3
.LBB127_2503:
	s_andn2_b64 vcc, exec, s[18:19]
	s_cbranch_vccnz .LBB127_2505
; %bb.2504:
	global_load_ubyte v3, v[10:11], off
	s_waitcnt vmcnt(0)
	v_cvt_f16_u16_e32 v3, v3
.LBB127_2505:
	s_mov_b64 s[22:23], -1
.LBB127_2506:
	s_andn2_b64 vcc, exec, s[22:23]
	s_cbranch_vccnz .LBB127_2788
; %bb.2507:
	s_cmp_lt_i32 s28, 1
	s_mov_b64 s[20:21], 0
	s_cbranch_scc1 .LBB127_2511
; %bb.2508:
	s_cmp_gt_i32 s28, 1
	s_cbranch_scc0 .LBB127_2512
; %bb.2509:
	s_cmp_eq_u32 s28, 2
	s_cbranch_scc0 .LBB127_2513
; %bb.2510:
	s_waitcnt vmcnt(0)
	v_cmp_le_f16_e64 s[18:19], v1, v3
	s_mov_b64 s[22:23], 0
	s_branch .LBB127_2514
.LBB127_2511:
	s_mov_b64 s[24:25], -1
                                        ; implicit-def: $sgpr18_sgpr19
	s_mov_b64 s[22:23], 0
	s_branch .LBB127_2518
.LBB127_2512:
	s_mov_b64 s[24:25], -1
	s_mov_b64 s[22:23], 0
                                        ; implicit-def: $sgpr18_sgpr19
	s_branch .LBB127_2515
.LBB127_2513:
	s_mov_b64 s[22:23], -1
                                        ; implicit-def: $sgpr18_sgpr19
.LBB127_2514:
	s_mov_b64 s[24:25], 0
.LBB127_2515:
	s_and_b64 vcc, exec, s[24:25]
	s_cbranch_vccz .LBB127_2517
; %bb.2516:
	s_waitcnt vmcnt(0)
	v_cmp_gt_f16_e32 vcc, v1, v3
	s_andn2_b64 s[18:19], s[18:19], exec
	s_and_b64 s[24:25], vcc, exec
	s_or_b64 s[18:19], s[18:19], s[24:25]
.LBB127_2517:
	s_mov_b64 s[24:25], 0
.LBB127_2518:
	s_and_b64 vcc, exec, s[24:25]
	s_cbranch_vccz .LBB127_2529
; %bb.2519:
	s_cmp_lg_u32 s28, 0
	s_mov_b64 s[20:21], -1
	s_cselect_b64 s[22:23], -1, 0
	s_andn2_b64 vcc, exec, s[22:23]
	s_cbranch_vccz .LBB127_2530
.LBB127_2520:
	s_andn2_b64 vcc, exec, s[20:21]
	s_cbranch_vccnz .LBB127_2522
.LBB127_2521:
	s_waitcnt vmcnt(0)
	v_cmp_ge_f16_e32 vcc, v1, v3
	s_andn2_b64 s[18:19], s[18:19], exec
	s_and_b64 s[20:21], vcc, exec
	s_or_b64 s[18:19], s[18:19], s[20:21]
.LBB127_2522:
	v_mov_b32_e32 v1, s11
	v_add_co_u32_e32 v8, vcc, s10, v9
	s_cmp_lt_i32 s29, 11
	v_addc_co_u32_e32 v9, vcc, 0, v1, vcc
	s_cbranch_scc1 .LBB127_2531
; %bb.2523:
	s_and_b32 s31, 0xffff, s29
	s_cmp_gt_i32 s31, 25
	s_mov_b64 s[20:21], 0
	s_cbranch_scc0 .LBB127_2532
; %bb.2524:
	s_cmp_gt_i32 s31, 28
	s_cbranch_scc0 .LBB127_2533
; %bb.2525:
	s_cmp_gt_i32 s31, 43
	;; [unrolled: 3-line block ×3, first 2 shown]
	s_cbranch_scc0 .LBB127_2536
; %bb.2527:
	s_cmp_eq_u32 s31, 46
	s_mov_b64 s[24:25], 0
	s_cbranch_scc0 .LBB127_2537
; %bb.2528:
	global_load_dword v1, v[8:9], off
	s_mov_b64 s[10:11], 0
	s_mov_b64 s[22:23], -1
	s_waitcnt vmcnt(0)
	v_lshlrev_b32_e32 v1, 16, v1
	v_cvt_f16_f32_e32 v1, v1
	s_branch .LBB127_2538
.LBB127_2529:
	s_andn2_b64 vcc, exec, s[22:23]
	s_cbranch_vccnz .LBB127_2520
.LBB127_2530:
	s_waitcnt vmcnt(0)
	v_cmp_lt_f16_e32 vcc, v1, v3
	s_andn2_b64 s[18:19], s[18:19], exec
	s_and_b64 s[22:23], vcc, exec
	s_or_b64 s[18:19], s[18:19], s[22:23]
	s_cbranch_execz .LBB127_2521
	s_branch .LBB127_2522
.LBB127_2531:
	s_mov_b64 s[10:11], -1
	s_mov_b64 s[22:23], 0
                                        ; implicit-def: $vgpr1
	s_branch .LBB127_2604
.LBB127_2532:
	s_mov_b64 s[24:25], -1
	s_mov_b64 s[22:23], 0
	s_mov_b64 s[10:11], 0
                                        ; implicit-def: $vgpr1
	s_branch .LBB127_2567
.LBB127_2533:
	s_mov_b64 s[24:25], -1
	s_mov_b64 s[22:23], 0
	s_mov_b64 s[10:11], 0
                                        ; implicit-def: $vgpr1
	s_branch .LBB127_2548
.LBB127_2534:
	s_mov_b64 s[24:25], -1
	s_mov_b64 s[22:23], 0
	s_mov_b64 s[10:11], 0
                                        ; implicit-def: $vgpr1
	s_branch .LBB127_2543
.LBB127_2535:
	s_trap 2
	s_or_b64 s[4:5], s[4:5], exec
	s_cbranch_execz .LBB127_2455
	s_branch .LBB127_2456
.LBB127_2536:
	s_mov_b64 s[24:25], -1
	s_mov_b64 s[22:23], 0
	s_mov_b64 s[10:11], 0
                                        ; implicit-def: $vgpr1
	s_branch .LBB127_2538
.LBB127_2537:
	s_mov_b64 s[10:11], -1
                                        ; implicit-def: $vgpr1
	s_mov_b64 s[22:23], 0
.LBB127_2538:
	s_and_b64 vcc, exec, s[24:25]
	s_cbranch_vccz .LBB127_2542
; %bb.2539:
	s_cmp_eq_u32 s31, 44
	s_cbranch_scc0 .LBB127_2541
; %bb.2540:
	global_load_ubyte v1, v[8:9], off
	s_movk_i32 s22, 0xff
	v_mov_b32_e32 v5, 0x7e00
	s_mov_b64 s[10:11], 0
	s_waitcnt vmcnt(0)
	v_lshlrev_b32_e32 v3, 23, v1
	v_cvt_f16_f32_e32 v3, v3
	v_cmp_ne_u32_e32 vcc, s22, v1
	s_mov_b64 s[22:23], -1
	v_cndmask_b32_e32 v3, v5, v3, vcc
	v_cmp_ne_u32_e32 vcc, 0, v1
	v_cndmask_b32_e32 v1, 0, v3, vcc
	s_branch .LBB127_2542
.LBB127_2541:
	s_mov_b64 s[10:11], -1
                                        ; implicit-def: $vgpr1
.LBB127_2542:
	s_mov_b64 s[24:25], 0
.LBB127_2543:
	s_and_b64 vcc, exec, s[24:25]
	s_cbranch_vccz .LBB127_2547
; %bb.2544:
	s_cmp_eq_u32 s31, 29
	s_cbranch_scc0 .LBB127_2546
; %bb.2545:
	global_load_dwordx2 v[10:11], v[8:9], off
	s_mov_b64 s[10:11], 0
	s_mov_b64 s[22:23], -1
	s_mov_b64 s[24:25], 0
	s_waitcnt vmcnt(0)
	v_ffbh_u32_e32 v1, v11
	v_min_u32_e32 v1, 32, v1
	v_lshlrev_b64 v[10:11], v1, v[10:11]
	v_sub_u32_e32 v1, 32, v1
	v_min_u32_e32 v3, 1, v10
	v_or_b32_e32 v3, v11, v3
	v_cvt_f32_u32_e32 v3, v3
	v_ldexp_f32 v1, v3, v1
	v_cvt_f16_f32_e32 v1, v1
	s_branch .LBB127_2548
.LBB127_2546:
	s_mov_b64 s[10:11], -1
                                        ; implicit-def: $vgpr1
.LBB127_2547:
	s_mov_b64 s[24:25], 0
.LBB127_2548:
	s_and_b64 vcc, exec, s[24:25]
	s_cbranch_vccz .LBB127_2566
; %bb.2549:
	s_cmp_lt_i32 s31, 27
	s_cbranch_scc1 .LBB127_2552
; %bb.2550:
	s_cmp_gt_i32 s31, 27
	s_cbranch_scc0 .LBB127_2553
; %bb.2551:
	global_load_dword v1, v[8:9], off
	s_mov_b64 s[22:23], 0
	s_waitcnt vmcnt(0)
	v_cvt_f32_u32_e32 v1, v1
	v_cvt_f16_f32_e32 v1, v1
	s_branch .LBB127_2554
.LBB127_2552:
	s_mov_b64 s[22:23], -1
                                        ; implicit-def: $vgpr1
	s_branch .LBB127_2557
.LBB127_2553:
	s_mov_b64 s[22:23], -1
                                        ; implicit-def: $vgpr1
.LBB127_2554:
	s_andn2_b64 vcc, exec, s[22:23]
	s_cbranch_vccnz .LBB127_2556
; %bb.2555:
	global_load_ushort v1, v[8:9], off
	s_waitcnt vmcnt(0)
	v_cvt_f16_u16_e32 v1, v1
.LBB127_2556:
	s_mov_b64 s[22:23], 0
.LBB127_2557:
	s_andn2_b64 vcc, exec, s[22:23]
	s_cbranch_vccnz .LBB127_2565
; %bb.2558:
	global_load_ubyte v3, v[8:9], off
	s_movk_i32 s22, 0x7f
	s_waitcnt vmcnt(0)
	v_cmp_lt_i16_e32 vcc, s22, v3
	s_mov_b64 s[22:23], 0
	s_and_saveexec_b64 s[24:25], vcc
	s_xor_b64 s[24:25], exec, s[24:25]
	s_cbranch_execz .LBB127_2579
; %bb.2559:
	s_movk_i32 s22, 0x80
	v_cmp_eq_u16_e32 vcc, s22, v3
	s_mov_b64 s[22:23], -1
	s_and_saveexec_b64 s[26:27], vcc
; %bb.2560:
	s_xor_b64 s[22:23], exec, -1
; %bb.2561:
	s_or_b64 exec, exec, s[26:27]
	s_and_b64 s[22:23], s[22:23], exec
	s_or_saveexec_b64 s[24:25], s[24:25]
	v_mov_b32_e32 v1, 0x7e00
	s_xor_b64 exec, exec, s[24:25]
	s_cbranch_execnz .LBB127_2580
.LBB127_2562:
	s_or_b64 exec, exec, s[24:25]
	s_and_saveexec_b64 s[24:25], s[22:23]
	s_cbranch_execz .LBB127_2564
.LBB127_2563:
	v_lshlrev_b32_e32 v1, 24, v3
	v_and_b32_e32 v3, 0xffff, v3
	v_and_b32_e32 v5, 7, v3
	v_ffbh_u32_e32 v11, v5
	v_min_u32_e32 v11, 32, v11
	v_subrev_u32_e32 v12, 28, v11
	v_bfe_u32 v10, v3, 3, 4
	v_lshlrev_b32_e32 v3, v12, v3
	v_sub_u32_e32 v11, 29, v11
	v_and_b32_e32 v3, 7, v3
	v_cmp_eq_u32_e32 vcc, 0, v10
	v_cndmask_b32_e32 v10, v10, v11, vcc
	v_cndmask_b32_e32 v3, v5, v3, vcc
	v_mov_b32_e32 v5, 0x3b800000
	v_lshlrev_b32_e32 v3, 20, v3
	v_and_b32_e32 v1, 0x80000000, v1
	v_lshl_add_u32 v5, v10, 23, v5
	v_or3_b32 v1, v1, v5, v3
	v_cvt_f16_f32_e32 v1, v1
.LBB127_2564:
	s_or_b64 exec, exec, s[24:25]
.LBB127_2565:
	s_mov_b64 s[22:23], -1
.LBB127_2566:
	s_mov_b64 s[24:25], 0
.LBB127_2567:
	s_and_b64 vcc, exec, s[24:25]
	s_cbranch_vccz .LBB127_2600
; %bb.2568:
	s_cmp_gt_i32 s31, 22
	s_cbranch_scc0 .LBB127_2578
; %bb.2569:
	s_cmp_lt_i32 s31, 24
	s_cbranch_scc1 .LBB127_2581
; %bb.2570:
	s_cmp_gt_i32 s31, 24
	s_cbranch_scc0 .LBB127_2582
; %bb.2571:
	global_load_ubyte v3, v[8:9], off
	s_movk_i32 s20, 0x7f
	s_waitcnt vmcnt(0)
	v_cmp_lt_i16_e32 vcc, s20, v3
	s_mov_b64 s[20:21], 0
	s_and_saveexec_b64 s[22:23], vcc
	s_xor_b64 s[22:23], exec, s[22:23]
	s_cbranch_execz .LBB127_2594
; %bb.2572:
	s_movk_i32 s20, 0x80
	v_cmp_eq_u16_e32 vcc, s20, v3
	s_mov_b64 s[20:21], -1
	s_and_saveexec_b64 s[24:25], vcc
; %bb.2573:
	s_xor_b64 s[20:21], exec, -1
; %bb.2574:
	s_or_b64 exec, exec, s[24:25]
	s_and_b64 s[20:21], s[20:21], exec
	s_or_saveexec_b64 s[22:23], s[22:23]
	v_mov_b32_e32 v1, 0x7e00
	s_xor_b64 exec, exec, s[22:23]
	s_cbranch_execnz .LBB127_2595
.LBB127_2575:
	s_or_b64 exec, exec, s[22:23]
	s_and_saveexec_b64 s[22:23], s[20:21]
	s_cbranch_execz .LBB127_2577
.LBB127_2576:
	v_lshlrev_b32_e32 v1, 24, v3
	v_and_b32_e32 v3, 0xffff, v3
	v_and_b32_e32 v5, 3, v3
	v_ffbh_u32_e32 v11, v5
	v_min_u32_e32 v11, 32, v11
	v_subrev_u32_e32 v12, 29, v11
	v_bfe_u32 v10, v3, 2, 5
	v_lshlrev_b32_e32 v3, v12, v3
	v_sub_u32_e32 v11, 30, v11
	v_and_b32_e32 v3, 3, v3
	v_cmp_eq_u32_e32 vcc, 0, v10
	v_cndmask_b32_e32 v10, v10, v11, vcc
	v_cndmask_b32_e32 v3, v5, v3, vcc
	v_mov_b32_e32 v5, 0x37800000
	v_lshlrev_b32_e32 v3, 21, v3
	v_and_b32_e32 v1, 0x80000000, v1
	v_lshl_add_u32 v5, v10, 23, v5
	v_or3_b32 v1, v1, v5, v3
	v_cvt_f16_f32_e32 v1, v1
.LBB127_2577:
	s_or_b64 exec, exec, s[22:23]
	s_mov_b64 s[20:21], 0
	s_branch .LBB127_2583
.LBB127_2578:
	s_mov_b64 s[20:21], -1
                                        ; implicit-def: $vgpr1
	s_branch .LBB127_2589
.LBB127_2579:
	s_or_saveexec_b64 s[24:25], s[24:25]
	v_mov_b32_e32 v1, 0x7e00
	s_xor_b64 exec, exec, s[24:25]
	s_cbranch_execz .LBB127_2562
.LBB127_2580:
	v_cmp_ne_u16_e32 vcc, 0, v3
	s_andn2_b64 s[22:23], s[22:23], exec
	s_and_b64 s[26:27], vcc, exec
	s_or_b64 s[22:23], s[22:23], s[26:27]
	v_mov_b32_e32 v1, v3
	s_or_b64 exec, exec, s[24:25]
	s_and_saveexec_b64 s[24:25], s[22:23]
	s_cbranch_execnz .LBB127_2563
	s_branch .LBB127_2564
.LBB127_2581:
	s_mov_b64 s[20:21], -1
                                        ; implicit-def: $vgpr1
	s_branch .LBB127_2586
.LBB127_2582:
	s_mov_b64 s[20:21], -1
                                        ; implicit-def: $vgpr1
.LBB127_2583:
	s_and_b64 vcc, exec, s[20:21]
	s_cbranch_vccz .LBB127_2585
; %bb.2584:
	global_load_ubyte v1, v[8:9], off
	s_mov_b32 s20, 0x7f800000
	s_waitcnt vmcnt(0)
	v_lshlrev_b32_e32 v1, 24, v1
	v_and_b32_e32 v3, 0x7f000000, v1
	v_ffbh_u32_e32 v5, v3
	v_min_u32_e32 v5, 32, v5
	v_sub_u32_e64 v5, v5, 4 clamp
	v_lshlrev_b32_e32 v11, v5, v3
	v_lshlrev_b32_e32 v5, 23, v5
	v_lshrrev_b32_e32 v11, 4, v11
	v_add_u32_e32 v10, 0x1000000, v3
	v_sub_u32_e32 v5, v11, v5
	v_ashrrev_i32_e32 v10, 8, v10
	v_add_u32_e32 v5, 0x3c000000, v5
	v_and_or_b32 v5, v10, s20, v5
	v_cmp_ne_u32_e32 vcc, 0, v3
	v_cndmask_b32_e32 v3, 0, v5, vcc
	s_brev_b32 s20, 1
	v_and_or_b32 v1, v1, s20, v3
	v_cvt_f16_f32_e32 v1, v1
.LBB127_2585:
	s_mov_b64 s[20:21], 0
.LBB127_2586:
	s_andn2_b64 vcc, exec, s[20:21]
	s_cbranch_vccnz .LBB127_2588
; %bb.2587:
	global_load_ubyte v1, v[8:9], off
	s_movk_i32 s20, 0x7f00
	s_brev_b32 s21, 16
	s_waitcnt vmcnt(0)
	v_lshlrev_b16_e32 v3, 8, v1
	v_lshlrev_b32_e32 v1, 25, v1
	v_lshrrev_b32_e32 v5, 4, v1
	v_and_or_b32 v10, v3, s20, 0.5
	v_or_b32_e32 v5, 0x70000000, v5
	v_add_f32_e32 v10, -0.5, v10
	v_mul_f32_e32 v5, 0x7800000, v5
	v_cmp_gt_u32_e32 vcc, s21, v1
	v_bfe_i32 v3, v3, 0, 16
	v_cndmask_b32_e32 v1, v5, v10, vcc
	s_brev_b32 s20, 1
	v_and_or_b32 v1, v3, s20, v1
	v_cvt_f16_f32_e32 v1, v1
.LBB127_2588:
	s_mov_b64 s[20:21], 0
	s_mov_b64 s[22:23], -1
.LBB127_2589:
	s_andn2_b64 vcc, exec, s[20:21]
	s_mov_b64 s[20:21], 0
	s_cbranch_vccnz .LBB127_2600
; %bb.2590:
	s_cmp_gt_i32 s31, 14
	s_cbranch_scc0 .LBB127_2593
; %bb.2591:
	s_cmp_eq_u32 s31, 15
	s_cbranch_scc0 .LBB127_2596
; %bb.2592:
	global_load_ushort v1, v[8:9], off
	s_mov_b64 s[10:11], 0
	s_mov_b64 s[22:23], -1
	s_waitcnt vmcnt(0)
	v_lshlrev_b32_e32 v1, 16, v1
	v_cvt_f16_f32_e32 v1, v1
	s_branch .LBB127_2597
.LBB127_2593:
	s_mov_b64 s[24:25], -1
                                        ; implicit-def: $vgpr1
	s_branch .LBB127_2598
.LBB127_2594:
	s_or_saveexec_b64 s[22:23], s[22:23]
	v_mov_b32_e32 v1, 0x7e00
	s_xor_b64 exec, exec, s[22:23]
	s_cbranch_execz .LBB127_2575
.LBB127_2595:
	v_cmp_ne_u16_e32 vcc, 0, v3
	s_andn2_b64 s[20:21], s[20:21], exec
	s_and_b64 s[24:25], vcc, exec
	s_or_b64 s[20:21], s[20:21], s[24:25]
	v_mov_b32_e32 v1, v3
	s_or_b64 exec, exec, s[22:23]
	s_and_saveexec_b64 s[22:23], s[20:21]
	s_cbranch_execnz .LBB127_2576
	s_branch .LBB127_2577
.LBB127_2596:
	s_mov_b64 s[10:11], -1
                                        ; implicit-def: $vgpr1
.LBB127_2597:
	s_mov_b64 s[24:25], 0
.LBB127_2598:
	s_and_b64 vcc, exec, s[24:25]
	s_cbranch_vccz .LBB127_2600
; %bb.2599:
	s_cmp_lg_u32 s31, 11
	s_mov_b64 s[20:21], -1
	s_cselect_b64 s[10:11], -1, 0
.LBB127_2600:
	s_and_b64 vcc, exec, s[10:11]
	s_cbranch_vccnz .LBB127_2665
; %bb.2601:
	s_andn2_b64 vcc, exec, s[20:21]
	s_cbranch_vccnz .LBB127_2603
.LBB127_2602:
	global_load_ubyte v1, v[8:9], off
	s_waitcnt vmcnt(1)
	v_mov_b32_e32 v3, 0x3c00
	s_mov_b64 s[22:23], -1
	s_waitcnt vmcnt(0)
	v_cmp_ne_u16_e32 vcc, 0, v1
	v_cndmask_b32_e32 v1, 0, v3, vcc
.LBB127_2603:
	s_mov_b64 s[10:11], 0
.LBB127_2604:
	s_and_b64 vcc, exec, s[10:11]
	s_cbranch_vccz .LBB127_2653
; %bb.2605:
	s_and_b32 s20, 0xffff, s29
	s_cmp_lt_i32 s20, 5
	s_cbranch_scc1 .LBB127_2610
; %bb.2606:
	s_cmp_lt_i32 s20, 8
	s_cbranch_scc1 .LBB127_2611
; %bb.2607:
	;; [unrolled: 3-line block ×3, first 2 shown]
	s_cmp_gt_i32 s20, 9
	s_cbranch_scc0 .LBB127_2613
; %bb.2609:
	global_load_dwordx2 v[10:11], v[8:9], off
	s_movk_i32 s10, 0x1ff
	s_movk_i32 s11, 0xffe
	v_mov_b32_e32 v1, 0x7c00
	s_waitcnt vmcnt(1)
	v_mov_b32_e32 v3, 0x7e00
	s_movk_i32 s21, 0x40f
	s_mov_b32 s22, 0x8000
	s_waitcnt vmcnt(0)
	v_and_or_b32 v5, v11, s10, v10
	v_cmp_ne_u32_e32 vcc, 0, v5
	v_lshrrev_b32_e32 v10, 8, v11
	v_bfe_u32 v12, v11, 20, 11
	v_cndmask_b32_e64 v5, 0, 1, vcc
	v_sub_u32_e32 v13, 0x3f1, v12
	v_and_or_b32 v5, v10, s11, v5
	v_add_u32_e32 v12, 0xfffffc10, v12
	v_med3_i32 v10, v13, 0, 13
	v_or_b32_e32 v13, 0x1000, v5
	v_lshl_or_b32 v14, v12, 12, v5
	v_cmp_ne_u32_e32 vcc, 0, v5
	v_lshrrev_b32_e32 v5, v10, v13
	v_lshlrev_b32_e32 v10, v10, v5
	v_cndmask_b32_e32 v3, v1, v3, vcc
	v_cmp_ne_u32_e32 vcc, v10, v13
	v_cndmask_b32_e64 v10, 0, 1, vcc
	v_or_b32_e32 v5, v5, v10
	v_cmp_gt_i32_e32 vcc, 1, v12
	v_cndmask_b32_e32 v5, v14, v5, vcc
	v_and_b32_e32 v10, 7, v5
	v_cmp_lt_i32_e32 vcc, 5, v10
	v_cndmask_b32_e64 v13, 0, 1, vcc
	v_cmp_eq_u32_e32 vcc, 3, v10
	v_cndmask_b32_e64 v10, 0, 1, vcc
	v_lshrrev_b32_e32 v5, 2, v5
	v_or_b32_e32 v10, v10, v13
	v_add_u32_e32 v5, v5, v10
	v_cmp_gt_i32_e32 vcc, 31, v12
	v_cndmask_b32_e32 v1, v1, v5, vcc
	v_cmp_eq_u32_e32 vcc, s21, v12
	v_lshrrev_b32_e32 v11, 16, v11
	v_cndmask_b32_e32 v1, v1, v3, vcc
	v_and_or_b32 v1, v11, s22, v1
	s_mov_b64 s[10:11], 0
	s_branch .LBB127_2614
.LBB127_2610:
	s_mov_b64 s[10:11], -1
                                        ; implicit-def: $vgpr1
	s_branch .LBB127_2632
.LBB127_2611:
	s_mov_b64 s[10:11], -1
                                        ; implicit-def: $vgpr1
	s_branch .LBB127_2620
.LBB127_2612:
	s_mov_b64 s[10:11], -1
                                        ; implicit-def: $vgpr1
	s_branch .LBB127_2617
.LBB127_2613:
	s_mov_b64 s[10:11], -1
                                        ; implicit-def: $vgpr1
.LBB127_2614:
	s_andn2_b64 vcc, exec, s[10:11]
	s_cbranch_vccnz .LBB127_2616
; %bb.2615:
	global_load_dword v1, v[8:9], off
	s_waitcnt vmcnt(0)
	v_cvt_f16_f32_e32 v1, v1
.LBB127_2616:
	s_mov_b64 s[10:11], 0
.LBB127_2617:
	s_andn2_b64 vcc, exec, s[10:11]
	s_cbranch_vccnz .LBB127_2619
; %bb.2618:
	global_load_dword v1, v[8:9], off
.LBB127_2619:
	s_mov_b64 s[10:11], 0
.LBB127_2620:
	s_andn2_b64 vcc, exec, s[10:11]
	s_cbranch_vccnz .LBB127_2631
; %bb.2621:
	s_cmp_lt_i32 s20, 6
	s_cbranch_scc1 .LBB127_2624
; %bb.2622:
	s_cmp_gt_i32 s20, 6
	s_cbranch_scc0 .LBB127_2625
; %bb.2623:
	global_load_dwordx2 v[10:11], v[8:9], off
	s_movk_i32 s10, 0x1ff
	s_movk_i32 s11, 0xffe
	s_waitcnt vmcnt(1)
	v_mov_b32_e32 v1, 0x7c00
	v_mov_b32_e32 v3, 0x7e00
	s_movk_i32 s21, 0x40f
	s_mov_b32 s22, 0x8000
	s_waitcnt vmcnt(0)
	v_and_or_b32 v5, v11, s10, v10
	v_cmp_ne_u32_e32 vcc, 0, v5
	v_lshrrev_b32_e32 v10, 8, v11
	v_bfe_u32 v12, v11, 20, 11
	v_cndmask_b32_e64 v5, 0, 1, vcc
	v_sub_u32_e32 v13, 0x3f1, v12
	v_and_or_b32 v5, v10, s11, v5
	v_add_u32_e32 v12, 0xfffffc10, v12
	v_med3_i32 v10, v13, 0, 13
	v_or_b32_e32 v13, 0x1000, v5
	v_lshl_or_b32 v14, v12, 12, v5
	v_cmp_ne_u32_e32 vcc, 0, v5
	v_lshrrev_b32_e32 v5, v10, v13
	v_lshlrev_b32_e32 v10, v10, v5
	v_cndmask_b32_e32 v3, v1, v3, vcc
	v_cmp_ne_u32_e32 vcc, v10, v13
	v_cndmask_b32_e64 v10, 0, 1, vcc
	v_or_b32_e32 v5, v5, v10
	v_cmp_gt_i32_e32 vcc, 1, v12
	v_cndmask_b32_e32 v5, v14, v5, vcc
	v_and_b32_e32 v10, 7, v5
	v_cmp_lt_i32_e32 vcc, 5, v10
	v_cndmask_b32_e64 v13, 0, 1, vcc
	v_cmp_eq_u32_e32 vcc, 3, v10
	v_cndmask_b32_e64 v10, 0, 1, vcc
	v_lshrrev_b32_e32 v5, 2, v5
	v_or_b32_e32 v10, v10, v13
	v_add_u32_e32 v5, v5, v10
	v_cmp_gt_i32_e32 vcc, 31, v12
	v_cndmask_b32_e32 v1, v1, v5, vcc
	v_cmp_eq_u32_e32 vcc, s21, v12
	v_lshrrev_b32_e32 v11, 16, v11
	v_cndmask_b32_e32 v1, v1, v3, vcc
	v_and_or_b32 v1, v11, s22, v1
	s_mov_b64 s[10:11], 0
	s_branch .LBB127_2626
.LBB127_2624:
	s_mov_b64 s[10:11], -1
                                        ; implicit-def: $vgpr1
	s_branch .LBB127_2629
.LBB127_2625:
	s_mov_b64 s[10:11], -1
                                        ; implicit-def: $vgpr1
.LBB127_2626:
	s_andn2_b64 vcc, exec, s[10:11]
	s_cbranch_vccnz .LBB127_2628
; %bb.2627:
	global_load_dword v1, v[8:9], off
	s_waitcnt vmcnt(0)
	v_cvt_f16_f32_e32 v1, v1
.LBB127_2628:
	s_mov_b64 s[10:11], 0
.LBB127_2629:
	s_andn2_b64 vcc, exec, s[10:11]
	s_cbranch_vccnz .LBB127_2631
; %bb.2630:
	global_load_ushort v1, v[8:9], off
.LBB127_2631:
	s_mov_b64 s[10:11], 0
.LBB127_2632:
	s_andn2_b64 vcc, exec, s[10:11]
	s_cbranch_vccnz .LBB127_2652
; %bb.2633:
	s_cmp_lt_i32 s20, 2
	s_cbranch_scc1 .LBB127_2637
; %bb.2634:
	s_cmp_lt_i32 s20, 3
	s_cbranch_scc1 .LBB127_2638
; %bb.2635:
	s_cmp_gt_i32 s20, 3
	s_cbranch_scc0 .LBB127_2639
; %bb.2636:
	global_load_dwordx2 v[10:11], v[8:9], off
	s_mov_b64 s[10:11], 0
	s_waitcnt vmcnt(0)
	v_xor_b32_e32 v3, v10, v11
	v_ffbh_i32_e32 v1, v11
	v_ashrrev_i32_e32 v3, 31, v3
	v_add_u32_e32 v1, -1, v1
	v_add_u32_e32 v3, 32, v3
	v_min_u32_e32 v1, v1, v3
	v_lshlrev_b64 v[10:11], v1, v[10:11]
	v_sub_u32_e32 v1, 32, v1
	v_min_u32_e32 v3, 1, v10
	v_or_b32_e32 v3, v11, v3
	v_cvt_f32_i32_e32 v3, v3
	v_ldexp_f32 v1, v3, v1
	v_cvt_f16_f32_e32 v1, v1
	s_branch .LBB127_2640
.LBB127_2637:
	s_mov_b64 s[10:11], -1
                                        ; implicit-def: $vgpr1
	s_branch .LBB127_2646
.LBB127_2638:
	s_mov_b64 s[10:11], -1
                                        ; implicit-def: $vgpr1
	s_branch .LBB127_2643
.LBB127_2639:
	s_mov_b64 s[10:11], -1
                                        ; implicit-def: $vgpr1
.LBB127_2640:
	s_andn2_b64 vcc, exec, s[10:11]
	s_cbranch_vccnz .LBB127_2642
; %bb.2641:
	global_load_dword v1, v[8:9], off
	s_waitcnt vmcnt(0)
	v_cvt_f32_i32_e32 v1, v1
	v_cvt_f16_f32_e32 v1, v1
.LBB127_2642:
	s_mov_b64 s[10:11], 0
.LBB127_2643:
	s_andn2_b64 vcc, exec, s[10:11]
	s_cbranch_vccnz .LBB127_2645
; %bb.2644:
	global_load_ushort v1, v[8:9], off
	s_waitcnt vmcnt(0)
	v_cvt_f16_i16_e32 v1, v1
.LBB127_2645:
	s_mov_b64 s[10:11], 0
.LBB127_2646:
	s_andn2_b64 vcc, exec, s[10:11]
	s_cbranch_vccnz .LBB127_2652
; %bb.2647:
	s_cmp_gt_i32 s20, 0
	s_cbranch_scc0 .LBB127_2649
; %bb.2648:
	global_load_sbyte v1, v[8:9], off
	s_mov_b64 s[10:11], 0
	s_waitcnt vmcnt(0)
	v_cvt_f16_i16_e32 v1, v1
	s_branch .LBB127_2650
.LBB127_2649:
	s_mov_b64 s[10:11], -1
                                        ; implicit-def: $vgpr1
.LBB127_2650:
	s_andn2_b64 vcc, exec, s[10:11]
	s_cbranch_vccnz .LBB127_2652
; %bb.2651:
	global_load_ubyte v1, v[8:9], off
	s_waitcnt vmcnt(0)
	v_cvt_f16_u16_e32 v1, v1
.LBB127_2652:
	s_mov_b64 s[22:23], -1
.LBB127_2653:
	s_andn2_b64 vcc, exec, s[22:23]
	s_cbranch_vccnz .LBB127_2788
; %bb.2654:
	s_waitcnt vmcnt(0)
	v_mov_b32_e32 v3, s1
	v_add_co_u32_e32 v7, vcc, s0, v7
	s_cmp_lt_i32 s30, 11
	v_addc_co_u32_e32 v8, vcc, 0, v3, vcc
	s_cbranch_scc1 .LBB127_2661
; %bb.2655:
	s_and_b32 s26, 0xffff, s30
	s_cmp_gt_i32 s26, 25
	s_mov_b64 s[10:11], 0
	s_cbranch_scc0 .LBB127_2662
; %bb.2656:
	s_cmp_gt_i32 s26, 28
	s_cbranch_scc0 .LBB127_2663
; %bb.2657:
	s_cmp_gt_i32 s26, 43
	;; [unrolled: 3-line block ×3, first 2 shown]
	s_cbranch_scc0 .LBB127_2666
; %bb.2659:
	s_cmp_eq_u32 s26, 46
	s_mov_b64 s[22:23], 0
	s_cbranch_scc0 .LBB127_2667
; %bb.2660:
	global_load_dword v3, v[7:8], off
	s_mov_b64 s[0:1], 0
	s_mov_b64 s[20:21], -1
	s_waitcnt vmcnt(0)
	v_lshlrev_b32_e32 v3, 16, v3
	v_cvt_f16_f32_e32 v3, v3
	s_branch .LBB127_2668
.LBB127_2661:
	s_mov_b64 s[0:1], -1
	s_mov_b64 s[20:21], 0
                                        ; implicit-def: $vgpr3
	s_branch .LBB127_2734
.LBB127_2662:
	s_mov_b64 s[22:23], -1
	s_mov_b64 s[20:21], 0
	s_mov_b64 s[0:1], 0
                                        ; implicit-def: $vgpr3
	s_branch .LBB127_2697
.LBB127_2663:
	s_mov_b64 s[22:23], -1
	s_mov_b64 s[20:21], 0
	s_mov_b64 s[0:1], 0
                                        ; implicit-def: $vgpr3
	s_branch .LBB127_2678
.LBB127_2664:
	s_mov_b64 s[22:23], -1
	s_mov_b64 s[20:21], 0
	s_mov_b64 s[0:1], 0
                                        ; implicit-def: $vgpr3
	s_branch .LBB127_2673
.LBB127_2665:
	s_trap 2
	s_or_b64 s[4:5], s[4:5], exec
	s_cbranch_execz .LBB127_2602
	s_branch .LBB127_2603
.LBB127_2666:
	s_mov_b64 s[22:23], -1
	s_mov_b64 s[20:21], 0
	s_mov_b64 s[0:1], 0
                                        ; implicit-def: $vgpr3
	s_branch .LBB127_2668
.LBB127_2667:
	s_mov_b64 s[0:1], -1
                                        ; implicit-def: $vgpr3
	s_mov_b64 s[20:21], 0
.LBB127_2668:
	s_and_b64 vcc, exec, s[22:23]
	s_cbranch_vccz .LBB127_2672
; %bb.2669:
	s_cmp_eq_u32 s26, 44
	s_cbranch_scc0 .LBB127_2671
; %bb.2670:
	global_load_ubyte v3, v[7:8], off
	s_movk_i32 s20, 0xff
	v_mov_b32_e32 v9, 0x7e00
	s_mov_b64 s[0:1], 0
	s_waitcnt vmcnt(0)
	v_lshlrev_b32_e32 v5, 23, v3
	v_cvt_f16_f32_e32 v5, v5
	v_cmp_ne_u32_e32 vcc, s20, v3
	s_mov_b64 s[20:21], -1
	v_cndmask_b32_e32 v5, v9, v5, vcc
	v_cmp_ne_u32_e32 vcc, 0, v3
	v_cndmask_b32_e32 v3, 0, v5, vcc
	s_branch .LBB127_2672
.LBB127_2671:
	s_mov_b64 s[0:1], -1
                                        ; implicit-def: $vgpr3
.LBB127_2672:
	s_mov_b64 s[22:23], 0
.LBB127_2673:
	s_and_b64 vcc, exec, s[22:23]
	s_cbranch_vccz .LBB127_2677
; %bb.2674:
	s_cmp_eq_u32 s26, 29
	s_cbranch_scc0 .LBB127_2676
; %bb.2675:
	global_load_dwordx2 v[9:10], v[7:8], off
	s_mov_b64 s[0:1], 0
	s_mov_b64 s[20:21], -1
	s_mov_b64 s[22:23], 0
	s_waitcnt vmcnt(0)
	v_ffbh_u32_e32 v3, v10
	v_min_u32_e32 v3, 32, v3
	v_lshlrev_b64 v[9:10], v3, v[9:10]
	v_sub_u32_e32 v3, 32, v3
	v_min_u32_e32 v5, 1, v9
	v_or_b32_e32 v5, v10, v5
	v_cvt_f32_u32_e32 v5, v5
	v_ldexp_f32 v3, v5, v3
	v_cvt_f16_f32_e32 v3, v3
	s_branch .LBB127_2678
.LBB127_2676:
	s_mov_b64 s[0:1], -1
                                        ; implicit-def: $vgpr3
.LBB127_2677:
	s_mov_b64 s[22:23], 0
.LBB127_2678:
	s_and_b64 vcc, exec, s[22:23]
	s_cbranch_vccz .LBB127_2696
; %bb.2679:
	s_cmp_lt_i32 s26, 27
	s_cbranch_scc1 .LBB127_2682
; %bb.2680:
	s_cmp_gt_i32 s26, 27
	s_cbranch_scc0 .LBB127_2683
; %bb.2681:
	global_load_dword v3, v[7:8], off
	s_mov_b64 s[20:21], 0
	s_waitcnt vmcnt(0)
	v_cvt_f32_u32_e32 v3, v3
	v_cvt_f16_f32_e32 v3, v3
	s_branch .LBB127_2684
.LBB127_2682:
	s_mov_b64 s[20:21], -1
                                        ; implicit-def: $vgpr3
	s_branch .LBB127_2687
.LBB127_2683:
	s_mov_b64 s[20:21], -1
                                        ; implicit-def: $vgpr3
.LBB127_2684:
	s_andn2_b64 vcc, exec, s[20:21]
	s_cbranch_vccnz .LBB127_2686
; %bb.2685:
	global_load_ushort v3, v[7:8], off
	s_waitcnt vmcnt(0)
	v_cvt_f16_u16_e32 v3, v3
.LBB127_2686:
	s_mov_b64 s[20:21], 0
.LBB127_2687:
	s_andn2_b64 vcc, exec, s[20:21]
	s_cbranch_vccnz .LBB127_2695
; %bb.2688:
	global_load_ubyte v5, v[7:8], off
	s_movk_i32 s20, 0x7f
	s_waitcnt vmcnt(0)
	v_cmp_lt_i16_e32 vcc, s20, v5
	s_mov_b64 s[20:21], 0
	s_and_saveexec_b64 s[22:23], vcc
	s_xor_b64 s[22:23], exec, s[22:23]
	s_cbranch_execz .LBB127_2709
; %bb.2689:
	s_movk_i32 s20, 0x80
	v_cmp_eq_u16_e32 vcc, s20, v5
	s_mov_b64 s[20:21], -1
	s_and_saveexec_b64 s[24:25], vcc
; %bb.2690:
	s_xor_b64 s[20:21], exec, -1
; %bb.2691:
	s_or_b64 exec, exec, s[24:25]
	s_and_b64 s[20:21], s[20:21], exec
	s_or_saveexec_b64 s[22:23], s[22:23]
	v_mov_b32_e32 v3, 0x7e00
	s_xor_b64 exec, exec, s[22:23]
	s_cbranch_execnz .LBB127_2710
.LBB127_2692:
	s_or_b64 exec, exec, s[22:23]
	s_and_saveexec_b64 s[22:23], s[20:21]
	s_cbranch_execz .LBB127_2694
.LBB127_2693:
	v_lshlrev_b32_e32 v3, 24, v5
	v_and_b32_e32 v5, 0xffff, v5
	v_and_b32_e32 v9, 7, v5
	v_ffbh_u32_e32 v11, v9
	v_min_u32_e32 v11, 32, v11
	v_subrev_u32_e32 v12, 28, v11
	v_bfe_u32 v10, v5, 3, 4
	v_lshlrev_b32_e32 v5, v12, v5
	v_sub_u32_e32 v11, 29, v11
	v_and_b32_e32 v5, 7, v5
	v_cmp_eq_u32_e32 vcc, 0, v10
	v_cndmask_b32_e32 v10, v10, v11, vcc
	v_cndmask_b32_e32 v5, v9, v5, vcc
	v_mov_b32_e32 v9, 0x3b800000
	v_lshlrev_b32_e32 v5, 20, v5
	v_and_b32_e32 v3, 0x80000000, v3
	v_lshl_add_u32 v9, v10, 23, v9
	v_or3_b32 v3, v3, v9, v5
	v_cvt_f16_f32_e32 v3, v3
.LBB127_2694:
	s_or_b64 exec, exec, s[22:23]
.LBB127_2695:
	s_mov_b64 s[20:21], -1
.LBB127_2696:
	s_mov_b64 s[22:23], 0
.LBB127_2697:
	s_and_b64 vcc, exec, s[22:23]
	s_cbranch_vccz .LBB127_2730
; %bb.2698:
	s_cmp_gt_i32 s26, 22
	s_cbranch_scc0 .LBB127_2708
; %bb.2699:
	s_cmp_lt_i32 s26, 24
	s_cbranch_scc1 .LBB127_2711
; %bb.2700:
	s_cmp_gt_i32 s26, 24
	s_cbranch_scc0 .LBB127_2712
; %bb.2701:
	global_load_ubyte v5, v[7:8], off
	s_movk_i32 s10, 0x7f
	s_waitcnt vmcnt(0)
	v_cmp_lt_i16_e32 vcc, s10, v5
	s_mov_b64 s[10:11], 0
	s_and_saveexec_b64 s[20:21], vcc
	s_xor_b64 s[20:21], exec, s[20:21]
	s_cbranch_execz .LBB127_2724
; %bb.2702:
	s_movk_i32 s10, 0x80
	v_cmp_eq_u16_e32 vcc, s10, v5
	s_mov_b64 s[10:11], -1
	s_and_saveexec_b64 s[22:23], vcc
; %bb.2703:
	s_xor_b64 s[10:11], exec, -1
; %bb.2704:
	s_or_b64 exec, exec, s[22:23]
	s_and_b64 s[10:11], s[10:11], exec
	s_or_saveexec_b64 s[20:21], s[20:21]
	v_mov_b32_e32 v3, 0x7e00
	s_xor_b64 exec, exec, s[20:21]
	s_cbranch_execnz .LBB127_2725
.LBB127_2705:
	s_or_b64 exec, exec, s[20:21]
	s_and_saveexec_b64 s[20:21], s[10:11]
	s_cbranch_execz .LBB127_2707
.LBB127_2706:
	v_lshlrev_b32_e32 v3, 24, v5
	v_and_b32_e32 v5, 0xffff, v5
	v_and_b32_e32 v9, 3, v5
	v_ffbh_u32_e32 v11, v9
	v_min_u32_e32 v11, 32, v11
	v_subrev_u32_e32 v12, 29, v11
	v_bfe_u32 v10, v5, 2, 5
	v_lshlrev_b32_e32 v5, v12, v5
	v_sub_u32_e32 v11, 30, v11
	v_and_b32_e32 v5, 3, v5
	v_cmp_eq_u32_e32 vcc, 0, v10
	v_cndmask_b32_e32 v10, v10, v11, vcc
	v_cndmask_b32_e32 v5, v9, v5, vcc
	v_mov_b32_e32 v9, 0x37800000
	v_lshlrev_b32_e32 v5, 21, v5
	v_and_b32_e32 v3, 0x80000000, v3
	v_lshl_add_u32 v9, v10, 23, v9
	v_or3_b32 v3, v3, v9, v5
	v_cvt_f16_f32_e32 v3, v3
.LBB127_2707:
	s_or_b64 exec, exec, s[20:21]
	s_mov_b64 s[10:11], 0
	s_branch .LBB127_2713
.LBB127_2708:
	s_mov_b64 s[10:11], -1
                                        ; implicit-def: $vgpr3
	s_branch .LBB127_2719
.LBB127_2709:
	s_or_saveexec_b64 s[22:23], s[22:23]
	v_mov_b32_e32 v3, 0x7e00
	s_xor_b64 exec, exec, s[22:23]
	s_cbranch_execz .LBB127_2692
.LBB127_2710:
	v_cmp_ne_u16_e32 vcc, 0, v5
	s_andn2_b64 s[20:21], s[20:21], exec
	s_and_b64 s[24:25], vcc, exec
	s_or_b64 s[20:21], s[20:21], s[24:25]
	v_mov_b32_e32 v3, v5
	s_or_b64 exec, exec, s[22:23]
	s_and_saveexec_b64 s[22:23], s[20:21]
	s_cbranch_execnz .LBB127_2693
	s_branch .LBB127_2694
.LBB127_2711:
	s_mov_b64 s[10:11], -1
                                        ; implicit-def: $vgpr3
	s_branch .LBB127_2716
.LBB127_2712:
	s_mov_b64 s[10:11], -1
                                        ; implicit-def: $vgpr3
.LBB127_2713:
	s_and_b64 vcc, exec, s[10:11]
	s_cbranch_vccz .LBB127_2715
; %bb.2714:
	global_load_ubyte v3, v[7:8], off
	s_mov_b32 s10, 0x7f800000
	s_waitcnt vmcnt(0)
	v_lshlrev_b32_e32 v3, 24, v3
	v_and_b32_e32 v5, 0x7f000000, v3
	v_ffbh_u32_e32 v9, v5
	v_min_u32_e32 v9, 32, v9
	v_sub_u32_e64 v9, v9, 4 clamp
	v_lshlrev_b32_e32 v11, v9, v5
	v_lshlrev_b32_e32 v9, 23, v9
	v_lshrrev_b32_e32 v11, 4, v11
	v_add_u32_e32 v10, 0x1000000, v5
	v_sub_u32_e32 v9, v11, v9
	v_ashrrev_i32_e32 v10, 8, v10
	v_add_u32_e32 v9, 0x3c000000, v9
	v_and_or_b32 v9, v10, s10, v9
	v_cmp_ne_u32_e32 vcc, 0, v5
	v_cndmask_b32_e32 v5, 0, v9, vcc
	s_brev_b32 s10, 1
	v_and_or_b32 v3, v3, s10, v5
	v_cvt_f16_f32_e32 v3, v3
.LBB127_2715:
	s_mov_b64 s[10:11], 0
.LBB127_2716:
	s_andn2_b64 vcc, exec, s[10:11]
	s_cbranch_vccnz .LBB127_2718
; %bb.2717:
	global_load_ubyte v3, v[7:8], off
	s_movk_i32 s10, 0x7f00
	s_brev_b32 s11, 16
	s_waitcnt vmcnt(0)
	v_lshlrev_b16_e32 v5, 8, v3
	v_lshlrev_b32_e32 v3, 25, v3
	v_lshrrev_b32_e32 v9, 4, v3
	v_and_or_b32 v10, v5, s10, 0.5
	v_or_b32_e32 v9, 0x70000000, v9
	v_add_f32_e32 v10, -0.5, v10
	v_mul_f32_e32 v9, 0x7800000, v9
	v_cmp_gt_u32_e32 vcc, s11, v3
	v_bfe_i32 v5, v5, 0, 16
	v_cndmask_b32_e32 v3, v9, v10, vcc
	s_brev_b32 s10, 1
	v_and_or_b32 v3, v5, s10, v3
	v_cvt_f16_f32_e32 v3, v3
.LBB127_2718:
	s_mov_b64 s[10:11], 0
	s_mov_b64 s[20:21], -1
.LBB127_2719:
	s_andn2_b64 vcc, exec, s[10:11]
	s_mov_b64 s[10:11], 0
	s_cbranch_vccnz .LBB127_2730
; %bb.2720:
	s_cmp_gt_i32 s26, 14
	s_cbranch_scc0 .LBB127_2723
; %bb.2721:
	s_cmp_eq_u32 s26, 15
	s_cbranch_scc0 .LBB127_2726
; %bb.2722:
	global_load_ushort v3, v[7:8], off
	s_mov_b64 s[0:1], 0
	s_mov_b64 s[20:21], -1
	s_waitcnt vmcnt(0)
	v_lshlrev_b32_e32 v3, 16, v3
	v_cvt_f16_f32_e32 v3, v3
	s_branch .LBB127_2727
.LBB127_2723:
	s_mov_b64 s[22:23], -1
                                        ; implicit-def: $vgpr3
	s_branch .LBB127_2728
.LBB127_2724:
	s_or_saveexec_b64 s[20:21], s[20:21]
	v_mov_b32_e32 v3, 0x7e00
	s_xor_b64 exec, exec, s[20:21]
	s_cbranch_execz .LBB127_2705
.LBB127_2725:
	v_cmp_ne_u16_e32 vcc, 0, v5
	s_andn2_b64 s[10:11], s[10:11], exec
	s_and_b64 s[22:23], vcc, exec
	s_or_b64 s[10:11], s[10:11], s[22:23]
	v_mov_b32_e32 v3, v5
	s_or_b64 exec, exec, s[20:21]
	s_and_saveexec_b64 s[20:21], s[10:11]
	s_cbranch_execnz .LBB127_2706
	s_branch .LBB127_2707
.LBB127_2726:
	s_mov_b64 s[0:1], -1
                                        ; implicit-def: $vgpr3
.LBB127_2727:
	s_mov_b64 s[22:23], 0
.LBB127_2728:
	s_and_b64 vcc, exec, s[22:23]
	s_cbranch_vccz .LBB127_2730
; %bb.2729:
	s_cmp_lg_u32 s26, 11
	s_mov_b64 s[10:11], -1
	s_cselect_b64 s[0:1], -1, 0
.LBB127_2730:
	s_and_b64 vcc, exec, s[0:1]
	s_cbranch_vccnz .LBB127_3282
; %bb.2731:
	s_andn2_b64 vcc, exec, s[10:11]
	s_cbranch_vccnz .LBB127_2733
.LBB127_2732:
	global_load_ubyte v3, v[7:8], off
	v_mov_b32_e32 v5, 0x3c00
	s_mov_b64 s[20:21], -1
	s_waitcnt vmcnt(0)
	v_cmp_ne_u16_e32 vcc, 0, v3
	v_cndmask_b32_e32 v3, 0, v5, vcc
.LBB127_2733:
	s_mov_b64 s[0:1], 0
.LBB127_2734:
	s_and_b64 vcc, exec, s[0:1]
	s_cbranch_vccz .LBB127_2783
; %bb.2735:
	s_and_b32 s10, 0xffff, s30
	s_cmp_lt_i32 s10, 5
	s_cbranch_scc1 .LBB127_2740
; %bb.2736:
	s_cmp_lt_i32 s10, 8
	s_cbranch_scc1 .LBB127_2741
; %bb.2737:
	;; [unrolled: 3-line block ×3, first 2 shown]
	s_cmp_gt_i32 s10, 9
	s_cbranch_scc0 .LBB127_2743
; %bb.2739:
	global_load_dwordx2 v[9:10], v[7:8], off
	s_movk_i32 s0, 0x1ff
	s_movk_i32 s1, 0xffe
	v_mov_b32_e32 v3, 0x7c00
	v_mov_b32_e32 v5, 0x7e00
	s_movk_i32 s11, 0x40f
	s_mov_b32 s20, 0x8000
	s_waitcnt vmcnt(0)
	v_and_or_b32 v9, v10, s0, v9
	v_cmp_ne_u32_e32 vcc, 0, v9
	v_lshrrev_b32_e32 v11, 8, v10
	v_bfe_u32 v12, v10, 20, 11
	v_cndmask_b32_e64 v9, 0, 1, vcc
	v_sub_u32_e32 v13, 0x3f1, v12
	v_and_or_b32 v9, v11, s1, v9
	v_add_u32_e32 v12, 0xfffffc10, v12
	v_med3_i32 v11, v13, 0, 13
	v_or_b32_e32 v13, 0x1000, v9
	v_lshl_or_b32 v14, v12, 12, v9
	v_cmp_ne_u32_e32 vcc, 0, v9
	v_lshrrev_b32_e32 v9, v11, v13
	v_lshlrev_b32_e32 v11, v11, v9
	v_cndmask_b32_e32 v5, v3, v5, vcc
	v_cmp_ne_u32_e32 vcc, v11, v13
	v_cndmask_b32_e64 v11, 0, 1, vcc
	v_or_b32_e32 v9, v9, v11
	v_cmp_gt_i32_e32 vcc, 1, v12
	v_cndmask_b32_e32 v9, v14, v9, vcc
	v_and_b32_e32 v11, 7, v9
	v_cmp_lt_i32_e32 vcc, 5, v11
	v_cndmask_b32_e64 v13, 0, 1, vcc
	v_cmp_eq_u32_e32 vcc, 3, v11
	v_cndmask_b32_e64 v11, 0, 1, vcc
	v_lshrrev_b32_e32 v9, 2, v9
	v_or_b32_e32 v11, v11, v13
	v_add_u32_e32 v9, v9, v11
	v_cmp_gt_i32_e32 vcc, 31, v12
	v_cndmask_b32_e32 v3, v3, v9, vcc
	v_cmp_eq_u32_e32 vcc, s11, v12
	v_lshrrev_b32_e32 v10, 16, v10
	v_cndmask_b32_e32 v3, v3, v5, vcc
	v_and_or_b32 v3, v10, s20, v3
	s_mov_b64 s[0:1], 0
	s_branch .LBB127_2744
.LBB127_2740:
	s_mov_b64 s[0:1], -1
                                        ; implicit-def: $vgpr3
	s_branch .LBB127_2762
.LBB127_2741:
	s_mov_b64 s[0:1], -1
                                        ; implicit-def: $vgpr3
	s_branch .LBB127_2750
.LBB127_2742:
	s_mov_b64 s[0:1], -1
                                        ; implicit-def: $vgpr3
	s_branch .LBB127_2747
.LBB127_2743:
	s_mov_b64 s[0:1], -1
                                        ; implicit-def: $vgpr3
.LBB127_2744:
	s_andn2_b64 vcc, exec, s[0:1]
	s_cbranch_vccnz .LBB127_2746
; %bb.2745:
	global_load_dword v3, v[7:8], off
	s_waitcnt vmcnt(0)
	v_cvt_f16_f32_e32 v3, v3
.LBB127_2746:
	s_mov_b64 s[0:1], 0
.LBB127_2747:
	s_andn2_b64 vcc, exec, s[0:1]
	s_cbranch_vccnz .LBB127_2749
; %bb.2748:
	global_load_dword v3, v[7:8], off
.LBB127_2749:
	s_mov_b64 s[0:1], 0
.LBB127_2750:
	s_andn2_b64 vcc, exec, s[0:1]
	s_cbranch_vccnz .LBB127_2761
; %bb.2751:
	s_cmp_lt_i32 s10, 6
	s_cbranch_scc1 .LBB127_2754
; %bb.2752:
	s_cmp_gt_i32 s10, 6
	s_cbranch_scc0 .LBB127_2755
; %bb.2753:
	global_load_dwordx2 v[9:10], v[7:8], off
	s_movk_i32 s0, 0x1ff
	s_movk_i32 s1, 0xffe
	s_waitcnt vmcnt(1)
	v_mov_b32_e32 v3, 0x7c00
	v_mov_b32_e32 v5, 0x7e00
	s_movk_i32 s11, 0x40f
	s_mov_b32 s20, 0x8000
	s_waitcnt vmcnt(0)
	v_and_or_b32 v9, v10, s0, v9
	v_cmp_ne_u32_e32 vcc, 0, v9
	v_lshrrev_b32_e32 v11, 8, v10
	v_bfe_u32 v12, v10, 20, 11
	v_cndmask_b32_e64 v9, 0, 1, vcc
	v_sub_u32_e32 v13, 0x3f1, v12
	v_and_or_b32 v9, v11, s1, v9
	v_add_u32_e32 v12, 0xfffffc10, v12
	v_med3_i32 v11, v13, 0, 13
	v_or_b32_e32 v13, 0x1000, v9
	v_lshl_or_b32 v14, v12, 12, v9
	v_cmp_ne_u32_e32 vcc, 0, v9
	v_lshrrev_b32_e32 v9, v11, v13
	v_lshlrev_b32_e32 v11, v11, v9
	v_cndmask_b32_e32 v5, v3, v5, vcc
	v_cmp_ne_u32_e32 vcc, v11, v13
	v_cndmask_b32_e64 v11, 0, 1, vcc
	v_or_b32_e32 v9, v9, v11
	v_cmp_gt_i32_e32 vcc, 1, v12
	v_cndmask_b32_e32 v9, v14, v9, vcc
	v_and_b32_e32 v11, 7, v9
	v_cmp_lt_i32_e32 vcc, 5, v11
	v_cndmask_b32_e64 v13, 0, 1, vcc
	v_cmp_eq_u32_e32 vcc, 3, v11
	v_cndmask_b32_e64 v11, 0, 1, vcc
	v_lshrrev_b32_e32 v9, 2, v9
	v_or_b32_e32 v11, v11, v13
	v_add_u32_e32 v9, v9, v11
	v_cmp_gt_i32_e32 vcc, 31, v12
	v_cndmask_b32_e32 v3, v3, v9, vcc
	v_cmp_eq_u32_e32 vcc, s11, v12
	v_lshrrev_b32_e32 v10, 16, v10
	v_cndmask_b32_e32 v3, v3, v5, vcc
	v_and_or_b32 v3, v10, s20, v3
	s_mov_b64 s[0:1], 0
	s_branch .LBB127_2756
.LBB127_2754:
	s_mov_b64 s[0:1], -1
                                        ; implicit-def: $vgpr3
	s_branch .LBB127_2759
.LBB127_2755:
	s_mov_b64 s[0:1], -1
                                        ; implicit-def: $vgpr3
.LBB127_2756:
	s_andn2_b64 vcc, exec, s[0:1]
	s_cbranch_vccnz .LBB127_2758
; %bb.2757:
	global_load_dword v3, v[7:8], off
	s_waitcnt vmcnt(0)
	v_cvt_f16_f32_e32 v3, v3
.LBB127_2758:
	s_mov_b64 s[0:1], 0
.LBB127_2759:
	s_andn2_b64 vcc, exec, s[0:1]
	s_cbranch_vccnz .LBB127_2761
; %bb.2760:
	global_load_ushort v3, v[7:8], off
.LBB127_2761:
	s_mov_b64 s[0:1], 0
.LBB127_2762:
	s_andn2_b64 vcc, exec, s[0:1]
	s_cbranch_vccnz .LBB127_2782
; %bb.2763:
	s_cmp_lt_i32 s10, 2
	s_cbranch_scc1 .LBB127_2767
; %bb.2764:
	s_cmp_lt_i32 s10, 3
	s_cbranch_scc1 .LBB127_2768
; %bb.2765:
	s_cmp_gt_i32 s10, 3
	s_cbranch_scc0 .LBB127_2769
; %bb.2766:
	global_load_dwordx2 v[9:10], v[7:8], off
	s_mov_b64 s[0:1], 0
	s_waitcnt vmcnt(0)
	v_xor_b32_e32 v5, v9, v10
	v_ffbh_i32_e32 v3, v10
	v_ashrrev_i32_e32 v5, 31, v5
	v_add_u32_e32 v3, -1, v3
	v_add_u32_e32 v5, 32, v5
	v_min_u32_e32 v3, v3, v5
	v_lshlrev_b64 v[9:10], v3, v[9:10]
	v_sub_u32_e32 v3, 32, v3
	v_min_u32_e32 v5, 1, v9
	v_or_b32_e32 v5, v10, v5
	v_cvt_f32_i32_e32 v5, v5
	v_ldexp_f32 v3, v5, v3
	v_cvt_f16_f32_e32 v3, v3
	s_branch .LBB127_2770
.LBB127_2767:
	s_mov_b64 s[0:1], -1
                                        ; implicit-def: $vgpr3
	s_branch .LBB127_2776
.LBB127_2768:
	s_mov_b64 s[0:1], -1
                                        ; implicit-def: $vgpr3
	s_branch .LBB127_2773
.LBB127_2769:
	s_mov_b64 s[0:1], -1
                                        ; implicit-def: $vgpr3
.LBB127_2770:
	s_andn2_b64 vcc, exec, s[0:1]
	s_cbranch_vccnz .LBB127_2772
; %bb.2771:
	global_load_dword v3, v[7:8], off
	s_waitcnt vmcnt(0)
	v_cvt_f32_i32_e32 v3, v3
	v_cvt_f16_f32_e32 v3, v3
.LBB127_2772:
	s_mov_b64 s[0:1], 0
.LBB127_2773:
	s_andn2_b64 vcc, exec, s[0:1]
	s_cbranch_vccnz .LBB127_2775
; %bb.2774:
	global_load_ushort v3, v[7:8], off
	s_waitcnt vmcnt(0)
	v_cvt_f16_i16_e32 v3, v3
.LBB127_2775:
	s_mov_b64 s[0:1], 0
.LBB127_2776:
	s_andn2_b64 vcc, exec, s[0:1]
	s_cbranch_vccnz .LBB127_2782
; %bb.2777:
	s_cmp_gt_i32 s10, 0
	s_cbranch_scc0 .LBB127_2779
; %bb.2778:
	global_load_sbyte v3, v[7:8], off
	s_mov_b64 s[0:1], 0
	s_waitcnt vmcnt(0)
	v_cvt_f16_i16_e32 v3, v3
	s_branch .LBB127_2780
.LBB127_2779:
	s_mov_b64 s[0:1], -1
                                        ; implicit-def: $vgpr3
.LBB127_2780:
	s_andn2_b64 vcc, exec, s[0:1]
	s_cbranch_vccnz .LBB127_2782
; %bb.2781:
	global_load_ubyte v3, v[7:8], off
	s_waitcnt vmcnt(0)
	v_cvt_f16_u16_e32 v3, v3
.LBB127_2782:
	s_mov_b64 s[20:21], -1
.LBB127_2783:
	s_andn2_b64 vcc, exec, s[20:21]
	s_cbranch_vccnz .LBB127_2788
; %bb.2784:
	s_cmp_lt_i32 s28, 1
	s_mov_b64 s[0:1], 0
	s_cbranch_scc1 .LBB127_2834
; %bb.2785:
	s_cmp_gt_i32 s28, 1
	s_cbranch_scc0 .LBB127_2835
; %bb.2786:
	s_cmp_eq_u32 s28, 2
	s_cbranch_scc0 .LBB127_2836
; %bb.2787:
	s_waitcnt vmcnt(0)
	v_cmp_le_f16_e64 s[10:11], v1, v3
	s_mov_b64 s[20:21], 0
	s_branch .LBB127_2837
.LBB127_2788:
	s_mov_b64 s[0:1], 0
                                        ; implicit-def: $sgpr10_sgpr11
.LBB127_2789:
	s_mov_b64 s[2:3], 0
                                        ; implicit-def: $vgpr0_vgpr1
                                        ; implicit-def: $sgpr26
.LBB127_2790:
	s_and_b64 s[6:7], s[2:3], exec
	s_andn2_b64 s[2:3], s[12:13], exec
	s_and_b64 s[4:5], s[4:5], exec
	s_and_b64 s[0:1], s[0:1], exec
	s_or_b64 s[12:13], s[2:3], s[4:5]
.LBB127_2791:
	s_or_b64 exec, exec, s[14:15]
	s_and_saveexec_b64 s[2:3], s[12:13]
	s_cbranch_execz .LBB127_2794
; %bb.2792:
	; divergent unreachable
	s_or_b64 exec, exec, s[2:3]
	s_and_saveexec_b64 s[2:3], s[6:7]
	s_xor_b64 s[2:3], exec, s[2:3]
	s_cbranch_execnz .LBB127_2795
.LBB127_2793:
	s_or_b64 exec, exec, s[2:3]
	s_and_saveexec_b64 s[2:3], s[0:1]
	s_cbranch_execnz .LBB127_2796
	s_branch .LBB127_2833
.LBB127_2794:
	s_or_b64 exec, exec, s[2:3]
	s_and_saveexec_b64 s[2:3], s[6:7]
	s_xor_b64 s[2:3], exec, s[2:3]
	s_cbranch_execz .LBB127_2793
.LBB127_2795:
	v_cndmask_b32_e64 v2, 0, 1, s[10:11]
	s_waitcnt vmcnt(0)
	global_store_byte v[0:1], v2, off
	s_or_b64 exec, exec, s[2:3]
	s_and_saveexec_b64 s[2:3], s[0:1]
	s_cbranch_execz .LBB127_2833
.LBB127_2796:
	s_sext_i32_i16 s2, s26
	s_cmp_lt_i32 s2, 5
	s_mov_b64 s[0:1], -1
	s_cbranch_scc1 .LBB127_2817
; %bb.2797:
	s_cmp_lt_i32 s2, 8
	s_cbranch_scc1 .LBB127_2807
; %bb.2798:
	s_cmp_lt_i32 s2, 9
	s_cbranch_scc1 .LBB127_2804
; %bb.2799:
	s_cmp_gt_i32 s2, 9
	s_cbranch_scc0 .LBB127_2801
; %bb.2800:
	v_cndmask_b32_e64 v2, 0, 1, s[10:11]
	s_waitcnt vmcnt(0)
	v_cvt_f64_u32_e32 v[2:3], v2
	v_mov_b32_e32 v4, 0
	v_mov_b32_e32 v5, v4
	s_mov_b64 s[0:1], 0
	global_store_dwordx4 v[0:1], v[2:5], off
.LBB127_2801:
	s_andn2_b64 vcc, exec, s[0:1]
	s_cbranch_vccnz .LBB127_2803
; %bb.2802:
	v_cndmask_b32_e64 v2, 0, 1.0, s[10:11]
	s_waitcnt vmcnt(0)
	v_mov_b32_e32 v3, 0
	global_store_dwordx2 v[0:1], v[2:3], off
.LBB127_2803:
	s_mov_b64 s[0:1], 0
.LBB127_2804:
	s_andn2_b64 vcc, exec, s[0:1]
	s_cbranch_vccnz .LBB127_2806
; %bb.2805:
	v_cndmask_b32_e64 v2, 0, 1.0, s[10:11]
	v_cvt_f16_f32_e32 v2, v2
	s_waitcnt vmcnt(0)
	global_store_dword v[0:1], v2, off
.LBB127_2806:
	s_mov_b64 s[0:1], 0
.LBB127_2807:
	s_andn2_b64 vcc, exec, s[0:1]
	s_cbranch_vccnz .LBB127_2816
; %bb.2808:
	s_sext_i32_i16 s2, s26
	s_cmp_lt_i32 s2, 6
	s_mov_b64 s[0:1], -1
	s_cbranch_scc1 .LBB127_2814
; %bb.2809:
	s_cmp_gt_i32 s2, 6
	s_cbranch_scc0 .LBB127_2811
; %bb.2810:
	v_cndmask_b32_e64 v2, 0, 1, s[10:11]
	s_waitcnt vmcnt(0)
	v_cvt_f64_u32_e32 v[2:3], v2
	s_mov_b64 s[0:1], 0
	global_store_dwordx2 v[0:1], v[2:3], off
.LBB127_2811:
	s_andn2_b64 vcc, exec, s[0:1]
	s_cbranch_vccnz .LBB127_2813
; %bb.2812:
	v_cndmask_b32_e64 v2, 0, 1.0, s[10:11]
	s_waitcnt vmcnt(0)
	global_store_dword v[0:1], v2, off
.LBB127_2813:
	s_mov_b64 s[0:1], 0
.LBB127_2814:
	s_andn2_b64 vcc, exec, s[0:1]
	s_cbranch_vccnz .LBB127_2816
; %bb.2815:
	v_cndmask_b32_e64 v2, 0, 1.0, s[10:11]
	v_cvt_f16_f32_e32 v2, v2
	s_waitcnt vmcnt(0)
	global_store_short v[0:1], v2, off
.LBB127_2816:
	s_mov_b64 s[0:1], 0
.LBB127_2817:
	s_andn2_b64 vcc, exec, s[0:1]
	s_cbranch_vccnz .LBB127_2833
; %bb.2818:
	s_sext_i32_i16 s2, s26
	s_cmp_lt_i32 s2, 2
	s_mov_b64 s[0:1], -1
	s_cbranch_scc1 .LBB127_2828
; %bb.2819:
	s_cmp_lt_i32 s2, 3
	s_cbranch_scc1 .LBB127_2825
; %bb.2820:
	s_cmp_gt_i32 s2, 3
	s_cbranch_scc0 .LBB127_2822
; %bb.2821:
	s_mov_b32 s0, 0
	v_cndmask_b32_e64 v2, 0, 1, s[10:11]
	s_waitcnt vmcnt(0)
	v_mov_b32_e32 v3, s0
	global_store_dwordx2 v[0:1], v[2:3], off
	s_mov_b64 s[0:1], 0
.LBB127_2822:
	s_andn2_b64 vcc, exec, s[0:1]
	s_cbranch_vccnz .LBB127_2824
; %bb.2823:
	v_cndmask_b32_e64 v2, 0, 1, s[10:11]
	s_waitcnt vmcnt(0)
	global_store_dword v[0:1], v2, off
.LBB127_2824:
	s_mov_b64 s[0:1], 0
.LBB127_2825:
	s_andn2_b64 vcc, exec, s[0:1]
	s_cbranch_vccnz .LBB127_2827
; %bb.2826:
	v_cndmask_b32_e64 v2, 0, 1, s[10:11]
	s_waitcnt vmcnt(0)
	global_store_short v[0:1], v2, off
.LBB127_2827:
	s_mov_b64 s[0:1], 0
.LBB127_2828:
	s_andn2_b64 vcc, exec, s[0:1]
	s_cbranch_vccnz .LBB127_2833
; %bb.2829:
	s_sext_i32_i16 s0, s26
	s_cmp_gt_i32 s0, 0
	s_mov_b64 s[0:1], -1
	s_cbranch_scc0 .LBB127_2831
; %bb.2830:
	v_cndmask_b32_e64 v2, 0, 1, s[10:11]
	s_waitcnt vmcnt(0)
	global_store_byte v[0:1], v2, off
	s_mov_b64 s[0:1], 0
.LBB127_2831:
	s_andn2_b64 vcc, exec, s[0:1]
	s_cbranch_vccnz .LBB127_2833
; %bb.2832:
	v_cndmask_b32_e64 v2, 0, 1, s[10:11]
	s_waitcnt vmcnt(0)
	global_store_byte v[0:1], v2, off
	s_endpgm
.LBB127_2833:
	s_endpgm
.LBB127_2834:
	s_mov_b64 s[22:23], -1
                                        ; implicit-def: $sgpr10_sgpr11
	s_mov_b64 s[20:21], 0
	s_branch .LBB127_2841
.LBB127_2835:
	s_mov_b64 s[22:23], -1
	s_mov_b64 s[20:21], 0
                                        ; implicit-def: $sgpr10_sgpr11
	s_branch .LBB127_2838
.LBB127_2836:
	s_mov_b64 s[20:21], -1
                                        ; implicit-def: $sgpr10_sgpr11
.LBB127_2837:
	s_mov_b64 s[22:23], 0
.LBB127_2838:
	s_and_b64 vcc, exec, s[22:23]
	s_cbranch_vccz .LBB127_2840
; %bb.2839:
	s_waitcnt vmcnt(0)
	v_cmp_gt_f16_e32 vcc, v1, v3
	s_andn2_b64 s[10:11], s[10:11], exec
	s_and_b64 s[22:23], vcc, exec
	s_or_b64 s[10:11], s[10:11], s[22:23]
.LBB127_2840:
	s_mov_b64 s[22:23], 0
.LBB127_2841:
	s_and_b64 vcc, exec, s[22:23]
	s_cbranch_vccz .LBB127_2923
; %bb.2842:
	s_cmp_lg_u32 s28, 0
	s_mov_b64 s[0:1], -1
	s_cselect_b64 s[20:21], -1, 0
	s_andn2_b64 vcc, exec, s[20:21]
	s_cbranch_vccz .LBB127_2924
.LBB127_2843:
	s_andn2_b64 vcc, exec, s[0:1]
	s_cbranch_vccnz .LBB127_2845
.LBB127_2844:
	s_waitcnt vmcnt(0)
	v_cmp_ge_f16_e32 vcc, v1, v3
	s_andn2_b64 s[0:1], s[10:11], exec
	s_and_b64 s[10:11], vcc, exec
	s_or_b64 s[10:11], s[0:1], s[10:11]
.LBB127_2845:
	s_load_dword s0, s[2:3], 0x1a4
	v_mov_b32_e32 v1, s9
	v_add_co_u32_e32 v5, vcc, s8, v6
	v_addc_co_u32_e32 v6, vcc, 0, v1, vcc
	s_waitcnt lgkmcnt(0)
	s_and_b32 s26, s0, 0xff
	s_cmp_lt_i32 s26, 11
	s_cbranch_scc1 .LBB127_2925
; %bb.2846:
	s_and_b32 s27, 0xffff, s26
	s_mov_b64 s[22:23], -1
	s_mov_b64 s[2:3], 0
	s_cmp_gt_i32 s27, 25
	s_mov_b64 s[20:21], 0
	s_mov_b64 s[0:1], 0
	s_cbranch_scc0 .LBB127_2879
; %bb.2847:
	s_cmp_gt_i32 s27, 28
	s_cbranch_scc0 .LBB127_2862
; %bb.2848:
	s_cmp_gt_i32 s27, 43
	;; [unrolled: 3-line block ×3, first 2 shown]
	s_cbranch_scc0 .LBB127_2852
; %bb.2850:
	s_mov_b64 s[0:1], -1
	s_mov_b64 s[22:23], 0
	s_cmp_eq_u32 s27, 46
	s_cbranch_scc0 .LBB127_2852
; %bb.2851:
	v_cndmask_b32_e64 v1, 0, 1.0, s[6:7]
	s_waitcnt vmcnt(0)
	v_bfe_u32 v3, v1, 16, 1
	s_movk_i32 s0, 0x7fff
	v_add3_u32 v1, v1, v3, s0
	v_lshrrev_b32_e32 v1, 16, v1
	global_store_dword v[5:6], v1, off
	s_mov_b64 s[0:1], 0
	s_mov_b64 s[20:21], -1
.LBB127_2852:
	s_and_b64 vcc, exec, s[22:23]
	s_cbranch_vccz .LBB127_2857
; %bb.2853:
	s_cmp_eq_u32 s27, 44
	s_mov_b64 s[0:1], -1
	s_cbranch_scc0 .LBB127_2857
; %bb.2854:
	s_waitcnt vmcnt(0)
	v_cndmask_b32_e64 v3, 0, 1.0, s[6:7]
	v_lshrrev_b32_e32 v1, 23, v3
	s_movk_i32 s0, 0xff
	v_cmp_ne_u32_e32 vcc, s0, v1
	v_mov_b32_e32 v7, 0xff
	s_and_saveexec_b64 s[20:21], vcc
; %bb.2855:
	s_mov_b32 s0, 0x3fffff
	v_and_b32_e32 v7, 0x400000, v3
	v_and_or_b32 v3, v3, s0, v1
	v_cmp_ne_u32_e32 vcc, 0, v7
	v_cmp_ne_u32_e64 s[0:1], 0, v3
	s_and_b64 s[0:1], vcc, s[0:1]
	v_cndmask_b32_e64 v3, 0, 1, s[0:1]
	v_add_u32_e32 v7, v1, v3
; %bb.2856:
	s_or_b64 exec, exec, s[20:21]
	s_mov_b64 s[0:1], 0
	s_mov_b64 s[20:21], -1
	global_store_byte v[5:6], v7, off
.LBB127_2857:
	s_mov_b64 s[22:23], 0
.LBB127_2858:
	s_and_b64 vcc, exec, s[22:23]
	s_cbranch_vccz .LBB127_2861
; %bb.2859:
	s_cmp_eq_u32 s27, 29
	s_mov_b64 s[0:1], -1
	s_cbranch_scc0 .LBB127_2861
; %bb.2860:
	s_mov_b32 s0, 0
	v_cndmask_b32_e64 v7, 0, 1, s[6:7]
	v_mov_b32_e32 v8, s0
	global_store_dwordx2 v[5:6], v[7:8], off
	s_mov_b64 s[0:1], 0
	s_mov_b64 s[20:21], -1
.LBB127_2861:
	s_mov_b64 s[22:23], 0
.LBB127_2862:
	s_and_b64 vcc, exec, s[22:23]
	s_cbranch_vccz .LBB127_2878
; %bb.2863:
	s_cmp_lt_i32 s27, 27
	s_mov_b64 s[20:21], -1
	s_cbranch_scc1 .LBB127_2869
; %bb.2864:
	s_cmp_gt_i32 s27, 27
	s_cbranch_scc0 .LBB127_2866
; %bb.2865:
	v_cndmask_b32_e64 v1, 0, 1, s[6:7]
	s_mov_b64 s[20:21], 0
	global_store_dword v[5:6], v1, off
.LBB127_2866:
	s_andn2_b64 vcc, exec, s[20:21]
	s_cbranch_vccnz .LBB127_2868
; %bb.2867:
	v_cndmask_b32_e64 v1, 0, 1, s[6:7]
	global_store_short v[5:6], v1, off
.LBB127_2868:
	s_mov_b64 s[20:21], 0
.LBB127_2869:
	s_andn2_b64 vcc, exec, s[20:21]
	s_cbranch_vccnz .LBB127_2877
; %bb.2870:
	s_waitcnt vmcnt(0)
	v_cndmask_b32_e64 v3, 0, 1.0, s[6:7]
	s_mov_b32 s20, 0x43800000
	v_cmp_gt_u32_e32 vcc, s20, v3
	v_mov_b32_e32 v7, 0x80
	s_and_saveexec_b64 s[20:21], vcc
	s_cbranch_execz .LBB127_2876
; %bb.2871:
	s_mov_b32 s22, 0x3bffffff
	v_cmp_lt_u32_e32 vcc, s22, v3
	s_mov_b64 s[22:23], 0
                                        ; implicit-def: $vgpr1
	s_and_saveexec_b64 s[24:25], vcc
	s_xor_b64 s[24:25], exec, s[24:25]
	s_cbranch_execz .LBB127_3283
; %bb.2872:
	v_bfe_u32 v1, v3, 20, 1
	s_mov_b32 s28, 0x487ffff
	v_add3_u32 v1, v3, v1, s28
	s_mov_b64 s[22:23], exec
	v_lshrrev_b32_e32 v1, 20, v1
                                        ; implicit-def: $vgpr3
	s_andn2_saveexec_b64 s[24:25], s[24:25]
	s_cbranch_execnz .LBB127_3284
.LBB127_2873:
	s_or_b64 exec, exec, s[24:25]
	v_mov_b32_e32 v7, 0
	s_and_saveexec_b64 s[24:25], s[22:23]
.LBB127_2874:
	v_mov_b32_e32 v7, v1
.LBB127_2875:
	s_or_b64 exec, exec, s[24:25]
.LBB127_2876:
	s_or_b64 exec, exec, s[20:21]
	global_store_byte v[5:6], v7, off
.LBB127_2877:
	s_mov_b64 s[20:21], -1
.LBB127_2878:
	s_mov_b64 s[22:23], 0
.LBB127_2879:
	s_and_b64 vcc, exec, s[22:23]
	s_cbranch_vccz .LBB127_2919
; %bb.2880:
	s_cmp_gt_i32 s27, 22
	s_mov_b64 s[2:3], -1
	s_cbranch_scc0 .LBB127_2912
; %bb.2881:
	s_cmp_lt_i32 s27, 24
	s_cbranch_scc1 .LBB127_2901
; %bb.2882:
	s_cmp_gt_i32 s27, 24
	s_cbranch_scc0 .LBB127_2890
; %bb.2883:
	s_waitcnt vmcnt(0)
	v_cndmask_b32_e64 v3, 0, 1.0, s[6:7]
	s_mov_b32 s2, 0x47800000
	v_cmp_gt_u32_e32 vcc, s2, v3
	v_mov_b32_e32 v7, 0x80
	s_and_saveexec_b64 s[2:3], vcc
	s_cbranch_execz .LBB127_2889
; %bb.2884:
	s_mov_b32 s20, 0x37ffffff
	v_cmp_lt_u32_e32 vcc, s20, v3
	s_mov_b64 s[20:21], 0
                                        ; implicit-def: $vgpr1
	s_and_saveexec_b64 s[22:23], vcc
	s_xor_b64 s[22:23], exec, s[22:23]
	s_cbranch_execz .LBB127_3286
; %bb.2885:
	v_bfe_u32 v1, v3, 21, 1
	s_mov_b32 s24, 0x88fffff
	v_add3_u32 v1, v3, v1, s24
	s_mov_b64 s[20:21], exec
	v_lshrrev_b32_e32 v1, 21, v1
                                        ; implicit-def: $vgpr3
	s_andn2_saveexec_b64 s[22:23], s[22:23]
	s_cbranch_execnz .LBB127_3287
.LBB127_2886:
	s_or_b64 exec, exec, s[22:23]
	v_mov_b32_e32 v7, 0
	s_and_saveexec_b64 s[22:23], s[20:21]
.LBB127_2887:
	v_mov_b32_e32 v7, v1
.LBB127_2888:
	s_or_b64 exec, exec, s[22:23]
.LBB127_2889:
	s_or_b64 exec, exec, s[2:3]
	s_mov_b64 s[2:3], 0
	global_store_byte v[5:6], v7, off
.LBB127_2890:
	s_and_b64 vcc, exec, s[2:3]
	s_cbranch_vccz .LBB127_2900
; %bb.2891:
	v_cndmask_b32_e64 v1, 0, 1.0, s[6:7]
	s_mov_b32 s2, 0x43f00000
	v_cmp_gt_u32_e32 vcc, s2, v1
                                        ; implicit-def: $vgpr3
	s_and_saveexec_b64 s[2:3], vcc
	s_xor_b64 s[2:3], exec, s[2:3]
	s_cbranch_execz .LBB127_2897
; %bb.2892:
	s_mov_b32 s20, 0x3c7fffff
	v_cmp_lt_u32_e32 vcc, s20, v1
                                        ; implicit-def: $vgpr3
	s_and_saveexec_b64 s[20:21], vcc
	s_xor_b64 s[20:21], exec, s[20:21]
	s_cbranch_execz .LBB127_2894
; %bb.2893:
	s_waitcnt vmcnt(0)
	v_bfe_u32 v3, v1, 20, 1
	s_mov_b32 s22, 0x407ffff
	v_add3_u32 v1, v1, v3, s22
	v_lshrrev_b32_e32 v3, 20, v1
	v_and_b32_e32 v1, 0xff00000, v1
	s_mov_b32 s22, 0x7f00000
	v_mov_b32_e32 v7, 0x7e
	v_cmp_ne_u32_e32 vcc, s22, v1
	v_cndmask_b32_e32 v3, v7, v3, vcc
                                        ; implicit-def: $vgpr1
.LBB127_2894:
	s_andn2_saveexec_b64 s[20:21], s[20:21]
	s_cbranch_execz .LBB127_2896
; %bb.2895:
	s_waitcnt vmcnt(0)
	v_add_f32_e32 v3, 0x46800000, v1
.LBB127_2896:
	s_or_b64 exec, exec, s[20:21]
                                        ; implicit-def: $vgpr1
.LBB127_2897:
	s_andn2_saveexec_b64 s[2:3], s[2:3]
	s_cbranch_execz .LBB127_2899
; %bb.2898:
	s_mov_b32 s20, 0x7f800000
	s_waitcnt vmcnt(0)
	v_mov_b32_e32 v3, 0x7e
	v_mov_b32_e32 v7, 0x7f
	v_cmp_lt_u32_e32 vcc, s20, v1
	v_cndmask_b32_e32 v3, v3, v7, vcc
.LBB127_2899:
	s_or_b64 exec, exec, s[2:3]
	s_waitcnt vmcnt(0)
	global_store_byte v[5:6], v3, off
.LBB127_2900:
	s_mov_b64 s[2:3], 0
.LBB127_2901:
	s_andn2_b64 vcc, exec, s[2:3]
	s_cbranch_vccnz .LBB127_2911
; %bb.2902:
	v_cndmask_b32_e64 v1, 0, 1.0, s[6:7]
	s_mov_b32 s2, 0x47800000
	v_cmp_gt_u32_e32 vcc, s2, v1
                                        ; implicit-def: $vgpr3
	s_and_saveexec_b64 s[2:3], vcc
	s_xor_b64 s[2:3], exec, s[2:3]
	s_cbranch_execz .LBB127_2908
; %bb.2903:
	s_mov_b32 s20, 0x387fffff
	v_cmp_lt_u32_e32 vcc, s20, v1
                                        ; implicit-def: $vgpr3
	s_and_saveexec_b64 s[20:21], vcc
	s_xor_b64 s[20:21], exec, s[20:21]
	s_cbranch_execz .LBB127_2905
; %bb.2904:
	s_waitcnt vmcnt(0)
	v_bfe_u32 v3, v1, 21, 1
	s_mov_b32 s22, 0x80fffff
	v_add3_u32 v1, v1, v3, s22
	v_lshrrev_b32_e32 v3, 21, v1
                                        ; implicit-def: $vgpr1
.LBB127_2905:
	s_andn2_saveexec_b64 s[20:21], s[20:21]
	s_cbranch_execz .LBB127_2907
; %bb.2906:
	s_waitcnt vmcnt(0)
	v_add_f32_e32 v3, 0x43000000, v1
.LBB127_2907:
	s_or_b64 exec, exec, s[20:21]
                                        ; implicit-def: $vgpr1
.LBB127_2908:
	s_andn2_saveexec_b64 s[2:3], s[2:3]
	s_cbranch_execz .LBB127_2910
; %bb.2909:
	s_mov_b32 s20, 0x7f800000
	s_waitcnt vmcnt(0)
	v_mov_b32_e32 v3, 0x7c
	v_mov_b32_e32 v7, 0x7f
	v_cmp_lt_u32_e32 vcc, s20, v1
	v_cndmask_b32_e32 v3, v3, v7, vcc
.LBB127_2910:
	s_or_b64 exec, exec, s[2:3]
	s_waitcnt vmcnt(0)
	global_store_byte v[5:6], v3, off
.LBB127_2911:
	s_mov_b64 s[2:3], 0
	s_mov_b64 s[20:21], -1
.LBB127_2912:
	s_andn2_b64 vcc, exec, s[2:3]
	s_mov_b64 s[2:3], 0
	s_cbranch_vccnz .LBB127_2919
; %bb.2913:
	s_cmp_gt_i32 s27, 14
	s_mov_b64 s[22:23], -1
	s_cbranch_scc0 .LBB127_2917
; %bb.2914:
	s_cmp_eq_u32 s27, 15
	s_mov_b64 s[0:1], -1
	s_cbranch_scc0 .LBB127_2916
; %bb.2915:
	v_cndmask_b32_e64 v1, 0, 1.0, s[6:7]
	s_waitcnt vmcnt(0)
	v_bfe_u32 v3, v1, 16, 1
	s_movk_i32 s0, 0x7fff
	v_add3_u32 v1, v1, v3, s0
	global_store_short_d16_hi v[5:6], v1, off
	s_mov_b64 s[0:1], 0
	s_mov_b64 s[20:21], -1
.LBB127_2916:
	s_mov_b64 s[22:23], 0
.LBB127_2917:
	s_and_b64 vcc, exec, s[22:23]
	s_cbranch_vccz .LBB127_2919
; %bb.2918:
	s_cmp_lg_u32 s27, 11
	s_mov_b64 s[2:3], -1
	s_cselect_b64 s[0:1], -1, 0
.LBB127_2919:
	s_and_b64 vcc, exec, s[0:1]
	s_cbranch_vccnz .LBB127_3285
; %bb.2920:
	s_andn2_b64 vcc, exec, s[2:3]
	s_cbranch_vccnz .LBB127_2922
.LBB127_2921:
	v_cndmask_b32_e64 v1, 0, 1, s[6:7]
	s_mov_b64 s[20:21], -1
	global_store_byte v[5:6], v1, off
.LBB127_2922:
	s_mov_b64 s[0:1], 0
	s_branch .LBB127_2926
.LBB127_2923:
	s_andn2_b64 vcc, exec, s[20:21]
	s_cbranch_vccnz .LBB127_2843
.LBB127_2924:
	s_waitcnt vmcnt(0)
	v_cmp_lt_f16_e32 vcc, v1, v3
	s_andn2_b64 s[10:11], s[10:11], exec
	s_and_b64 s[20:21], vcc, exec
	s_or_b64 s[10:11], s[10:11], s[20:21]
	s_cbranch_execz .LBB127_2844
	s_branch .LBB127_2845
.LBB127_2925:
	s_mov_b64 s[0:1], -1
	s_mov_b64 s[20:21], 0
.LBB127_2926:
	s_and_b64 vcc, exec, s[0:1]
	s_cbranch_vccz .LBB127_2965
; %bb.2927:
	s_and_b32 s2, 0xffff, s26
	s_cmp_lt_i32 s2, 5
	s_mov_b64 s[0:1], -1
	s_cbranch_scc1 .LBB127_2948
; %bb.2928:
	s_cmp_lt_i32 s2, 8
	s_cbranch_scc1 .LBB127_2938
; %bb.2929:
	s_cmp_lt_i32 s2, 9
	s_cbranch_scc1 .LBB127_2935
; %bb.2930:
	s_cmp_gt_i32 s2, 9
	s_cbranch_scc0 .LBB127_2932
; %bb.2931:
	v_cndmask_b32_e64 v1, 0, 1, s[6:7]
	v_cvt_f64_u32_e32 v[7:8], v1
	v_mov_b32_e32 v9, 0
	v_mov_b32_e32 v10, v9
	s_mov_b64 s[0:1], 0
	global_store_dwordx4 v[5:6], v[7:10], off
.LBB127_2932:
	s_andn2_b64 vcc, exec, s[0:1]
	s_cbranch_vccnz .LBB127_2934
; %bb.2933:
	v_cndmask_b32_e64 v7, 0, 1.0, s[6:7]
	v_mov_b32_e32 v8, 0
	global_store_dwordx2 v[5:6], v[7:8], off
.LBB127_2934:
	s_mov_b64 s[0:1], 0
.LBB127_2935:
	s_andn2_b64 vcc, exec, s[0:1]
	s_cbranch_vccnz .LBB127_2937
; %bb.2936:
	v_cndmask_b32_e64 v1, 0, 1.0, s[6:7]
	v_cvt_f16_f32_e32 v1, v1
	global_store_dword v[5:6], v1, off
.LBB127_2937:
	s_mov_b64 s[0:1], 0
.LBB127_2938:
	s_andn2_b64 vcc, exec, s[0:1]
	s_cbranch_vccnz .LBB127_2947
; %bb.2939:
	s_cmp_lt_i32 s2, 6
	s_mov_b64 s[0:1], -1
	s_cbranch_scc1 .LBB127_2945
; %bb.2940:
	s_cmp_gt_i32 s2, 6
	s_cbranch_scc0 .LBB127_2942
; %bb.2941:
	v_cndmask_b32_e64 v1, 0, 1, s[6:7]
	v_cvt_f64_u32_e32 v[7:8], v1
	s_mov_b64 s[0:1], 0
	global_store_dwordx2 v[5:6], v[7:8], off
.LBB127_2942:
	s_andn2_b64 vcc, exec, s[0:1]
	s_cbranch_vccnz .LBB127_2944
; %bb.2943:
	v_cndmask_b32_e64 v1, 0, 1.0, s[6:7]
	global_store_dword v[5:6], v1, off
.LBB127_2944:
	s_mov_b64 s[0:1], 0
.LBB127_2945:
	s_andn2_b64 vcc, exec, s[0:1]
	s_cbranch_vccnz .LBB127_2947
; %bb.2946:
	v_cndmask_b32_e64 v1, 0, 1.0, s[6:7]
	v_cvt_f16_f32_e32 v1, v1
	global_store_short v[5:6], v1, off
.LBB127_2947:
	s_mov_b64 s[0:1], 0
.LBB127_2948:
	s_andn2_b64 vcc, exec, s[0:1]
	s_cbranch_vccnz .LBB127_2964
; %bb.2949:
	s_cmp_lt_i32 s2, 2
	s_mov_b64 s[0:1], -1
	s_cbranch_scc1 .LBB127_2959
; %bb.2950:
	s_cmp_lt_i32 s2, 3
	s_cbranch_scc1 .LBB127_2956
; %bb.2951:
	s_cmp_gt_i32 s2, 3
	s_cbranch_scc0 .LBB127_2953
; %bb.2952:
	s_mov_b32 s0, 0
	v_cndmask_b32_e64 v7, 0, 1, s[6:7]
	v_mov_b32_e32 v8, s0
	global_store_dwordx2 v[5:6], v[7:8], off
	s_mov_b64 s[0:1], 0
.LBB127_2953:
	s_andn2_b64 vcc, exec, s[0:1]
	s_cbranch_vccnz .LBB127_2955
; %bb.2954:
	v_cndmask_b32_e64 v1, 0, 1, s[6:7]
	global_store_dword v[5:6], v1, off
.LBB127_2955:
	s_mov_b64 s[0:1], 0
.LBB127_2956:
	s_andn2_b64 vcc, exec, s[0:1]
	s_cbranch_vccnz .LBB127_2958
; %bb.2957:
	v_cndmask_b32_e64 v1, 0, 1, s[6:7]
	global_store_short v[5:6], v1, off
.LBB127_2958:
	s_mov_b64 s[0:1], 0
.LBB127_2959:
	s_andn2_b64 vcc, exec, s[0:1]
	s_cbranch_vccnz .LBB127_2964
; %bb.2960:
	s_mov_b64 s[0:1], -1
	s_cmp_gt_i32 s2, 0
	v_cndmask_b32_e64 v1, 0, 1, s[6:7]
	s_cbranch_scc0 .LBB127_2962
; %bb.2961:
	global_store_byte v[5:6], v1, off
	s_mov_b64 s[0:1], 0
.LBB127_2962:
	s_andn2_b64 vcc, exec, s[0:1]
	s_cbranch_vccnz .LBB127_2964
; %bb.2963:
	global_store_byte v[5:6], v1, off
.LBB127_2964:
	s_mov_b64 s[20:21], -1
.LBB127_2965:
	s_andn2_b64 vcc, exec, s[20:21]
	s_cbranch_vccnz .LBB127_3280
; %bb.2966:
	v_mov_b32_e32 v1, s9
	s_and_b32 s24, 0xffff, s26
	s_waitcnt vmcnt(0)
	v_add_co_u32_e32 v3, vcc, s8, v4
	s_cmp_lt_i32 s24, 11
	v_addc_co_u32_e32 v4, vcc, 0, v1, vcc
	s_cbranch_scc1 .LBB127_3044
; %bb.2967:
	s_mov_b64 s[20:21], -1
	s_mov_b64 s[2:3], 0
	s_cmp_gt_i32 s24, 25
	s_mov_b64 s[6:7], 0
	s_mov_b64 s[0:1], 0
	s_cbranch_scc0 .LBB127_3000
; %bb.2968:
	s_cmp_gt_i32 s24, 28
	s_cbranch_scc0 .LBB127_2983
; %bb.2969:
	s_cmp_gt_i32 s24, 43
	;; [unrolled: 3-line block ×3, first 2 shown]
	s_cbranch_scc0 .LBB127_2973
; %bb.2971:
	s_mov_b64 s[0:1], -1
	s_mov_b64 s[20:21], 0
	s_cmp_eq_u32 s24, 46
	s_cbranch_scc0 .LBB127_2973
; %bb.2972:
	v_cndmask_b32_e64 v1, 0, 1.0, s[16:17]
	v_bfe_u32 v5, v1, 16, 1
	s_movk_i32 s0, 0x7fff
	v_add3_u32 v1, v1, v5, s0
	v_lshrrev_b32_e32 v1, 16, v1
	global_store_dword v[3:4], v1, off
	s_mov_b64 s[0:1], 0
	s_mov_b64 s[6:7], -1
.LBB127_2973:
	s_and_b64 vcc, exec, s[20:21]
	s_cbranch_vccz .LBB127_2978
; %bb.2974:
	s_cmp_eq_u32 s24, 44
	s_mov_b64 s[0:1], -1
	s_cbranch_scc0 .LBB127_2978
; %bb.2975:
	v_cndmask_b32_e64 v5, 0, 1.0, s[16:17]
	v_lshrrev_b32_e32 v1, 23, v5
	s_movk_i32 s0, 0xff
	v_cmp_ne_u32_e32 vcc, s0, v1
	v_mov_b32_e32 v6, 0xff
	s_and_saveexec_b64 s[6:7], vcc
; %bb.2976:
	s_mov_b32 s0, 0x3fffff
	v_and_b32_e32 v6, 0x400000, v5
	v_and_or_b32 v5, v5, s0, v1
	v_cmp_ne_u32_e32 vcc, 0, v6
	v_cmp_ne_u32_e64 s[0:1], 0, v5
	s_and_b64 s[0:1], vcc, s[0:1]
	v_cndmask_b32_e64 v5, 0, 1, s[0:1]
	v_add_u32_e32 v6, v1, v5
; %bb.2977:
	s_or_b64 exec, exec, s[6:7]
	s_mov_b64 s[0:1], 0
	s_mov_b64 s[6:7], -1
	global_store_byte v[3:4], v6, off
.LBB127_2978:
	s_mov_b64 s[20:21], 0
.LBB127_2979:
	s_and_b64 vcc, exec, s[20:21]
	s_cbranch_vccz .LBB127_2982
; %bb.2980:
	s_cmp_eq_u32 s24, 29
	s_mov_b64 s[0:1], -1
	s_cbranch_scc0 .LBB127_2982
; %bb.2981:
	s_mov_b32 s0, 0
	v_cndmask_b32_e64 v5, 0, 1, s[16:17]
	v_mov_b32_e32 v6, s0
	global_store_dwordx2 v[3:4], v[5:6], off
	s_mov_b64 s[0:1], 0
	s_mov_b64 s[6:7], -1
.LBB127_2982:
	s_mov_b64 s[20:21], 0
.LBB127_2983:
	s_and_b64 vcc, exec, s[20:21]
	s_cbranch_vccz .LBB127_2999
; %bb.2984:
	s_cmp_lt_i32 s24, 27
	s_mov_b64 s[6:7], -1
	s_cbranch_scc1 .LBB127_2990
; %bb.2985:
	s_cmp_gt_i32 s24, 27
	s_cbranch_scc0 .LBB127_2987
; %bb.2986:
	v_cndmask_b32_e64 v1, 0, 1, s[16:17]
	s_mov_b64 s[6:7], 0
	global_store_dword v[3:4], v1, off
.LBB127_2987:
	s_andn2_b64 vcc, exec, s[6:7]
	s_cbranch_vccnz .LBB127_2989
; %bb.2988:
	v_cndmask_b32_e64 v1, 0, 1, s[16:17]
	global_store_short v[3:4], v1, off
.LBB127_2989:
	s_mov_b64 s[6:7], 0
.LBB127_2990:
	s_andn2_b64 vcc, exec, s[6:7]
	s_cbranch_vccnz .LBB127_2998
; %bb.2991:
	v_cndmask_b32_e64 v5, 0, 1.0, s[16:17]
	s_mov_b32 s6, 0x43800000
	v_cmp_gt_u32_e32 vcc, s6, v5
	v_mov_b32_e32 v6, 0x80
	s_and_saveexec_b64 s[6:7], vcc
	s_cbranch_execz .LBB127_2997
; %bb.2992:
	s_mov_b32 s20, 0x3bffffff
	v_cmp_lt_u32_e32 vcc, s20, v5
	s_mov_b64 s[20:21], 0
                                        ; implicit-def: $vgpr1
	s_and_saveexec_b64 s[22:23], vcc
	s_xor_b64 s[22:23], exec, s[22:23]
	s_cbranch_execz .LBB127_3288
; %bb.2993:
	v_bfe_u32 v1, v5, 20, 1
	s_mov_b32 s25, 0x487ffff
	v_add3_u32 v1, v5, v1, s25
	s_mov_b64 s[20:21], exec
	v_lshrrev_b32_e32 v1, 20, v1
                                        ; implicit-def: $vgpr5
	s_andn2_saveexec_b64 s[22:23], s[22:23]
	s_cbranch_execnz .LBB127_3289
.LBB127_2994:
	s_or_b64 exec, exec, s[22:23]
	v_mov_b32_e32 v6, 0
	s_and_saveexec_b64 s[22:23], s[20:21]
.LBB127_2995:
	v_mov_b32_e32 v6, v1
.LBB127_2996:
	s_or_b64 exec, exec, s[22:23]
.LBB127_2997:
	s_or_b64 exec, exec, s[6:7]
	global_store_byte v[3:4], v6, off
.LBB127_2998:
	s_mov_b64 s[6:7], -1
.LBB127_2999:
	s_mov_b64 s[20:21], 0
.LBB127_3000:
	s_and_b64 vcc, exec, s[20:21]
	s_cbranch_vccz .LBB127_3040
; %bb.3001:
	s_cmp_gt_i32 s24, 22
	s_mov_b64 s[2:3], -1
	s_cbranch_scc0 .LBB127_3033
; %bb.3002:
	s_cmp_lt_i32 s24, 24
	s_cbranch_scc1 .LBB127_3022
; %bb.3003:
	s_cmp_gt_i32 s24, 24
	s_cbranch_scc0 .LBB127_3011
; %bb.3004:
	v_cndmask_b32_e64 v5, 0, 1.0, s[16:17]
	s_mov_b32 s2, 0x47800000
	v_cmp_gt_u32_e32 vcc, s2, v5
	v_mov_b32_e32 v6, 0x80
	s_and_saveexec_b64 s[2:3], vcc
	s_cbranch_execz .LBB127_3010
; %bb.3005:
	s_mov_b32 s6, 0x37ffffff
	v_cmp_lt_u32_e32 vcc, s6, v5
	s_mov_b64 s[6:7], 0
                                        ; implicit-def: $vgpr1
	s_and_saveexec_b64 s[20:21], vcc
	s_xor_b64 s[20:21], exec, s[20:21]
	s_cbranch_execz .LBB127_3291
; %bb.3006:
	v_bfe_u32 v1, v5, 21, 1
	s_mov_b32 s22, 0x88fffff
	v_add3_u32 v1, v5, v1, s22
	s_mov_b64 s[6:7], exec
	v_lshrrev_b32_e32 v1, 21, v1
                                        ; implicit-def: $vgpr5
	s_andn2_saveexec_b64 s[20:21], s[20:21]
	s_cbranch_execnz .LBB127_3292
.LBB127_3007:
	s_or_b64 exec, exec, s[20:21]
	v_mov_b32_e32 v6, 0
	s_and_saveexec_b64 s[20:21], s[6:7]
.LBB127_3008:
	v_mov_b32_e32 v6, v1
.LBB127_3009:
	s_or_b64 exec, exec, s[20:21]
.LBB127_3010:
	s_or_b64 exec, exec, s[2:3]
	s_mov_b64 s[2:3], 0
	global_store_byte v[3:4], v6, off
.LBB127_3011:
	s_and_b64 vcc, exec, s[2:3]
	s_cbranch_vccz .LBB127_3021
; %bb.3012:
	v_cndmask_b32_e64 v1, 0, 1.0, s[16:17]
	s_mov_b32 s2, 0x43f00000
	v_cmp_gt_u32_e32 vcc, s2, v1
                                        ; implicit-def: $vgpr5
	s_and_saveexec_b64 s[2:3], vcc
	s_xor_b64 s[2:3], exec, s[2:3]
	s_cbranch_execz .LBB127_3018
; %bb.3013:
	s_mov_b32 s6, 0x3c7fffff
	v_cmp_lt_u32_e32 vcc, s6, v1
                                        ; implicit-def: $vgpr5
	s_and_saveexec_b64 s[6:7], vcc
	s_xor_b64 s[6:7], exec, s[6:7]
; %bb.3014:
	v_bfe_u32 v5, v1, 20, 1
	s_mov_b32 s20, 0x407ffff
	v_add3_u32 v1, v1, v5, s20
	v_lshrrev_b32_e32 v5, 20, v1
	v_and_b32_e32 v1, 0xff00000, v1
	s_mov_b32 s20, 0x7f00000
	v_mov_b32_e32 v6, 0x7e
	v_cmp_ne_u32_e32 vcc, s20, v1
	v_cndmask_b32_e32 v5, v6, v5, vcc
                                        ; implicit-def: $vgpr1
; %bb.3015:
	s_andn2_saveexec_b64 s[6:7], s[6:7]
; %bb.3016:
	v_add_f32_e32 v5, 0x46800000, v1
; %bb.3017:
	s_or_b64 exec, exec, s[6:7]
                                        ; implicit-def: $vgpr1
.LBB127_3018:
	s_andn2_saveexec_b64 s[2:3], s[2:3]
; %bb.3019:
	s_mov_b32 s6, 0x7f800000
	v_mov_b32_e32 v5, 0x7e
	v_mov_b32_e32 v6, 0x7f
	v_cmp_lt_u32_e32 vcc, s6, v1
	v_cndmask_b32_e32 v5, v5, v6, vcc
; %bb.3020:
	s_or_b64 exec, exec, s[2:3]
	global_store_byte v[3:4], v5, off
.LBB127_3021:
	s_mov_b64 s[2:3], 0
.LBB127_3022:
	s_andn2_b64 vcc, exec, s[2:3]
	s_cbranch_vccnz .LBB127_3032
; %bb.3023:
	v_cndmask_b32_e64 v1, 0, 1.0, s[16:17]
	s_mov_b32 s2, 0x47800000
	v_cmp_gt_u32_e32 vcc, s2, v1
                                        ; implicit-def: $vgpr5
	s_and_saveexec_b64 s[2:3], vcc
	s_xor_b64 s[2:3], exec, s[2:3]
	s_cbranch_execz .LBB127_3029
; %bb.3024:
	s_mov_b32 s6, 0x387fffff
	v_cmp_lt_u32_e32 vcc, s6, v1
                                        ; implicit-def: $vgpr5
	s_and_saveexec_b64 s[6:7], vcc
	s_xor_b64 s[6:7], exec, s[6:7]
; %bb.3025:
	v_bfe_u32 v5, v1, 21, 1
	s_mov_b32 s20, 0x80fffff
	v_add3_u32 v1, v1, v5, s20
	v_lshrrev_b32_e32 v5, 21, v1
                                        ; implicit-def: $vgpr1
; %bb.3026:
	s_andn2_saveexec_b64 s[6:7], s[6:7]
; %bb.3027:
	v_add_f32_e32 v5, 0x43000000, v1
; %bb.3028:
	s_or_b64 exec, exec, s[6:7]
                                        ; implicit-def: $vgpr1
.LBB127_3029:
	s_andn2_saveexec_b64 s[2:3], s[2:3]
; %bb.3030:
	s_mov_b32 s6, 0x7f800000
	v_mov_b32_e32 v5, 0x7c
	v_mov_b32_e32 v6, 0x7f
	v_cmp_lt_u32_e32 vcc, s6, v1
	v_cndmask_b32_e32 v5, v5, v6, vcc
; %bb.3031:
	s_or_b64 exec, exec, s[2:3]
	global_store_byte v[3:4], v5, off
.LBB127_3032:
	s_mov_b64 s[2:3], 0
	s_mov_b64 s[6:7], -1
.LBB127_3033:
	s_andn2_b64 vcc, exec, s[2:3]
	s_mov_b64 s[2:3], 0
	s_cbranch_vccnz .LBB127_3040
; %bb.3034:
	s_cmp_gt_i32 s24, 14
	s_mov_b64 s[20:21], -1
	s_cbranch_scc0 .LBB127_3038
; %bb.3035:
	s_cmp_eq_u32 s24, 15
	s_mov_b64 s[0:1], -1
	s_cbranch_scc0 .LBB127_3037
; %bb.3036:
	v_cndmask_b32_e64 v1, 0, 1.0, s[16:17]
	v_bfe_u32 v5, v1, 16, 1
	s_movk_i32 s0, 0x7fff
	v_add3_u32 v1, v1, v5, s0
	global_store_short_d16_hi v[3:4], v1, off
	s_mov_b64 s[0:1], 0
	s_mov_b64 s[6:7], -1
.LBB127_3037:
	s_mov_b64 s[20:21], 0
.LBB127_3038:
	s_and_b64 vcc, exec, s[20:21]
	s_cbranch_vccz .LBB127_3040
; %bb.3039:
	s_cmp_lg_u32 s24, 11
	s_mov_b64 s[2:3], -1
	s_cselect_b64 s[0:1], -1, 0
.LBB127_3040:
	s_and_b64 vcc, exec, s[0:1]
	s_cbranch_vccnz .LBB127_3290
; %bb.3041:
	s_andn2_b64 vcc, exec, s[2:3]
	s_cbranch_vccnz .LBB127_3043
.LBB127_3042:
	v_cndmask_b32_e64 v1, 0, 1, s[16:17]
	s_mov_b64 s[6:7], -1
	global_store_byte v[3:4], v1, off
.LBB127_3043:
	s_mov_b64 s[0:1], 0
	s_branch .LBB127_3045
.LBB127_3044:
	s_mov_b64 s[0:1], -1
	s_mov_b64 s[6:7], 0
.LBB127_3045:
	s_and_b64 vcc, exec, s[0:1]
	s_cbranch_vccz .LBB127_3084
; %bb.3046:
	s_cmp_lt_i32 s24, 5
	s_mov_b64 s[0:1], -1
	s_cbranch_scc1 .LBB127_3067
; %bb.3047:
	s_cmp_lt_i32 s24, 8
	s_cbranch_scc1 .LBB127_3057
; %bb.3048:
	s_cmp_lt_i32 s24, 9
	s_cbranch_scc1 .LBB127_3054
; %bb.3049:
	s_cmp_gt_i32 s24, 9
	s_cbranch_scc0 .LBB127_3051
; %bb.3050:
	v_cndmask_b32_e64 v1, 0, 1, s[16:17]
	v_cvt_f64_u32_e32 v[5:6], v1
	v_mov_b32_e32 v7, 0
	v_mov_b32_e32 v8, v7
	s_mov_b64 s[0:1], 0
	global_store_dwordx4 v[3:4], v[5:8], off
.LBB127_3051:
	s_andn2_b64 vcc, exec, s[0:1]
	s_cbranch_vccnz .LBB127_3053
; %bb.3052:
	v_cndmask_b32_e64 v5, 0, 1.0, s[16:17]
	v_mov_b32_e32 v6, 0
	global_store_dwordx2 v[3:4], v[5:6], off
.LBB127_3053:
	s_mov_b64 s[0:1], 0
.LBB127_3054:
	s_andn2_b64 vcc, exec, s[0:1]
	s_cbranch_vccnz .LBB127_3056
; %bb.3055:
	v_cndmask_b32_e64 v1, 0, 1.0, s[16:17]
	v_cvt_f16_f32_e32 v1, v1
	global_store_dword v[3:4], v1, off
.LBB127_3056:
	s_mov_b64 s[0:1], 0
.LBB127_3057:
	s_andn2_b64 vcc, exec, s[0:1]
	s_cbranch_vccnz .LBB127_3066
; %bb.3058:
	s_cmp_lt_i32 s24, 6
	s_mov_b64 s[0:1], -1
	s_cbranch_scc1 .LBB127_3064
; %bb.3059:
	s_cmp_gt_i32 s24, 6
	s_cbranch_scc0 .LBB127_3061
; %bb.3060:
	v_cndmask_b32_e64 v1, 0, 1, s[16:17]
	v_cvt_f64_u32_e32 v[5:6], v1
	s_mov_b64 s[0:1], 0
	global_store_dwordx2 v[3:4], v[5:6], off
.LBB127_3061:
	s_andn2_b64 vcc, exec, s[0:1]
	s_cbranch_vccnz .LBB127_3063
; %bb.3062:
	v_cndmask_b32_e64 v1, 0, 1.0, s[16:17]
	global_store_dword v[3:4], v1, off
.LBB127_3063:
	s_mov_b64 s[0:1], 0
.LBB127_3064:
	s_andn2_b64 vcc, exec, s[0:1]
	s_cbranch_vccnz .LBB127_3066
; %bb.3065:
	v_cndmask_b32_e64 v1, 0, 1.0, s[16:17]
	v_cvt_f16_f32_e32 v1, v1
	global_store_short v[3:4], v1, off
.LBB127_3066:
	s_mov_b64 s[0:1], 0
.LBB127_3067:
	s_andn2_b64 vcc, exec, s[0:1]
	s_cbranch_vccnz .LBB127_3083
; %bb.3068:
	s_cmp_lt_i32 s24, 2
	s_mov_b64 s[0:1], -1
	s_cbranch_scc1 .LBB127_3078
; %bb.3069:
	s_cmp_lt_i32 s24, 3
	s_cbranch_scc1 .LBB127_3075
; %bb.3070:
	s_cmp_gt_i32 s24, 3
	s_cbranch_scc0 .LBB127_3072
; %bb.3071:
	s_mov_b32 s0, 0
	v_cndmask_b32_e64 v5, 0, 1, s[16:17]
	v_mov_b32_e32 v6, s0
	global_store_dwordx2 v[3:4], v[5:6], off
	s_mov_b64 s[0:1], 0
.LBB127_3072:
	s_andn2_b64 vcc, exec, s[0:1]
	s_cbranch_vccnz .LBB127_3074
; %bb.3073:
	v_cndmask_b32_e64 v1, 0, 1, s[16:17]
	global_store_dword v[3:4], v1, off
.LBB127_3074:
	s_mov_b64 s[0:1], 0
.LBB127_3075:
	s_andn2_b64 vcc, exec, s[0:1]
	s_cbranch_vccnz .LBB127_3077
; %bb.3076:
	v_cndmask_b32_e64 v1, 0, 1, s[16:17]
	global_store_short v[3:4], v1, off
.LBB127_3077:
	s_mov_b64 s[0:1], 0
.LBB127_3078:
	s_andn2_b64 vcc, exec, s[0:1]
	s_cbranch_vccnz .LBB127_3083
; %bb.3079:
	s_mov_b64 s[0:1], -1
	s_cmp_gt_i32 s24, 0
	v_cndmask_b32_e64 v1, 0, 1, s[16:17]
	s_cbranch_scc0 .LBB127_3081
; %bb.3080:
	global_store_byte v[3:4], v1, off
	s_mov_b64 s[0:1], 0
.LBB127_3081:
	s_andn2_b64 vcc, exec, s[0:1]
	s_cbranch_vccnz .LBB127_3083
; %bb.3082:
	global_store_byte v[3:4], v1, off
.LBB127_3083:
	s_mov_b64 s[6:7], -1
.LBB127_3084:
	s_andn2_b64 vcc, exec, s[6:7]
	s_cbranch_vccnz .LBB127_3280
; %bb.3085:
	v_mov_b32_e32 v3, s9
	v_add_co_u32_e32 v1, vcc, s8, v2
	s_cmp_lt_i32 s24, 11
	v_addc_co_u32_e32 v2, vcc, 0, v3, vcc
	s_cbranch_scc1 .LBB127_3163
; %bb.3086:
	s_mov_b64 s[16:17], -1
	s_mov_b64 s[2:3], 0
	s_cmp_gt_i32 s24, 25
	s_mov_b64 s[6:7], 0
	s_mov_b64 s[0:1], 0
	s_cbranch_scc0 .LBB127_3119
; %bb.3087:
	s_cmp_gt_i32 s24, 28
	s_cbranch_scc0 .LBB127_3102
; %bb.3088:
	s_cmp_gt_i32 s24, 43
	;; [unrolled: 3-line block ×3, first 2 shown]
	s_cbranch_scc0 .LBB127_3092
; %bb.3090:
	s_mov_b64 s[0:1], -1
	s_mov_b64 s[16:17], 0
	s_cmp_eq_u32 s24, 46
	s_cbranch_scc0 .LBB127_3092
; %bb.3091:
	v_cndmask_b32_e64 v3, 0, 1.0, s[18:19]
	v_bfe_u32 v4, v3, 16, 1
	s_movk_i32 s0, 0x7fff
	v_add3_u32 v3, v3, v4, s0
	v_lshrrev_b32_e32 v3, 16, v3
	global_store_dword v[1:2], v3, off
	s_mov_b64 s[0:1], 0
	s_mov_b64 s[6:7], -1
.LBB127_3092:
	s_and_b64 vcc, exec, s[16:17]
	s_cbranch_vccz .LBB127_3097
; %bb.3093:
	s_cmp_eq_u32 s24, 44
	s_mov_b64 s[0:1], -1
	s_cbranch_scc0 .LBB127_3097
; %bb.3094:
	v_cndmask_b32_e64 v4, 0, 1.0, s[18:19]
	v_lshrrev_b32_e32 v3, 23, v4
	s_movk_i32 s0, 0xff
	v_cmp_ne_u32_e32 vcc, s0, v3
	v_mov_b32_e32 v5, 0xff
	s_and_saveexec_b64 s[6:7], vcc
; %bb.3095:
	s_mov_b32 s0, 0x3fffff
	v_and_b32_e32 v5, 0x400000, v4
	v_and_or_b32 v4, v4, s0, v3
	v_cmp_ne_u32_e32 vcc, 0, v5
	v_cmp_ne_u32_e64 s[0:1], 0, v4
	s_and_b64 s[0:1], vcc, s[0:1]
	v_cndmask_b32_e64 v4, 0, 1, s[0:1]
	v_add_u32_e32 v5, v3, v4
; %bb.3096:
	s_or_b64 exec, exec, s[6:7]
	s_mov_b64 s[0:1], 0
	s_mov_b64 s[6:7], -1
	global_store_byte v[1:2], v5, off
.LBB127_3097:
	s_mov_b64 s[16:17], 0
.LBB127_3098:
	s_and_b64 vcc, exec, s[16:17]
	s_cbranch_vccz .LBB127_3101
; %bb.3099:
	s_cmp_eq_u32 s24, 29
	s_mov_b64 s[0:1], -1
	s_cbranch_scc0 .LBB127_3101
; %bb.3100:
	s_mov_b32 s0, 0
	v_cndmask_b32_e64 v3, 0, 1, s[18:19]
	v_mov_b32_e32 v4, s0
	global_store_dwordx2 v[1:2], v[3:4], off
	s_mov_b64 s[0:1], 0
	s_mov_b64 s[6:7], -1
.LBB127_3101:
	s_mov_b64 s[16:17], 0
.LBB127_3102:
	s_and_b64 vcc, exec, s[16:17]
	s_cbranch_vccz .LBB127_3118
; %bb.3103:
	s_cmp_lt_i32 s24, 27
	s_mov_b64 s[6:7], -1
	s_cbranch_scc1 .LBB127_3109
; %bb.3104:
	s_cmp_gt_i32 s24, 27
	s_cbranch_scc0 .LBB127_3106
; %bb.3105:
	v_cndmask_b32_e64 v3, 0, 1, s[18:19]
	s_mov_b64 s[6:7], 0
	global_store_dword v[1:2], v3, off
.LBB127_3106:
	s_andn2_b64 vcc, exec, s[6:7]
	s_cbranch_vccnz .LBB127_3108
; %bb.3107:
	v_cndmask_b32_e64 v3, 0, 1, s[18:19]
	global_store_short v[1:2], v3, off
.LBB127_3108:
	s_mov_b64 s[6:7], 0
.LBB127_3109:
	s_andn2_b64 vcc, exec, s[6:7]
	s_cbranch_vccnz .LBB127_3117
; %bb.3110:
	v_cndmask_b32_e64 v4, 0, 1.0, s[18:19]
	s_mov_b32 s6, 0x43800000
	v_cmp_gt_u32_e32 vcc, s6, v4
	v_mov_b32_e32 v5, 0x80
	s_and_saveexec_b64 s[6:7], vcc
	s_cbranch_execz .LBB127_3116
; %bb.3111:
	s_mov_b32 s16, 0x3bffffff
	v_cmp_lt_u32_e32 vcc, s16, v4
	s_mov_b64 s[16:17], 0
                                        ; implicit-def: $vgpr3
	s_and_saveexec_b64 s[20:21], vcc
	s_xor_b64 s[20:21], exec, s[20:21]
	s_cbranch_execz .LBB127_3293
; %bb.3112:
	v_bfe_u32 v3, v4, 20, 1
	s_mov_b32 s22, 0x487ffff
	v_add3_u32 v3, v4, v3, s22
	s_mov_b64 s[16:17], exec
	v_lshrrev_b32_e32 v3, 20, v3
                                        ; implicit-def: $vgpr4
	s_andn2_saveexec_b64 s[20:21], s[20:21]
	s_cbranch_execnz .LBB127_3294
.LBB127_3113:
	s_or_b64 exec, exec, s[20:21]
	v_mov_b32_e32 v5, 0
	s_and_saveexec_b64 s[20:21], s[16:17]
.LBB127_3114:
	v_mov_b32_e32 v5, v3
.LBB127_3115:
	s_or_b64 exec, exec, s[20:21]
.LBB127_3116:
	s_or_b64 exec, exec, s[6:7]
	global_store_byte v[1:2], v5, off
.LBB127_3117:
	s_mov_b64 s[6:7], -1
.LBB127_3118:
	s_mov_b64 s[16:17], 0
.LBB127_3119:
	s_and_b64 vcc, exec, s[16:17]
	s_cbranch_vccz .LBB127_3159
; %bb.3120:
	s_cmp_gt_i32 s24, 22
	s_mov_b64 s[2:3], -1
	s_cbranch_scc0 .LBB127_3152
; %bb.3121:
	s_cmp_lt_i32 s24, 24
	s_cbranch_scc1 .LBB127_3141
; %bb.3122:
	s_cmp_gt_i32 s24, 24
	s_cbranch_scc0 .LBB127_3130
; %bb.3123:
	v_cndmask_b32_e64 v4, 0, 1.0, s[18:19]
	s_mov_b32 s2, 0x47800000
	v_cmp_gt_u32_e32 vcc, s2, v4
	v_mov_b32_e32 v5, 0x80
	s_and_saveexec_b64 s[2:3], vcc
	s_cbranch_execz .LBB127_3129
; %bb.3124:
	s_mov_b32 s6, 0x37ffffff
	v_cmp_lt_u32_e32 vcc, s6, v4
	s_mov_b64 s[6:7], 0
                                        ; implicit-def: $vgpr3
	s_and_saveexec_b64 s[16:17], vcc
	s_xor_b64 s[16:17], exec, s[16:17]
	s_cbranch_execz .LBB127_3296
; %bb.3125:
	v_bfe_u32 v3, v4, 21, 1
	s_mov_b32 s20, 0x88fffff
	v_add3_u32 v3, v4, v3, s20
	s_mov_b64 s[6:7], exec
	v_lshrrev_b32_e32 v3, 21, v3
                                        ; implicit-def: $vgpr4
	s_andn2_saveexec_b64 s[16:17], s[16:17]
	s_cbranch_execnz .LBB127_3297
.LBB127_3126:
	s_or_b64 exec, exec, s[16:17]
	v_mov_b32_e32 v5, 0
	s_and_saveexec_b64 s[16:17], s[6:7]
.LBB127_3127:
	v_mov_b32_e32 v5, v3
.LBB127_3128:
	s_or_b64 exec, exec, s[16:17]
.LBB127_3129:
	s_or_b64 exec, exec, s[2:3]
	s_mov_b64 s[2:3], 0
	global_store_byte v[1:2], v5, off
.LBB127_3130:
	s_and_b64 vcc, exec, s[2:3]
	s_cbranch_vccz .LBB127_3140
; %bb.3131:
	v_cndmask_b32_e64 v3, 0, 1.0, s[18:19]
	s_mov_b32 s2, 0x43f00000
	v_cmp_gt_u32_e32 vcc, s2, v3
                                        ; implicit-def: $vgpr4
	s_and_saveexec_b64 s[2:3], vcc
	s_xor_b64 s[2:3], exec, s[2:3]
	s_cbranch_execz .LBB127_3137
; %bb.3132:
	s_mov_b32 s6, 0x3c7fffff
	v_cmp_lt_u32_e32 vcc, s6, v3
                                        ; implicit-def: $vgpr4
	s_and_saveexec_b64 s[6:7], vcc
	s_xor_b64 s[6:7], exec, s[6:7]
; %bb.3133:
	v_bfe_u32 v4, v3, 20, 1
	s_mov_b32 s16, 0x407ffff
	v_add3_u32 v3, v3, v4, s16
	v_lshrrev_b32_e32 v4, 20, v3
	v_and_b32_e32 v3, 0xff00000, v3
	s_mov_b32 s16, 0x7f00000
	v_mov_b32_e32 v5, 0x7e
	v_cmp_ne_u32_e32 vcc, s16, v3
	v_cndmask_b32_e32 v4, v5, v4, vcc
                                        ; implicit-def: $vgpr3
; %bb.3134:
	s_andn2_saveexec_b64 s[6:7], s[6:7]
; %bb.3135:
	v_add_f32_e32 v4, 0x46800000, v3
; %bb.3136:
	s_or_b64 exec, exec, s[6:7]
                                        ; implicit-def: $vgpr3
.LBB127_3137:
	s_andn2_saveexec_b64 s[2:3], s[2:3]
; %bb.3138:
	s_mov_b32 s6, 0x7f800000
	v_mov_b32_e32 v4, 0x7e
	v_mov_b32_e32 v5, 0x7f
	v_cmp_lt_u32_e32 vcc, s6, v3
	v_cndmask_b32_e32 v4, v4, v5, vcc
; %bb.3139:
	s_or_b64 exec, exec, s[2:3]
	global_store_byte v[1:2], v4, off
.LBB127_3140:
	s_mov_b64 s[2:3], 0
.LBB127_3141:
	s_andn2_b64 vcc, exec, s[2:3]
	s_cbranch_vccnz .LBB127_3151
; %bb.3142:
	v_cndmask_b32_e64 v3, 0, 1.0, s[18:19]
	s_mov_b32 s2, 0x47800000
	v_cmp_gt_u32_e32 vcc, s2, v3
                                        ; implicit-def: $vgpr4
	s_and_saveexec_b64 s[2:3], vcc
	s_xor_b64 s[2:3], exec, s[2:3]
	s_cbranch_execz .LBB127_3148
; %bb.3143:
	s_mov_b32 s6, 0x387fffff
	v_cmp_lt_u32_e32 vcc, s6, v3
                                        ; implicit-def: $vgpr4
	s_and_saveexec_b64 s[6:7], vcc
	s_xor_b64 s[6:7], exec, s[6:7]
; %bb.3144:
	v_bfe_u32 v4, v3, 21, 1
	s_mov_b32 s16, 0x80fffff
	v_add3_u32 v3, v3, v4, s16
	v_lshrrev_b32_e32 v4, 21, v3
                                        ; implicit-def: $vgpr3
; %bb.3145:
	s_andn2_saveexec_b64 s[6:7], s[6:7]
; %bb.3146:
	v_add_f32_e32 v4, 0x43000000, v3
; %bb.3147:
	s_or_b64 exec, exec, s[6:7]
                                        ; implicit-def: $vgpr3
.LBB127_3148:
	s_andn2_saveexec_b64 s[2:3], s[2:3]
; %bb.3149:
	s_mov_b32 s6, 0x7f800000
	v_mov_b32_e32 v4, 0x7c
	v_mov_b32_e32 v5, 0x7f
	v_cmp_lt_u32_e32 vcc, s6, v3
	v_cndmask_b32_e32 v4, v4, v5, vcc
; %bb.3150:
	s_or_b64 exec, exec, s[2:3]
	global_store_byte v[1:2], v4, off
.LBB127_3151:
	s_mov_b64 s[2:3], 0
	s_mov_b64 s[6:7], -1
.LBB127_3152:
	s_andn2_b64 vcc, exec, s[2:3]
	s_mov_b64 s[2:3], 0
	s_cbranch_vccnz .LBB127_3159
; %bb.3153:
	s_cmp_gt_i32 s24, 14
	s_mov_b64 s[16:17], -1
	s_cbranch_scc0 .LBB127_3157
; %bb.3154:
	s_cmp_eq_u32 s24, 15
	s_mov_b64 s[0:1], -1
	s_cbranch_scc0 .LBB127_3156
; %bb.3155:
	v_cndmask_b32_e64 v3, 0, 1.0, s[18:19]
	v_bfe_u32 v4, v3, 16, 1
	s_movk_i32 s0, 0x7fff
	v_add3_u32 v3, v3, v4, s0
	global_store_short_d16_hi v[1:2], v3, off
	s_mov_b64 s[0:1], 0
	s_mov_b64 s[6:7], -1
.LBB127_3156:
	s_mov_b64 s[16:17], 0
.LBB127_3157:
	s_and_b64 vcc, exec, s[16:17]
	s_cbranch_vccz .LBB127_3159
; %bb.3158:
	s_cmp_lg_u32 s24, 11
	s_mov_b64 s[2:3], -1
	s_cselect_b64 s[0:1], -1, 0
.LBB127_3159:
	s_and_b64 vcc, exec, s[0:1]
	s_cbranch_vccnz .LBB127_3295
; %bb.3160:
	s_andn2_b64 vcc, exec, s[2:3]
	s_cbranch_vccnz .LBB127_3162
.LBB127_3161:
	v_cndmask_b32_e64 v3, 0, 1, s[18:19]
	s_mov_b64 s[6:7], -1
	global_store_byte v[1:2], v3, off
.LBB127_3162:
	s_mov_b64 s[0:1], 0
	s_branch .LBB127_3164
.LBB127_3163:
	s_mov_b64 s[0:1], -1
	s_mov_b64 s[6:7], 0
.LBB127_3164:
	s_and_b64 vcc, exec, s[0:1]
	s_cbranch_vccz .LBB127_3203
; %bb.3165:
	s_cmp_lt_i32 s24, 5
	s_mov_b64 s[0:1], -1
	s_cbranch_scc1 .LBB127_3186
; %bb.3166:
	s_cmp_lt_i32 s24, 8
	s_cbranch_scc1 .LBB127_3176
; %bb.3167:
	s_cmp_lt_i32 s24, 9
	s_cbranch_scc1 .LBB127_3173
; %bb.3168:
	s_cmp_gt_i32 s24, 9
	s_cbranch_scc0 .LBB127_3170
; %bb.3169:
	v_cndmask_b32_e64 v3, 0, 1, s[18:19]
	v_cvt_f64_u32_e32 v[3:4], v3
	v_mov_b32_e32 v5, 0
	v_mov_b32_e32 v6, v5
	s_mov_b64 s[0:1], 0
	global_store_dwordx4 v[1:2], v[3:6], off
.LBB127_3170:
	s_andn2_b64 vcc, exec, s[0:1]
	s_cbranch_vccnz .LBB127_3172
; %bb.3171:
	v_cndmask_b32_e64 v3, 0, 1.0, s[18:19]
	v_mov_b32_e32 v4, 0
	global_store_dwordx2 v[1:2], v[3:4], off
.LBB127_3172:
	s_mov_b64 s[0:1], 0
.LBB127_3173:
	s_andn2_b64 vcc, exec, s[0:1]
	s_cbranch_vccnz .LBB127_3175
; %bb.3174:
	v_cndmask_b32_e64 v3, 0, 1.0, s[18:19]
	v_cvt_f16_f32_e32 v3, v3
	global_store_dword v[1:2], v3, off
.LBB127_3175:
	s_mov_b64 s[0:1], 0
.LBB127_3176:
	s_andn2_b64 vcc, exec, s[0:1]
	s_cbranch_vccnz .LBB127_3185
; %bb.3177:
	s_cmp_lt_i32 s24, 6
	s_mov_b64 s[0:1], -1
	s_cbranch_scc1 .LBB127_3183
; %bb.3178:
	s_cmp_gt_i32 s24, 6
	s_cbranch_scc0 .LBB127_3180
; %bb.3179:
	v_cndmask_b32_e64 v3, 0, 1, s[18:19]
	v_cvt_f64_u32_e32 v[3:4], v3
	s_mov_b64 s[0:1], 0
	global_store_dwordx2 v[1:2], v[3:4], off
.LBB127_3180:
	s_andn2_b64 vcc, exec, s[0:1]
	s_cbranch_vccnz .LBB127_3182
; %bb.3181:
	v_cndmask_b32_e64 v3, 0, 1.0, s[18:19]
	global_store_dword v[1:2], v3, off
.LBB127_3182:
	s_mov_b64 s[0:1], 0
.LBB127_3183:
	s_andn2_b64 vcc, exec, s[0:1]
	s_cbranch_vccnz .LBB127_3185
; %bb.3184:
	v_cndmask_b32_e64 v3, 0, 1.0, s[18:19]
	v_cvt_f16_f32_e32 v3, v3
	global_store_short v[1:2], v3, off
.LBB127_3185:
	s_mov_b64 s[0:1], 0
.LBB127_3186:
	s_andn2_b64 vcc, exec, s[0:1]
	s_cbranch_vccnz .LBB127_3202
; %bb.3187:
	s_cmp_lt_i32 s24, 2
	s_mov_b64 s[0:1], -1
	s_cbranch_scc1 .LBB127_3197
; %bb.3188:
	s_cmp_lt_i32 s24, 3
	s_cbranch_scc1 .LBB127_3194
; %bb.3189:
	s_cmp_gt_i32 s24, 3
	s_cbranch_scc0 .LBB127_3191
; %bb.3190:
	s_mov_b32 s0, 0
	v_cndmask_b32_e64 v3, 0, 1, s[18:19]
	v_mov_b32_e32 v4, s0
	global_store_dwordx2 v[1:2], v[3:4], off
	s_mov_b64 s[0:1], 0
.LBB127_3191:
	s_andn2_b64 vcc, exec, s[0:1]
	s_cbranch_vccnz .LBB127_3193
; %bb.3192:
	v_cndmask_b32_e64 v3, 0, 1, s[18:19]
	global_store_dword v[1:2], v3, off
.LBB127_3193:
	s_mov_b64 s[0:1], 0
.LBB127_3194:
	s_andn2_b64 vcc, exec, s[0:1]
	s_cbranch_vccnz .LBB127_3196
; %bb.3195:
	v_cndmask_b32_e64 v3, 0, 1, s[18:19]
	global_store_short v[1:2], v3, off
.LBB127_3196:
	s_mov_b64 s[0:1], 0
.LBB127_3197:
	s_andn2_b64 vcc, exec, s[0:1]
	s_cbranch_vccnz .LBB127_3202
; %bb.3198:
	s_cmp_gt_i32 s24, 0
	s_mov_b64 s[0:1], -1
	s_cbranch_scc0 .LBB127_3200
; %bb.3199:
	v_cndmask_b32_e64 v3, 0, 1, s[18:19]
	global_store_byte v[1:2], v3, off
	s_mov_b64 s[0:1], 0
.LBB127_3200:
	s_andn2_b64 vcc, exec, s[0:1]
	s_cbranch_vccnz .LBB127_3202
; %bb.3201:
	v_cndmask_b32_e64 v3, 0, 1, s[18:19]
	global_store_byte v[1:2], v3, off
.LBB127_3202:
	s_mov_b64 s[6:7], -1
.LBB127_3203:
	s_andn2_b64 vcc, exec, s[6:7]
	s_cbranch_vccnz .LBB127_3280
; %bb.3204:
	v_mov_b32_e32 v1, s9
	v_add_co_u32_e32 v0, vcc, s8, v0
	s_cmp_lt_i32 s24, 11
	v_addc_co_u32_e32 v1, vcc, 0, v1, vcc
	s_cbranch_scc1 .LBB127_3281
; %bb.3205:
	s_mov_b64 s[6:7], -1
	s_mov_b64 s[2:3], 0
	s_cmp_gt_i32 s24, 25
	s_mov_b64 s[0:1], 0
	s_cbranch_scc0 .LBB127_3238
; %bb.3206:
	s_cmp_gt_i32 s24, 28
	s_cbranch_scc0 .LBB127_3222
; %bb.3207:
	s_cmp_gt_i32 s24, 43
	;; [unrolled: 3-line block ×3, first 2 shown]
	s_cbranch_scc0 .LBB127_3212
; %bb.3209:
	s_cmp_eq_u32 s24, 46
	s_mov_b64 s[0:1], -1
	s_cbranch_scc0 .LBB127_3211
; %bb.3210:
	v_cndmask_b32_e64 v2, 0, 1.0, s[10:11]
	v_bfe_u32 v3, v2, 16, 1
	s_movk_i32 s0, 0x7fff
	v_add3_u32 v2, v2, v3, s0
	v_lshrrev_b32_e32 v2, 16, v2
	global_store_dword v[0:1], v2, off
	s_mov_b64 s[0:1], 0
.LBB127_3211:
	s_mov_b64 s[6:7], 0
.LBB127_3212:
	s_and_b64 vcc, exec, s[6:7]
	s_cbranch_vccz .LBB127_3217
; %bb.3213:
	s_cmp_eq_u32 s24, 44
	s_mov_b64 s[0:1], -1
	s_cbranch_scc0 .LBB127_3217
; %bb.3214:
	v_cndmask_b32_e64 v3, 0, 1.0, s[10:11]
	v_lshrrev_b32_e32 v2, 23, v3
	s_movk_i32 s0, 0xff
	v_cmp_ne_u32_e32 vcc, s0, v2
	v_mov_b32_e32 v4, 0xff
	s_and_saveexec_b64 s[6:7], vcc
; %bb.3215:
	s_mov_b32 s0, 0x3fffff
	v_and_b32_e32 v4, 0x400000, v3
	v_and_or_b32 v3, v3, s0, v2
	v_cmp_ne_u32_e32 vcc, 0, v4
	v_cmp_ne_u32_e64 s[0:1], 0, v3
	s_and_b64 s[0:1], vcc, s[0:1]
	v_cndmask_b32_e64 v3, 0, 1, s[0:1]
	v_add_u32_e32 v4, v2, v3
; %bb.3216:
	s_or_b64 exec, exec, s[6:7]
	s_mov_b64 s[0:1], 0
	global_store_byte v[0:1], v4, off
.LBB127_3217:
	s_mov_b64 s[6:7], 0
.LBB127_3218:
	s_and_b64 vcc, exec, s[6:7]
	s_cbranch_vccz .LBB127_3221
; %bb.3219:
	s_cmp_eq_u32 s24, 29
	s_mov_b64 s[0:1], -1
	s_cbranch_scc0 .LBB127_3221
; %bb.3220:
	s_mov_b32 s0, 0
	v_cndmask_b32_e64 v2, 0, 1, s[10:11]
	v_mov_b32_e32 v3, s0
	global_store_dwordx2 v[0:1], v[2:3], off
	s_mov_b64 s[0:1], 0
.LBB127_3221:
	s_mov_b64 s[6:7], 0
.LBB127_3222:
	s_and_b64 vcc, exec, s[6:7]
	s_cbranch_vccz .LBB127_3237
; %bb.3223:
	s_cmp_lt_i32 s24, 27
	s_mov_b64 s[6:7], -1
	s_cbranch_scc1 .LBB127_3229
; %bb.3224:
	s_cmp_gt_i32 s24, 27
	v_cndmask_b32_e64 v2, 0, 1, s[10:11]
	s_cbranch_scc0 .LBB127_3226
; %bb.3225:
	global_store_dword v[0:1], v2, off
	s_mov_b64 s[6:7], 0
.LBB127_3226:
	s_andn2_b64 vcc, exec, s[6:7]
	s_cbranch_vccnz .LBB127_3228
; %bb.3227:
	global_store_short v[0:1], v2, off
.LBB127_3228:
	s_mov_b64 s[6:7], 0
.LBB127_3229:
	s_andn2_b64 vcc, exec, s[6:7]
	s_cbranch_vccnz .LBB127_3237
; %bb.3230:
	v_cndmask_b32_e64 v3, 0, 1.0, s[10:11]
	s_mov_b32 s6, 0x43800000
	v_cmp_gt_u32_e32 vcc, s6, v3
	v_mov_b32_e32 v4, 0x80
	s_and_saveexec_b64 s[6:7], vcc
	s_cbranch_execz .LBB127_3236
; %bb.3231:
	s_mov_b32 s8, 0x3bffffff
	v_cmp_lt_u32_e32 vcc, s8, v3
	s_mov_b64 s[8:9], 0
                                        ; implicit-def: $vgpr2
	s_and_saveexec_b64 s[16:17], vcc
	s_xor_b64 s[16:17], exec, s[16:17]
	s_cbranch_execz .LBB127_3298
; %bb.3232:
	v_bfe_u32 v2, v3, 20, 1
	s_mov_b32 s18, 0x487ffff
	v_add3_u32 v2, v3, v2, s18
	s_mov_b64 s[8:9], exec
	v_lshrrev_b32_e32 v2, 20, v2
                                        ; implicit-def: $vgpr3
	s_andn2_saveexec_b64 s[16:17], s[16:17]
	s_cbranch_execnz .LBB127_3299
.LBB127_3233:
	s_or_b64 exec, exec, s[16:17]
	v_mov_b32_e32 v4, 0
	s_and_saveexec_b64 s[16:17], s[8:9]
.LBB127_3234:
	v_mov_b32_e32 v4, v2
.LBB127_3235:
	s_or_b64 exec, exec, s[16:17]
.LBB127_3236:
	s_or_b64 exec, exec, s[6:7]
	global_store_byte v[0:1], v4, off
.LBB127_3237:
	s_mov_b64 s[6:7], 0
.LBB127_3238:
	s_and_b64 vcc, exec, s[6:7]
	s_cbranch_vccz .LBB127_3278
; %bb.3239:
	s_cmp_gt_i32 s24, 22
	s_mov_b64 s[2:3], -1
	s_cbranch_scc0 .LBB127_3271
; %bb.3240:
	s_cmp_lt_i32 s24, 24
	s_cbranch_scc1 .LBB127_3260
; %bb.3241:
	s_cmp_gt_i32 s24, 24
	s_cbranch_scc0 .LBB127_3249
; %bb.3242:
	v_cndmask_b32_e64 v3, 0, 1.0, s[10:11]
	s_mov_b32 s2, 0x47800000
	v_cmp_gt_u32_e32 vcc, s2, v3
	v_mov_b32_e32 v4, 0x80
	s_and_saveexec_b64 s[2:3], vcc
	s_cbranch_execz .LBB127_3248
; %bb.3243:
	s_mov_b32 s6, 0x37ffffff
	v_cmp_lt_u32_e32 vcc, s6, v3
	s_mov_b64 s[6:7], 0
                                        ; implicit-def: $vgpr2
	s_and_saveexec_b64 s[8:9], vcc
	s_xor_b64 s[8:9], exec, s[8:9]
	s_cbranch_execz .LBB127_3301
; %bb.3244:
	v_bfe_u32 v2, v3, 21, 1
	s_mov_b32 s16, 0x88fffff
	v_add3_u32 v2, v3, v2, s16
	s_mov_b64 s[6:7], exec
	v_lshrrev_b32_e32 v2, 21, v2
                                        ; implicit-def: $vgpr3
	s_andn2_saveexec_b64 s[8:9], s[8:9]
	s_cbranch_execnz .LBB127_3302
.LBB127_3245:
	s_or_b64 exec, exec, s[8:9]
	v_mov_b32_e32 v4, 0
	s_and_saveexec_b64 s[8:9], s[6:7]
.LBB127_3246:
	v_mov_b32_e32 v4, v2
.LBB127_3247:
	s_or_b64 exec, exec, s[8:9]
.LBB127_3248:
	s_or_b64 exec, exec, s[2:3]
	s_mov_b64 s[2:3], 0
	global_store_byte v[0:1], v4, off
.LBB127_3249:
	s_and_b64 vcc, exec, s[2:3]
	s_cbranch_vccz .LBB127_3259
; %bb.3250:
	v_cndmask_b32_e64 v2, 0, 1.0, s[10:11]
	s_mov_b32 s2, 0x43f00000
	v_cmp_gt_u32_e32 vcc, s2, v2
                                        ; implicit-def: $vgpr3
	s_and_saveexec_b64 s[2:3], vcc
	s_xor_b64 s[2:3], exec, s[2:3]
	s_cbranch_execz .LBB127_3256
; %bb.3251:
	s_mov_b32 s6, 0x3c7fffff
	v_cmp_lt_u32_e32 vcc, s6, v2
                                        ; implicit-def: $vgpr3
	s_and_saveexec_b64 s[6:7], vcc
	s_xor_b64 s[6:7], exec, s[6:7]
; %bb.3252:
	v_bfe_u32 v3, v2, 20, 1
	s_mov_b32 s8, 0x407ffff
	v_add3_u32 v2, v2, v3, s8
	v_lshrrev_b32_e32 v3, 20, v2
	v_and_b32_e32 v2, 0xff00000, v2
	s_mov_b32 s8, 0x7f00000
	v_mov_b32_e32 v4, 0x7e
	v_cmp_ne_u32_e32 vcc, s8, v2
	v_cndmask_b32_e32 v3, v4, v3, vcc
                                        ; implicit-def: $vgpr2
; %bb.3253:
	s_andn2_saveexec_b64 s[6:7], s[6:7]
; %bb.3254:
	v_add_f32_e32 v3, 0x46800000, v2
; %bb.3255:
	s_or_b64 exec, exec, s[6:7]
                                        ; implicit-def: $vgpr2
.LBB127_3256:
	s_andn2_saveexec_b64 s[2:3], s[2:3]
; %bb.3257:
	s_mov_b32 s6, 0x7f800000
	v_mov_b32_e32 v3, 0x7e
	v_mov_b32_e32 v4, 0x7f
	v_cmp_lt_u32_e32 vcc, s6, v2
	v_cndmask_b32_e32 v3, v3, v4, vcc
; %bb.3258:
	s_or_b64 exec, exec, s[2:3]
	global_store_byte v[0:1], v3, off
.LBB127_3259:
	s_mov_b64 s[2:3], 0
.LBB127_3260:
	s_andn2_b64 vcc, exec, s[2:3]
	s_cbranch_vccnz .LBB127_3270
; %bb.3261:
	v_cndmask_b32_e64 v2, 0, 1.0, s[10:11]
	s_mov_b32 s2, 0x47800000
	v_cmp_gt_u32_e32 vcc, s2, v2
                                        ; implicit-def: $vgpr3
	s_and_saveexec_b64 s[2:3], vcc
	s_xor_b64 s[2:3], exec, s[2:3]
	s_cbranch_execz .LBB127_3267
; %bb.3262:
	s_mov_b32 s6, 0x387fffff
	v_cmp_lt_u32_e32 vcc, s6, v2
                                        ; implicit-def: $vgpr3
	s_and_saveexec_b64 s[6:7], vcc
	s_xor_b64 s[6:7], exec, s[6:7]
; %bb.3263:
	v_bfe_u32 v3, v2, 21, 1
	s_mov_b32 s8, 0x80fffff
	v_add3_u32 v2, v2, v3, s8
	v_lshrrev_b32_e32 v3, 21, v2
                                        ; implicit-def: $vgpr2
; %bb.3264:
	s_andn2_saveexec_b64 s[6:7], s[6:7]
; %bb.3265:
	v_add_f32_e32 v3, 0x43000000, v2
; %bb.3266:
	s_or_b64 exec, exec, s[6:7]
                                        ; implicit-def: $vgpr2
.LBB127_3267:
	s_andn2_saveexec_b64 s[2:3], s[2:3]
; %bb.3268:
	s_mov_b32 s6, 0x7f800000
	v_mov_b32_e32 v3, 0x7c
	v_mov_b32_e32 v4, 0x7f
	v_cmp_lt_u32_e32 vcc, s6, v2
	v_cndmask_b32_e32 v3, v3, v4, vcc
; %bb.3269:
	s_or_b64 exec, exec, s[2:3]
	global_store_byte v[0:1], v3, off
.LBB127_3270:
	s_mov_b64 s[2:3], 0
.LBB127_3271:
	s_andn2_b64 vcc, exec, s[2:3]
	s_mov_b64 s[2:3], 0
	s_cbranch_vccnz .LBB127_3278
; %bb.3272:
	s_cmp_gt_i32 s24, 14
	s_mov_b64 s[6:7], -1
	s_cbranch_scc0 .LBB127_3276
; %bb.3273:
	s_cmp_eq_u32 s24, 15
	s_mov_b64 s[0:1], -1
	s_cbranch_scc0 .LBB127_3275
; %bb.3274:
	v_cndmask_b32_e64 v2, 0, 1.0, s[10:11]
	v_bfe_u32 v3, v2, 16, 1
	s_movk_i32 s0, 0x7fff
	v_add3_u32 v2, v2, v3, s0
	global_store_short_d16_hi v[0:1], v2, off
	s_mov_b64 s[0:1], 0
.LBB127_3275:
	s_mov_b64 s[6:7], 0
.LBB127_3276:
	s_and_b64 vcc, exec, s[6:7]
	s_cbranch_vccz .LBB127_3278
; %bb.3277:
	s_cmp_lg_u32 s24, 11
	s_mov_b64 s[2:3], -1
	s_cselect_b64 s[0:1], -1, 0
.LBB127_3278:
	s_and_b64 vcc, exec, s[0:1]
	s_cbranch_vccnz .LBB127_3300
.LBB127_3279:
	s_mov_b64 s[0:1], 0
	s_branch .LBB127_2790
.LBB127_3280:
	s_mov_b64 s[0:1], 0
	s_branch .LBB127_2789
.LBB127_3281:
	s_mov_b64 s[2:3], 0
	s_mov_b64 s[0:1], -1
	s_branch .LBB127_2790
.LBB127_3282:
	s_trap 2
	s_or_b64 s[4:5], s[4:5], exec
	s_cbranch_execz .LBB127_2732
	s_branch .LBB127_2733
.LBB127_3283:
	s_andn2_saveexec_b64 s[24:25], s[24:25]
	s_cbranch_execz .LBB127_2873
.LBB127_3284:
	v_add_f32_e32 v1, 0x46000000, v3
	v_and_b32_e32 v1, 0xff, v1
	v_cmp_ne_u32_e32 vcc, 0, v1
	s_andn2_b64 s[22:23], s[22:23], exec
	s_and_b64 s[28:29], vcc, exec
	s_or_b64 s[22:23], s[22:23], s[28:29]
	s_or_b64 exec, exec, s[24:25]
	v_mov_b32_e32 v7, 0
	s_and_saveexec_b64 s[24:25], s[22:23]
	s_cbranch_execnz .LBB127_2874
	s_branch .LBB127_2875
.LBB127_3285:
	s_trap 2
	s_or_b64 s[4:5], s[4:5], exec
	s_cbranch_execz .LBB127_2921
	s_branch .LBB127_2922
.LBB127_3286:
	s_andn2_saveexec_b64 s[22:23], s[22:23]
	s_cbranch_execz .LBB127_2886
.LBB127_3287:
	v_add_f32_e32 v1, 0x42800000, v3
	v_and_b32_e32 v1, 0xff, v1
	v_cmp_ne_u32_e32 vcc, 0, v1
	s_andn2_b64 s[20:21], s[20:21], exec
	s_and_b64 s[24:25], vcc, exec
	s_or_b64 s[20:21], s[20:21], s[24:25]
	s_or_b64 exec, exec, s[22:23]
	v_mov_b32_e32 v7, 0
	s_and_saveexec_b64 s[22:23], s[20:21]
	s_cbranch_execnz .LBB127_2887
	s_branch .LBB127_2888
.LBB127_3288:
	s_andn2_saveexec_b64 s[22:23], s[22:23]
	s_cbranch_execz .LBB127_2994
.LBB127_3289:
	v_add_f32_e32 v1, 0x46000000, v5
	v_and_b32_e32 v1, 0xff, v1
	v_cmp_ne_u32_e32 vcc, 0, v1
	s_andn2_b64 s[20:21], s[20:21], exec
	s_and_b64 s[28:29], vcc, exec
	s_or_b64 s[20:21], s[20:21], s[28:29]
	s_or_b64 exec, exec, s[22:23]
	v_mov_b32_e32 v6, 0
	s_and_saveexec_b64 s[22:23], s[20:21]
	s_cbranch_execnz .LBB127_2995
	s_branch .LBB127_2996
.LBB127_3290:
	s_trap 2
	s_or_b64 s[4:5], s[4:5], exec
	s_cbranch_execz .LBB127_3042
	s_branch .LBB127_3043
.LBB127_3291:
	s_andn2_saveexec_b64 s[20:21], s[20:21]
	s_cbranch_execz .LBB127_3007
.LBB127_3292:
	v_add_f32_e32 v1, 0x42800000, v5
	v_and_b32_e32 v1, 0xff, v1
	v_cmp_ne_u32_e32 vcc, 0, v1
	s_andn2_b64 s[6:7], s[6:7], exec
	s_and_b64 s[22:23], vcc, exec
	s_or_b64 s[6:7], s[6:7], s[22:23]
	s_or_b64 exec, exec, s[20:21]
	v_mov_b32_e32 v6, 0
	s_and_saveexec_b64 s[20:21], s[6:7]
	s_cbranch_execnz .LBB127_3008
	s_branch .LBB127_3009
.LBB127_3293:
	s_andn2_saveexec_b64 s[20:21], s[20:21]
	s_cbranch_execz .LBB127_3113
.LBB127_3294:
	v_add_f32_e32 v3, 0x46000000, v4
	v_and_b32_e32 v3, 0xff, v3
	v_cmp_ne_u32_e32 vcc, 0, v3
	s_andn2_b64 s[16:17], s[16:17], exec
	s_and_b64 s[22:23], vcc, exec
	s_or_b64 s[16:17], s[16:17], s[22:23]
	s_or_b64 exec, exec, s[20:21]
	v_mov_b32_e32 v5, 0
	s_and_saveexec_b64 s[20:21], s[16:17]
	s_cbranch_execnz .LBB127_3114
	s_branch .LBB127_3115
.LBB127_3295:
	s_trap 2
	s_or_b64 s[4:5], s[4:5], exec
	s_cbranch_execz .LBB127_3161
	s_branch .LBB127_3162
.LBB127_3296:
	s_andn2_saveexec_b64 s[16:17], s[16:17]
	s_cbranch_execz .LBB127_3126
.LBB127_3297:
	v_add_f32_e32 v3, 0x42800000, v4
	v_and_b32_e32 v3, 0xff, v3
	v_cmp_ne_u32_e32 vcc, 0, v3
	s_andn2_b64 s[6:7], s[6:7], exec
	s_and_b64 s[20:21], vcc, exec
	s_or_b64 s[6:7], s[6:7], s[20:21]
	s_or_b64 exec, exec, s[16:17]
	v_mov_b32_e32 v5, 0
	s_and_saveexec_b64 s[16:17], s[6:7]
	s_cbranch_execnz .LBB127_3127
	s_branch .LBB127_3128
.LBB127_3298:
	s_andn2_saveexec_b64 s[16:17], s[16:17]
	s_cbranch_execz .LBB127_3233
.LBB127_3299:
	v_add_f32_e32 v2, 0x46000000, v3
	v_and_b32_e32 v2, 0xff, v2
	v_cmp_ne_u32_e32 vcc, 0, v2
	s_andn2_b64 s[8:9], s[8:9], exec
	s_and_b64 s[18:19], vcc, exec
	s_or_b64 s[8:9], s[8:9], s[18:19]
	s_or_b64 exec, exec, s[16:17]
	v_mov_b32_e32 v4, 0
	s_and_saveexec_b64 s[16:17], s[8:9]
	s_cbranch_execnz .LBB127_3234
	s_branch .LBB127_3235
.LBB127_3300:
	s_mov_b64 s[2:3], 0
	s_or_b64 s[4:5], s[4:5], exec
	s_trap 2
	s_branch .LBB127_3279
.LBB127_3301:
	s_andn2_saveexec_b64 s[8:9], s[8:9]
	s_cbranch_execz .LBB127_3245
.LBB127_3302:
	v_add_f32_e32 v2, 0x42800000, v3
	v_and_b32_e32 v2, 0xff, v2
	v_cmp_ne_u32_e32 vcc, 0, v2
	s_andn2_b64 s[6:7], s[6:7], exec
	s_and_b64 s[16:17], vcc, exec
	s_or_b64 s[6:7], s[6:7], s[16:17]
	s_or_b64 exec, exec, s[8:9]
	v_mov_b32_e32 v4, 0
	s_and_saveexec_b64 s[8:9], s[6:7]
	s_cbranch_execnz .LBB127_3246
	s_branch .LBB127_3247
	.section	.rodata,"a",@progbits
	.p2align	6, 0x0
	.amdhsa_kernel _ZN2at6native32elementwise_kernel_manual_unrollILi128ELi4EZNS0_15gpu_kernel_implINS0_12_GLOBAL__N_114CompareFunctorIN3c104HalfEEEEEvRNS_18TensorIteratorBaseERKT_EUlibE0_EEviT1_
		.amdhsa_group_segment_fixed_size 0
		.amdhsa_private_segment_fixed_size 0
		.amdhsa_kernarg_size 432
		.amdhsa_user_sgpr_count 6
		.amdhsa_user_sgpr_private_segment_buffer 1
		.amdhsa_user_sgpr_dispatch_ptr 0
		.amdhsa_user_sgpr_queue_ptr 0
		.amdhsa_user_sgpr_kernarg_segment_ptr 1
		.amdhsa_user_sgpr_dispatch_id 0
		.amdhsa_user_sgpr_flat_scratch_init 0
		.amdhsa_user_sgpr_private_segment_size 0
		.amdhsa_uses_dynamic_stack 0
		.amdhsa_system_sgpr_private_segment_wavefront_offset 0
		.amdhsa_system_sgpr_workgroup_id_x 1
		.amdhsa_system_sgpr_workgroup_id_y 0
		.amdhsa_system_sgpr_workgroup_id_z 0
		.amdhsa_system_sgpr_workgroup_info 0
		.amdhsa_system_vgpr_workitem_id 0
		.amdhsa_next_free_vgpr 24
		.amdhsa_next_free_sgpr 80
		.amdhsa_reserve_vcc 1
		.amdhsa_reserve_flat_scratch 0
		.amdhsa_float_round_mode_32 0
		.amdhsa_float_round_mode_16_64 0
		.amdhsa_float_denorm_mode_32 3
		.amdhsa_float_denorm_mode_16_64 3
		.amdhsa_dx10_clamp 1
		.amdhsa_ieee_mode 1
		.amdhsa_fp16_overflow 0
		.amdhsa_exception_fp_ieee_invalid_op 0
		.amdhsa_exception_fp_denorm_src 0
		.amdhsa_exception_fp_ieee_div_zero 0
		.amdhsa_exception_fp_ieee_overflow 0
		.amdhsa_exception_fp_ieee_underflow 0
		.amdhsa_exception_fp_ieee_inexact 0
		.amdhsa_exception_int_div_zero 0
	.end_amdhsa_kernel
	.section	.text._ZN2at6native32elementwise_kernel_manual_unrollILi128ELi4EZNS0_15gpu_kernel_implINS0_12_GLOBAL__N_114CompareFunctorIN3c104HalfEEEEEvRNS_18TensorIteratorBaseERKT_EUlibE0_EEviT1_,"axG",@progbits,_ZN2at6native32elementwise_kernel_manual_unrollILi128ELi4EZNS0_15gpu_kernel_implINS0_12_GLOBAL__N_114CompareFunctorIN3c104HalfEEEEEvRNS_18TensorIteratorBaseERKT_EUlibE0_EEviT1_,comdat
.Lfunc_end127:
	.size	_ZN2at6native32elementwise_kernel_manual_unrollILi128ELi4EZNS0_15gpu_kernel_implINS0_12_GLOBAL__N_114CompareFunctorIN3c104HalfEEEEEvRNS_18TensorIteratorBaseERKT_EUlibE0_EEviT1_, .Lfunc_end127-_ZN2at6native32elementwise_kernel_manual_unrollILi128ELi4EZNS0_15gpu_kernel_implINS0_12_GLOBAL__N_114CompareFunctorIN3c104HalfEEEEEvRNS_18TensorIteratorBaseERKT_EUlibE0_EEviT1_
                                        ; -- End function
	.set _ZN2at6native32elementwise_kernel_manual_unrollILi128ELi4EZNS0_15gpu_kernel_implINS0_12_GLOBAL__N_114CompareFunctorIN3c104HalfEEEEEvRNS_18TensorIteratorBaseERKT_EUlibE0_EEviT1_.num_vgpr, 24
	.set _ZN2at6native32elementwise_kernel_manual_unrollILi128ELi4EZNS0_15gpu_kernel_implINS0_12_GLOBAL__N_114CompareFunctorIN3c104HalfEEEEEvRNS_18TensorIteratorBaseERKT_EUlibE0_EEviT1_.num_agpr, 0
	.set _ZN2at6native32elementwise_kernel_manual_unrollILi128ELi4EZNS0_15gpu_kernel_implINS0_12_GLOBAL__N_114CompareFunctorIN3c104HalfEEEEEvRNS_18TensorIteratorBaseERKT_EUlibE0_EEviT1_.numbered_sgpr, 80
	.set _ZN2at6native32elementwise_kernel_manual_unrollILi128ELi4EZNS0_15gpu_kernel_implINS0_12_GLOBAL__N_114CompareFunctorIN3c104HalfEEEEEvRNS_18TensorIteratorBaseERKT_EUlibE0_EEviT1_.num_named_barrier, 0
	.set _ZN2at6native32elementwise_kernel_manual_unrollILi128ELi4EZNS0_15gpu_kernel_implINS0_12_GLOBAL__N_114CompareFunctorIN3c104HalfEEEEEvRNS_18TensorIteratorBaseERKT_EUlibE0_EEviT1_.private_seg_size, 0
	.set _ZN2at6native32elementwise_kernel_manual_unrollILi128ELi4EZNS0_15gpu_kernel_implINS0_12_GLOBAL__N_114CompareFunctorIN3c104HalfEEEEEvRNS_18TensorIteratorBaseERKT_EUlibE0_EEviT1_.uses_vcc, 1
	.set _ZN2at6native32elementwise_kernel_manual_unrollILi128ELi4EZNS0_15gpu_kernel_implINS0_12_GLOBAL__N_114CompareFunctorIN3c104HalfEEEEEvRNS_18TensorIteratorBaseERKT_EUlibE0_EEviT1_.uses_flat_scratch, 0
	.set _ZN2at6native32elementwise_kernel_manual_unrollILi128ELi4EZNS0_15gpu_kernel_implINS0_12_GLOBAL__N_114CompareFunctorIN3c104HalfEEEEEvRNS_18TensorIteratorBaseERKT_EUlibE0_EEviT1_.has_dyn_sized_stack, 0
	.set _ZN2at6native32elementwise_kernel_manual_unrollILi128ELi4EZNS0_15gpu_kernel_implINS0_12_GLOBAL__N_114CompareFunctorIN3c104HalfEEEEEvRNS_18TensorIteratorBaseERKT_EUlibE0_EEviT1_.has_recursion, 0
	.set _ZN2at6native32elementwise_kernel_manual_unrollILi128ELi4EZNS0_15gpu_kernel_implINS0_12_GLOBAL__N_114CompareFunctorIN3c104HalfEEEEEvRNS_18TensorIteratorBaseERKT_EUlibE0_EEviT1_.has_indirect_call, 0
	.section	.AMDGPU.csdata,"",@progbits
; Kernel info:
; codeLenInByte = 60620
; TotalNumSgprs: 84
; NumVgprs: 24
; ScratchSize: 0
; MemoryBound: 0
; FloatMode: 240
; IeeeMode: 1
; LDSByteSize: 0 bytes/workgroup (compile time only)
; SGPRBlocks: 10
; VGPRBlocks: 5
; NumSGPRsForWavesPerEU: 84
; NumVGPRsForWavesPerEU: 24
; Occupancy: 9
; WaveLimiterHint : 1
; COMPUTE_PGM_RSRC2:SCRATCH_EN: 0
; COMPUTE_PGM_RSRC2:USER_SGPR: 6
; COMPUTE_PGM_RSRC2:TRAP_HANDLER: 0
; COMPUTE_PGM_RSRC2:TGID_X_EN: 1
; COMPUTE_PGM_RSRC2:TGID_Y_EN: 0
; COMPUTE_PGM_RSRC2:TGID_Z_EN: 0
; COMPUTE_PGM_RSRC2:TIDIG_COMP_CNT: 0
	.section	.text._ZN2at6native29vectorized_elementwise_kernelILi16EZNS0_21compare_scalar_kernelIN3c108BFloat16EEEvRNS_18TensorIteratorBaseENS0_12_GLOBAL__N_16OpTypeET_EUlS4_E_St5arrayIPcLm2EEEEviT0_T1_,"axG",@progbits,_ZN2at6native29vectorized_elementwise_kernelILi16EZNS0_21compare_scalar_kernelIN3c108BFloat16EEEvRNS_18TensorIteratorBaseENS0_12_GLOBAL__N_16OpTypeET_EUlS4_E_St5arrayIPcLm2EEEEviT0_T1_,comdat
	.globl	_ZN2at6native29vectorized_elementwise_kernelILi16EZNS0_21compare_scalar_kernelIN3c108BFloat16EEEvRNS_18TensorIteratorBaseENS0_12_GLOBAL__N_16OpTypeET_EUlS4_E_St5arrayIPcLm2EEEEviT0_T1_ ; -- Begin function _ZN2at6native29vectorized_elementwise_kernelILi16EZNS0_21compare_scalar_kernelIN3c108BFloat16EEEvRNS_18TensorIteratorBaseENS0_12_GLOBAL__N_16OpTypeET_EUlS4_E_St5arrayIPcLm2EEEEviT0_T1_
	.p2align	8
	.type	_ZN2at6native29vectorized_elementwise_kernelILi16EZNS0_21compare_scalar_kernelIN3c108BFloat16EEEvRNS_18TensorIteratorBaseENS0_12_GLOBAL__N_16OpTypeET_EUlS4_E_St5arrayIPcLm2EEEEviT0_T1_,@function
_ZN2at6native29vectorized_elementwise_kernelILi16EZNS0_21compare_scalar_kernelIN3c108BFloat16EEEvRNS_18TensorIteratorBaseENS0_12_GLOBAL__N_16OpTypeET_EUlS4_E_St5arrayIPcLm2EEEEviT0_T1_: ; @_ZN2at6native29vectorized_elementwise_kernelILi16EZNS0_21compare_scalar_kernelIN3c108BFloat16EEEvRNS_18TensorIteratorBaseENS0_12_GLOBAL__N_16OpTypeET_EUlS4_E_St5arrayIPcLm2EEEEviT0_T1_
; %bb.0:
	s_load_dwordx8 s[8:15], s[4:5], 0x0
	s_lshl_b32 s2, s6, 12
	s_mov_b64 s[0:1], -1
	s_waitcnt lgkmcnt(0)
	s_sub_i32 s8, s8, s2
	s_cmpk_gt_i32 s8, 0xfff
	s_cbranch_scc0 .LBB128_211
; %bb.1:
	s_ashr_i32 s3, s2, 31
	s_lshl_b64 s[0:1], s[2:3], 1
	s_add_u32 s0, s14, s0
	s_addc_u32 s1, s15, s1
	v_lshlrev_b32_e32 v9, 5, v0
	global_load_dwordx4 v[5:8], v9, s[0:1]
	global_load_dwordx4 v[1:4], v9, s[0:1] offset:16
	s_lshl_b32 s11, s10, 16
	s_cmp_lt_i32 s9, 1
	s_mov_b64 s[4:5], 0
	s_waitcnt vmcnt(1)
	v_lshlrev_b32_e32 v9, 16, v5
	s_cbranch_scc1 .LBB128_5
; %bb.2:
	s_cmp_gt_i32 s9, 1
	s_cbranch_scc0 .LBB128_6
; %bb.3:
	s_cmp_eq_u32 s9, 2
	s_cbranch_scc0 .LBB128_7
; %bb.4:
	v_cmp_ge_f32_e64 s[0:1], s11, v9
	s_mov_b64 s[6:7], 0
	s_branch .LBB128_8
.LBB128_5:
                                        ; implicit-def: $sgpr0_sgpr1
	s_mov_b64 s[6:7], 0
	s_cbranch_execnz .LBB128_11
	s_branch .LBB128_12
.LBB128_6:
	s_mov_b64 s[6:7], 0
                                        ; implicit-def: $sgpr0_sgpr1
	s_cbranch_execnz .LBB128_9
	s_branch .LBB128_10
.LBB128_7:
	s_mov_b64 s[6:7], -1
                                        ; implicit-def: $sgpr0_sgpr1
.LBB128_8:
	s_branch .LBB128_10
.LBB128_9:
	v_cmp_lt_f32_e32 vcc, s11, v9
	s_andn2_b64 s[0:1], s[0:1], exec
	s_and_b64 s[16:17], vcc, exec
	s_or_b64 s[0:1], s[0:1], s[16:17]
.LBB128_10:
	s_branch .LBB128_12
.LBB128_11:
	s_cmp_lg_u32 s9, 0
	s_mov_b64 s[4:5], -1
	s_cselect_b64 s[6:7], -1, 0
.LBB128_12:
	s_andn2_b64 vcc, exec, s[6:7]
	s_cbranch_vccz .LBB128_18
; %bb.13:
	s_andn2_b64 vcc, exec, s[4:5]
	s_cbranch_vccz .LBB128_19
.LBB128_14:
	v_and_b32_e32 v5, 0xffff0000, v5
	s_cmp_lt_i32 s9, 1
	s_mov_b64 s[6:7], 0
	s_cbranch_scc1 .LBB128_20
.LBB128_15:
	s_cmp_gt_i32 s9, 1
	s_cbranch_scc0 .LBB128_21
; %bb.16:
	s_cmp_eq_u32 s9, 2
	s_cbranch_scc0 .LBB128_251
; %bb.17:
	v_cmp_ge_f32_e64 s[4:5], s11, v5
	s_mov_b64 s[16:17], 0
	s_branch .LBB128_23
.LBB128_18:
	v_cmp_gt_f32_e32 vcc, s11, v9
	s_andn2_b64 s[0:1], s[0:1], exec
	s_and_b64 s[6:7], vcc, exec
	s_or_b64 s[0:1], s[0:1], s[6:7]
	s_cbranch_execnz .LBB128_14
.LBB128_19:
	v_cmp_le_f32_e32 vcc, s11, v9
	s_andn2_b64 s[0:1], s[0:1], exec
	s_and_b64 s[4:5], vcc, exec
	s_or_b64 s[0:1], s[0:1], s[4:5]
	v_and_b32_e32 v5, 0xffff0000, v5
	s_cmp_lt_i32 s9, 1
	s_mov_b64 s[6:7], 0
	s_cbranch_scc0 .LBB128_15
.LBB128_20:
                                        ; implicit-def: $sgpr4_sgpr5
	s_mov_b64 s[16:17], 0
	s_cbranch_execnz .LBB128_24
	s_branch .LBB128_25
.LBB128_21:
	s_mov_b64 s[16:17], 0
                                        ; implicit-def: $sgpr4_sgpr5
	s_cbranch_execz .LBB128_23
; %bb.22:
	v_cmp_lt_f32_e32 vcc, s11, v5
	s_andn2_b64 s[4:5], s[4:5], exec
	s_and_b64 s[18:19], vcc, exec
	s_or_b64 s[4:5], s[4:5], s[18:19]
.LBB128_23:
	s_branch .LBB128_25
.LBB128_24:
	s_cmp_lg_u32 s9, 0
	s_mov_b64 s[6:7], -1
	s_cselect_b64 s[16:17], -1, 0
.LBB128_25:
	s_andn2_b64 vcc, exec, s[16:17]
	s_cbranch_vccz .LBB128_31
; %bb.26:
	s_andn2_b64 vcc, exec, s[6:7]
	s_cbranch_vccz .LBB128_32
.LBB128_27:
	v_lshlrev_b32_e32 v5, 16, v6
	s_cmp_lt_i32 s9, 1
	s_mov_b64 s[16:17], 0
	s_cbranch_scc1 .LBB128_33
.LBB128_28:
	s_cmp_gt_i32 s9, 1
	s_cbranch_scc0 .LBB128_34
; %bb.29:
	s_cmp_eq_u32 s9, 2
	s_cbranch_scc0 .LBB128_252
; %bb.30:
	v_cmp_ge_f32_e64 s[6:7], s11, v5
	s_mov_b64 s[18:19], 0
	s_branch .LBB128_36
.LBB128_31:
	v_cmp_gt_f32_e32 vcc, s11, v5
	s_andn2_b64 s[4:5], s[4:5], exec
	s_and_b64 s[16:17], vcc, exec
	s_or_b64 s[4:5], s[4:5], s[16:17]
	s_cbranch_execnz .LBB128_27
.LBB128_32:
	v_cmp_le_f32_e32 vcc, s11, v5
	s_andn2_b64 s[4:5], s[4:5], exec
	s_and_b64 s[6:7], vcc, exec
	s_or_b64 s[4:5], s[4:5], s[6:7]
	v_lshlrev_b32_e32 v5, 16, v6
	s_cmp_lt_i32 s9, 1
	s_mov_b64 s[16:17], 0
	s_cbranch_scc0 .LBB128_28
.LBB128_33:
                                        ; implicit-def: $sgpr6_sgpr7
	s_mov_b64 s[18:19], 0
	s_cbranch_execnz .LBB128_37
	s_branch .LBB128_38
.LBB128_34:
	s_mov_b64 s[18:19], 0
                                        ; implicit-def: $sgpr6_sgpr7
	s_cbranch_execz .LBB128_36
; %bb.35:
	v_cmp_lt_f32_e32 vcc, s11, v5
	s_andn2_b64 s[6:7], s[6:7], exec
	s_and_b64 s[20:21], vcc, exec
	s_or_b64 s[6:7], s[6:7], s[20:21]
.LBB128_36:
	s_branch .LBB128_38
.LBB128_37:
	s_cmp_lg_u32 s9, 0
	s_mov_b64 s[16:17], -1
	s_cselect_b64 s[18:19], -1, 0
.LBB128_38:
	s_andn2_b64 vcc, exec, s[18:19]
	s_cbranch_vccz .LBB128_44
; %bb.39:
	s_andn2_b64 vcc, exec, s[16:17]
	s_cbranch_vccz .LBB128_45
.LBB128_40:
	v_and_b32_e32 v5, 0xffff0000, v6
	s_cmp_lt_i32 s9, 1
	s_mov_b64 s[18:19], 0
	s_cbranch_scc1 .LBB128_46
.LBB128_41:
	s_cmp_gt_i32 s9, 1
	s_cbranch_scc0 .LBB128_47
; %bb.42:
	s_cmp_eq_u32 s9, 2
	s_cbranch_scc0 .LBB128_253
; %bb.43:
	v_cmp_ge_f32_e64 s[16:17], s11, v5
	s_mov_b64 s[20:21], 0
	s_branch .LBB128_49
.LBB128_44:
	v_cmp_gt_f32_e32 vcc, s11, v5
	s_andn2_b64 s[6:7], s[6:7], exec
	s_and_b64 s[18:19], vcc, exec
	s_or_b64 s[6:7], s[6:7], s[18:19]
	s_cbranch_execnz .LBB128_40
.LBB128_45:
	v_cmp_le_f32_e32 vcc, s11, v5
	s_andn2_b64 s[6:7], s[6:7], exec
	s_and_b64 s[16:17], vcc, exec
	s_or_b64 s[6:7], s[6:7], s[16:17]
	v_and_b32_e32 v5, 0xffff0000, v6
	s_cmp_lt_i32 s9, 1
	s_mov_b64 s[18:19], 0
	s_cbranch_scc0 .LBB128_41
.LBB128_46:
                                        ; implicit-def: $sgpr16_sgpr17
	s_mov_b64 s[20:21], 0
	s_cbranch_execnz .LBB128_50
	s_branch .LBB128_51
.LBB128_47:
	s_mov_b64 s[20:21], 0
                                        ; implicit-def: $sgpr16_sgpr17
	s_cbranch_execz .LBB128_49
; %bb.48:
	v_cmp_lt_f32_e32 vcc, s11, v5
	s_andn2_b64 s[16:17], s[16:17], exec
	s_and_b64 s[22:23], vcc, exec
	s_or_b64 s[16:17], s[16:17], s[22:23]
.LBB128_49:
	s_branch .LBB128_51
.LBB128_50:
	s_cmp_lg_u32 s9, 0
	s_mov_b64 s[18:19], -1
	s_cselect_b64 s[20:21], -1, 0
.LBB128_51:
	s_andn2_b64 vcc, exec, s[20:21]
	s_cbranch_vccz .LBB128_57
; %bb.52:
	s_andn2_b64 vcc, exec, s[18:19]
	s_cbranch_vccz .LBB128_58
.LBB128_53:
	v_lshlrev_b32_e32 v5, 16, v7
	s_cmp_lt_i32 s9, 1
	s_mov_b64 s[20:21], 0
	s_cbranch_scc1 .LBB128_59
.LBB128_54:
	s_cmp_gt_i32 s9, 1
	s_cbranch_scc0 .LBB128_60
; %bb.55:
	s_cmp_eq_u32 s9, 2
	s_cbranch_scc0 .LBB128_254
; %bb.56:
	v_cmp_ge_f32_e64 s[18:19], s11, v5
	s_mov_b64 s[22:23], 0
	s_branch .LBB128_62
.LBB128_57:
	v_cmp_gt_f32_e32 vcc, s11, v5
	s_andn2_b64 s[16:17], s[16:17], exec
	s_and_b64 s[20:21], vcc, exec
	s_or_b64 s[16:17], s[16:17], s[20:21]
	s_cbranch_execnz .LBB128_53
.LBB128_58:
	v_cmp_le_f32_e32 vcc, s11, v5
	s_andn2_b64 s[16:17], s[16:17], exec
	s_and_b64 s[18:19], vcc, exec
	s_or_b64 s[16:17], s[16:17], s[18:19]
	v_lshlrev_b32_e32 v5, 16, v7
	s_cmp_lt_i32 s9, 1
	s_mov_b64 s[20:21], 0
	s_cbranch_scc0 .LBB128_54
.LBB128_59:
                                        ; implicit-def: $sgpr18_sgpr19
	s_mov_b64 s[22:23], 0
	s_cbranch_execnz .LBB128_63
	s_branch .LBB128_64
.LBB128_60:
	s_mov_b64 s[22:23], 0
                                        ; implicit-def: $sgpr18_sgpr19
	s_cbranch_execz .LBB128_62
; %bb.61:
	v_cmp_lt_f32_e32 vcc, s11, v5
	s_andn2_b64 s[18:19], s[18:19], exec
	s_and_b64 s[24:25], vcc, exec
	s_or_b64 s[18:19], s[18:19], s[24:25]
.LBB128_62:
	s_branch .LBB128_64
.LBB128_63:
	s_cmp_lg_u32 s9, 0
	s_mov_b64 s[20:21], -1
	s_cselect_b64 s[22:23], -1, 0
.LBB128_64:
	s_andn2_b64 vcc, exec, s[22:23]
	s_cbranch_vccz .LBB128_70
; %bb.65:
	s_andn2_b64 vcc, exec, s[20:21]
	s_cbranch_vccz .LBB128_71
.LBB128_66:
	v_and_b32_e32 v5, 0xffff0000, v7
	s_cmp_lt_i32 s9, 1
	s_mov_b64 s[22:23], 0
	s_cbranch_scc1 .LBB128_72
.LBB128_67:
	s_cmp_gt_i32 s9, 1
	s_cbranch_scc0 .LBB128_73
; %bb.68:
	s_cmp_eq_u32 s9, 2
	s_cbranch_scc0 .LBB128_255
; %bb.69:
	v_cmp_ge_f32_e64 s[20:21], s11, v5
	s_mov_b64 s[24:25], 0
	s_branch .LBB128_75
.LBB128_70:
	v_cmp_gt_f32_e32 vcc, s11, v5
	s_andn2_b64 s[18:19], s[18:19], exec
	s_and_b64 s[22:23], vcc, exec
	s_or_b64 s[18:19], s[18:19], s[22:23]
	s_cbranch_execnz .LBB128_66
.LBB128_71:
	v_cmp_le_f32_e32 vcc, s11, v5
	s_andn2_b64 s[18:19], s[18:19], exec
	s_and_b64 s[20:21], vcc, exec
	s_or_b64 s[18:19], s[18:19], s[20:21]
	v_and_b32_e32 v5, 0xffff0000, v7
	s_cmp_lt_i32 s9, 1
	s_mov_b64 s[22:23], 0
	s_cbranch_scc0 .LBB128_67
.LBB128_72:
                                        ; implicit-def: $sgpr20_sgpr21
	s_mov_b64 s[24:25], 0
	s_cbranch_execnz .LBB128_76
	s_branch .LBB128_77
.LBB128_73:
	s_mov_b64 s[24:25], 0
                                        ; implicit-def: $sgpr20_sgpr21
	s_cbranch_execz .LBB128_75
; %bb.74:
	v_cmp_lt_f32_e32 vcc, s11, v5
	s_andn2_b64 s[20:21], s[20:21], exec
	s_and_b64 s[26:27], vcc, exec
	s_or_b64 s[20:21], s[20:21], s[26:27]
.LBB128_75:
	s_branch .LBB128_77
.LBB128_76:
	s_cmp_lg_u32 s9, 0
	s_mov_b64 s[22:23], -1
	s_cselect_b64 s[24:25], -1, 0
.LBB128_77:
	s_andn2_b64 vcc, exec, s[24:25]
	s_cbranch_vccz .LBB128_83
; %bb.78:
	s_andn2_b64 vcc, exec, s[22:23]
	s_cbranch_vccz .LBB128_84
.LBB128_79:
	v_lshlrev_b32_e32 v5, 16, v8
	s_cmp_lt_i32 s9, 1
	s_mov_b64 s[24:25], 0
	s_cbranch_scc1 .LBB128_85
.LBB128_80:
	s_cmp_gt_i32 s9, 1
	s_cbranch_scc0 .LBB128_86
; %bb.81:
	s_cmp_eq_u32 s9, 2
	s_cbranch_scc0 .LBB128_256
; %bb.82:
	v_cmp_ge_f32_e64 s[22:23], s11, v5
	s_mov_b64 s[26:27], 0
	s_branch .LBB128_88
.LBB128_83:
	v_cmp_gt_f32_e32 vcc, s11, v5
	s_andn2_b64 s[20:21], s[20:21], exec
	s_and_b64 s[24:25], vcc, exec
	s_or_b64 s[20:21], s[20:21], s[24:25]
	s_cbranch_execnz .LBB128_79
.LBB128_84:
	v_cmp_le_f32_e32 vcc, s11, v5
	s_andn2_b64 s[20:21], s[20:21], exec
	s_and_b64 s[22:23], vcc, exec
	s_or_b64 s[20:21], s[20:21], s[22:23]
	v_lshlrev_b32_e32 v5, 16, v8
	s_cmp_lt_i32 s9, 1
	s_mov_b64 s[24:25], 0
	s_cbranch_scc0 .LBB128_80
.LBB128_85:
                                        ; implicit-def: $sgpr22_sgpr23
	s_mov_b64 s[26:27], 0
	s_cbranch_execnz .LBB128_89
	s_branch .LBB128_90
.LBB128_86:
	s_mov_b64 s[26:27], 0
                                        ; implicit-def: $sgpr22_sgpr23
	s_cbranch_execz .LBB128_88
; %bb.87:
	v_cmp_lt_f32_e32 vcc, s11, v5
	s_andn2_b64 s[22:23], s[22:23], exec
	s_and_b64 s[28:29], vcc, exec
	s_or_b64 s[22:23], s[22:23], s[28:29]
.LBB128_88:
	s_branch .LBB128_90
.LBB128_89:
	s_cmp_lg_u32 s9, 0
	s_mov_b64 s[24:25], -1
	s_cselect_b64 s[26:27], -1, 0
.LBB128_90:
	s_andn2_b64 vcc, exec, s[26:27]
	s_cbranch_vccz .LBB128_96
; %bb.91:
	s_andn2_b64 vcc, exec, s[24:25]
	s_cbranch_vccz .LBB128_97
.LBB128_92:
	v_and_b32_e32 v5, 0xffff0000, v8
	s_cmp_lt_i32 s9, 1
	s_mov_b64 s[26:27], 0
	s_cbranch_scc1 .LBB128_98
.LBB128_93:
	s_cmp_gt_i32 s9, 1
	s_cbranch_scc0 .LBB128_99
; %bb.94:
	s_cmp_eq_u32 s9, 2
	s_cbranch_scc0 .LBB128_257
; %bb.95:
	v_cmp_ge_f32_e64 s[24:25], s11, v5
	s_mov_b64 s[28:29], 0
	s_branch .LBB128_101
.LBB128_96:
	v_cmp_gt_f32_e32 vcc, s11, v5
	s_andn2_b64 s[22:23], s[22:23], exec
	s_and_b64 s[26:27], vcc, exec
	s_or_b64 s[22:23], s[22:23], s[26:27]
	s_cbranch_execnz .LBB128_92
.LBB128_97:
	v_cmp_le_f32_e32 vcc, s11, v5
	s_andn2_b64 s[22:23], s[22:23], exec
	s_and_b64 s[24:25], vcc, exec
	s_or_b64 s[22:23], s[22:23], s[24:25]
	v_and_b32_e32 v5, 0xffff0000, v8
	s_cmp_lt_i32 s9, 1
	s_mov_b64 s[26:27], 0
	s_cbranch_scc0 .LBB128_93
.LBB128_98:
                                        ; implicit-def: $sgpr24_sgpr25
	s_mov_b64 s[28:29], 0
	s_cbranch_execnz .LBB128_102
	s_branch .LBB128_103
.LBB128_99:
	s_mov_b64 s[28:29], 0
                                        ; implicit-def: $sgpr24_sgpr25
	s_cbranch_execz .LBB128_101
; %bb.100:
	v_cmp_lt_f32_e32 vcc, s11, v5
	s_andn2_b64 s[24:25], s[24:25], exec
	s_and_b64 s[30:31], vcc, exec
	s_or_b64 s[24:25], s[24:25], s[30:31]
.LBB128_101:
	s_branch .LBB128_103
.LBB128_102:
	s_cmp_lg_u32 s9, 0
	s_mov_b64 s[26:27], -1
	s_cselect_b64 s[28:29], -1, 0
.LBB128_103:
	s_andn2_b64 vcc, exec, s[28:29]
	s_cbranch_vccz .LBB128_109
; %bb.104:
	s_andn2_b64 vcc, exec, s[26:27]
	s_cbranch_vccz .LBB128_110
.LBB128_105:
	s_waitcnt vmcnt(0)
	v_lshlrev_b32_e32 v5, 16, v1
	s_cmp_lt_i32 s9, 1
	s_mov_b64 s[28:29], 0
	s_cbranch_scc1 .LBB128_111
.LBB128_106:
	s_cmp_gt_i32 s9, 1
	s_cbranch_scc0 .LBB128_112
; %bb.107:
	s_cmp_eq_u32 s9, 2
	s_cbranch_scc0 .LBB128_258
; %bb.108:
	v_cmp_ge_f32_e64 s[26:27], s11, v5
	s_mov_b64 s[30:31], 0
	s_branch .LBB128_114
.LBB128_109:
	v_cmp_gt_f32_e32 vcc, s11, v5
	s_andn2_b64 s[24:25], s[24:25], exec
	s_and_b64 s[28:29], vcc, exec
	s_or_b64 s[24:25], s[24:25], s[28:29]
	s_cbranch_execnz .LBB128_105
.LBB128_110:
	v_cmp_le_f32_e32 vcc, s11, v5
	s_andn2_b64 s[24:25], s[24:25], exec
	s_and_b64 s[26:27], vcc, exec
	s_or_b64 s[24:25], s[24:25], s[26:27]
	s_waitcnt vmcnt(0)
	v_lshlrev_b32_e32 v5, 16, v1
	s_cmp_lt_i32 s9, 1
	s_mov_b64 s[28:29], 0
	s_cbranch_scc0 .LBB128_106
.LBB128_111:
                                        ; implicit-def: $sgpr26_sgpr27
	s_mov_b64 s[30:31], 0
	s_cbranch_execnz .LBB128_115
	s_branch .LBB128_116
.LBB128_112:
	s_mov_b64 s[30:31], 0
                                        ; implicit-def: $sgpr26_sgpr27
	s_cbranch_execz .LBB128_114
; %bb.113:
	v_cmp_lt_f32_e32 vcc, s11, v5
	s_andn2_b64 s[26:27], s[26:27], exec
	s_and_b64 s[34:35], vcc, exec
	s_or_b64 s[26:27], s[26:27], s[34:35]
.LBB128_114:
	s_branch .LBB128_116
.LBB128_115:
	s_cmp_lg_u32 s9, 0
	s_mov_b64 s[28:29], -1
	s_cselect_b64 s[30:31], -1, 0
.LBB128_116:
	s_andn2_b64 vcc, exec, s[30:31]
	s_cbranch_vccz .LBB128_122
; %bb.117:
	s_andn2_b64 vcc, exec, s[28:29]
	s_cbranch_vccz .LBB128_123
.LBB128_118:
	v_and_b32_e32 v1, 0xffff0000, v1
	s_cmp_lt_i32 s9, 1
	s_mov_b64 s[30:31], 0
	s_cbranch_scc1 .LBB128_124
.LBB128_119:
	s_cmp_gt_i32 s9, 1
	s_cbranch_scc0 .LBB128_125
; %bb.120:
	s_cmp_eq_u32 s9, 2
	s_cbranch_scc0 .LBB128_259
; %bb.121:
	v_cmp_ge_f32_e64 s[28:29], s11, v1
	s_mov_b64 s[34:35], 0
	s_branch .LBB128_127
.LBB128_122:
	v_cmp_gt_f32_e32 vcc, s11, v5
	s_andn2_b64 s[26:27], s[26:27], exec
	s_and_b64 s[30:31], vcc, exec
	s_or_b64 s[26:27], s[26:27], s[30:31]
	s_cbranch_execnz .LBB128_118
.LBB128_123:
	v_cmp_le_f32_e32 vcc, s11, v5
	s_andn2_b64 s[26:27], s[26:27], exec
	s_and_b64 s[28:29], vcc, exec
	s_or_b64 s[26:27], s[26:27], s[28:29]
	v_and_b32_e32 v1, 0xffff0000, v1
	s_cmp_lt_i32 s9, 1
	s_mov_b64 s[30:31], 0
	s_cbranch_scc0 .LBB128_119
.LBB128_124:
                                        ; implicit-def: $sgpr28_sgpr29
	s_mov_b64 s[34:35], 0
	s_cbranch_execnz .LBB128_128
	s_branch .LBB128_129
.LBB128_125:
	s_mov_b64 s[34:35], 0
                                        ; implicit-def: $sgpr28_sgpr29
	s_cbranch_execz .LBB128_127
; %bb.126:
	v_cmp_lt_f32_e32 vcc, s11, v1
	s_andn2_b64 s[28:29], s[28:29], exec
	s_and_b64 s[36:37], vcc, exec
	s_or_b64 s[28:29], s[28:29], s[36:37]
.LBB128_127:
	s_branch .LBB128_129
.LBB128_128:
	s_cmp_lg_u32 s9, 0
	s_mov_b64 s[30:31], -1
	s_cselect_b64 s[34:35], -1, 0
.LBB128_129:
	s_andn2_b64 vcc, exec, s[34:35]
	s_cbranch_vccz .LBB128_135
; %bb.130:
	s_andn2_b64 vcc, exec, s[30:31]
	s_cbranch_vccz .LBB128_136
.LBB128_131:
	v_lshlrev_b32_e32 v1, 16, v2
	s_cmp_lt_i32 s9, 1
	s_mov_b64 s[34:35], 0
	s_cbranch_scc1 .LBB128_137
.LBB128_132:
	s_cmp_gt_i32 s9, 1
	s_cbranch_scc0 .LBB128_138
; %bb.133:
	s_cmp_eq_u32 s9, 2
	s_cbranch_scc0 .LBB128_260
; %bb.134:
	v_cmp_ge_f32_e64 s[30:31], s11, v1
	s_mov_b64 s[36:37], 0
	s_branch .LBB128_140
.LBB128_135:
	v_cmp_gt_f32_e32 vcc, s11, v1
	s_andn2_b64 s[28:29], s[28:29], exec
	s_and_b64 s[34:35], vcc, exec
	s_or_b64 s[28:29], s[28:29], s[34:35]
	s_cbranch_execnz .LBB128_131
.LBB128_136:
	v_cmp_le_f32_e32 vcc, s11, v1
	s_andn2_b64 s[28:29], s[28:29], exec
	s_and_b64 s[30:31], vcc, exec
	s_or_b64 s[28:29], s[28:29], s[30:31]
	v_lshlrev_b32_e32 v1, 16, v2
	s_cmp_lt_i32 s9, 1
	s_mov_b64 s[34:35], 0
	s_cbranch_scc0 .LBB128_132
.LBB128_137:
                                        ; implicit-def: $sgpr30_sgpr31
	s_mov_b64 s[36:37], 0
	s_cbranch_execnz .LBB128_141
	s_branch .LBB128_142
.LBB128_138:
	s_mov_b64 s[36:37], 0
                                        ; implicit-def: $sgpr30_sgpr31
	s_cbranch_execz .LBB128_140
; %bb.139:
	v_cmp_lt_f32_e32 vcc, s11, v1
	s_andn2_b64 s[30:31], s[30:31], exec
	s_and_b64 s[38:39], vcc, exec
	s_or_b64 s[30:31], s[30:31], s[38:39]
.LBB128_140:
	s_branch .LBB128_142
.LBB128_141:
	s_cmp_lg_u32 s9, 0
	s_mov_b64 s[34:35], -1
	s_cselect_b64 s[36:37], -1, 0
.LBB128_142:
	s_andn2_b64 vcc, exec, s[36:37]
	s_cbranch_vccz .LBB128_148
; %bb.143:
	s_andn2_b64 vcc, exec, s[34:35]
	s_cbranch_vccz .LBB128_149
.LBB128_144:
	v_and_b32_e32 v1, 0xffff0000, v2
	s_cmp_lt_i32 s9, 1
	s_mov_b64 s[36:37], 0
	s_cbranch_scc1 .LBB128_150
.LBB128_145:
	s_cmp_gt_i32 s9, 1
	s_cbranch_scc0 .LBB128_151
; %bb.146:
	s_cmp_eq_u32 s9, 2
	s_cbranch_scc0 .LBB128_261
; %bb.147:
	v_cmp_ge_f32_e64 s[34:35], s11, v1
	s_mov_b64 s[38:39], 0
	s_branch .LBB128_153
.LBB128_148:
	v_cmp_gt_f32_e32 vcc, s11, v1
	s_andn2_b64 s[30:31], s[30:31], exec
	s_and_b64 s[36:37], vcc, exec
	s_or_b64 s[30:31], s[30:31], s[36:37]
	s_cbranch_execnz .LBB128_144
.LBB128_149:
	v_cmp_le_f32_e32 vcc, s11, v1
	s_andn2_b64 s[30:31], s[30:31], exec
	s_and_b64 s[34:35], vcc, exec
	s_or_b64 s[30:31], s[30:31], s[34:35]
	v_and_b32_e32 v1, 0xffff0000, v2
	s_cmp_lt_i32 s9, 1
	s_mov_b64 s[36:37], 0
	s_cbranch_scc0 .LBB128_145
.LBB128_150:
                                        ; implicit-def: $sgpr34_sgpr35
	s_mov_b64 s[38:39], 0
	s_cbranch_execnz .LBB128_154
	s_branch .LBB128_155
.LBB128_151:
	s_mov_b64 s[38:39], 0
                                        ; implicit-def: $sgpr34_sgpr35
	s_cbranch_execz .LBB128_153
; %bb.152:
	v_cmp_lt_f32_e32 vcc, s11, v1
	s_andn2_b64 s[34:35], s[34:35], exec
	s_and_b64 s[40:41], vcc, exec
	s_or_b64 s[34:35], s[34:35], s[40:41]
.LBB128_153:
	s_branch .LBB128_155
.LBB128_154:
	s_cmp_lg_u32 s9, 0
	s_mov_b64 s[36:37], -1
	s_cselect_b64 s[38:39], -1, 0
.LBB128_155:
	s_andn2_b64 vcc, exec, s[38:39]
	s_cbranch_vccz .LBB128_161
; %bb.156:
	s_andn2_b64 vcc, exec, s[36:37]
	s_cbranch_vccz .LBB128_162
.LBB128_157:
	v_lshlrev_b32_e32 v1, 16, v3
	s_cmp_lt_i32 s9, 1
	s_mov_b64 s[38:39], 0
	s_cbranch_scc1 .LBB128_163
.LBB128_158:
	s_cmp_gt_i32 s9, 1
	s_cbranch_scc0 .LBB128_164
; %bb.159:
	s_cmp_eq_u32 s9, 2
	s_cbranch_scc0 .LBB128_262
; %bb.160:
	v_cmp_ge_f32_e64 s[36:37], s11, v1
	s_mov_b64 s[40:41], 0
	s_branch .LBB128_166
.LBB128_161:
	v_cmp_gt_f32_e32 vcc, s11, v1
	s_andn2_b64 s[34:35], s[34:35], exec
	s_and_b64 s[38:39], vcc, exec
	s_or_b64 s[34:35], s[34:35], s[38:39]
	s_cbranch_execnz .LBB128_157
.LBB128_162:
	v_cmp_le_f32_e32 vcc, s11, v1
	s_andn2_b64 s[34:35], s[34:35], exec
	s_and_b64 s[36:37], vcc, exec
	s_or_b64 s[34:35], s[34:35], s[36:37]
	v_lshlrev_b32_e32 v1, 16, v3
	s_cmp_lt_i32 s9, 1
	s_mov_b64 s[38:39], 0
	s_cbranch_scc0 .LBB128_158
.LBB128_163:
                                        ; implicit-def: $sgpr36_sgpr37
	s_mov_b64 s[40:41], 0
	s_cbranch_execnz .LBB128_167
	s_branch .LBB128_168
.LBB128_164:
	s_mov_b64 s[40:41], 0
                                        ; implicit-def: $sgpr36_sgpr37
	s_cbranch_execz .LBB128_166
; %bb.165:
	v_cmp_lt_f32_e32 vcc, s11, v1
	s_andn2_b64 s[36:37], s[36:37], exec
	s_and_b64 s[42:43], vcc, exec
	s_or_b64 s[36:37], s[36:37], s[42:43]
.LBB128_166:
	s_branch .LBB128_168
.LBB128_167:
	s_cmp_lg_u32 s9, 0
	s_mov_b64 s[38:39], -1
	s_cselect_b64 s[40:41], -1, 0
.LBB128_168:
	s_andn2_b64 vcc, exec, s[40:41]
	s_cbranch_vccz .LBB128_174
; %bb.169:
	s_andn2_b64 vcc, exec, s[38:39]
	s_cbranch_vccz .LBB128_175
.LBB128_170:
	v_and_b32_e32 v1, 0xffff0000, v3
	s_cmp_lt_i32 s9, 1
	s_mov_b64 s[40:41], 0
	s_cbranch_scc1 .LBB128_176
.LBB128_171:
	s_cmp_gt_i32 s9, 1
	s_cbranch_scc0 .LBB128_177
; %bb.172:
	s_cmp_eq_u32 s9, 2
	s_cbranch_scc0 .LBB128_263
; %bb.173:
	v_cmp_ge_f32_e64 s[38:39], s11, v1
	s_mov_b64 s[42:43], 0
	s_branch .LBB128_179
.LBB128_174:
	v_cmp_gt_f32_e32 vcc, s11, v1
	s_andn2_b64 s[36:37], s[36:37], exec
	s_and_b64 s[40:41], vcc, exec
	s_or_b64 s[36:37], s[36:37], s[40:41]
	s_cbranch_execnz .LBB128_170
.LBB128_175:
	v_cmp_le_f32_e32 vcc, s11, v1
	s_andn2_b64 s[36:37], s[36:37], exec
	s_and_b64 s[38:39], vcc, exec
	s_or_b64 s[36:37], s[36:37], s[38:39]
	v_and_b32_e32 v1, 0xffff0000, v3
	s_cmp_lt_i32 s9, 1
	s_mov_b64 s[40:41], 0
	s_cbranch_scc0 .LBB128_171
.LBB128_176:
                                        ; implicit-def: $sgpr38_sgpr39
	s_mov_b64 s[42:43], 0
	s_cbranch_execnz .LBB128_180
	s_branch .LBB128_181
.LBB128_177:
	s_mov_b64 s[42:43], 0
                                        ; implicit-def: $sgpr38_sgpr39
	s_cbranch_execz .LBB128_179
; %bb.178:
	v_cmp_lt_f32_e32 vcc, s11, v1
	s_andn2_b64 s[38:39], s[38:39], exec
	s_and_b64 s[44:45], vcc, exec
	s_or_b64 s[38:39], s[38:39], s[44:45]
.LBB128_179:
	s_branch .LBB128_181
.LBB128_180:
	s_cmp_lg_u32 s9, 0
	s_mov_b64 s[40:41], -1
	s_cselect_b64 s[42:43], -1, 0
.LBB128_181:
	s_andn2_b64 vcc, exec, s[42:43]
	s_cbranch_vccz .LBB128_187
; %bb.182:
	s_andn2_b64 vcc, exec, s[40:41]
	s_cbranch_vccz .LBB128_188
.LBB128_183:
	v_lshlrev_b32_e32 v1, 16, v4
	s_cmp_lt_i32 s9, 1
	s_mov_b64 s[42:43], 0
	s_cbranch_scc1 .LBB128_189
.LBB128_184:
	s_cmp_gt_i32 s9, 1
	s_cbranch_scc0 .LBB128_190
; %bb.185:
	s_cmp_eq_u32 s9, 2
	s_cbranch_scc0 .LBB128_264
; %bb.186:
	v_cmp_ge_f32_e64 s[40:41], s11, v1
	s_mov_b64 s[44:45], 0
	s_branch .LBB128_192
.LBB128_187:
	v_cmp_gt_f32_e32 vcc, s11, v1
	s_andn2_b64 s[38:39], s[38:39], exec
	s_and_b64 s[42:43], vcc, exec
	s_or_b64 s[38:39], s[38:39], s[42:43]
	s_cbranch_execnz .LBB128_183
.LBB128_188:
	v_cmp_le_f32_e32 vcc, s11, v1
	s_andn2_b64 s[38:39], s[38:39], exec
	s_and_b64 s[40:41], vcc, exec
	s_or_b64 s[38:39], s[38:39], s[40:41]
	v_lshlrev_b32_e32 v1, 16, v4
	s_cmp_lt_i32 s9, 1
	s_mov_b64 s[42:43], 0
	s_cbranch_scc0 .LBB128_184
.LBB128_189:
                                        ; implicit-def: $sgpr40_sgpr41
	s_mov_b64 s[44:45], 0
	s_cbranch_execnz .LBB128_193
	s_branch .LBB128_194
.LBB128_190:
	s_mov_b64 s[44:45], 0
                                        ; implicit-def: $sgpr40_sgpr41
	s_cbranch_execz .LBB128_192
; %bb.191:
	v_cmp_lt_f32_e32 vcc, s11, v1
	s_andn2_b64 s[40:41], s[40:41], exec
	s_and_b64 s[46:47], vcc, exec
	s_or_b64 s[40:41], s[40:41], s[46:47]
.LBB128_192:
	s_branch .LBB128_194
.LBB128_193:
	s_cmp_lg_u32 s9, 0
	s_mov_b64 s[42:43], -1
	s_cselect_b64 s[44:45], -1, 0
.LBB128_194:
	s_andn2_b64 vcc, exec, s[44:45]
	s_cbranch_vccz .LBB128_200
; %bb.195:
	s_andn2_b64 vcc, exec, s[42:43]
	s_cbranch_vccz .LBB128_201
.LBB128_196:
	v_and_b32_e32 v1, 0xffff0000, v4
	s_cmp_lt_i32 s9, 1
	s_mov_b64 s[44:45], 0
	s_cbranch_scc1 .LBB128_202
.LBB128_197:
	s_cmp_gt_i32 s9, 1
	s_cbranch_scc0 .LBB128_203
; %bb.198:
	s_cmp_eq_u32 s9, 2
	s_cbranch_scc0 .LBB128_265
; %bb.199:
	v_cmp_ge_f32_e64 s[42:43], s11, v1
	s_mov_b64 s[46:47], 0
	s_branch .LBB128_205
.LBB128_200:
	v_cmp_gt_f32_e32 vcc, s11, v1
	s_andn2_b64 s[40:41], s[40:41], exec
	s_and_b64 s[44:45], vcc, exec
	s_or_b64 s[40:41], s[40:41], s[44:45]
	s_cbranch_execnz .LBB128_196
.LBB128_201:
	v_cmp_le_f32_e32 vcc, s11, v1
	s_andn2_b64 s[40:41], s[40:41], exec
	s_and_b64 s[42:43], vcc, exec
	s_or_b64 s[40:41], s[40:41], s[42:43]
	v_and_b32_e32 v1, 0xffff0000, v4
	s_cmp_lt_i32 s9, 1
	s_mov_b64 s[44:45], 0
	s_cbranch_scc0 .LBB128_197
.LBB128_202:
                                        ; implicit-def: $sgpr42_sgpr43
	s_mov_b64 s[46:47], 0
	s_cbranch_execnz .LBB128_206
	s_branch .LBB128_207
.LBB128_203:
	s_mov_b64 s[46:47], 0
                                        ; implicit-def: $sgpr42_sgpr43
	s_cbranch_execz .LBB128_205
; %bb.204:
	v_cmp_lt_f32_e32 vcc, s11, v1
	s_andn2_b64 s[42:43], s[42:43], exec
	s_and_b64 s[48:49], vcc, exec
	s_or_b64 s[42:43], s[42:43], s[48:49]
.LBB128_205:
	s_branch .LBB128_207
.LBB128_206:
	s_cmp_lg_u32 s9, 0
	s_mov_b64 s[44:45], -1
	s_cselect_b64 s[46:47], -1, 0
.LBB128_207:
	s_andn2_b64 vcc, exec, s[46:47]
	s_cbranch_vccz .LBB128_249
; %bb.208:
	s_andn2_b64 vcc, exec, s[44:45]
	s_cbranch_vccnz .LBB128_210
.LBB128_209:
	v_cmp_le_f32_e32 vcc, s11, v1
	s_andn2_b64 s[42:43], s[42:43], exec
	s_and_b64 s[44:45], vcc, exec
	s_or_b64 s[42:43], s[42:43], s[44:45]
.LBB128_210:
	v_cndmask_b32_e64 v1, 0, 1, s[4:5]
	v_lshlrev_b16_e32 v1, 8, v1
	v_cndmask_b32_e64 v2, 0, 1, s[0:1]
	v_or_b32_e32 v1, v2, v1
	v_cndmask_b32_e64 v2, 0, 1, s[16:17]
	v_lshlrev_b16_e32 v2, 8, v2
	v_cndmask_b32_e64 v3, 0, 1, s[6:7]
	v_or_b32_sdwa v2, v3, v2 dst_sel:WORD_1 dst_unused:UNUSED_PAD src0_sel:DWORD src1_sel:DWORD
	v_or_b32_sdwa v1, v1, v2 dst_sel:DWORD dst_unused:UNUSED_PAD src0_sel:WORD_0 src1_sel:DWORD
	v_cndmask_b32_e64 v2, 0, 1, s[20:21]
	v_lshlrev_b16_e32 v2, 8, v2
	v_cndmask_b32_e64 v3, 0, 1, s[18:19]
	v_or_b32_e32 v2, v3, v2
	v_cndmask_b32_e64 v3, 0, 1, s[24:25]
	v_lshlrev_b16_e32 v3, 8, v3
	v_cndmask_b32_e64 v4, 0, 1, s[22:23]
	v_or_b32_sdwa v3, v4, v3 dst_sel:WORD_1 dst_unused:UNUSED_PAD src0_sel:DWORD src1_sel:DWORD
	v_or_b32_sdwa v2, v2, v3 dst_sel:DWORD dst_unused:UNUSED_PAD src0_sel:WORD_0 src1_sel:DWORD
	v_cndmask_b32_e64 v3, 0, 1, s[28:29]
	v_lshlrev_b16_e32 v3, 8, v3
	v_cndmask_b32_e64 v4, 0, 1, s[26:27]
	v_or_b32_e32 v3, v4, v3
	v_cndmask_b32_e64 v4, 0, 1, s[34:35]
	v_lshlrev_b16_e32 v4, 8, v4
	v_cndmask_b32_e64 v6, 0, 1, s[30:31]
	v_or_b32_sdwa v4, v6, v4 dst_sel:WORD_1 dst_unused:UNUSED_PAD src0_sel:DWORD src1_sel:DWORD
	v_or_b32_sdwa v3, v3, v4 dst_sel:DWORD dst_unused:UNUSED_PAD src0_sel:WORD_0 src1_sel:DWORD
	v_cndmask_b32_e64 v4, 0, 1, s[38:39]
	v_lshlrev_b16_e32 v4, 8, v4
	v_cndmask_b32_e64 v6, 0, 1, s[36:37]
	v_or_b32_e32 v4, v6, v4
	v_cndmask_b32_e64 v6, 0, 1, s[42:43]
	v_lshlrev_b16_e32 v6, 8, v6
	v_cndmask_b32_e64 v7, 0, 1, s[40:41]
	s_add_u32 s44, s12, s2
	v_or_b32_sdwa v6, v7, v6 dst_sel:WORD_1 dst_unused:UNUSED_PAD src0_sel:DWORD src1_sel:DWORD
	s_addc_u32 s45, s13, s3
	v_lshlrev_b32_e32 v5, 4, v0
	v_or_b32_sdwa v4, v4, v6 dst_sel:DWORD dst_unused:UNUSED_PAD src0_sel:WORD_0 src1_sel:DWORD
	global_store_dwordx4 v5, v[1:4], s[44:45]
	s_mov_b64 s[0:1], 0
.LBB128_211:
	s_and_b64 vcc, exec, s[0:1]
	s_cbranch_vccz .LBB128_519
; %bb.212:
	v_cmp_gt_i32_e64 s[0:1], s8, v0
	v_mov_b32_e32 v21, 0
	v_or_b32_e32 v1, s2, v0
	v_mov_b32_e32 v7, 0
	v_mov_b32_e32 v2, v0
	s_and_saveexec_b64 s[4:5], s[0:1]
	s_cbranch_execz .LBB128_214
; %bb.213:
	v_mov_b32_e32 v2, 0
	v_lshlrev_b64 v[2:3], 1, v[1:2]
	v_mov_b32_e32 v4, s15
	v_add_co_u32_e32 v2, vcc, s14, v2
	v_addc_co_u32_e32 v3, vcc, v4, v3, vcc
	global_load_ushort v3, v[2:3], off
	v_or_b32_e32 v2, 0x100, v0
	s_waitcnt vmcnt(0)
	v_lshlrev_b32_e32 v7, 16, v3
.LBB128_214:
	s_or_b64 exec, exec, s[4:5]
	v_cmp_gt_i32_e32 vcc, s8, v2
	s_and_saveexec_b64 s[4:5], vcc
	s_cbranch_execz .LBB128_216
; %bb.215:
	v_add_u32_e32 v3, s2, v2
	v_mov_b32_e32 v4, 0
	v_lshlrev_b64 v[3:4], 1, v[3:4]
	v_mov_b32_e32 v5, s15
	v_add_co_u32_e32 v3, vcc, s14, v3
	v_addc_co_u32_e32 v4, vcc, v5, v4, vcc
	global_load_ushort v3, v[3:4], off
	v_add_u32_e32 v2, 0x100, v2
	s_waitcnt vmcnt(0)
	v_lshlrev_b32_e32 v21, 16, v3
.LBB128_216:
	s_or_b64 exec, exec, s[4:5]
	v_cmp_gt_i32_e32 vcc, s8, v2
	v_mov_b32_e32 v19, 0
	v_mov_b32_e32 v20, 0
	s_and_saveexec_b64 s[4:5], vcc
	s_cbranch_execz .LBB128_218
; %bb.217:
	v_add_u32_e32 v3, s2, v2
	v_mov_b32_e32 v4, 0
	v_lshlrev_b64 v[3:4], 1, v[3:4]
	v_mov_b32_e32 v5, s15
	v_add_co_u32_e32 v3, vcc, s14, v3
	v_addc_co_u32_e32 v4, vcc, v5, v4, vcc
	global_load_ushort v3, v[3:4], off
	v_add_u32_e32 v2, 0x100, v2
	s_waitcnt vmcnt(0)
	v_lshlrev_b32_e32 v20, 16, v3
.LBB128_218:
	s_or_b64 exec, exec, s[4:5]
	v_cmp_gt_i32_e32 vcc, s8, v2
	s_and_saveexec_b64 s[4:5], vcc
	s_cbranch_execz .LBB128_220
; %bb.219:
	v_add_u32_e32 v3, s2, v2
	v_mov_b32_e32 v4, 0
	v_lshlrev_b64 v[3:4], 1, v[3:4]
	v_mov_b32_e32 v5, s15
	v_add_co_u32_e32 v3, vcc, s14, v3
	v_addc_co_u32_e32 v4, vcc, v5, v4, vcc
	global_load_ushort v3, v[3:4], off
	v_add_u32_e32 v2, 0x100, v2
	s_waitcnt vmcnt(0)
	v_lshlrev_b32_e32 v19, 16, v3
.LBB128_220:
	s_or_b64 exec, exec, s[4:5]
	v_cmp_gt_i32_e32 vcc, s8, v2
	v_mov_b32_e32 v17, 0
	v_mov_b32_e32 v18, 0
	s_and_saveexec_b64 s[4:5], vcc
	s_cbranch_execz .LBB128_222
; %bb.221:
	v_add_u32_e32 v3, s2, v2
	v_mov_b32_e32 v4, 0
	v_lshlrev_b64 v[3:4], 1, v[3:4]
	v_mov_b32_e32 v5, s15
	v_add_co_u32_e32 v3, vcc, s14, v3
	v_addc_co_u32_e32 v4, vcc, v5, v4, vcc
	global_load_ushort v3, v[3:4], off
	v_add_u32_e32 v2, 0x100, v2
	s_waitcnt vmcnt(0)
	v_lshlrev_b32_e32 v18, 16, v3
.LBB128_222:
	;; [unrolled: 34-line block ×7, first 2 shown]
	s_or_b64 exec, exec, s[4:5]
	v_cmp_gt_i32_e32 vcc, s8, v2
	s_and_saveexec_b64 s[4:5], vcc
	s_cbranch_execz .LBB128_244
; %bb.243:
	v_add_u32_e32 v2, s2, v2
	v_mov_b32_e32 v3, 0
	v_lshlrev_b64 v[2:3], 1, v[2:3]
	v_mov_b32_e32 v4, s15
	v_add_co_u32_e32 v2, vcc, s14, v2
	v_addc_co_u32_e32 v3, vcc, v4, v3, vcc
	global_load_ushort v2, v[2:3], off
	s_waitcnt vmcnt(0)
	v_lshlrev_b32_e32 v4, 16, v2
.LBB128_244:
	s_or_b64 exec, exec, s[4:5]
	v_mov_b32_e32 v6, 0
	s_lshl_b32 s3, s10, 16
	v_mov_b32_e32 v5, v6
	v_mov_b32_e32 v3, v6
	;; [unrolled: 1-line block ×3, first 2 shown]
	s_and_saveexec_b64 s[4:5], s[0:1]
	s_cbranch_execz .LBB128_276
; %bb.245:
	s_cmp_lt_i32 s9, 1
	s_mov_b64 s[6:7], 0
	s_cbranch_scc1 .LBB128_250
; %bb.246:
	s_cmp_gt_i32 s9, 1
	s_cbranch_scc0 .LBB128_266
; %bb.247:
	s_cmp_eq_u32 s9, 2
	s_cbranch_scc0 .LBB128_267
; %bb.248:
	v_cmp_ge_f32_e64 s[10:11], s3, v7
	s_mov_b64 s[14:15], 0
	s_branch .LBB128_268
.LBB128_249:
	v_cmp_gt_f32_e32 vcc, s11, v1
	s_andn2_b64 s[42:43], s[42:43], exec
	s_and_b64 s[46:47], vcc, exec
	s_or_b64 s[42:43], s[42:43], s[46:47]
	s_cbranch_execz .LBB128_209
	s_branch .LBB128_210
.LBB128_250:
                                        ; implicit-def: $sgpr10_sgpr11
	s_mov_b64 s[14:15], 0
	s_cbranch_execnz .LBB128_271
	s_branch .LBB128_272
.LBB128_251:
	s_mov_b64 s[16:17], -1
                                        ; implicit-def: $sgpr4_sgpr5
	s_branch .LBB128_23
.LBB128_252:
	s_mov_b64 s[18:19], -1
                                        ; implicit-def: $sgpr6_sgpr7
	s_branch .LBB128_36
.LBB128_253:
	s_mov_b64 s[20:21], -1
                                        ; implicit-def: $sgpr16_sgpr17
	s_branch .LBB128_49
.LBB128_254:
	s_mov_b64 s[22:23], -1
                                        ; implicit-def: $sgpr18_sgpr19
	s_branch .LBB128_62
.LBB128_255:
	s_mov_b64 s[24:25], -1
                                        ; implicit-def: $sgpr20_sgpr21
	s_branch .LBB128_75
.LBB128_256:
	s_mov_b64 s[26:27], -1
                                        ; implicit-def: $sgpr22_sgpr23
	s_branch .LBB128_88
.LBB128_257:
	s_mov_b64 s[28:29], -1
                                        ; implicit-def: $sgpr24_sgpr25
	s_branch .LBB128_101
.LBB128_258:
	s_mov_b64 s[30:31], -1
                                        ; implicit-def: $sgpr26_sgpr27
	s_branch .LBB128_114
.LBB128_259:
	s_mov_b64 s[34:35], -1
                                        ; implicit-def: $sgpr28_sgpr29
	s_branch .LBB128_127
.LBB128_260:
	s_mov_b64 s[36:37], -1
                                        ; implicit-def: $sgpr30_sgpr31
	s_branch .LBB128_140
.LBB128_261:
	s_mov_b64 s[38:39], -1
                                        ; implicit-def: $sgpr34_sgpr35
	s_branch .LBB128_153
.LBB128_262:
	s_mov_b64 s[40:41], -1
                                        ; implicit-def: $sgpr36_sgpr37
	s_branch .LBB128_166
.LBB128_263:
	s_mov_b64 s[42:43], -1
                                        ; implicit-def: $sgpr38_sgpr39
	s_branch .LBB128_179
.LBB128_264:
	s_mov_b64 s[44:45], -1
                                        ; implicit-def: $sgpr40_sgpr41
	s_branch .LBB128_192
.LBB128_265:
	s_mov_b64 s[46:47], -1
                                        ; implicit-def: $sgpr42_sgpr43
	s_branch .LBB128_205
.LBB128_266:
	s_mov_b64 s[14:15], 0
                                        ; implicit-def: $sgpr10_sgpr11
	s_cbranch_execnz .LBB128_269
	s_branch .LBB128_270
.LBB128_267:
	s_mov_b64 s[14:15], -1
                                        ; implicit-def: $sgpr10_sgpr11
.LBB128_268:
	s_branch .LBB128_270
.LBB128_269:
	v_cmp_lt_f32_e32 vcc, s3, v7
	s_andn2_b64 s[10:11], s[10:11], exec
	s_and_b64 s[16:17], vcc, exec
	s_or_b64 s[10:11], s[10:11], s[16:17]
.LBB128_270:
	s_branch .LBB128_272
.LBB128_271:
	s_cmp_lg_u32 s9, 0
	s_mov_b64 s[6:7], -1
	s_cselect_b64 s[14:15], -1, 0
.LBB128_272:
	s_andn2_b64 vcc, exec, s[14:15]
	s_cbranch_vccz .LBB128_281
; %bb.273:
	s_andn2_b64 vcc, exec, s[6:7]
	s_cbranch_vccnz .LBB128_275
.LBB128_274:
	v_cmp_le_f32_e32 vcc, s3, v7
	s_andn2_b64 s[6:7], s[10:11], exec
	s_and_b64 s[10:11], vcc, exec
	s_or_b64 s[10:11], s[6:7], s[10:11]
.LBB128_275:
	v_cndmask_b32_e64 v2, 0, 1, s[10:11]
	v_mov_b32_e32 v5, 0
	v_and_b32_e32 v6, 0xffff, v2
	v_mov_b32_e32 v3, v5
	v_mov_b32_e32 v2, v5
.LBB128_276:
	s_or_b64 exec, exec, s[4:5]
	v_or_b32_e32 v7, 0x100, v0
	v_cmp_gt_i32_e32 vcc, s8, v7
	s_and_saveexec_b64 s[4:5], vcc
	s_cbranch_execz .LBB128_291
; %bb.277:
	s_cmp_lt_i32 s9, 1
	s_mov_b64 s[6:7], 0
	s_cbranch_scc1 .LBB128_282
; %bb.278:
	s_cmp_gt_i32 s9, 1
	s_cbranch_scc0 .LBB128_283
; %bb.279:
	s_cmp_eq_u32 s9, 2
	s_cbranch_scc0 .LBB128_535
; %bb.280:
	v_cmp_ge_f32_e64 s[10:11], s3, v21
	s_mov_b64 s[14:15], 0
	s_branch .LBB128_285
.LBB128_281:
	v_cmp_gt_f32_e32 vcc, s3, v7
	s_andn2_b64 s[10:11], s[10:11], exec
	s_and_b64 s[14:15], vcc, exec
	s_or_b64 s[10:11], s[10:11], s[14:15]
	s_cbranch_execz .LBB128_274
	s_branch .LBB128_275
.LBB128_282:
                                        ; implicit-def: $sgpr10_sgpr11
	s_mov_b64 s[14:15], 0
	s_cbranch_execnz .LBB128_286
	s_branch .LBB128_287
.LBB128_283:
	s_mov_b64 s[14:15], 0
                                        ; implicit-def: $sgpr10_sgpr11
	s_cbranch_execz .LBB128_285
; %bb.284:
	v_cmp_lt_f32_e32 vcc, s3, v21
	s_andn2_b64 s[10:11], s[10:11], exec
	s_and_b64 s[16:17], vcc, exec
	s_or_b64 s[10:11], s[10:11], s[16:17]
.LBB128_285:
	s_branch .LBB128_287
.LBB128_286:
	s_cmp_lg_u32 s9, 0
	s_mov_b64 s[6:7], -1
	s_cselect_b64 s[14:15], -1, 0
.LBB128_287:
	s_andn2_b64 vcc, exec, s[14:15]
	s_cbranch_vccz .LBB128_296
; %bb.288:
	s_andn2_b64 vcc, exec, s[6:7]
	s_cbranch_vccnz .LBB128_290
.LBB128_289:
	v_cmp_le_f32_e32 vcc, s3, v21
	s_andn2_b64 s[6:7], s[10:11], exec
	s_and_b64 s[10:11], vcc, exec
	s_or_b64 s[10:11], s[6:7], s[10:11]
.LBB128_290:
	v_cndmask_b32_e64 v21, 0, 1, s[10:11]
	v_lshlrev_b16_e32 v21, 8, v21
	v_or_b32_sdwa v21, v6, v21 dst_sel:DWORD dst_unused:UNUSED_PAD src0_sel:BYTE_0 src1_sel:DWORD
	v_and_b32_e32 v21, 0xffff, v21
	s_mov_b32 s6, 0xffff0000
	v_and_or_b32 v6, v6, s6, v21
.LBB128_291:
	s_or_b64 exec, exec, s[4:5]
	v_or_b32_e32 v21, 0x200, v0
	v_cmp_gt_i32_e32 vcc, s8, v21
	s_and_saveexec_b64 s[4:5], vcc
	s_cbranch_execz .LBB128_306
; %bb.292:
	s_cmp_lt_i32 s9, 1
	s_mov_b64 s[6:7], 0
	s_cbranch_scc1 .LBB128_297
; %bb.293:
	s_cmp_gt_i32 s9, 1
	s_cbranch_scc0 .LBB128_298
; %bb.294:
	s_cmp_eq_u32 s9, 2
	s_cbranch_scc0 .LBB128_536
; %bb.295:
	v_cmp_ge_f32_e64 s[10:11], s3, v20
	s_mov_b64 s[14:15], 0
	s_branch .LBB128_300
.LBB128_296:
	v_cmp_gt_f32_e32 vcc, s3, v21
	s_andn2_b64 s[10:11], s[10:11], exec
	s_and_b64 s[14:15], vcc, exec
	s_or_b64 s[10:11], s[10:11], s[14:15]
	s_cbranch_execz .LBB128_289
	s_branch .LBB128_290
.LBB128_297:
                                        ; implicit-def: $sgpr10_sgpr11
	s_mov_b64 s[14:15], 0
	s_cbranch_execnz .LBB128_301
	s_branch .LBB128_302
.LBB128_298:
	s_mov_b64 s[14:15], 0
                                        ; implicit-def: $sgpr10_sgpr11
	s_cbranch_execz .LBB128_300
; %bb.299:
	v_cmp_lt_f32_e32 vcc, s3, v20
	s_andn2_b64 s[10:11], s[10:11], exec
	s_and_b64 s[16:17], vcc, exec
	s_or_b64 s[10:11], s[10:11], s[16:17]
.LBB128_300:
	s_branch .LBB128_302
.LBB128_301:
	s_cmp_lg_u32 s9, 0
	s_mov_b64 s[6:7], -1
	s_cselect_b64 s[14:15], -1, 0
.LBB128_302:
	s_andn2_b64 vcc, exec, s[14:15]
	s_cbranch_vccz .LBB128_311
; %bb.303:
	s_andn2_b64 vcc, exec, s[6:7]
	s_cbranch_vccnz .LBB128_305
.LBB128_304:
	v_cmp_le_f32_e32 vcc, s3, v20
	s_andn2_b64 s[6:7], s[10:11], exec
	s_and_b64 s[10:11], vcc, exec
	s_or_b64 s[10:11], s[6:7], s[10:11]
.LBB128_305:
	s_movk_i32 s6, 0xff00
	v_and_b32_sdwa v20, v6, s6 dst_sel:DWORD dst_unused:UNUSED_PAD src0_sel:WORD_1 src1_sel:DWORD
	v_cndmask_b32_e64 v21, 0, 1, s[10:11]
	v_or_b32_sdwa v20, v21, v20 dst_sel:WORD_1 dst_unused:UNUSED_PAD src0_sel:DWORD src1_sel:DWORD
	s_mov_b32 s6, 0xffff
	v_and_or_b32 v6, v6, s6, v20
.LBB128_306:
	s_or_b64 exec, exec, s[4:5]
	v_or_b32_e32 v20, 0x300, v0
	v_cmp_gt_i32_e32 vcc, s8, v20
	s_and_saveexec_b64 s[4:5], vcc
	s_cbranch_execz .LBB128_321
; %bb.307:
	s_cmp_lt_i32 s9, 1
	s_mov_b64 s[6:7], 0
	s_cbranch_scc1 .LBB128_312
; %bb.308:
	s_cmp_gt_i32 s9, 1
	s_cbranch_scc0 .LBB128_313
; %bb.309:
	s_cmp_eq_u32 s9, 2
	s_cbranch_scc0 .LBB128_537
; %bb.310:
	v_cmp_ge_f32_e64 s[10:11], s3, v19
	s_mov_b64 s[14:15], 0
	s_branch .LBB128_315
.LBB128_311:
	v_cmp_gt_f32_e32 vcc, s3, v20
	s_andn2_b64 s[10:11], s[10:11], exec
	s_and_b64 s[14:15], vcc, exec
	s_or_b64 s[10:11], s[10:11], s[14:15]
	s_cbranch_execz .LBB128_304
	s_branch .LBB128_305
.LBB128_312:
                                        ; implicit-def: $sgpr10_sgpr11
	s_mov_b64 s[14:15], 0
	s_cbranch_execnz .LBB128_316
	s_branch .LBB128_317
.LBB128_313:
	s_mov_b64 s[14:15], 0
                                        ; implicit-def: $sgpr10_sgpr11
	s_cbranch_execz .LBB128_315
; %bb.314:
	v_cmp_lt_f32_e32 vcc, s3, v19
	s_andn2_b64 s[10:11], s[10:11], exec
	s_and_b64 s[16:17], vcc, exec
	s_or_b64 s[10:11], s[10:11], s[16:17]
.LBB128_315:
	s_branch .LBB128_317
.LBB128_316:
	s_cmp_lg_u32 s9, 0
	s_mov_b64 s[6:7], -1
	s_cselect_b64 s[14:15], -1, 0
.LBB128_317:
	s_andn2_b64 vcc, exec, s[14:15]
	s_cbranch_vccz .LBB128_326
; %bb.318:
	s_andn2_b64 vcc, exec, s[6:7]
	s_cbranch_vccnz .LBB128_320
.LBB128_319:
	v_cmp_le_f32_e32 vcc, s3, v19
	s_andn2_b64 s[6:7], s[10:11], exec
	s_and_b64 s[10:11], vcc, exec
	s_or_b64 s[10:11], s[6:7], s[10:11]
.LBB128_320:
	s_movk_i32 s6, 0xff
	v_cndmask_b32_e64 v20, 0, 1, s[10:11]
	v_and_b32_sdwa v19, v6, s6 dst_sel:DWORD dst_unused:UNUSED_PAD src0_sel:WORD_1 src1_sel:DWORD
	v_lshlrev_b16_e32 v20, 8, v20
	v_or_b32_sdwa v19, v19, v20 dst_sel:WORD_1 dst_unused:UNUSED_PAD src0_sel:DWORD src1_sel:DWORD
	s_mov_b32 s6, 0xffff
	v_and_or_b32 v6, v6, s6, v19
.LBB128_321:
	s_or_b64 exec, exec, s[4:5]
	v_or_b32_e32 v19, 0x400, v0
	v_cmp_gt_i32_e32 vcc, s8, v19
	s_and_saveexec_b64 s[4:5], vcc
	s_cbranch_execz .LBB128_336
; %bb.322:
	s_cmp_lt_i32 s9, 1
	s_mov_b64 s[6:7], 0
	s_cbranch_scc1 .LBB128_327
; %bb.323:
	s_cmp_gt_i32 s9, 1
	s_cbranch_scc0 .LBB128_328
; %bb.324:
	s_cmp_eq_u32 s9, 2
	s_cbranch_scc0 .LBB128_538
; %bb.325:
	v_cmp_ge_f32_e64 s[10:11], s3, v18
	s_mov_b64 s[14:15], 0
	s_branch .LBB128_330
.LBB128_326:
	v_cmp_gt_f32_e32 vcc, s3, v19
	s_andn2_b64 s[10:11], s[10:11], exec
	s_and_b64 s[14:15], vcc, exec
	s_or_b64 s[10:11], s[10:11], s[14:15]
	s_cbranch_execz .LBB128_319
	s_branch .LBB128_320
.LBB128_327:
                                        ; implicit-def: $sgpr10_sgpr11
	s_mov_b64 s[14:15], 0
	s_cbranch_execnz .LBB128_331
	s_branch .LBB128_332
.LBB128_328:
	s_mov_b64 s[14:15], 0
                                        ; implicit-def: $sgpr10_sgpr11
	s_cbranch_execz .LBB128_330
; %bb.329:
	v_cmp_lt_f32_e32 vcc, s3, v18
	s_andn2_b64 s[10:11], s[10:11], exec
	s_and_b64 s[16:17], vcc, exec
	s_or_b64 s[10:11], s[10:11], s[16:17]
.LBB128_330:
	s_branch .LBB128_332
.LBB128_331:
	s_cmp_lg_u32 s9, 0
	s_mov_b64 s[6:7], -1
	s_cselect_b64 s[14:15], -1, 0
.LBB128_332:
	s_andn2_b64 vcc, exec, s[14:15]
	s_cbranch_vccz .LBB128_341
; %bb.333:
	s_andn2_b64 vcc, exec, s[6:7]
	s_cbranch_vccnz .LBB128_335
.LBB128_334:
	v_cmp_le_f32_e32 vcc, s3, v18
	s_andn2_b64 s[6:7], s[10:11], exec
	s_and_b64 s[10:11], vcc, exec
	s_or_b64 s[10:11], s[6:7], s[10:11]
.LBB128_335:
	v_and_b32_e32 v18, 0xffffff00, v5
	v_cndmask_b32_e64 v19, 0, 1, s[10:11]
	v_or_b32_e32 v18, v19, v18
	v_and_b32_e32 v18, 0xffff, v18
	s_mov_b32 s6, 0xffff0000
	v_and_or_b32 v5, v5, s6, v18
.LBB128_336:
	s_or_b64 exec, exec, s[4:5]
	v_or_b32_e32 v18, 0x500, v0
	v_cmp_gt_i32_e32 vcc, s8, v18
	s_and_saveexec_b64 s[4:5], vcc
	s_cbranch_execz .LBB128_351
; %bb.337:
	s_cmp_lt_i32 s9, 1
	s_mov_b64 s[6:7], 0
	s_cbranch_scc1 .LBB128_342
; %bb.338:
	s_cmp_gt_i32 s9, 1
	s_cbranch_scc0 .LBB128_343
; %bb.339:
	s_cmp_eq_u32 s9, 2
	s_cbranch_scc0 .LBB128_539
; %bb.340:
	v_cmp_ge_f32_e64 s[10:11], s3, v17
	s_mov_b64 s[14:15], 0
	s_branch .LBB128_345
.LBB128_341:
	v_cmp_gt_f32_e32 vcc, s3, v18
	s_andn2_b64 s[10:11], s[10:11], exec
	s_and_b64 s[14:15], vcc, exec
	s_or_b64 s[10:11], s[10:11], s[14:15]
	s_cbranch_execz .LBB128_334
	s_branch .LBB128_335
.LBB128_342:
                                        ; implicit-def: $sgpr10_sgpr11
	s_mov_b64 s[14:15], 0
	s_cbranch_execnz .LBB128_346
	s_branch .LBB128_347
.LBB128_343:
	s_mov_b64 s[14:15], 0
                                        ; implicit-def: $sgpr10_sgpr11
	s_cbranch_execz .LBB128_345
; %bb.344:
	v_cmp_lt_f32_e32 vcc, s3, v17
	s_andn2_b64 s[10:11], s[10:11], exec
	s_and_b64 s[16:17], vcc, exec
	s_or_b64 s[10:11], s[10:11], s[16:17]
.LBB128_345:
	s_branch .LBB128_347
.LBB128_346:
	s_cmp_lg_u32 s9, 0
	s_mov_b64 s[6:7], -1
	s_cselect_b64 s[14:15], -1, 0
.LBB128_347:
	s_andn2_b64 vcc, exec, s[14:15]
	s_cbranch_vccz .LBB128_356
; %bb.348:
	s_andn2_b64 vcc, exec, s[6:7]
	s_cbranch_vccnz .LBB128_350
.LBB128_349:
	v_cmp_le_f32_e32 vcc, s3, v17
	s_andn2_b64 s[6:7], s[10:11], exec
	s_and_b64 s[10:11], vcc, exec
	s_or_b64 s[10:11], s[6:7], s[10:11]
.LBB128_350:
	v_cndmask_b32_e64 v17, 0, 1, s[10:11]
	v_lshlrev_b16_e32 v17, 8, v17
	v_or_b32_sdwa v17, v5, v17 dst_sel:DWORD dst_unused:UNUSED_PAD src0_sel:BYTE_0 src1_sel:DWORD
	v_and_b32_e32 v17, 0xffff, v17
	s_mov_b32 s6, 0xffff0000
	v_and_or_b32 v5, v5, s6, v17
.LBB128_351:
	s_or_b64 exec, exec, s[4:5]
	v_or_b32_e32 v17, 0x600, v0
	v_cmp_gt_i32_e32 vcc, s8, v17
	s_and_saveexec_b64 s[4:5], vcc
	s_cbranch_execz .LBB128_366
; %bb.352:
	s_cmp_lt_i32 s9, 1
	s_mov_b64 s[6:7], 0
	s_cbranch_scc1 .LBB128_357
; %bb.353:
	s_cmp_gt_i32 s9, 1
	s_cbranch_scc0 .LBB128_358
; %bb.354:
	s_cmp_eq_u32 s9, 2
	s_cbranch_scc0 .LBB128_540
; %bb.355:
	v_cmp_ge_f32_e64 s[10:11], s3, v16
	s_mov_b64 s[14:15], 0
	s_branch .LBB128_360
.LBB128_356:
	v_cmp_gt_f32_e32 vcc, s3, v17
	s_andn2_b64 s[10:11], s[10:11], exec
	s_and_b64 s[14:15], vcc, exec
	s_or_b64 s[10:11], s[10:11], s[14:15]
	s_cbranch_execz .LBB128_349
	s_branch .LBB128_350
.LBB128_357:
                                        ; implicit-def: $sgpr10_sgpr11
	s_mov_b64 s[14:15], 0
	s_cbranch_execnz .LBB128_361
	s_branch .LBB128_362
.LBB128_358:
	s_mov_b64 s[14:15], 0
                                        ; implicit-def: $sgpr10_sgpr11
	s_cbranch_execz .LBB128_360
; %bb.359:
	v_cmp_lt_f32_e32 vcc, s3, v16
	s_andn2_b64 s[10:11], s[10:11], exec
	s_and_b64 s[16:17], vcc, exec
	s_or_b64 s[10:11], s[10:11], s[16:17]
.LBB128_360:
	s_branch .LBB128_362
.LBB128_361:
	s_cmp_lg_u32 s9, 0
	s_mov_b64 s[6:7], -1
	s_cselect_b64 s[14:15], -1, 0
.LBB128_362:
	s_andn2_b64 vcc, exec, s[14:15]
	s_cbranch_vccz .LBB128_371
; %bb.363:
	s_andn2_b64 vcc, exec, s[6:7]
	s_cbranch_vccnz .LBB128_365
.LBB128_364:
	v_cmp_le_f32_e32 vcc, s3, v16
	s_andn2_b64 s[6:7], s[10:11], exec
	s_and_b64 s[10:11], vcc, exec
	s_or_b64 s[10:11], s[6:7], s[10:11]
.LBB128_365:
	s_movk_i32 s6, 0xff00
	v_and_b32_sdwa v16, v5, s6 dst_sel:DWORD dst_unused:UNUSED_PAD src0_sel:WORD_1 src1_sel:DWORD
	v_cndmask_b32_e64 v17, 0, 1, s[10:11]
	v_or_b32_sdwa v16, v17, v16 dst_sel:WORD_1 dst_unused:UNUSED_PAD src0_sel:DWORD src1_sel:DWORD
	s_mov_b32 s6, 0xffff
	v_and_or_b32 v5, v5, s6, v16
.LBB128_366:
	s_or_b64 exec, exec, s[4:5]
	v_or_b32_e32 v16, 0x700, v0
	v_cmp_gt_i32_e32 vcc, s8, v16
	s_and_saveexec_b64 s[4:5], vcc
	s_cbranch_execz .LBB128_381
; %bb.367:
	s_cmp_lt_i32 s9, 1
	s_mov_b64 s[6:7], 0
	s_cbranch_scc1 .LBB128_372
; %bb.368:
	s_cmp_gt_i32 s9, 1
	s_cbranch_scc0 .LBB128_373
; %bb.369:
	s_cmp_eq_u32 s9, 2
	s_cbranch_scc0 .LBB128_541
; %bb.370:
	v_cmp_ge_f32_e64 s[10:11], s3, v15
	s_mov_b64 s[14:15], 0
	s_branch .LBB128_375
.LBB128_371:
	v_cmp_gt_f32_e32 vcc, s3, v16
	s_andn2_b64 s[10:11], s[10:11], exec
	s_and_b64 s[14:15], vcc, exec
	s_or_b64 s[10:11], s[10:11], s[14:15]
	s_cbranch_execz .LBB128_364
	s_branch .LBB128_365
.LBB128_372:
                                        ; implicit-def: $sgpr10_sgpr11
	s_mov_b64 s[14:15], 0
	s_cbranch_execnz .LBB128_376
	s_branch .LBB128_377
.LBB128_373:
	s_mov_b64 s[14:15], 0
                                        ; implicit-def: $sgpr10_sgpr11
	s_cbranch_execz .LBB128_375
; %bb.374:
	v_cmp_lt_f32_e32 vcc, s3, v15
	s_andn2_b64 s[10:11], s[10:11], exec
	s_and_b64 s[16:17], vcc, exec
	s_or_b64 s[10:11], s[10:11], s[16:17]
.LBB128_375:
	s_branch .LBB128_377
.LBB128_376:
	s_cmp_lg_u32 s9, 0
	s_mov_b64 s[6:7], -1
	s_cselect_b64 s[14:15], -1, 0
.LBB128_377:
	s_andn2_b64 vcc, exec, s[14:15]
	s_cbranch_vccz .LBB128_386
; %bb.378:
	s_andn2_b64 vcc, exec, s[6:7]
	s_cbranch_vccnz .LBB128_380
.LBB128_379:
	v_cmp_le_f32_e32 vcc, s3, v15
	s_andn2_b64 s[6:7], s[10:11], exec
	s_and_b64 s[10:11], vcc, exec
	s_or_b64 s[10:11], s[6:7], s[10:11]
.LBB128_380:
	s_movk_i32 s6, 0xff
	v_cndmask_b32_e64 v16, 0, 1, s[10:11]
	v_and_b32_sdwa v15, v5, s6 dst_sel:DWORD dst_unused:UNUSED_PAD src0_sel:WORD_1 src1_sel:DWORD
	v_lshlrev_b16_e32 v16, 8, v16
	v_or_b32_sdwa v15, v15, v16 dst_sel:WORD_1 dst_unused:UNUSED_PAD src0_sel:DWORD src1_sel:DWORD
	s_mov_b32 s6, 0xffff
	v_and_or_b32 v5, v5, s6, v15
.LBB128_381:
	s_or_b64 exec, exec, s[4:5]
	v_or_b32_e32 v15, 0x800, v0
	v_cmp_gt_i32_e32 vcc, s8, v15
	s_and_saveexec_b64 s[4:5], vcc
	s_cbranch_execz .LBB128_396
; %bb.382:
	s_cmp_lt_i32 s9, 1
	s_mov_b64 s[6:7], 0
	s_cbranch_scc1 .LBB128_387
; %bb.383:
	s_cmp_gt_i32 s9, 1
	s_cbranch_scc0 .LBB128_388
; %bb.384:
	s_cmp_eq_u32 s9, 2
	s_cbranch_scc0 .LBB128_542
; %bb.385:
	v_cmp_ge_f32_e64 s[10:11], s3, v14
	s_mov_b64 s[14:15], 0
	s_branch .LBB128_390
.LBB128_386:
	v_cmp_gt_f32_e32 vcc, s3, v15
	s_andn2_b64 s[10:11], s[10:11], exec
	s_and_b64 s[14:15], vcc, exec
	s_or_b64 s[10:11], s[10:11], s[14:15]
	s_cbranch_execz .LBB128_379
	s_branch .LBB128_380
.LBB128_387:
                                        ; implicit-def: $sgpr10_sgpr11
	s_mov_b64 s[14:15], 0
	s_cbranch_execnz .LBB128_391
	s_branch .LBB128_392
.LBB128_388:
	s_mov_b64 s[14:15], 0
                                        ; implicit-def: $sgpr10_sgpr11
	s_cbranch_execz .LBB128_390
; %bb.389:
	v_cmp_lt_f32_e32 vcc, s3, v14
	s_andn2_b64 s[10:11], s[10:11], exec
	s_and_b64 s[16:17], vcc, exec
	s_or_b64 s[10:11], s[10:11], s[16:17]
.LBB128_390:
	s_branch .LBB128_392
.LBB128_391:
	s_cmp_lg_u32 s9, 0
	s_mov_b64 s[6:7], -1
	s_cselect_b64 s[14:15], -1, 0
.LBB128_392:
	s_andn2_b64 vcc, exec, s[14:15]
	s_cbranch_vccz .LBB128_401
; %bb.393:
	s_andn2_b64 vcc, exec, s[6:7]
	s_cbranch_vccnz .LBB128_395
.LBB128_394:
	v_cmp_le_f32_e32 vcc, s3, v14
	s_andn2_b64 s[6:7], s[10:11], exec
	s_and_b64 s[10:11], vcc, exec
	s_or_b64 s[10:11], s[6:7], s[10:11]
.LBB128_395:
	v_and_b32_e32 v14, 0xffffff00, v3
	v_cndmask_b32_e64 v15, 0, 1, s[10:11]
	v_or_b32_e32 v14, v15, v14
	v_and_b32_e32 v14, 0xffff, v14
	s_mov_b32 s6, 0xffff0000
	v_and_or_b32 v3, v3, s6, v14
.LBB128_396:
	s_or_b64 exec, exec, s[4:5]
	v_or_b32_e32 v14, 0x900, v0
	v_cmp_gt_i32_e32 vcc, s8, v14
	s_and_saveexec_b64 s[4:5], vcc
	s_cbranch_execz .LBB128_411
; %bb.397:
	s_cmp_lt_i32 s9, 1
	s_mov_b64 s[6:7], 0
	s_cbranch_scc1 .LBB128_402
; %bb.398:
	s_cmp_gt_i32 s9, 1
	s_cbranch_scc0 .LBB128_403
; %bb.399:
	s_cmp_eq_u32 s9, 2
	s_cbranch_scc0 .LBB128_543
; %bb.400:
	v_cmp_ge_f32_e64 s[10:11], s3, v13
	s_mov_b64 s[14:15], 0
	s_branch .LBB128_405
.LBB128_401:
	v_cmp_gt_f32_e32 vcc, s3, v14
	s_andn2_b64 s[10:11], s[10:11], exec
	s_and_b64 s[14:15], vcc, exec
	s_or_b64 s[10:11], s[10:11], s[14:15]
	s_cbranch_execz .LBB128_394
	s_branch .LBB128_395
.LBB128_402:
                                        ; implicit-def: $sgpr10_sgpr11
	s_mov_b64 s[14:15], 0
	s_cbranch_execnz .LBB128_406
	s_branch .LBB128_407
.LBB128_403:
	s_mov_b64 s[14:15], 0
                                        ; implicit-def: $sgpr10_sgpr11
	s_cbranch_execz .LBB128_405
; %bb.404:
	v_cmp_lt_f32_e32 vcc, s3, v13
	s_andn2_b64 s[10:11], s[10:11], exec
	s_and_b64 s[16:17], vcc, exec
	s_or_b64 s[10:11], s[10:11], s[16:17]
.LBB128_405:
	s_branch .LBB128_407
.LBB128_406:
	s_cmp_lg_u32 s9, 0
	s_mov_b64 s[6:7], -1
	s_cselect_b64 s[14:15], -1, 0
.LBB128_407:
	s_andn2_b64 vcc, exec, s[14:15]
	s_cbranch_vccz .LBB128_416
; %bb.408:
	s_andn2_b64 vcc, exec, s[6:7]
	s_cbranch_vccnz .LBB128_410
.LBB128_409:
	v_cmp_le_f32_e32 vcc, s3, v13
	s_andn2_b64 s[6:7], s[10:11], exec
	s_and_b64 s[10:11], vcc, exec
	s_or_b64 s[10:11], s[6:7], s[10:11]
.LBB128_410:
	v_cndmask_b32_e64 v13, 0, 1, s[10:11]
	v_lshlrev_b16_e32 v13, 8, v13
	v_or_b32_sdwa v13, v3, v13 dst_sel:DWORD dst_unused:UNUSED_PAD src0_sel:BYTE_0 src1_sel:DWORD
	v_and_b32_e32 v13, 0xffff, v13
	s_mov_b32 s6, 0xffff0000
	v_and_or_b32 v3, v3, s6, v13
.LBB128_411:
	s_or_b64 exec, exec, s[4:5]
	v_or_b32_e32 v13, 0xa00, v0
	v_cmp_gt_i32_e32 vcc, s8, v13
	s_and_saveexec_b64 s[4:5], vcc
	s_cbranch_execz .LBB128_426
; %bb.412:
	s_cmp_lt_i32 s9, 1
	s_mov_b64 s[6:7], 0
	s_cbranch_scc1 .LBB128_417
; %bb.413:
	s_cmp_gt_i32 s9, 1
	s_cbranch_scc0 .LBB128_418
; %bb.414:
	s_cmp_eq_u32 s9, 2
	s_cbranch_scc0 .LBB128_544
; %bb.415:
	v_cmp_ge_f32_e64 s[10:11], s3, v12
	s_mov_b64 s[14:15], 0
	s_branch .LBB128_420
.LBB128_416:
	v_cmp_gt_f32_e32 vcc, s3, v13
	s_andn2_b64 s[10:11], s[10:11], exec
	s_and_b64 s[14:15], vcc, exec
	s_or_b64 s[10:11], s[10:11], s[14:15]
	s_cbranch_execz .LBB128_409
	s_branch .LBB128_410
.LBB128_417:
                                        ; implicit-def: $sgpr10_sgpr11
	s_mov_b64 s[14:15], 0
	s_cbranch_execnz .LBB128_421
	s_branch .LBB128_422
.LBB128_418:
	s_mov_b64 s[14:15], 0
                                        ; implicit-def: $sgpr10_sgpr11
	s_cbranch_execz .LBB128_420
; %bb.419:
	v_cmp_lt_f32_e32 vcc, s3, v12
	s_andn2_b64 s[10:11], s[10:11], exec
	s_and_b64 s[16:17], vcc, exec
	s_or_b64 s[10:11], s[10:11], s[16:17]
.LBB128_420:
	s_branch .LBB128_422
.LBB128_421:
	s_cmp_lg_u32 s9, 0
	s_mov_b64 s[6:7], -1
	s_cselect_b64 s[14:15], -1, 0
.LBB128_422:
	s_andn2_b64 vcc, exec, s[14:15]
	s_cbranch_vccz .LBB128_431
; %bb.423:
	s_andn2_b64 vcc, exec, s[6:7]
	s_cbranch_vccnz .LBB128_425
.LBB128_424:
	v_cmp_le_f32_e32 vcc, s3, v12
	s_andn2_b64 s[6:7], s[10:11], exec
	s_and_b64 s[10:11], vcc, exec
	s_or_b64 s[10:11], s[6:7], s[10:11]
.LBB128_425:
	s_movk_i32 s6, 0xff00
	v_and_b32_sdwa v12, v3, s6 dst_sel:DWORD dst_unused:UNUSED_PAD src0_sel:WORD_1 src1_sel:DWORD
	v_cndmask_b32_e64 v13, 0, 1, s[10:11]
	v_or_b32_sdwa v12, v13, v12 dst_sel:WORD_1 dst_unused:UNUSED_PAD src0_sel:DWORD src1_sel:DWORD
	s_mov_b32 s6, 0xffff
	v_and_or_b32 v3, v3, s6, v12
.LBB128_426:
	s_or_b64 exec, exec, s[4:5]
	v_or_b32_e32 v12, 0xb00, v0
	v_cmp_gt_i32_e32 vcc, s8, v12
	s_and_saveexec_b64 s[4:5], vcc
	s_cbranch_execz .LBB128_441
; %bb.427:
	s_cmp_lt_i32 s9, 1
	s_mov_b64 s[6:7], 0
	s_cbranch_scc1 .LBB128_432
; %bb.428:
	s_cmp_gt_i32 s9, 1
	s_cbranch_scc0 .LBB128_433
; %bb.429:
	s_cmp_eq_u32 s9, 2
	s_cbranch_scc0 .LBB128_545
; %bb.430:
	v_cmp_ge_f32_e64 s[10:11], s3, v11
	s_mov_b64 s[14:15], 0
	s_branch .LBB128_435
.LBB128_431:
	v_cmp_gt_f32_e32 vcc, s3, v12
	s_andn2_b64 s[10:11], s[10:11], exec
	s_and_b64 s[14:15], vcc, exec
	s_or_b64 s[10:11], s[10:11], s[14:15]
	s_cbranch_execz .LBB128_424
	s_branch .LBB128_425
.LBB128_432:
                                        ; implicit-def: $sgpr10_sgpr11
	s_mov_b64 s[14:15], 0
	s_cbranch_execnz .LBB128_436
	s_branch .LBB128_437
.LBB128_433:
	s_mov_b64 s[14:15], 0
                                        ; implicit-def: $sgpr10_sgpr11
	s_cbranch_execz .LBB128_435
; %bb.434:
	v_cmp_lt_f32_e32 vcc, s3, v11
	s_andn2_b64 s[10:11], s[10:11], exec
	s_and_b64 s[16:17], vcc, exec
	s_or_b64 s[10:11], s[10:11], s[16:17]
.LBB128_435:
	s_branch .LBB128_437
.LBB128_436:
	s_cmp_lg_u32 s9, 0
	s_mov_b64 s[6:7], -1
	s_cselect_b64 s[14:15], -1, 0
.LBB128_437:
	s_andn2_b64 vcc, exec, s[14:15]
	s_cbranch_vccz .LBB128_446
; %bb.438:
	s_andn2_b64 vcc, exec, s[6:7]
	s_cbranch_vccnz .LBB128_440
.LBB128_439:
	v_cmp_le_f32_e32 vcc, s3, v11
	s_andn2_b64 s[6:7], s[10:11], exec
	s_and_b64 s[10:11], vcc, exec
	s_or_b64 s[10:11], s[6:7], s[10:11]
.LBB128_440:
	s_movk_i32 s6, 0xff
	v_cndmask_b32_e64 v12, 0, 1, s[10:11]
	v_and_b32_sdwa v11, v3, s6 dst_sel:DWORD dst_unused:UNUSED_PAD src0_sel:WORD_1 src1_sel:DWORD
	v_lshlrev_b16_e32 v12, 8, v12
	v_or_b32_sdwa v11, v11, v12 dst_sel:WORD_1 dst_unused:UNUSED_PAD src0_sel:DWORD src1_sel:DWORD
	s_mov_b32 s6, 0xffff
	v_and_or_b32 v3, v3, s6, v11
.LBB128_441:
	s_or_b64 exec, exec, s[4:5]
	v_or_b32_e32 v11, 0xc00, v0
	v_cmp_gt_i32_e32 vcc, s8, v11
	s_and_saveexec_b64 s[4:5], vcc
	s_cbranch_execz .LBB128_456
; %bb.442:
	s_cmp_lt_i32 s9, 1
	s_mov_b64 s[6:7], 0
	s_cbranch_scc1 .LBB128_447
; %bb.443:
	s_cmp_gt_i32 s9, 1
	s_cbranch_scc0 .LBB128_448
; %bb.444:
	s_cmp_eq_u32 s9, 2
	s_cbranch_scc0 .LBB128_546
; %bb.445:
	v_cmp_ge_f32_e64 s[10:11], s3, v10
	s_mov_b64 s[14:15], 0
	s_branch .LBB128_450
.LBB128_446:
	v_cmp_gt_f32_e32 vcc, s3, v11
	s_andn2_b64 s[10:11], s[10:11], exec
	s_and_b64 s[14:15], vcc, exec
	s_or_b64 s[10:11], s[10:11], s[14:15]
	s_cbranch_execz .LBB128_439
	s_branch .LBB128_440
.LBB128_447:
                                        ; implicit-def: $sgpr10_sgpr11
	s_mov_b64 s[14:15], 0
	s_cbranch_execnz .LBB128_451
	s_branch .LBB128_452
.LBB128_448:
	s_mov_b64 s[14:15], 0
                                        ; implicit-def: $sgpr10_sgpr11
	s_cbranch_execz .LBB128_450
; %bb.449:
	v_cmp_lt_f32_e32 vcc, s3, v10
	s_andn2_b64 s[10:11], s[10:11], exec
	s_and_b64 s[16:17], vcc, exec
	s_or_b64 s[10:11], s[10:11], s[16:17]
.LBB128_450:
	s_branch .LBB128_452
.LBB128_451:
	s_cmp_lg_u32 s9, 0
	s_mov_b64 s[6:7], -1
	s_cselect_b64 s[14:15], -1, 0
.LBB128_452:
	s_andn2_b64 vcc, exec, s[14:15]
	s_cbranch_vccz .LBB128_461
; %bb.453:
	s_andn2_b64 vcc, exec, s[6:7]
	s_cbranch_vccnz .LBB128_455
.LBB128_454:
	v_cmp_le_f32_e32 vcc, s3, v10
	s_andn2_b64 s[6:7], s[10:11], exec
	s_and_b64 s[10:11], vcc, exec
	s_or_b64 s[10:11], s[6:7], s[10:11]
.LBB128_455:
	v_and_b32_e32 v10, 0xffffff00, v2
	v_cndmask_b32_e64 v11, 0, 1, s[10:11]
	v_or_b32_e32 v10, v11, v10
	v_and_b32_e32 v10, 0xffff, v10
	s_mov_b32 s6, 0xffff0000
	v_and_or_b32 v2, v2, s6, v10
.LBB128_456:
	s_or_b64 exec, exec, s[4:5]
	v_or_b32_e32 v10, 0xd00, v0
	v_cmp_gt_i32_e32 vcc, s8, v10
	s_and_saveexec_b64 s[4:5], vcc
	s_cbranch_execz .LBB128_471
; %bb.457:
	s_cmp_lt_i32 s9, 1
	s_mov_b64 s[6:7], 0
	s_cbranch_scc1 .LBB128_462
; %bb.458:
	s_cmp_gt_i32 s9, 1
	s_cbranch_scc0 .LBB128_463
; %bb.459:
	s_cmp_eq_u32 s9, 2
	s_cbranch_scc0 .LBB128_547
; %bb.460:
	v_cmp_ge_f32_e64 s[10:11], s3, v9
	s_mov_b64 s[14:15], 0
	s_branch .LBB128_465
.LBB128_461:
	v_cmp_gt_f32_e32 vcc, s3, v10
	s_andn2_b64 s[10:11], s[10:11], exec
	s_and_b64 s[14:15], vcc, exec
	s_or_b64 s[10:11], s[10:11], s[14:15]
	s_cbranch_execz .LBB128_454
	s_branch .LBB128_455
.LBB128_462:
                                        ; implicit-def: $sgpr10_sgpr11
	s_mov_b64 s[14:15], 0
	s_cbranch_execnz .LBB128_466
	s_branch .LBB128_467
.LBB128_463:
	s_mov_b64 s[14:15], 0
                                        ; implicit-def: $sgpr10_sgpr11
	s_cbranch_execz .LBB128_465
; %bb.464:
	v_cmp_lt_f32_e32 vcc, s3, v9
	s_andn2_b64 s[10:11], s[10:11], exec
	s_and_b64 s[16:17], vcc, exec
	s_or_b64 s[10:11], s[10:11], s[16:17]
.LBB128_465:
	s_branch .LBB128_467
.LBB128_466:
	s_cmp_lg_u32 s9, 0
	s_mov_b64 s[6:7], -1
	s_cselect_b64 s[14:15], -1, 0
.LBB128_467:
	s_andn2_b64 vcc, exec, s[14:15]
	s_cbranch_vccz .LBB128_476
; %bb.468:
	s_andn2_b64 vcc, exec, s[6:7]
	s_cbranch_vccnz .LBB128_470
.LBB128_469:
	v_cmp_le_f32_e32 vcc, s3, v9
	s_andn2_b64 s[6:7], s[10:11], exec
	s_and_b64 s[10:11], vcc, exec
	s_or_b64 s[10:11], s[6:7], s[10:11]
.LBB128_470:
	v_cndmask_b32_e64 v9, 0, 1, s[10:11]
	v_lshlrev_b16_e32 v9, 8, v9
	v_or_b32_sdwa v9, v2, v9 dst_sel:DWORD dst_unused:UNUSED_PAD src0_sel:BYTE_0 src1_sel:DWORD
	v_and_b32_e32 v9, 0xffff, v9
	s_mov_b32 s6, 0xffff0000
	v_and_or_b32 v2, v2, s6, v9
.LBB128_471:
	s_or_b64 exec, exec, s[4:5]
	v_or_b32_e32 v9, 0xe00, v0
	v_cmp_gt_i32_e32 vcc, s8, v9
	s_and_saveexec_b64 s[4:5], vcc
	s_cbranch_execz .LBB128_486
; %bb.472:
	s_cmp_lt_i32 s9, 1
	s_mov_b64 s[6:7], 0
	s_cbranch_scc1 .LBB128_477
; %bb.473:
	s_cmp_gt_i32 s9, 1
	s_cbranch_scc0 .LBB128_478
; %bb.474:
	s_cmp_eq_u32 s9, 2
	s_cbranch_scc0 .LBB128_548
; %bb.475:
	v_cmp_ge_f32_e64 s[10:11], s3, v8
	s_mov_b64 s[14:15], 0
	s_branch .LBB128_480
.LBB128_476:
	v_cmp_gt_f32_e32 vcc, s3, v9
	s_andn2_b64 s[10:11], s[10:11], exec
	s_and_b64 s[14:15], vcc, exec
	s_or_b64 s[10:11], s[10:11], s[14:15]
	s_cbranch_execz .LBB128_469
	s_branch .LBB128_470
.LBB128_477:
                                        ; implicit-def: $sgpr10_sgpr11
	s_mov_b64 s[14:15], 0
	s_cbranch_execnz .LBB128_481
	s_branch .LBB128_482
.LBB128_478:
	s_mov_b64 s[14:15], 0
                                        ; implicit-def: $sgpr10_sgpr11
	s_cbranch_execz .LBB128_480
; %bb.479:
	v_cmp_lt_f32_e32 vcc, s3, v8
	s_andn2_b64 s[10:11], s[10:11], exec
	s_and_b64 s[16:17], vcc, exec
	s_or_b64 s[10:11], s[10:11], s[16:17]
.LBB128_480:
	s_branch .LBB128_482
.LBB128_481:
	s_cmp_lg_u32 s9, 0
	s_mov_b64 s[6:7], -1
	s_cselect_b64 s[14:15], -1, 0
.LBB128_482:
	s_andn2_b64 vcc, exec, s[14:15]
	s_cbranch_vccz .LBB128_491
; %bb.483:
	s_andn2_b64 vcc, exec, s[6:7]
	s_cbranch_vccnz .LBB128_485
.LBB128_484:
	v_cmp_le_f32_e32 vcc, s3, v8
	s_andn2_b64 s[6:7], s[10:11], exec
	s_and_b64 s[10:11], vcc, exec
	s_or_b64 s[10:11], s[6:7], s[10:11]
.LBB128_485:
	s_movk_i32 s6, 0xff00
	v_and_b32_sdwa v8, v2, s6 dst_sel:DWORD dst_unused:UNUSED_PAD src0_sel:WORD_1 src1_sel:DWORD
	v_cndmask_b32_e64 v9, 0, 1, s[10:11]
	v_or_b32_sdwa v8, v9, v8 dst_sel:WORD_1 dst_unused:UNUSED_PAD src0_sel:DWORD src1_sel:DWORD
	s_mov_b32 s6, 0xffff
	v_and_or_b32 v2, v2, s6, v8
.LBB128_486:
	s_or_b64 exec, exec, s[4:5]
	v_or_b32_e32 v8, 0xf00, v0
	v_cmp_gt_i32_e32 vcc, s8, v8
	s_and_saveexec_b64 s[4:5], vcc
	s_cbranch_execz .LBB128_501
; %bb.487:
	s_cmp_lt_i32 s9, 1
	s_mov_b64 s[6:7], 0
	s_cbranch_scc1 .LBB128_492
; %bb.488:
	s_cmp_gt_i32 s9, 1
	s_cbranch_scc0 .LBB128_493
; %bb.489:
	s_cmp_eq_u32 s9, 2
	s_cbranch_scc0 .LBB128_549
; %bb.490:
	v_cmp_ge_f32_e64 s[10:11], s3, v4
	s_mov_b64 s[14:15], 0
	s_branch .LBB128_495
.LBB128_491:
	v_cmp_gt_f32_e32 vcc, s3, v8
	s_andn2_b64 s[10:11], s[10:11], exec
	s_and_b64 s[14:15], vcc, exec
	s_or_b64 s[10:11], s[10:11], s[14:15]
	s_cbranch_execz .LBB128_484
	s_branch .LBB128_485
.LBB128_492:
                                        ; implicit-def: $sgpr10_sgpr11
	s_mov_b64 s[14:15], 0
	s_cbranch_execnz .LBB128_496
	s_branch .LBB128_497
.LBB128_493:
	s_mov_b64 s[14:15], 0
                                        ; implicit-def: $sgpr10_sgpr11
	s_cbranch_execz .LBB128_495
; %bb.494:
	v_cmp_lt_f32_e32 vcc, s3, v4
	s_andn2_b64 s[10:11], s[10:11], exec
	s_and_b64 s[16:17], vcc, exec
	s_or_b64 s[10:11], s[10:11], s[16:17]
.LBB128_495:
	s_branch .LBB128_497
.LBB128_496:
	s_cmp_lg_u32 s9, 0
	s_mov_b64 s[6:7], -1
	s_cselect_b64 s[14:15], -1, 0
.LBB128_497:
	s_andn2_b64 vcc, exec, s[14:15]
	s_cbranch_vccz .LBB128_534
; %bb.498:
	s_andn2_b64 vcc, exec, s[6:7]
	s_cbranch_vccnz .LBB128_500
.LBB128_499:
	v_cmp_le_f32_e32 vcc, s3, v4
	s_andn2_b64 s[6:7], s[10:11], exec
	s_and_b64 s[10:11], vcc, exec
	s_or_b64 s[10:11], s[6:7], s[10:11]
.LBB128_500:
	s_movk_i32 s3, 0xff
	v_cndmask_b32_e64 v8, 0, 1, s[10:11]
	v_and_b32_sdwa v4, v2, s3 dst_sel:DWORD dst_unused:UNUSED_PAD src0_sel:WORD_1 src1_sel:DWORD
	v_lshlrev_b16_e32 v8, 8, v8
	v_or_b32_sdwa v4, v4, v8 dst_sel:WORD_1 dst_unused:UNUSED_PAD src0_sel:DWORD src1_sel:DWORD
	s_mov_b32 s3, 0xffff
	v_and_or_b32 v2, v2, s3, v4
.LBB128_501:
	s_or_b64 exec, exec, s[4:5]
	s_and_saveexec_b64 s[4:5], s[0:1]
	s_xor_b64 s[0:1], exec, s[4:5]
	s_cbranch_execz .LBB128_503
; %bb.502:
	v_mov_b32_e32 v0, v7
	global_store_byte v1, v6, s[12:13]
.LBB128_503:
	s_or_b64 exec, exec, s[0:1]
	v_cmp_gt_i32_e32 vcc, s8, v0
	s_and_saveexec_b64 s[0:1], vcc
	s_cbranch_execnz .LBB128_520
; %bb.504:
	s_or_b64 exec, exec, s[0:1]
	v_cmp_gt_i32_e32 vcc, s8, v0
	s_and_saveexec_b64 s[0:1], vcc
	s_cbranch_execnz .LBB128_521
.LBB128_505:
	s_or_b64 exec, exec, s[0:1]
	v_cmp_gt_i32_e32 vcc, s8, v0
	s_and_saveexec_b64 s[0:1], vcc
	s_cbranch_execnz .LBB128_522
.LBB128_506:
	s_or_b64 exec, exec, s[0:1]
	v_cmp_gt_i32_e32 vcc, s8, v0
	s_and_saveexec_b64 s[0:1], vcc
	s_cbranch_execnz .LBB128_523
.LBB128_507:
	s_or_b64 exec, exec, s[0:1]
	v_cmp_gt_i32_e32 vcc, s8, v0
	s_and_saveexec_b64 s[0:1], vcc
	s_cbranch_execnz .LBB128_524
.LBB128_508:
	s_or_b64 exec, exec, s[0:1]
	v_cmp_gt_i32_e32 vcc, s8, v0
	s_and_saveexec_b64 s[0:1], vcc
	s_cbranch_execnz .LBB128_525
.LBB128_509:
	s_or_b64 exec, exec, s[0:1]
	v_cmp_gt_i32_e32 vcc, s8, v0
	s_and_saveexec_b64 s[0:1], vcc
	s_cbranch_execnz .LBB128_526
.LBB128_510:
	s_or_b64 exec, exec, s[0:1]
	v_cmp_gt_i32_e32 vcc, s8, v0
	s_and_saveexec_b64 s[0:1], vcc
	s_cbranch_execnz .LBB128_527
.LBB128_511:
	s_or_b64 exec, exec, s[0:1]
	v_cmp_gt_i32_e32 vcc, s8, v0
	s_and_saveexec_b64 s[0:1], vcc
	s_cbranch_execnz .LBB128_528
.LBB128_512:
	s_or_b64 exec, exec, s[0:1]
	v_cmp_gt_i32_e32 vcc, s8, v0
	s_and_saveexec_b64 s[0:1], vcc
	s_cbranch_execnz .LBB128_529
.LBB128_513:
	s_or_b64 exec, exec, s[0:1]
	v_cmp_gt_i32_e32 vcc, s8, v0
	s_and_saveexec_b64 s[0:1], vcc
	s_cbranch_execnz .LBB128_530
.LBB128_514:
	s_or_b64 exec, exec, s[0:1]
	v_cmp_gt_i32_e32 vcc, s8, v0
	s_and_saveexec_b64 s[0:1], vcc
	s_cbranch_execnz .LBB128_531
.LBB128_515:
	s_or_b64 exec, exec, s[0:1]
	v_cmp_gt_i32_e32 vcc, s8, v0
	s_and_saveexec_b64 s[0:1], vcc
	s_cbranch_execnz .LBB128_532
.LBB128_516:
	s_or_b64 exec, exec, s[0:1]
	v_cmp_gt_i32_e32 vcc, s8, v0
	s_and_saveexec_b64 s[0:1], vcc
	s_cbranch_execnz .LBB128_533
.LBB128_517:
	s_or_b64 exec, exec, s[0:1]
	v_cmp_gt_i32_e32 vcc, s8, v0
	s_and_saveexec_b64 s[0:1], vcc
	s_cbranch_execz .LBB128_519
.LBB128_518:
	v_lshrrev_b32_e32 v1, 24, v2
	v_add_u32_e32 v0, s2, v0
	global_store_byte v0, v1, s[12:13]
.LBB128_519:
	s_endpgm
.LBB128_520:
	v_lshrrev_b32_e32 v1, 8, v6
	v_add_u32_e32 v4, s2, v0
	v_add_u32_e32 v0, 0x100, v0
	global_store_byte v4, v1, s[12:13]
	s_or_b64 exec, exec, s[0:1]
	v_cmp_gt_i32_e32 vcc, s8, v0
	s_and_saveexec_b64 s[0:1], vcc
	s_cbranch_execz .LBB128_505
.LBB128_521:
	v_add_u32_e32 v1, s2, v0
	v_add_u32_e32 v0, 0x100, v0
	global_store_byte_d16_hi v1, v6, s[12:13]
	s_or_b64 exec, exec, s[0:1]
	v_cmp_gt_i32_e32 vcc, s8, v0
	s_and_saveexec_b64 s[0:1], vcc
	s_cbranch_execz .LBB128_506
.LBB128_522:
	v_lshrrev_b32_e32 v1, 24, v6
	v_add_u32_e32 v4, s2, v0
	v_add_u32_e32 v0, 0x100, v0
	global_store_byte v4, v1, s[12:13]
	s_or_b64 exec, exec, s[0:1]
	v_cmp_gt_i32_e32 vcc, s8, v0
	s_and_saveexec_b64 s[0:1], vcc
	s_cbranch_execz .LBB128_507
.LBB128_523:
	v_add_u32_e32 v1, s2, v0
	v_add_u32_e32 v0, 0x100, v0
	global_store_byte v1, v5, s[12:13]
	s_or_b64 exec, exec, s[0:1]
	v_cmp_gt_i32_e32 vcc, s8, v0
	s_and_saveexec_b64 s[0:1], vcc
	s_cbranch_execz .LBB128_508
.LBB128_524:
	v_lshrrev_b32_e32 v1, 8, v5
	v_add_u32_e32 v4, s2, v0
	v_add_u32_e32 v0, 0x100, v0
	global_store_byte v4, v1, s[12:13]
	s_or_b64 exec, exec, s[0:1]
	v_cmp_gt_i32_e32 vcc, s8, v0
	s_and_saveexec_b64 s[0:1], vcc
	s_cbranch_execz .LBB128_509
.LBB128_525:
	v_add_u32_e32 v1, s2, v0
	v_add_u32_e32 v0, 0x100, v0
	global_store_byte_d16_hi v1, v5, s[12:13]
	s_or_b64 exec, exec, s[0:1]
	v_cmp_gt_i32_e32 vcc, s8, v0
	s_and_saveexec_b64 s[0:1], vcc
	s_cbranch_execz .LBB128_510
.LBB128_526:
	v_lshrrev_b32_e32 v1, 24, v5
	v_add_u32_e32 v4, s2, v0
	v_add_u32_e32 v0, 0x100, v0
	global_store_byte v4, v1, s[12:13]
	s_or_b64 exec, exec, s[0:1]
	v_cmp_gt_i32_e32 vcc, s8, v0
	s_and_saveexec_b64 s[0:1], vcc
	s_cbranch_execz .LBB128_511
.LBB128_527:
	v_add_u32_e32 v1, s2, v0
	v_add_u32_e32 v0, 0x100, v0
	global_store_byte v1, v3, s[12:13]
	s_or_b64 exec, exec, s[0:1]
	v_cmp_gt_i32_e32 vcc, s8, v0
	s_and_saveexec_b64 s[0:1], vcc
	s_cbranch_execz .LBB128_512
.LBB128_528:
	v_lshrrev_b32_e32 v1, 8, v3
	v_add_u32_e32 v4, s2, v0
	v_add_u32_e32 v0, 0x100, v0
	global_store_byte v4, v1, s[12:13]
	s_or_b64 exec, exec, s[0:1]
	v_cmp_gt_i32_e32 vcc, s8, v0
	s_and_saveexec_b64 s[0:1], vcc
	s_cbranch_execz .LBB128_513
.LBB128_529:
	v_add_u32_e32 v1, s2, v0
	v_add_u32_e32 v0, 0x100, v0
	global_store_byte_d16_hi v1, v3, s[12:13]
	s_or_b64 exec, exec, s[0:1]
	v_cmp_gt_i32_e32 vcc, s8, v0
	s_and_saveexec_b64 s[0:1], vcc
	s_cbranch_execz .LBB128_514
.LBB128_530:
	v_lshrrev_b32_e32 v1, 24, v3
	v_add_u32_e32 v3, s2, v0
	v_add_u32_e32 v0, 0x100, v0
	global_store_byte v3, v1, s[12:13]
	s_or_b64 exec, exec, s[0:1]
	v_cmp_gt_i32_e32 vcc, s8, v0
	s_and_saveexec_b64 s[0:1], vcc
	s_cbranch_execz .LBB128_515
.LBB128_531:
	v_add_u32_e32 v1, s2, v0
	v_add_u32_e32 v0, 0x100, v0
	global_store_byte v1, v2, s[12:13]
	s_or_b64 exec, exec, s[0:1]
	v_cmp_gt_i32_e32 vcc, s8, v0
	s_and_saveexec_b64 s[0:1], vcc
	s_cbranch_execz .LBB128_516
.LBB128_532:
	v_lshrrev_b32_e32 v1, 8, v2
	v_add_u32_e32 v3, s2, v0
	v_add_u32_e32 v0, 0x100, v0
	global_store_byte v3, v1, s[12:13]
	s_or_b64 exec, exec, s[0:1]
	v_cmp_gt_i32_e32 vcc, s8, v0
	s_and_saveexec_b64 s[0:1], vcc
	s_cbranch_execz .LBB128_517
.LBB128_533:
	v_add_u32_e32 v1, s2, v0
	v_add_u32_e32 v0, 0x100, v0
	global_store_byte_d16_hi v1, v2, s[12:13]
	s_or_b64 exec, exec, s[0:1]
	v_cmp_gt_i32_e32 vcc, s8, v0
	s_and_saveexec_b64 s[0:1], vcc
	s_cbranch_execnz .LBB128_518
	s_branch .LBB128_519
.LBB128_534:
	v_cmp_gt_f32_e32 vcc, s3, v4
	s_andn2_b64 s[10:11], s[10:11], exec
	s_and_b64 s[14:15], vcc, exec
	s_or_b64 s[10:11], s[10:11], s[14:15]
	s_cbranch_execz .LBB128_499
	s_branch .LBB128_500
.LBB128_535:
	s_mov_b64 s[14:15], -1
                                        ; implicit-def: $sgpr10_sgpr11
	s_branch .LBB128_285
.LBB128_536:
	s_mov_b64 s[14:15], -1
                                        ; implicit-def: $sgpr10_sgpr11
	s_branch .LBB128_300
.LBB128_537:
	s_mov_b64 s[14:15], -1
                                        ; implicit-def: $sgpr10_sgpr11
	s_branch .LBB128_315
.LBB128_538:
	s_mov_b64 s[14:15], -1
                                        ; implicit-def: $sgpr10_sgpr11
	s_branch .LBB128_330
.LBB128_539:
	s_mov_b64 s[14:15], -1
                                        ; implicit-def: $sgpr10_sgpr11
	s_branch .LBB128_345
.LBB128_540:
	s_mov_b64 s[14:15], -1
                                        ; implicit-def: $sgpr10_sgpr11
	s_branch .LBB128_360
.LBB128_541:
	s_mov_b64 s[14:15], -1
                                        ; implicit-def: $sgpr10_sgpr11
	s_branch .LBB128_375
.LBB128_542:
	s_mov_b64 s[14:15], -1
                                        ; implicit-def: $sgpr10_sgpr11
	s_branch .LBB128_390
.LBB128_543:
	s_mov_b64 s[14:15], -1
                                        ; implicit-def: $sgpr10_sgpr11
	s_branch .LBB128_405
.LBB128_544:
	s_mov_b64 s[14:15], -1
                                        ; implicit-def: $sgpr10_sgpr11
	s_branch .LBB128_420
.LBB128_545:
	s_mov_b64 s[14:15], -1
                                        ; implicit-def: $sgpr10_sgpr11
	s_branch .LBB128_435
.LBB128_546:
	s_mov_b64 s[14:15], -1
                                        ; implicit-def: $sgpr10_sgpr11
	s_branch .LBB128_450
.LBB128_547:
	s_mov_b64 s[14:15], -1
                                        ; implicit-def: $sgpr10_sgpr11
	s_branch .LBB128_465
.LBB128_548:
	s_mov_b64 s[14:15], -1
                                        ; implicit-def: $sgpr10_sgpr11
	s_branch .LBB128_480
.LBB128_549:
	s_mov_b64 s[14:15], -1
                                        ; implicit-def: $sgpr10_sgpr11
	s_branch .LBB128_495
	.section	.rodata,"a",@progbits
	.p2align	6, 0x0
	.amdhsa_kernel _ZN2at6native29vectorized_elementwise_kernelILi16EZNS0_21compare_scalar_kernelIN3c108BFloat16EEEvRNS_18TensorIteratorBaseENS0_12_GLOBAL__N_16OpTypeET_EUlS4_E_St5arrayIPcLm2EEEEviT0_T1_
		.amdhsa_group_segment_fixed_size 0
		.amdhsa_private_segment_fixed_size 0
		.amdhsa_kernarg_size 32
		.amdhsa_user_sgpr_count 6
		.amdhsa_user_sgpr_private_segment_buffer 1
		.amdhsa_user_sgpr_dispatch_ptr 0
		.amdhsa_user_sgpr_queue_ptr 0
		.amdhsa_user_sgpr_kernarg_segment_ptr 1
		.amdhsa_user_sgpr_dispatch_id 0
		.amdhsa_user_sgpr_flat_scratch_init 0
		.amdhsa_user_sgpr_private_segment_size 0
		.amdhsa_uses_dynamic_stack 0
		.amdhsa_system_sgpr_private_segment_wavefront_offset 0
		.amdhsa_system_sgpr_workgroup_id_x 1
		.amdhsa_system_sgpr_workgroup_id_y 0
		.amdhsa_system_sgpr_workgroup_id_z 0
		.amdhsa_system_sgpr_workgroup_info 0
		.amdhsa_system_vgpr_workitem_id 0
		.amdhsa_next_free_vgpr 22
		.amdhsa_next_free_sgpr 50
		.amdhsa_reserve_vcc 1
		.amdhsa_reserve_flat_scratch 0
		.amdhsa_float_round_mode_32 0
		.amdhsa_float_round_mode_16_64 0
		.amdhsa_float_denorm_mode_32 3
		.amdhsa_float_denorm_mode_16_64 3
		.amdhsa_dx10_clamp 1
		.amdhsa_ieee_mode 1
		.amdhsa_fp16_overflow 0
		.amdhsa_exception_fp_ieee_invalid_op 0
		.amdhsa_exception_fp_denorm_src 0
		.amdhsa_exception_fp_ieee_div_zero 0
		.amdhsa_exception_fp_ieee_overflow 0
		.amdhsa_exception_fp_ieee_underflow 0
		.amdhsa_exception_fp_ieee_inexact 0
		.amdhsa_exception_int_div_zero 0
	.end_amdhsa_kernel
	.section	.text._ZN2at6native29vectorized_elementwise_kernelILi16EZNS0_21compare_scalar_kernelIN3c108BFloat16EEEvRNS_18TensorIteratorBaseENS0_12_GLOBAL__N_16OpTypeET_EUlS4_E_St5arrayIPcLm2EEEEviT0_T1_,"axG",@progbits,_ZN2at6native29vectorized_elementwise_kernelILi16EZNS0_21compare_scalar_kernelIN3c108BFloat16EEEvRNS_18TensorIteratorBaseENS0_12_GLOBAL__N_16OpTypeET_EUlS4_E_St5arrayIPcLm2EEEEviT0_T1_,comdat
.Lfunc_end128:
	.size	_ZN2at6native29vectorized_elementwise_kernelILi16EZNS0_21compare_scalar_kernelIN3c108BFloat16EEEvRNS_18TensorIteratorBaseENS0_12_GLOBAL__N_16OpTypeET_EUlS4_E_St5arrayIPcLm2EEEEviT0_T1_, .Lfunc_end128-_ZN2at6native29vectorized_elementwise_kernelILi16EZNS0_21compare_scalar_kernelIN3c108BFloat16EEEvRNS_18TensorIteratorBaseENS0_12_GLOBAL__N_16OpTypeET_EUlS4_E_St5arrayIPcLm2EEEEviT0_T1_
                                        ; -- End function
	.set _ZN2at6native29vectorized_elementwise_kernelILi16EZNS0_21compare_scalar_kernelIN3c108BFloat16EEEvRNS_18TensorIteratorBaseENS0_12_GLOBAL__N_16OpTypeET_EUlS4_E_St5arrayIPcLm2EEEEviT0_T1_.num_vgpr, 22
	.set _ZN2at6native29vectorized_elementwise_kernelILi16EZNS0_21compare_scalar_kernelIN3c108BFloat16EEEvRNS_18TensorIteratorBaseENS0_12_GLOBAL__N_16OpTypeET_EUlS4_E_St5arrayIPcLm2EEEEviT0_T1_.num_agpr, 0
	.set _ZN2at6native29vectorized_elementwise_kernelILi16EZNS0_21compare_scalar_kernelIN3c108BFloat16EEEvRNS_18TensorIteratorBaseENS0_12_GLOBAL__N_16OpTypeET_EUlS4_E_St5arrayIPcLm2EEEEviT0_T1_.numbered_sgpr, 50
	.set _ZN2at6native29vectorized_elementwise_kernelILi16EZNS0_21compare_scalar_kernelIN3c108BFloat16EEEvRNS_18TensorIteratorBaseENS0_12_GLOBAL__N_16OpTypeET_EUlS4_E_St5arrayIPcLm2EEEEviT0_T1_.num_named_barrier, 0
	.set _ZN2at6native29vectorized_elementwise_kernelILi16EZNS0_21compare_scalar_kernelIN3c108BFloat16EEEvRNS_18TensorIteratorBaseENS0_12_GLOBAL__N_16OpTypeET_EUlS4_E_St5arrayIPcLm2EEEEviT0_T1_.private_seg_size, 0
	.set _ZN2at6native29vectorized_elementwise_kernelILi16EZNS0_21compare_scalar_kernelIN3c108BFloat16EEEvRNS_18TensorIteratorBaseENS0_12_GLOBAL__N_16OpTypeET_EUlS4_E_St5arrayIPcLm2EEEEviT0_T1_.uses_vcc, 1
	.set _ZN2at6native29vectorized_elementwise_kernelILi16EZNS0_21compare_scalar_kernelIN3c108BFloat16EEEvRNS_18TensorIteratorBaseENS0_12_GLOBAL__N_16OpTypeET_EUlS4_E_St5arrayIPcLm2EEEEviT0_T1_.uses_flat_scratch, 0
	.set _ZN2at6native29vectorized_elementwise_kernelILi16EZNS0_21compare_scalar_kernelIN3c108BFloat16EEEvRNS_18TensorIteratorBaseENS0_12_GLOBAL__N_16OpTypeET_EUlS4_E_St5arrayIPcLm2EEEEviT0_T1_.has_dyn_sized_stack, 0
	.set _ZN2at6native29vectorized_elementwise_kernelILi16EZNS0_21compare_scalar_kernelIN3c108BFloat16EEEvRNS_18TensorIteratorBaseENS0_12_GLOBAL__N_16OpTypeET_EUlS4_E_St5arrayIPcLm2EEEEviT0_T1_.has_recursion, 0
	.set _ZN2at6native29vectorized_elementwise_kernelILi16EZNS0_21compare_scalar_kernelIN3c108BFloat16EEEvRNS_18TensorIteratorBaseENS0_12_GLOBAL__N_16OpTypeET_EUlS4_E_St5arrayIPcLm2EEEEviT0_T1_.has_indirect_call, 0
	.section	.AMDGPU.csdata,"",@progbits
; Kernel info:
; codeLenInByte = 8860
; TotalNumSgprs: 54
; NumVgprs: 22
; ScratchSize: 0
; MemoryBound: 0
; FloatMode: 240
; IeeeMode: 1
; LDSByteSize: 0 bytes/workgroup (compile time only)
; SGPRBlocks: 6
; VGPRBlocks: 5
; NumSGPRsForWavesPerEU: 54
; NumVGPRsForWavesPerEU: 22
; Occupancy: 10
; WaveLimiterHint : 0
; COMPUTE_PGM_RSRC2:SCRATCH_EN: 0
; COMPUTE_PGM_RSRC2:USER_SGPR: 6
; COMPUTE_PGM_RSRC2:TRAP_HANDLER: 0
; COMPUTE_PGM_RSRC2:TGID_X_EN: 1
; COMPUTE_PGM_RSRC2:TGID_Y_EN: 0
; COMPUTE_PGM_RSRC2:TGID_Z_EN: 0
; COMPUTE_PGM_RSRC2:TIDIG_COMP_CNT: 0
	.section	.text._ZN2at6native29vectorized_elementwise_kernelILi8EZNS0_21compare_scalar_kernelIN3c108BFloat16EEEvRNS_18TensorIteratorBaseENS0_12_GLOBAL__N_16OpTypeET_EUlS4_E_St5arrayIPcLm2EEEEviT0_T1_,"axG",@progbits,_ZN2at6native29vectorized_elementwise_kernelILi8EZNS0_21compare_scalar_kernelIN3c108BFloat16EEEvRNS_18TensorIteratorBaseENS0_12_GLOBAL__N_16OpTypeET_EUlS4_E_St5arrayIPcLm2EEEEviT0_T1_,comdat
	.globl	_ZN2at6native29vectorized_elementwise_kernelILi8EZNS0_21compare_scalar_kernelIN3c108BFloat16EEEvRNS_18TensorIteratorBaseENS0_12_GLOBAL__N_16OpTypeET_EUlS4_E_St5arrayIPcLm2EEEEviT0_T1_ ; -- Begin function _ZN2at6native29vectorized_elementwise_kernelILi8EZNS0_21compare_scalar_kernelIN3c108BFloat16EEEvRNS_18TensorIteratorBaseENS0_12_GLOBAL__N_16OpTypeET_EUlS4_E_St5arrayIPcLm2EEEEviT0_T1_
	.p2align	8
	.type	_ZN2at6native29vectorized_elementwise_kernelILi8EZNS0_21compare_scalar_kernelIN3c108BFloat16EEEvRNS_18TensorIteratorBaseENS0_12_GLOBAL__N_16OpTypeET_EUlS4_E_St5arrayIPcLm2EEEEviT0_T1_,@function
_ZN2at6native29vectorized_elementwise_kernelILi8EZNS0_21compare_scalar_kernelIN3c108BFloat16EEEvRNS_18TensorIteratorBaseENS0_12_GLOBAL__N_16OpTypeET_EUlS4_E_St5arrayIPcLm2EEEEviT0_T1_: ; @_ZN2at6native29vectorized_elementwise_kernelILi8EZNS0_21compare_scalar_kernelIN3c108BFloat16EEEvRNS_18TensorIteratorBaseENS0_12_GLOBAL__N_16OpTypeET_EUlS4_E_St5arrayIPcLm2EEEEviT0_T1_
; %bb.0:
	s_load_dwordx8 s[8:15], s[4:5], 0x0
	s_lshl_b32 s2, s6, 12
	s_mov_b64 s[0:1], -1
	s_waitcnt lgkmcnt(0)
	s_sub_i32 s8, s8, s2
	s_cmpk_gt_i32 s8, 0xfff
	s_cbranch_scc0 .LBB129_211
; %bb.1:
	s_ashr_i32 s3, s2, 31
	s_lshl_b64 s[0:1], s[2:3], 1
	s_add_u32 s0, s14, s0
	s_addc_u32 s1, s15, s1
	v_lshlrev_b32_e32 v1, 4, v0
	v_mov_b32_e32 v2, s1
	v_add_co_u32_e32 v3, vcc, s0, v1
	v_addc_co_u32_e32 v2, vcc, 0, v2, vcc
	global_load_dwordx4 v[5:8], v1, s[0:1]
	v_add_co_u32_e32 v1, vcc, 0x1000, v3
	v_addc_co_u32_e32 v2, vcc, 0, v2, vcc
	global_load_dwordx4 v[1:4], v[1:2], off
	s_lshl_b32 s11, s10, 16
	s_cmp_lt_i32 s9, 1
	s_mov_b64 s[4:5], 0
	s_waitcnt vmcnt(1)
	v_lshlrev_b32_e32 v9, 16, v5
	s_cbranch_scc1 .LBB129_5
; %bb.2:
	s_cmp_gt_i32 s9, 1
	s_cbranch_scc0 .LBB129_6
; %bb.3:
	s_cmp_eq_u32 s9, 2
	s_cbranch_scc0 .LBB129_7
; %bb.4:
	v_cmp_ge_f32_e64 s[0:1], s11, v9
	s_mov_b64 s[6:7], 0
	s_branch .LBB129_8
.LBB129_5:
                                        ; implicit-def: $sgpr0_sgpr1
	s_mov_b64 s[6:7], 0
	s_cbranch_execnz .LBB129_11
	s_branch .LBB129_12
.LBB129_6:
	s_mov_b64 s[6:7], 0
                                        ; implicit-def: $sgpr0_sgpr1
	s_cbranch_execnz .LBB129_9
	s_branch .LBB129_10
.LBB129_7:
	s_mov_b64 s[6:7], -1
                                        ; implicit-def: $sgpr0_sgpr1
.LBB129_8:
	s_branch .LBB129_10
.LBB129_9:
	v_cmp_lt_f32_e32 vcc, s11, v9
	s_andn2_b64 s[0:1], s[0:1], exec
	s_and_b64 s[16:17], vcc, exec
	s_or_b64 s[0:1], s[0:1], s[16:17]
.LBB129_10:
	s_branch .LBB129_12
.LBB129_11:
	s_cmp_lg_u32 s9, 0
	s_mov_b64 s[4:5], -1
	s_cselect_b64 s[6:7], -1, 0
.LBB129_12:
	s_andn2_b64 vcc, exec, s[6:7]
	s_cbranch_vccz .LBB129_18
; %bb.13:
	s_andn2_b64 vcc, exec, s[4:5]
	s_cbranch_vccz .LBB129_19
.LBB129_14:
	v_and_b32_e32 v5, 0xffff0000, v5
	s_cmp_lt_i32 s9, 1
	s_mov_b64 s[6:7], 0
	s_cbranch_scc1 .LBB129_20
.LBB129_15:
	s_cmp_gt_i32 s9, 1
	s_cbranch_scc0 .LBB129_21
; %bb.16:
	s_cmp_eq_u32 s9, 2
	s_cbranch_scc0 .LBB129_251
; %bb.17:
	v_cmp_ge_f32_e64 s[4:5], s11, v5
	s_mov_b64 s[16:17], 0
	s_branch .LBB129_23
.LBB129_18:
	v_cmp_gt_f32_e32 vcc, s11, v9
	s_andn2_b64 s[0:1], s[0:1], exec
	s_and_b64 s[6:7], vcc, exec
	s_or_b64 s[0:1], s[0:1], s[6:7]
	s_cbranch_execnz .LBB129_14
.LBB129_19:
	v_cmp_le_f32_e32 vcc, s11, v9
	s_andn2_b64 s[0:1], s[0:1], exec
	s_and_b64 s[4:5], vcc, exec
	s_or_b64 s[0:1], s[0:1], s[4:5]
	v_and_b32_e32 v5, 0xffff0000, v5
	s_cmp_lt_i32 s9, 1
	s_mov_b64 s[6:7], 0
	s_cbranch_scc0 .LBB129_15
.LBB129_20:
                                        ; implicit-def: $sgpr4_sgpr5
	s_mov_b64 s[16:17], 0
	s_cbranch_execnz .LBB129_24
	s_branch .LBB129_25
.LBB129_21:
	s_mov_b64 s[16:17], 0
                                        ; implicit-def: $sgpr4_sgpr5
	s_cbranch_execz .LBB129_23
; %bb.22:
	v_cmp_lt_f32_e32 vcc, s11, v5
	s_andn2_b64 s[4:5], s[4:5], exec
	s_and_b64 s[18:19], vcc, exec
	s_or_b64 s[4:5], s[4:5], s[18:19]
.LBB129_23:
	s_branch .LBB129_25
.LBB129_24:
	s_cmp_lg_u32 s9, 0
	s_mov_b64 s[6:7], -1
	s_cselect_b64 s[16:17], -1, 0
.LBB129_25:
	s_andn2_b64 vcc, exec, s[16:17]
	s_cbranch_vccz .LBB129_31
; %bb.26:
	s_andn2_b64 vcc, exec, s[6:7]
	s_cbranch_vccz .LBB129_32
.LBB129_27:
	v_lshlrev_b32_e32 v5, 16, v6
	s_cmp_lt_i32 s9, 1
	s_mov_b64 s[16:17], 0
	s_cbranch_scc1 .LBB129_33
.LBB129_28:
	s_cmp_gt_i32 s9, 1
	s_cbranch_scc0 .LBB129_34
; %bb.29:
	s_cmp_eq_u32 s9, 2
	s_cbranch_scc0 .LBB129_252
; %bb.30:
	v_cmp_ge_f32_e64 s[6:7], s11, v5
	s_mov_b64 s[18:19], 0
	s_branch .LBB129_36
.LBB129_31:
	v_cmp_gt_f32_e32 vcc, s11, v5
	s_andn2_b64 s[4:5], s[4:5], exec
	s_and_b64 s[16:17], vcc, exec
	s_or_b64 s[4:5], s[4:5], s[16:17]
	s_cbranch_execnz .LBB129_27
.LBB129_32:
	v_cmp_le_f32_e32 vcc, s11, v5
	s_andn2_b64 s[4:5], s[4:5], exec
	s_and_b64 s[6:7], vcc, exec
	s_or_b64 s[4:5], s[4:5], s[6:7]
	v_lshlrev_b32_e32 v5, 16, v6
	s_cmp_lt_i32 s9, 1
	s_mov_b64 s[16:17], 0
	s_cbranch_scc0 .LBB129_28
.LBB129_33:
                                        ; implicit-def: $sgpr6_sgpr7
	s_mov_b64 s[18:19], 0
	s_cbranch_execnz .LBB129_37
	s_branch .LBB129_38
.LBB129_34:
	s_mov_b64 s[18:19], 0
                                        ; implicit-def: $sgpr6_sgpr7
	s_cbranch_execz .LBB129_36
; %bb.35:
	v_cmp_lt_f32_e32 vcc, s11, v5
	s_andn2_b64 s[6:7], s[6:7], exec
	s_and_b64 s[20:21], vcc, exec
	s_or_b64 s[6:7], s[6:7], s[20:21]
.LBB129_36:
	s_branch .LBB129_38
.LBB129_37:
	s_cmp_lg_u32 s9, 0
	s_mov_b64 s[16:17], -1
	s_cselect_b64 s[18:19], -1, 0
.LBB129_38:
	s_andn2_b64 vcc, exec, s[18:19]
	s_cbranch_vccz .LBB129_44
; %bb.39:
	s_andn2_b64 vcc, exec, s[16:17]
	s_cbranch_vccz .LBB129_45
.LBB129_40:
	v_and_b32_e32 v5, 0xffff0000, v6
	s_cmp_lt_i32 s9, 1
	s_mov_b64 s[18:19], 0
	s_cbranch_scc1 .LBB129_46
.LBB129_41:
	s_cmp_gt_i32 s9, 1
	s_cbranch_scc0 .LBB129_47
; %bb.42:
	s_cmp_eq_u32 s9, 2
	s_cbranch_scc0 .LBB129_253
; %bb.43:
	v_cmp_ge_f32_e64 s[16:17], s11, v5
	s_mov_b64 s[20:21], 0
	s_branch .LBB129_49
.LBB129_44:
	v_cmp_gt_f32_e32 vcc, s11, v5
	s_andn2_b64 s[6:7], s[6:7], exec
	s_and_b64 s[18:19], vcc, exec
	s_or_b64 s[6:7], s[6:7], s[18:19]
	s_cbranch_execnz .LBB129_40
.LBB129_45:
	v_cmp_le_f32_e32 vcc, s11, v5
	s_andn2_b64 s[6:7], s[6:7], exec
	s_and_b64 s[16:17], vcc, exec
	s_or_b64 s[6:7], s[6:7], s[16:17]
	v_and_b32_e32 v5, 0xffff0000, v6
	s_cmp_lt_i32 s9, 1
	s_mov_b64 s[18:19], 0
	s_cbranch_scc0 .LBB129_41
.LBB129_46:
                                        ; implicit-def: $sgpr16_sgpr17
	s_mov_b64 s[20:21], 0
	s_cbranch_execnz .LBB129_50
	s_branch .LBB129_51
.LBB129_47:
	s_mov_b64 s[20:21], 0
                                        ; implicit-def: $sgpr16_sgpr17
	s_cbranch_execz .LBB129_49
; %bb.48:
	v_cmp_lt_f32_e32 vcc, s11, v5
	s_andn2_b64 s[16:17], s[16:17], exec
	s_and_b64 s[22:23], vcc, exec
	s_or_b64 s[16:17], s[16:17], s[22:23]
.LBB129_49:
	s_branch .LBB129_51
.LBB129_50:
	s_cmp_lg_u32 s9, 0
	s_mov_b64 s[18:19], -1
	s_cselect_b64 s[20:21], -1, 0
.LBB129_51:
	s_andn2_b64 vcc, exec, s[20:21]
	s_cbranch_vccz .LBB129_57
; %bb.52:
	s_andn2_b64 vcc, exec, s[18:19]
	s_cbranch_vccz .LBB129_58
.LBB129_53:
	v_lshlrev_b32_e32 v5, 16, v7
	s_cmp_lt_i32 s9, 1
	s_mov_b64 s[20:21], 0
	s_cbranch_scc1 .LBB129_59
.LBB129_54:
	s_cmp_gt_i32 s9, 1
	s_cbranch_scc0 .LBB129_60
; %bb.55:
	s_cmp_eq_u32 s9, 2
	s_cbranch_scc0 .LBB129_254
; %bb.56:
	v_cmp_ge_f32_e64 s[18:19], s11, v5
	s_mov_b64 s[22:23], 0
	s_branch .LBB129_62
.LBB129_57:
	v_cmp_gt_f32_e32 vcc, s11, v5
	s_andn2_b64 s[16:17], s[16:17], exec
	s_and_b64 s[20:21], vcc, exec
	s_or_b64 s[16:17], s[16:17], s[20:21]
	s_cbranch_execnz .LBB129_53
.LBB129_58:
	v_cmp_le_f32_e32 vcc, s11, v5
	s_andn2_b64 s[16:17], s[16:17], exec
	s_and_b64 s[18:19], vcc, exec
	s_or_b64 s[16:17], s[16:17], s[18:19]
	v_lshlrev_b32_e32 v5, 16, v7
	s_cmp_lt_i32 s9, 1
	s_mov_b64 s[20:21], 0
	s_cbranch_scc0 .LBB129_54
.LBB129_59:
                                        ; implicit-def: $sgpr18_sgpr19
	s_mov_b64 s[22:23], 0
	s_cbranch_execnz .LBB129_63
	s_branch .LBB129_64
.LBB129_60:
	s_mov_b64 s[22:23], 0
                                        ; implicit-def: $sgpr18_sgpr19
	s_cbranch_execz .LBB129_62
; %bb.61:
	v_cmp_lt_f32_e32 vcc, s11, v5
	s_andn2_b64 s[18:19], s[18:19], exec
	s_and_b64 s[24:25], vcc, exec
	s_or_b64 s[18:19], s[18:19], s[24:25]
.LBB129_62:
	s_branch .LBB129_64
.LBB129_63:
	s_cmp_lg_u32 s9, 0
	s_mov_b64 s[20:21], -1
	s_cselect_b64 s[22:23], -1, 0
.LBB129_64:
	s_andn2_b64 vcc, exec, s[22:23]
	s_cbranch_vccz .LBB129_70
; %bb.65:
	s_andn2_b64 vcc, exec, s[20:21]
	s_cbranch_vccz .LBB129_71
.LBB129_66:
	v_and_b32_e32 v5, 0xffff0000, v7
	s_cmp_lt_i32 s9, 1
	s_mov_b64 s[22:23], 0
	s_cbranch_scc1 .LBB129_72
.LBB129_67:
	s_cmp_gt_i32 s9, 1
	s_cbranch_scc0 .LBB129_73
; %bb.68:
	s_cmp_eq_u32 s9, 2
	s_cbranch_scc0 .LBB129_255
; %bb.69:
	v_cmp_ge_f32_e64 s[20:21], s11, v5
	s_mov_b64 s[24:25], 0
	s_branch .LBB129_75
.LBB129_70:
	v_cmp_gt_f32_e32 vcc, s11, v5
	s_andn2_b64 s[18:19], s[18:19], exec
	s_and_b64 s[22:23], vcc, exec
	s_or_b64 s[18:19], s[18:19], s[22:23]
	s_cbranch_execnz .LBB129_66
.LBB129_71:
	v_cmp_le_f32_e32 vcc, s11, v5
	s_andn2_b64 s[18:19], s[18:19], exec
	s_and_b64 s[20:21], vcc, exec
	s_or_b64 s[18:19], s[18:19], s[20:21]
	v_and_b32_e32 v5, 0xffff0000, v7
	s_cmp_lt_i32 s9, 1
	s_mov_b64 s[22:23], 0
	s_cbranch_scc0 .LBB129_67
.LBB129_72:
                                        ; implicit-def: $sgpr20_sgpr21
	s_mov_b64 s[24:25], 0
	s_cbranch_execnz .LBB129_76
	s_branch .LBB129_77
.LBB129_73:
	s_mov_b64 s[24:25], 0
                                        ; implicit-def: $sgpr20_sgpr21
	s_cbranch_execz .LBB129_75
; %bb.74:
	v_cmp_lt_f32_e32 vcc, s11, v5
	s_andn2_b64 s[20:21], s[20:21], exec
	s_and_b64 s[26:27], vcc, exec
	s_or_b64 s[20:21], s[20:21], s[26:27]
.LBB129_75:
	s_branch .LBB129_77
.LBB129_76:
	s_cmp_lg_u32 s9, 0
	s_mov_b64 s[22:23], -1
	s_cselect_b64 s[24:25], -1, 0
.LBB129_77:
	s_andn2_b64 vcc, exec, s[24:25]
	s_cbranch_vccz .LBB129_83
; %bb.78:
	s_andn2_b64 vcc, exec, s[22:23]
	s_cbranch_vccz .LBB129_84
.LBB129_79:
	v_lshlrev_b32_e32 v5, 16, v8
	s_cmp_lt_i32 s9, 1
	s_mov_b64 s[24:25], 0
	s_cbranch_scc1 .LBB129_85
.LBB129_80:
	s_cmp_gt_i32 s9, 1
	s_cbranch_scc0 .LBB129_86
; %bb.81:
	s_cmp_eq_u32 s9, 2
	s_cbranch_scc0 .LBB129_256
; %bb.82:
	v_cmp_ge_f32_e64 s[22:23], s11, v5
	s_mov_b64 s[26:27], 0
	s_branch .LBB129_88
.LBB129_83:
	v_cmp_gt_f32_e32 vcc, s11, v5
	s_andn2_b64 s[20:21], s[20:21], exec
	s_and_b64 s[24:25], vcc, exec
	s_or_b64 s[20:21], s[20:21], s[24:25]
	s_cbranch_execnz .LBB129_79
.LBB129_84:
	v_cmp_le_f32_e32 vcc, s11, v5
	s_andn2_b64 s[20:21], s[20:21], exec
	s_and_b64 s[22:23], vcc, exec
	s_or_b64 s[20:21], s[20:21], s[22:23]
	v_lshlrev_b32_e32 v5, 16, v8
	s_cmp_lt_i32 s9, 1
	s_mov_b64 s[24:25], 0
	s_cbranch_scc0 .LBB129_80
.LBB129_85:
                                        ; implicit-def: $sgpr22_sgpr23
	s_mov_b64 s[26:27], 0
	s_cbranch_execnz .LBB129_89
	s_branch .LBB129_90
.LBB129_86:
	s_mov_b64 s[26:27], 0
                                        ; implicit-def: $sgpr22_sgpr23
	s_cbranch_execz .LBB129_88
; %bb.87:
	v_cmp_lt_f32_e32 vcc, s11, v5
	s_andn2_b64 s[22:23], s[22:23], exec
	s_and_b64 s[28:29], vcc, exec
	s_or_b64 s[22:23], s[22:23], s[28:29]
.LBB129_88:
	s_branch .LBB129_90
.LBB129_89:
	s_cmp_lg_u32 s9, 0
	s_mov_b64 s[24:25], -1
	s_cselect_b64 s[26:27], -1, 0
.LBB129_90:
	s_andn2_b64 vcc, exec, s[26:27]
	s_cbranch_vccz .LBB129_96
; %bb.91:
	s_andn2_b64 vcc, exec, s[24:25]
	s_cbranch_vccz .LBB129_97
.LBB129_92:
	v_and_b32_e32 v5, 0xffff0000, v8
	s_cmp_lt_i32 s9, 1
	s_mov_b64 s[26:27], 0
	s_cbranch_scc1 .LBB129_98
.LBB129_93:
	s_cmp_gt_i32 s9, 1
	s_cbranch_scc0 .LBB129_99
; %bb.94:
	s_cmp_eq_u32 s9, 2
	s_cbranch_scc0 .LBB129_257
; %bb.95:
	v_cmp_ge_f32_e64 s[24:25], s11, v5
	s_mov_b64 s[28:29], 0
	s_branch .LBB129_101
.LBB129_96:
	v_cmp_gt_f32_e32 vcc, s11, v5
	s_andn2_b64 s[22:23], s[22:23], exec
	s_and_b64 s[26:27], vcc, exec
	s_or_b64 s[22:23], s[22:23], s[26:27]
	s_cbranch_execnz .LBB129_92
.LBB129_97:
	v_cmp_le_f32_e32 vcc, s11, v5
	s_andn2_b64 s[22:23], s[22:23], exec
	s_and_b64 s[24:25], vcc, exec
	s_or_b64 s[22:23], s[22:23], s[24:25]
	v_and_b32_e32 v5, 0xffff0000, v8
	s_cmp_lt_i32 s9, 1
	s_mov_b64 s[26:27], 0
	s_cbranch_scc0 .LBB129_93
.LBB129_98:
                                        ; implicit-def: $sgpr24_sgpr25
	s_mov_b64 s[28:29], 0
	s_cbranch_execnz .LBB129_102
	s_branch .LBB129_103
.LBB129_99:
	s_mov_b64 s[28:29], 0
                                        ; implicit-def: $sgpr24_sgpr25
	s_cbranch_execz .LBB129_101
; %bb.100:
	v_cmp_lt_f32_e32 vcc, s11, v5
	s_andn2_b64 s[24:25], s[24:25], exec
	s_and_b64 s[30:31], vcc, exec
	s_or_b64 s[24:25], s[24:25], s[30:31]
.LBB129_101:
	s_branch .LBB129_103
.LBB129_102:
	s_cmp_lg_u32 s9, 0
	s_mov_b64 s[26:27], -1
	s_cselect_b64 s[28:29], -1, 0
.LBB129_103:
	s_andn2_b64 vcc, exec, s[28:29]
	s_cbranch_vccz .LBB129_109
; %bb.104:
	s_andn2_b64 vcc, exec, s[26:27]
	s_cbranch_vccz .LBB129_110
.LBB129_105:
	s_waitcnt vmcnt(0)
	v_lshlrev_b32_e32 v5, 16, v1
	s_cmp_lt_i32 s9, 1
	s_mov_b64 s[28:29], 0
	s_cbranch_scc1 .LBB129_111
.LBB129_106:
	s_cmp_gt_i32 s9, 1
	s_cbranch_scc0 .LBB129_112
; %bb.107:
	s_cmp_eq_u32 s9, 2
	s_cbranch_scc0 .LBB129_258
; %bb.108:
	v_cmp_ge_f32_e64 s[26:27], s11, v5
	s_mov_b64 s[30:31], 0
	s_branch .LBB129_114
.LBB129_109:
	v_cmp_gt_f32_e32 vcc, s11, v5
	s_andn2_b64 s[24:25], s[24:25], exec
	s_and_b64 s[28:29], vcc, exec
	s_or_b64 s[24:25], s[24:25], s[28:29]
	s_cbranch_execnz .LBB129_105
.LBB129_110:
	v_cmp_le_f32_e32 vcc, s11, v5
	s_andn2_b64 s[24:25], s[24:25], exec
	s_and_b64 s[26:27], vcc, exec
	s_or_b64 s[24:25], s[24:25], s[26:27]
	s_waitcnt vmcnt(0)
	v_lshlrev_b32_e32 v5, 16, v1
	s_cmp_lt_i32 s9, 1
	s_mov_b64 s[28:29], 0
	s_cbranch_scc0 .LBB129_106
.LBB129_111:
                                        ; implicit-def: $sgpr26_sgpr27
	s_mov_b64 s[30:31], 0
	s_cbranch_execnz .LBB129_115
	s_branch .LBB129_116
.LBB129_112:
	s_mov_b64 s[30:31], 0
                                        ; implicit-def: $sgpr26_sgpr27
	s_cbranch_execz .LBB129_114
; %bb.113:
	v_cmp_lt_f32_e32 vcc, s11, v5
	s_andn2_b64 s[26:27], s[26:27], exec
	s_and_b64 s[34:35], vcc, exec
	s_or_b64 s[26:27], s[26:27], s[34:35]
.LBB129_114:
	s_branch .LBB129_116
.LBB129_115:
	s_cmp_lg_u32 s9, 0
	s_mov_b64 s[28:29], -1
	s_cselect_b64 s[30:31], -1, 0
.LBB129_116:
	s_andn2_b64 vcc, exec, s[30:31]
	s_cbranch_vccz .LBB129_122
; %bb.117:
	s_andn2_b64 vcc, exec, s[28:29]
	s_cbranch_vccz .LBB129_123
.LBB129_118:
	v_and_b32_e32 v1, 0xffff0000, v1
	s_cmp_lt_i32 s9, 1
	s_mov_b64 s[30:31], 0
	s_cbranch_scc1 .LBB129_124
.LBB129_119:
	s_cmp_gt_i32 s9, 1
	s_cbranch_scc0 .LBB129_125
; %bb.120:
	s_cmp_eq_u32 s9, 2
	s_cbranch_scc0 .LBB129_259
; %bb.121:
	v_cmp_ge_f32_e64 s[28:29], s11, v1
	s_mov_b64 s[34:35], 0
	s_branch .LBB129_127
.LBB129_122:
	v_cmp_gt_f32_e32 vcc, s11, v5
	s_andn2_b64 s[26:27], s[26:27], exec
	s_and_b64 s[30:31], vcc, exec
	s_or_b64 s[26:27], s[26:27], s[30:31]
	s_cbranch_execnz .LBB129_118
.LBB129_123:
	v_cmp_le_f32_e32 vcc, s11, v5
	s_andn2_b64 s[26:27], s[26:27], exec
	s_and_b64 s[28:29], vcc, exec
	s_or_b64 s[26:27], s[26:27], s[28:29]
	v_and_b32_e32 v1, 0xffff0000, v1
	s_cmp_lt_i32 s9, 1
	s_mov_b64 s[30:31], 0
	s_cbranch_scc0 .LBB129_119
.LBB129_124:
                                        ; implicit-def: $sgpr28_sgpr29
	s_mov_b64 s[34:35], 0
	s_cbranch_execnz .LBB129_128
	s_branch .LBB129_129
.LBB129_125:
	s_mov_b64 s[34:35], 0
                                        ; implicit-def: $sgpr28_sgpr29
	s_cbranch_execz .LBB129_127
; %bb.126:
	v_cmp_lt_f32_e32 vcc, s11, v1
	s_andn2_b64 s[28:29], s[28:29], exec
	s_and_b64 s[36:37], vcc, exec
	s_or_b64 s[28:29], s[28:29], s[36:37]
.LBB129_127:
	s_branch .LBB129_129
.LBB129_128:
	s_cmp_lg_u32 s9, 0
	s_mov_b64 s[30:31], -1
	s_cselect_b64 s[34:35], -1, 0
.LBB129_129:
	s_andn2_b64 vcc, exec, s[34:35]
	s_cbranch_vccz .LBB129_135
; %bb.130:
	s_andn2_b64 vcc, exec, s[30:31]
	s_cbranch_vccz .LBB129_136
.LBB129_131:
	v_lshlrev_b32_e32 v1, 16, v2
	s_cmp_lt_i32 s9, 1
	s_mov_b64 s[34:35], 0
	s_cbranch_scc1 .LBB129_137
.LBB129_132:
	s_cmp_gt_i32 s9, 1
	s_cbranch_scc0 .LBB129_138
; %bb.133:
	s_cmp_eq_u32 s9, 2
	s_cbranch_scc0 .LBB129_260
; %bb.134:
	v_cmp_ge_f32_e64 s[30:31], s11, v1
	s_mov_b64 s[36:37], 0
	s_branch .LBB129_140
.LBB129_135:
	v_cmp_gt_f32_e32 vcc, s11, v1
	s_andn2_b64 s[28:29], s[28:29], exec
	s_and_b64 s[34:35], vcc, exec
	s_or_b64 s[28:29], s[28:29], s[34:35]
	s_cbranch_execnz .LBB129_131
.LBB129_136:
	v_cmp_le_f32_e32 vcc, s11, v1
	s_andn2_b64 s[28:29], s[28:29], exec
	s_and_b64 s[30:31], vcc, exec
	s_or_b64 s[28:29], s[28:29], s[30:31]
	v_lshlrev_b32_e32 v1, 16, v2
	s_cmp_lt_i32 s9, 1
	s_mov_b64 s[34:35], 0
	s_cbranch_scc0 .LBB129_132
.LBB129_137:
                                        ; implicit-def: $sgpr30_sgpr31
	s_mov_b64 s[36:37], 0
	s_cbranch_execnz .LBB129_141
	s_branch .LBB129_142
.LBB129_138:
	s_mov_b64 s[36:37], 0
                                        ; implicit-def: $sgpr30_sgpr31
	s_cbranch_execz .LBB129_140
; %bb.139:
	v_cmp_lt_f32_e32 vcc, s11, v1
	s_andn2_b64 s[30:31], s[30:31], exec
	s_and_b64 s[38:39], vcc, exec
	s_or_b64 s[30:31], s[30:31], s[38:39]
.LBB129_140:
	s_branch .LBB129_142
.LBB129_141:
	s_cmp_lg_u32 s9, 0
	s_mov_b64 s[34:35], -1
	s_cselect_b64 s[36:37], -1, 0
.LBB129_142:
	s_andn2_b64 vcc, exec, s[36:37]
	s_cbranch_vccz .LBB129_148
; %bb.143:
	s_andn2_b64 vcc, exec, s[34:35]
	s_cbranch_vccz .LBB129_149
.LBB129_144:
	v_and_b32_e32 v1, 0xffff0000, v2
	s_cmp_lt_i32 s9, 1
	s_mov_b64 s[36:37], 0
	s_cbranch_scc1 .LBB129_150
.LBB129_145:
	s_cmp_gt_i32 s9, 1
	s_cbranch_scc0 .LBB129_151
; %bb.146:
	s_cmp_eq_u32 s9, 2
	s_cbranch_scc0 .LBB129_261
; %bb.147:
	v_cmp_ge_f32_e64 s[34:35], s11, v1
	s_mov_b64 s[38:39], 0
	s_branch .LBB129_153
.LBB129_148:
	v_cmp_gt_f32_e32 vcc, s11, v1
	s_andn2_b64 s[30:31], s[30:31], exec
	s_and_b64 s[36:37], vcc, exec
	s_or_b64 s[30:31], s[30:31], s[36:37]
	s_cbranch_execnz .LBB129_144
.LBB129_149:
	v_cmp_le_f32_e32 vcc, s11, v1
	s_andn2_b64 s[30:31], s[30:31], exec
	s_and_b64 s[34:35], vcc, exec
	s_or_b64 s[30:31], s[30:31], s[34:35]
	v_and_b32_e32 v1, 0xffff0000, v2
	s_cmp_lt_i32 s9, 1
	s_mov_b64 s[36:37], 0
	s_cbranch_scc0 .LBB129_145
.LBB129_150:
                                        ; implicit-def: $sgpr34_sgpr35
	s_mov_b64 s[38:39], 0
	s_cbranch_execnz .LBB129_154
	s_branch .LBB129_155
.LBB129_151:
	s_mov_b64 s[38:39], 0
                                        ; implicit-def: $sgpr34_sgpr35
	s_cbranch_execz .LBB129_153
; %bb.152:
	v_cmp_lt_f32_e32 vcc, s11, v1
	s_andn2_b64 s[34:35], s[34:35], exec
	s_and_b64 s[40:41], vcc, exec
	s_or_b64 s[34:35], s[34:35], s[40:41]
.LBB129_153:
	s_branch .LBB129_155
.LBB129_154:
	s_cmp_lg_u32 s9, 0
	s_mov_b64 s[36:37], -1
	s_cselect_b64 s[38:39], -1, 0
.LBB129_155:
	s_andn2_b64 vcc, exec, s[38:39]
	s_cbranch_vccz .LBB129_161
; %bb.156:
	s_andn2_b64 vcc, exec, s[36:37]
	s_cbranch_vccz .LBB129_162
.LBB129_157:
	v_lshlrev_b32_e32 v1, 16, v3
	s_cmp_lt_i32 s9, 1
	s_mov_b64 s[38:39], 0
	s_cbranch_scc1 .LBB129_163
.LBB129_158:
	s_cmp_gt_i32 s9, 1
	s_cbranch_scc0 .LBB129_164
; %bb.159:
	s_cmp_eq_u32 s9, 2
	s_cbranch_scc0 .LBB129_262
; %bb.160:
	v_cmp_ge_f32_e64 s[36:37], s11, v1
	s_mov_b64 s[40:41], 0
	s_branch .LBB129_166
.LBB129_161:
	v_cmp_gt_f32_e32 vcc, s11, v1
	s_andn2_b64 s[34:35], s[34:35], exec
	s_and_b64 s[38:39], vcc, exec
	s_or_b64 s[34:35], s[34:35], s[38:39]
	s_cbranch_execnz .LBB129_157
.LBB129_162:
	v_cmp_le_f32_e32 vcc, s11, v1
	s_andn2_b64 s[34:35], s[34:35], exec
	s_and_b64 s[36:37], vcc, exec
	s_or_b64 s[34:35], s[34:35], s[36:37]
	v_lshlrev_b32_e32 v1, 16, v3
	s_cmp_lt_i32 s9, 1
	s_mov_b64 s[38:39], 0
	s_cbranch_scc0 .LBB129_158
.LBB129_163:
                                        ; implicit-def: $sgpr36_sgpr37
	s_mov_b64 s[40:41], 0
	s_cbranch_execnz .LBB129_167
	s_branch .LBB129_168
.LBB129_164:
	s_mov_b64 s[40:41], 0
                                        ; implicit-def: $sgpr36_sgpr37
	s_cbranch_execz .LBB129_166
; %bb.165:
	v_cmp_lt_f32_e32 vcc, s11, v1
	s_andn2_b64 s[36:37], s[36:37], exec
	s_and_b64 s[42:43], vcc, exec
	s_or_b64 s[36:37], s[36:37], s[42:43]
.LBB129_166:
	s_branch .LBB129_168
.LBB129_167:
	s_cmp_lg_u32 s9, 0
	s_mov_b64 s[38:39], -1
	s_cselect_b64 s[40:41], -1, 0
.LBB129_168:
	s_andn2_b64 vcc, exec, s[40:41]
	s_cbranch_vccz .LBB129_174
; %bb.169:
	s_andn2_b64 vcc, exec, s[38:39]
	s_cbranch_vccz .LBB129_175
.LBB129_170:
	v_and_b32_e32 v1, 0xffff0000, v3
	s_cmp_lt_i32 s9, 1
	s_mov_b64 s[40:41], 0
	s_cbranch_scc1 .LBB129_176
.LBB129_171:
	s_cmp_gt_i32 s9, 1
	s_cbranch_scc0 .LBB129_177
; %bb.172:
	s_cmp_eq_u32 s9, 2
	s_cbranch_scc0 .LBB129_263
; %bb.173:
	v_cmp_ge_f32_e64 s[38:39], s11, v1
	s_mov_b64 s[42:43], 0
	s_branch .LBB129_179
.LBB129_174:
	v_cmp_gt_f32_e32 vcc, s11, v1
	s_andn2_b64 s[36:37], s[36:37], exec
	s_and_b64 s[40:41], vcc, exec
	s_or_b64 s[36:37], s[36:37], s[40:41]
	s_cbranch_execnz .LBB129_170
.LBB129_175:
	v_cmp_le_f32_e32 vcc, s11, v1
	s_andn2_b64 s[36:37], s[36:37], exec
	s_and_b64 s[38:39], vcc, exec
	s_or_b64 s[36:37], s[36:37], s[38:39]
	v_and_b32_e32 v1, 0xffff0000, v3
	s_cmp_lt_i32 s9, 1
	s_mov_b64 s[40:41], 0
	s_cbranch_scc0 .LBB129_171
.LBB129_176:
                                        ; implicit-def: $sgpr38_sgpr39
	s_mov_b64 s[42:43], 0
	s_cbranch_execnz .LBB129_180
	s_branch .LBB129_181
.LBB129_177:
	s_mov_b64 s[42:43], 0
                                        ; implicit-def: $sgpr38_sgpr39
	s_cbranch_execz .LBB129_179
; %bb.178:
	v_cmp_lt_f32_e32 vcc, s11, v1
	s_andn2_b64 s[38:39], s[38:39], exec
	s_and_b64 s[44:45], vcc, exec
	s_or_b64 s[38:39], s[38:39], s[44:45]
.LBB129_179:
	s_branch .LBB129_181
.LBB129_180:
	s_cmp_lg_u32 s9, 0
	s_mov_b64 s[40:41], -1
	s_cselect_b64 s[42:43], -1, 0
.LBB129_181:
	s_andn2_b64 vcc, exec, s[42:43]
	s_cbranch_vccz .LBB129_187
; %bb.182:
	s_andn2_b64 vcc, exec, s[40:41]
	s_cbranch_vccz .LBB129_188
.LBB129_183:
	v_lshlrev_b32_e32 v1, 16, v4
	s_cmp_lt_i32 s9, 1
	s_mov_b64 s[42:43], 0
	s_cbranch_scc1 .LBB129_189
.LBB129_184:
	s_cmp_gt_i32 s9, 1
	s_cbranch_scc0 .LBB129_190
; %bb.185:
	s_cmp_eq_u32 s9, 2
	s_cbranch_scc0 .LBB129_264
; %bb.186:
	v_cmp_ge_f32_e64 s[40:41], s11, v1
	s_mov_b64 s[44:45], 0
	s_branch .LBB129_192
.LBB129_187:
	v_cmp_gt_f32_e32 vcc, s11, v1
	s_andn2_b64 s[38:39], s[38:39], exec
	s_and_b64 s[42:43], vcc, exec
	s_or_b64 s[38:39], s[38:39], s[42:43]
	s_cbranch_execnz .LBB129_183
.LBB129_188:
	v_cmp_le_f32_e32 vcc, s11, v1
	s_andn2_b64 s[38:39], s[38:39], exec
	s_and_b64 s[40:41], vcc, exec
	s_or_b64 s[38:39], s[38:39], s[40:41]
	v_lshlrev_b32_e32 v1, 16, v4
	s_cmp_lt_i32 s9, 1
	s_mov_b64 s[42:43], 0
	s_cbranch_scc0 .LBB129_184
.LBB129_189:
                                        ; implicit-def: $sgpr40_sgpr41
	s_mov_b64 s[44:45], 0
	s_cbranch_execnz .LBB129_193
	s_branch .LBB129_194
.LBB129_190:
	s_mov_b64 s[44:45], 0
                                        ; implicit-def: $sgpr40_sgpr41
	s_cbranch_execz .LBB129_192
; %bb.191:
	v_cmp_lt_f32_e32 vcc, s11, v1
	s_andn2_b64 s[40:41], s[40:41], exec
	s_and_b64 s[46:47], vcc, exec
	s_or_b64 s[40:41], s[40:41], s[46:47]
.LBB129_192:
	s_branch .LBB129_194
.LBB129_193:
	s_cmp_lg_u32 s9, 0
	s_mov_b64 s[42:43], -1
	s_cselect_b64 s[44:45], -1, 0
.LBB129_194:
	s_andn2_b64 vcc, exec, s[44:45]
	s_cbranch_vccz .LBB129_200
; %bb.195:
	s_andn2_b64 vcc, exec, s[42:43]
	s_cbranch_vccz .LBB129_201
.LBB129_196:
	v_and_b32_e32 v1, 0xffff0000, v4
	s_cmp_lt_i32 s9, 1
	s_mov_b64 s[44:45], 0
	s_cbranch_scc1 .LBB129_202
.LBB129_197:
	s_cmp_gt_i32 s9, 1
	s_cbranch_scc0 .LBB129_203
; %bb.198:
	s_cmp_eq_u32 s9, 2
	s_cbranch_scc0 .LBB129_265
; %bb.199:
	v_cmp_ge_f32_e64 s[42:43], s11, v1
	s_mov_b64 s[46:47], 0
	s_branch .LBB129_205
.LBB129_200:
	v_cmp_gt_f32_e32 vcc, s11, v1
	s_andn2_b64 s[40:41], s[40:41], exec
	s_and_b64 s[44:45], vcc, exec
	s_or_b64 s[40:41], s[40:41], s[44:45]
	s_cbranch_execnz .LBB129_196
.LBB129_201:
	v_cmp_le_f32_e32 vcc, s11, v1
	s_andn2_b64 s[40:41], s[40:41], exec
	s_and_b64 s[42:43], vcc, exec
	s_or_b64 s[40:41], s[40:41], s[42:43]
	v_and_b32_e32 v1, 0xffff0000, v4
	s_cmp_lt_i32 s9, 1
	s_mov_b64 s[44:45], 0
	s_cbranch_scc0 .LBB129_197
.LBB129_202:
                                        ; implicit-def: $sgpr42_sgpr43
	s_mov_b64 s[46:47], 0
	s_cbranch_execnz .LBB129_206
	s_branch .LBB129_207
.LBB129_203:
	s_mov_b64 s[46:47], 0
                                        ; implicit-def: $sgpr42_sgpr43
	s_cbranch_execz .LBB129_205
; %bb.204:
	v_cmp_lt_f32_e32 vcc, s11, v1
	s_andn2_b64 s[42:43], s[42:43], exec
	s_and_b64 s[48:49], vcc, exec
	s_or_b64 s[42:43], s[42:43], s[48:49]
.LBB129_205:
	s_branch .LBB129_207
.LBB129_206:
	s_cmp_lg_u32 s9, 0
	s_mov_b64 s[44:45], -1
	s_cselect_b64 s[46:47], -1, 0
.LBB129_207:
	s_andn2_b64 vcc, exec, s[46:47]
	s_cbranch_vccz .LBB129_249
; %bb.208:
	s_andn2_b64 vcc, exec, s[44:45]
	s_cbranch_vccnz .LBB129_210
.LBB129_209:
	v_cmp_le_f32_e32 vcc, s11, v1
	s_andn2_b64 s[42:43], s[42:43], exec
	s_and_b64 s[44:45], vcc, exec
	s_or_b64 s[42:43], s[42:43], s[44:45]
.LBB129_210:
	v_cndmask_b32_e64 v1, 0, 1, s[4:5]
	v_lshlrev_b16_e32 v1, 8, v1
	v_cndmask_b32_e64 v2, 0, 1, s[0:1]
	v_or_b32_e32 v1, v2, v1
	v_cndmask_b32_e64 v2, 0, 1, s[16:17]
	v_lshlrev_b16_e32 v2, 8, v2
	v_cndmask_b32_e64 v3, 0, 1, s[6:7]
	v_or_b32_sdwa v2, v3, v2 dst_sel:WORD_1 dst_unused:UNUSED_PAD src0_sel:DWORD src1_sel:DWORD
	v_or_b32_sdwa v1, v1, v2 dst_sel:DWORD dst_unused:UNUSED_PAD src0_sel:WORD_0 src1_sel:DWORD
	v_cndmask_b32_e64 v2, 0, 1, s[20:21]
	v_lshlrev_b16_e32 v2, 8, v2
	v_cndmask_b32_e64 v3, 0, 1, s[18:19]
	v_or_b32_e32 v2, v3, v2
	v_cndmask_b32_e64 v3, 0, 1, s[24:25]
	v_lshlrev_b16_e32 v3, 8, v3
	v_cndmask_b32_e64 v4, 0, 1, s[22:23]
	v_or_b32_sdwa v3, v4, v3 dst_sel:WORD_1 dst_unused:UNUSED_PAD src0_sel:DWORD src1_sel:DWORD
	v_or_b32_sdwa v2, v2, v3 dst_sel:DWORD dst_unused:UNUSED_PAD src0_sel:WORD_0 src1_sel:DWORD
	;; [unrolled: 9-line block ×3, first 2 shown]
	v_cndmask_b32_e64 v4, 0, 1, s[38:39]
	v_lshlrev_b16_e32 v4, 8, v4
	v_cndmask_b32_e64 v5, 0, 1, s[36:37]
	v_or_b32_e32 v4, v5, v4
	v_cndmask_b32_e64 v5, 0, 1, s[42:43]
	v_lshlrev_b16_e32 v5, 8, v5
	v_cndmask_b32_e64 v6, 0, 1, s[40:41]
	v_or_b32_sdwa v5, v6, v5 dst_sel:WORD_1 dst_unused:UNUSED_PAD src0_sel:DWORD src1_sel:DWORD
	s_add_u32 s0, s12, s2
	v_or_b32_sdwa v4, v4, v5 dst_sel:DWORD dst_unused:UNUSED_PAD src0_sel:WORD_0 src1_sel:DWORD
	s_addc_u32 s1, s13, s3
	v_lshlrev_b32_e32 v5, 3, v0
	global_store_dwordx2 v5, v[1:2], s[0:1]
	global_store_dwordx2 v5, v[3:4], s[0:1] offset:2048
	s_mov_b64 s[0:1], 0
.LBB129_211:
	s_and_b64 vcc, exec, s[0:1]
	s_cbranch_vccz .LBB129_519
; %bb.212:
	v_cmp_gt_i32_e64 s[0:1], s8, v0
	v_mov_b32_e32 v21, 0
	v_or_b32_e32 v1, s2, v0
	v_mov_b32_e32 v7, 0
	v_mov_b32_e32 v2, v0
	s_and_saveexec_b64 s[4:5], s[0:1]
	s_cbranch_execz .LBB129_214
; %bb.213:
	v_mov_b32_e32 v2, 0
	v_lshlrev_b64 v[2:3], 1, v[1:2]
	v_mov_b32_e32 v4, s15
	v_add_co_u32_e32 v2, vcc, s14, v2
	v_addc_co_u32_e32 v3, vcc, v4, v3, vcc
	global_load_ushort v3, v[2:3], off
	v_or_b32_e32 v2, 0x100, v0
	s_waitcnt vmcnt(0)
	v_lshlrev_b32_e32 v7, 16, v3
.LBB129_214:
	s_or_b64 exec, exec, s[4:5]
	v_cmp_gt_i32_e32 vcc, s8, v2
	s_and_saveexec_b64 s[4:5], vcc
	s_cbranch_execz .LBB129_216
; %bb.215:
	v_add_u32_e32 v3, s2, v2
	v_mov_b32_e32 v4, 0
	v_lshlrev_b64 v[3:4], 1, v[3:4]
	v_mov_b32_e32 v5, s15
	v_add_co_u32_e32 v3, vcc, s14, v3
	v_addc_co_u32_e32 v4, vcc, v5, v4, vcc
	global_load_ushort v3, v[3:4], off
	v_add_u32_e32 v2, 0x100, v2
	s_waitcnt vmcnt(0)
	v_lshlrev_b32_e32 v21, 16, v3
.LBB129_216:
	s_or_b64 exec, exec, s[4:5]
	v_cmp_gt_i32_e32 vcc, s8, v2
	v_mov_b32_e32 v19, 0
	v_mov_b32_e32 v20, 0
	s_and_saveexec_b64 s[4:5], vcc
	s_cbranch_execz .LBB129_218
; %bb.217:
	v_add_u32_e32 v3, s2, v2
	v_mov_b32_e32 v4, 0
	v_lshlrev_b64 v[3:4], 1, v[3:4]
	v_mov_b32_e32 v5, s15
	v_add_co_u32_e32 v3, vcc, s14, v3
	v_addc_co_u32_e32 v4, vcc, v5, v4, vcc
	global_load_ushort v3, v[3:4], off
	v_add_u32_e32 v2, 0x100, v2
	s_waitcnt vmcnt(0)
	v_lshlrev_b32_e32 v20, 16, v3
.LBB129_218:
	s_or_b64 exec, exec, s[4:5]
	v_cmp_gt_i32_e32 vcc, s8, v2
	s_and_saveexec_b64 s[4:5], vcc
	s_cbranch_execz .LBB129_220
; %bb.219:
	v_add_u32_e32 v3, s2, v2
	v_mov_b32_e32 v4, 0
	v_lshlrev_b64 v[3:4], 1, v[3:4]
	v_mov_b32_e32 v5, s15
	v_add_co_u32_e32 v3, vcc, s14, v3
	v_addc_co_u32_e32 v4, vcc, v5, v4, vcc
	global_load_ushort v3, v[3:4], off
	v_add_u32_e32 v2, 0x100, v2
	s_waitcnt vmcnt(0)
	v_lshlrev_b32_e32 v19, 16, v3
.LBB129_220:
	s_or_b64 exec, exec, s[4:5]
	v_cmp_gt_i32_e32 vcc, s8, v2
	v_mov_b32_e32 v17, 0
	v_mov_b32_e32 v18, 0
	s_and_saveexec_b64 s[4:5], vcc
	s_cbranch_execz .LBB129_222
; %bb.221:
	v_add_u32_e32 v3, s2, v2
	v_mov_b32_e32 v4, 0
	v_lshlrev_b64 v[3:4], 1, v[3:4]
	v_mov_b32_e32 v5, s15
	v_add_co_u32_e32 v3, vcc, s14, v3
	v_addc_co_u32_e32 v4, vcc, v5, v4, vcc
	global_load_ushort v3, v[3:4], off
	v_add_u32_e32 v2, 0x100, v2
	s_waitcnt vmcnt(0)
	v_lshlrev_b32_e32 v18, 16, v3
.LBB129_222:
	;; [unrolled: 34-line block ×7, first 2 shown]
	s_or_b64 exec, exec, s[4:5]
	v_cmp_gt_i32_e32 vcc, s8, v2
	s_and_saveexec_b64 s[4:5], vcc
	s_cbranch_execz .LBB129_244
; %bb.243:
	v_add_u32_e32 v2, s2, v2
	v_mov_b32_e32 v3, 0
	v_lshlrev_b64 v[2:3], 1, v[2:3]
	v_mov_b32_e32 v4, s15
	v_add_co_u32_e32 v2, vcc, s14, v2
	v_addc_co_u32_e32 v3, vcc, v4, v3, vcc
	global_load_ushort v2, v[2:3], off
	s_waitcnt vmcnt(0)
	v_lshlrev_b32_e32 v4, 16, v2
.LBB129_244:
	s_or_b64 exec, exec, s[4:5]
	v_mov_b32_e32 v6, 0
	s_lshl_b32 s3, s10, 16
	v_mov_b32_e32 v5, v6
	v_mov_b32_e32 v3, v6
	;; [unrolled: 1-line block ×3, first 2 shown]
	s_and_saveexec_b64 s[4:5], s[0:1]
	s_cbranch_execz .LBB129_276
; %bb.245:
	s_cmp_lt_i32 s9, 1
	s_mov_b64 s[6:7], 0
	s_cbranch_scc1 .LBB129_250
; %bb.246:
	s_cmp_gt_i32 s9, 1
	s_cbranch_scc0 .LBB129_266
; %bb.247:
	s_cmp_eq_u32 s9, 2
	s_cbranch_scc0 .LBB129_267
; %bb.248:
	v_cmp_ge_f32_e64 s[10:11], s3, v7
	s_mov_b64 s[14:15], 0
	s_branch .LBB129_268
.LBB129_249:
	v_cmp_gt_f32_e32 vcc, s11, v1
	s_andn2_b64 s[42:43], s[42:43], exec
	s_and_b64 s[46:47], vcc, exec
	s_or_b64 s[42:43], s[42:43], s[46:47]
	s_cbranch_execz .LBB129_209
	s_branch .LBB129_210
.LBB129_250:
                                        ; implicit-def: $sgpr10_sgpr11
	s_mov_b64 s[14:15], 0
	s_cbranch_execnz .LBB129_271
	s_branch .LBB129_272
.LBB129_251:
	s_mov_b64 s[16:17], -1
                                        ; implicit-def: $sgpr4_sgpr5
	s_branch .LBB129_23
.LBB129_252:
	s_mov_b64 s[18:19], -1
                                        ; implicit-def: $sgpr6_sgpr7
	s_branch .LBB129_36
.LBB129_253:
	s_mov_b64 s[20:21], -1
                                        ; implicit-def: $sgpr16_sgpr17
	s_branch .LBB129_49
.LBB129_254:
	s_mov_b64 s[22:23], -1
                                        ; implicit-def: $sgpr18_sgpr19
	s_branch .LBB129_62
.LBB129_255:
	s_mov_b64 s[24:25], -1
                                        ; implicit-def: $sgpr20_sgpr21
	s_branch .LBB129_75
.LBB129_256:
	s_mov_b64 s[26:27], -1
                                        ; implicit-def: $sgpr22_sgpr23
	s_branch .LBB129_88
.LBB129_257:
	s_mov_b64 s[28:29], -1
                                        ; implicit-def: $sgpr24_sgpr25
	s_branch .LBB129_101
.LBB129_258:
	s_mov_b64 s[30:31], -1
                                        ; implicit-def: $sgpr26_sgpr27
	s_branch .LBB129_114
.LBB129_259:
	s_mov_b64 s[34:35], -1
                                        ; implicit-def: $sgpr28_sgpr29
	s_branch .LBB129_127
.LBB129_260:
	s_mov_b64 s[36:37], -1
                                        ; implicit-def: $sgpr30_sgpr31
	s_branch .LBB129_140
.LBB129_261:
	s_mov_b64 s[38:39], -1
                                        ; implicit-def: $sgpr34_sgpr35
	s_branch .LBB129_153
.LBB129_262:
	s_mov_b64 s[40:41], -1
                                        ; implicit-def: $sgpr36_sgpr37
	s_branch .LBB129_166
.LBB129_263:
	s_mov_b64 s[42:43], -1
                                        ; implicit-def: $sgpr38_sgpr39
	s_branch .LBB129_179
.LBB129_264:
	s_mov_b64 s[44:45], -1
                                        ; implicit-def: $sgpr40_sgpr41
	s_branch .LBB129_192
.LBB129_265:
	s_mov_b64 s[46:47], -1
                                        ; implicit-def: $sgpr42_sgpr43
	s_branch .LBB129_205
.LBB129_266:
	s_mov_b64 s[14:15], 0
                                        ; implicit-def: $sgpr10_sgpr11
	s_cbranch_execnz .LBB129_269
	s_branch .LBB129_270
.LBB129_267:
	s_mov_b64 s[14:15], -1
                                        ; implicit-def: $sgpr10_sgpr11
.LBB129_268:
	s_branch .LBB129_270
.LBB129_269:
	v_cmp_lt_f32_e32 vcc, s3, v7
	s_andn2_b64 s[10:11], s[10:11], exec
	s_and_b64 s[16:17], vcc, exec
	s_or_b64 s[10:11], s[10:11], s[16:17]
.LBB129_270:
	s_branch .LBB129_272
.LBB129_271:
	s_cmp_lg_u32 s9, 0
	s_mov_b64 s[6:7], -1
	s_cselect_b64 s[14:15], -1, 0
.LBB129_272:
	s_andn2_b64 vcc, exec, s[14:15]
	s_cbranch_vccz .LBB129_281
; %bb.273:
	s_andn2_b64 vcc, exec, s[6:7]
	s_cbranch_vccnz .LBB129_275
.LBB129_274:
	v_cmp_le_f32_e32 vcc, s3, v7
	s_andn2_b64 s[6:7], s[10:11], exec
	s_and_b64 s[10:11], vcc, exec
	s_or_b64 s[10:11], s[6:7], s[10:11]
.LBB129_275:
	v_cndmask_b32_e64 v2, 0, 1, s[10:11]
	v_mov_b32_e32 v5, 0
	v_and_b32_e32 v6, 0xffff, v2
	v_mov_b32_e32 v3, v5
	v_mov_b32_e32 v2, v5
.LBB129_276:
	s_or_b64 exec, exec, s[4:5]
	v_or_b32_e32 v7, 0x100, v0
	v_cmp_gt_i32_e32 vcc, s8, v7
	s_and_saveexec_b64 s[4:5], vcc
	s_cbranch_execz .LBB129_291
; %bb.277:
	s_cmp_lt_i32 s9, 1
	s_mov_b64 s[6:7], 0
	s_cbranch_scc1 .LBB129_282
; %bb.278:
	s_cmp_gt_i32 s9, 1
	s_cbranch_scc0 .LBB129_283
; %bb.279:
	s_cmp_eq_u32 s9, 2
	s_cbranch_scc0 .LBB129_535
; %bb.280:
	v_cmp_ge_f32_e64 s[10:11], s3, v21
	s_mov_b64 s[14:15], 0
	s_branch .LBB129_285
.LBB129_281:
	v_cmp_gt_f32_e32 vcc, s3, v7
	s_andn2_b64 s[10:11], s[10:11], exec
	s_and_b64 s[14:15], vcc, exec
	s_or_b64 s[10:11], s[10:11], s[14:15]
	s_cbranch_execz .LBB129_274
	s_branch .LBB129_275
.LBB129_282:
                                        ; implicit-def: $sgpr10_sgpr11
	s_mov_b64 s[14:15], 0
	s_cbranch_execnz .LBB129_286
	s_branch .LBB129_287
.LBB129_283:
	s_mov_b64 s[14:15], 0
                                        ; implicit-def: $sgpr10_sgpr11
	s_cbranch_execz .LBB129_285
; %bb.284:
	v_cmp_lt_f32_e32 vcc, s3, v21
	s_andn2_b64 s[10:11], s[10:11], exec
	s_and_b64 s[16:17], vcc, exec
	s_or_b64 s[10:11], s[10:11], s[16:17]
.LBB129_285:
	s_branch .LBB129_287
.LBB129_286:
	s_cmp_lg_u32 s9, 0
	s_mov_b64 s[6:7], -1
	s_cselect_b64 s[14:15], -1, 0
.LBB129_287:
	s_andn2_b64 vcc, exec, s[14:15]
	s_cbranch_vccz .LBB129_296
; %bb.288:
	s_andn2_b64 vcc, exec, s[6:7]
	s_cbranch_vccnz .LBB129_290
.LBB129_289:
	v_cmp_le_f32_e32 vcc, s3, v21
	s_andn2_b64 s[6:7], s[10:11], exec
	s_and_b64 s[10:11], vcc, exec
	s_or_b64 s[10:11], s[6:7], s[10:11]
.LBB129_290:
	v_cndmask_b32_e64 v21, 0, 1, s[10:11]
	v_lshlrev_b16_e32 v21, 8, v21
	v_or_b32_sdwa v21, v6, v21 dst_sel:DWORD dst_unused:UNUSED_PAD src0_sel:BYTE_0 src1_sel:DWORD
	v_and_b32_e32 v21, 0xffff, v21
	s_mov_b32 s6, 0xffff0000
	v_and_or_b32 v6, v6, s6, v21
.LBB129_291:
	s_or_b64 exec, exec, s[4:5]
	v_or_b32_e32 v21, 0x200, v0
	v_cmp_gt_i32_e32 vcc, s8, v21
	s_and_saveexec_b64 s[4:5], vcc
	s_cbranch_execz .LBB129_306
; %bb.292:
	s_cmp_lt_i32 s9, 1
	s_mov_b64 s[6:7], 0
	s_cbranch_scc1 .LBB129_297
; %bb.293:
	s_cmp_gt_i32 s9, 1
	s_cbranch_scc0 .LBB129_298
; %bb.294:
	s_cmp_eq_u32 s9, 2
	s_cbranch_scc0 .LBB129_536
; %bb.295:
	v_cmp_ge_f32_e64 s[10:11], s3, v20
	s_mov_b64 s[14:15], 0
	s_branch .LBB129_300
.LBB129_296:
	v_cmp_gt_f32_e32 vcc, s3, v21
	s_andn2_b64 s[10:11], s[10:11], exec
	s_and_b64 s[14:15], vcc, exec
	s_or_b64 s[10:11], s[10:11], s[14:15]
	s_cbranch_execz .LBB129_289
	s_branch .LBB129_290
.LBB129_297:
                                        ; implicit-def: $sgpr10_sgpr11
	s_mov_b64 s[14:15], 0
	s_cbranch_execnz .LBB129_301
	s_branch .LBB129_302
.LBB129_298:
	s_mov_b64 s[14:15], 0
                                        ; implicit-def: $sgpr10_sgpr11
	s_cbranch_execz .LBB129_300
; %bb.299:
	v_cmp_lt_f32_e32 vcc, s3, v20
	s_andn2_b64 s[10:11], s[10:11], exec
	s_and_b64 s[16:17], vcc, exec
	s_or_b64 s[10:11], s[10:11], s[16:17]
.LBB129_300:
	s_branch .LBB129_302
.LBB129_301:
	s_cmp_lg_u32 s9, 0
	s_mov_b64 s[6:7], -1
	s_cselect_b64 s[14:15], -1, 0
.LBB129_302:
	s_andn2_b64 vcc, exec, s[14:15]
	s_cbranch_vccz .LBB129_311
; %bb.303:
	s_andn2_b64 vcc, exec, s[6:7]
	s_cbranch_vccnz .LBB129_305
.LBB129_304:
	v_cmp_le_f32_e32 vcc, s3, v20
	s_andn2_b64 s[6:7], s[10:11], exec
	s_and_b64 s[10:11], vcc, exec
	s_or_b64 s[10:11], s[6:7], s[10:11]
.LBB129_305:
	s_movk_i32 s6, 0xff00
	v_and_b32_sdwa v20, v6, s6 dst_sel:DWORD dst_unused:UNUSED_PAD src0_sel:WORD_1 src1_sel:DWORD
	v_cndmask_b32_e64 v21, 0, 1, s[10:11]
	v_or_b32_sdwa v20, v21, v20 dst_sel:WORD_1 dst_unused:UNUSED_PAD src0_sel:DWORD src1_sel:DWORD
	s_mov_b32 s6, 0xffff
	v_and_or_b32 v6, v6, s6, v20
.LBB129_306:
	s_or_b64 exec, exec, s[4:5]
	v_or_b32_e32 v20, 0x300, v0
	v_cmp_gt_i32_e32 vcc, s8, v20
	s_and_saveexec_b64 s[4:5], vcc
	s_cbranch_execz .LBB129_321
; %bb.307:
	s_cmp_lt_i32 s9, 1
	s_mov_b64 s[6:7], 0
	s_cbranch_scc1 .LBB129_312
; %bb.308:
	s_cmp_gt_i32 s9, 1
	s_cbranch_scc0 .LBB129_313
; %bb.309:
	s_cmp_eq_u32 s9, 2
	s_cbranch_scc0 .LBB129_537
; %bb.310:
	v_cmp_ge_f32_e64 s[10:11], s3, v19
	s_mov_b64 s[14:15], 0
	s_branch .LBB129_315
.LBB129_311:
	v_cmp_gt_f32_e32 vcc, s3, v20
	s_andn2_b64 s[10:11], s[10:11], exec
	s_and_b64 s[14:15], vcc, exec
	s_or_b64 s[10:11], s[10:11], s[14:15]
	s_cbranch_execz .LBB129_304
	s_branch .LBB129_305
.LBB129_312:
                                        ; implicit-def: $sgpr10_sgpr11
	s_mov_b64 s[14:15], 0
	s_cbranch_execnz .LBB129_316
	s_branch .LBB129_317
.LBB129_313:
	s_mov_b64 s[14:15], 0
                                        ; implicit-def: $sgpr10_sgpr11
	s_cbranch_execz .LBB129_315
; %bb.314:
	v_cmp_lt_f32_e32 vcc, s3, v19
	s_andn2_b64 s[10:11], s[10:11], exec
	s_and_b64 s[16:17], vcc, exec
	s_or_b64 s[10:11], s[10:11], s[16:17]
.LBB129_315:
	s_branch .LBB129_317
.LBB129_316:
	s_cmp_lg_u32 s9, 0
	s_mov_b64 s[6:7], -1
	s_cselect_b64 s[14:15], -1, 0
.LBB129_317:
	s_andn2_b64 vcc, exec, s[14:15]
	s_cbranch_vccz .LBB129_326
; %bb.318:
	s_andn2_b64 vcc, exec, s[6:7]
	s_cbranch_vccnz .LBB129_320
.LBB129_319:
	v_cmp_le_f32_e32 vcc, s3, v19
	s_andn2_b64 s[6:7], s[10:11], exec
	s_and_b64 s[10:11], vcc, exec
	s_or_b64 s[10:11], s[6:7], s[10:11]
.LBB129_320:
	s_movk_i32 s6, 0xff
	v_cndmask_b32_e64 v20, 0, 1, s[10:11]
	v_and_b32_sdwa v19, v6, s6 dst_sel:DWORD dst_unused:UNUSED_PAD src0_sel:WORD_1 src1_sel:DWORD
	v_lshlrev_b16_e32 v20, 8, v20
	v_or_b32_sdwa v19, v19, v20 dst_sel:WORD_1 dst_unused:UNUSED_PAD src0_sel:DWORD src1_sel:DWORD
	s_mov_b32 s6, 0xffff
	v_and_or_b32 v6, v6, s6, v19
.LBB129_321:
	s_or_b64 exec, exec, s[4:5]
	v_or_b32_e32 v19, 0x400, v0
	v_cmp_gt_i32_e32 vcc, s8, v19
	s_and_saveexec_b64 s[4:5], vcc
	s_cbranch_execz .LBB129_336
; %bb.322:
	s_cmp_lt_i32 s9, 1
	s_mov_b64 s[6:7], 0
	s_cbranch_scc1 .LBB129_327
; %bb.323:
	s_cmp_gt_i32 s9, 1
	s_cbranch_scc0 .LBB129_328
; %bb.324:
	s_cmp_eq_u32 s9, 2
	s_cbranch_scc0 .LBB129_538
; %bb.325:
	v_cmp_ge_f32_e64 s[10:11], s3, v18
	s_mov_b64 s[14:15], 0
	s_branch .LBB129_330
.LBB129_326:
	v_cmp_gt_f32_e32 vcc, s3, v19
	s_andn2_b64 s[10:11], s[10:11], exec
	s_and_b64 s[14:15], vcc, exec
	s_or_b64 s[10:11], s[10:11], s[14:15]
	s_cbranch_execz .LBB129_319
	s_branch .LBB129_320
.LBB129_327:
                                        ; implicit-def: $sgpr10_sgpr11
	s_mov_b64 s[14:15], 0
	s_cbranch_execnz .LBB129_331
	s_branch .LBB129_332
.LBB129_328:
	s_mov_b64 s[14:15], 0
                                        ; implicit-def: $sgpr10_sgpr11
	s_cbranch_execz .LBB129_330
; %bb.329:
	v_cmp_lt_f32_e32 vcc, s3, v18
	s_andn2_b64 s[10:11], s[10:11], exec
	s_and_b64 s[16:17], vcc, exec
	s_or_b64 s[10:11], s[10:11], s[16:17]
.LBB129_330:
	s_branch .LBB129_332
.LBB129_331:
	s_cmp_lg_u32 s9, 0
	s_mov_b64 s[6:7], -1
	s_cselect_b64 s[14:15], -1, 0
.LBB129_332:
	s_andn2_b64 vcc, exec, s[14:15]
	s_cbranch_vccz .LBB129_341
; %bb.333:
	s_andn2_b64 vcc, exec, s[6:7]
	s_cbranch_vccnz .LBB129_335
.LBB129_334:
	v_cmp_le_f32_e32 vcc, s3, v18
	s_andn2_b64 s[6:7], s[10:11], exec
	s_and_b64 s[10:11], vcc, exec
	s_or_b64 s[10:11], s[6:7], s[10:11]
.LBB129_335:
	v_and_b32_e32 v18, 0xffffff00, v5
	v_cndmask_b32_e64 v19, 0, 1, s[10:11]
	v_or_b32_e32 v18, v19, v18
	v_and_b32_e32 v18, 0xffff, v18
	s_mov_b32 s6, 0xffff0000
	v_and_or_b32 v5, v5, s6, v18
.LBB129_336:
	s_or_b64 exec, exec, s[4:5]
	v_or_b32_e32 v18, 0x500, v0
	v_cmp_gt_i32_e32 vcc, s8, v18
	s_and_saveexec_b64 s[4:5], vcc
	s_cbranch_execz .LBB129_351
; %bb.337:
	s_cmp_lt_i32 s9, 1
	s_mov_b64 s[6:7], 0
	s_cbranch_scc1 .LBB129_342
; %bb.338:
	s_cmp_gt_i32 s9, 1
	s_cbranch_scc0 .LBB129_343
; %bb.339:
	s_cmp_eq_u32 s9, 2
	s_cbranch_scc0 .LBB129_539
; %bb.340:
	v_cmp_ge_f32_e64 s[10:11], s3, v17
	s_mov_b64 s[14:15], 0
	s_branch .LBB129_345
.LBB129_341:
	v_cmp_gt_f32_e32 vcc, s3, v18
	s_andn2_b64 s[10:11], s[10:11], exec
	s_and_b64 s[14:15], vcc, exec
	s_or_b64 s[10:11], s[10:11], s[14:15]
	s_cbranch_execz .LBB129_334
	s_branch .LBB129_335
.LBB129_342:
                                        ; implicit-def: $sgpr10_sgpr11
	s_mov_b64 s[14:15], 0
	s_cbranch_execnz .LBB129_346
	s_branch .LBB129_347
.LBB129_343:
	s_mov_b64 s[14:15], 0
                                        ; implicit-def: $sgpr10_sgpr11
	s_cbranch_execz .LBB129_345
; %bb.344:
	v_cmp_lt_f32_e32 vcc, s3, v17
	s_andn2_b64 s[10:11], s[10:11], exec
	s_and_b64 s[16:17], vcc, exec
	s_or_b64 s[10:11], s[10:11], s[16:17]
.LBB129_345:
	s_branch .LBB129_347
.LBB129_346:
	s_cmp_lg_u32 s9, 0
	s_mov_b64 s[6:7], -1
	s_cselect_b64 s[14:15], -1, 0
.LBB129_347:
	s_andn2_b64 vcc, exec, s[14:15]
	s_cbranch_vccz .LBB129_356
; %bb.348:
	s_andn2_b64 vcc, exec, s[6:7]
	s_cbranch_vccnz .LBB129_350
.LBB129_349:
	v_cmp_le_f32_e32 vcc, s3, v17
	s_andn2_b64 s[6:7], s[10:11], exec
	s_and_b64 s[10:11], vcc, exec
	s_or_b64 s[10:11], s[6:7], s[10:11]
.LBB129_350:
	v_cndmask_b32_e64 v17, 0, 1, s[10:11]
	v_lshlrev_b16_e32 v17, 8, v17
	v_or_b32_sdwa v17, v5, v17 dst_sel:DWORD dst_unused:UNUSED_PAD src0_sel:BYTE_0 src1_sel:DWORD
	v_and_b32_e32 v17, 0xffff, v17
	s_mov_b32 s6, 0xffff0000
	v_and_or_b32 v5, v5, s6, v17
.LBB129_351:
	s_or_b64 exec, exec, s[4:5]
	v_or_b32_e32 v17, 0x600, v0
	v_cmp_gt_i32_e32 vcc, s8, v17
	s_and_saveexec_b64 s[4:5], vcc
	s_cbranch_execz .LBB129_366
; %bb.352:
	s_cmp_lt_i32 s9, 1
	s_mov_b64 s[6:7], 0
	s_cbranch_scc1 .LBB129_357
; %bb.353:
	s_cmp_gt_i32 s9, 1
	s_cbranch_scc0 .LBB129_358
; %bb.354:
	s_cmp_eq_u32 s9, 2
	s_cbranch_scc0 .LBB129_540
; %bb.355:
	v_cmp_ge_f32_e64 s[10:11], s3, v16
	s_mov_b64 s[14:15], 0
	s_branch .LBB129_360
.LBB129_356:
	v_cmp_gt_f32_e32 vcc, s3, v17
	s_andn2_b64 s[10:11], s[10:11], exec
	s_and_b64 s[14:15], vcc, exec
	s_or_b64 s[10:11], s[10:11], s[14:15]
	s_cbranch_execz .LBB129_349
	s_branch .LBB129_350
.LBB129_357:
                                        ; implicit-def: $sgpr10_sgpr11
	s_mov_b64 s[14:15], 0
	s_cbranch_execnz .LBB129_361
	s_branch .LBB129_362
.LBB129_358:
	s_mov_b64 s[14:15], 0
                                        ; implicit-def: $sgpr10_sgpr11
	s_cbranch_execz .LBB129_360
; %bb.359:
	v_cmp_lt_f32_e32 vcc, s3, v16
	s_andn2_b64 s[10:11], s[10:11], exec
	s_and_b64 s[16:17], vcc, exec
	s_or_b64 s[10:11], s[10:11], s[16:17]
.LBB129_360:
	s_branch .LBB129_362
.LBB129_361:
	s_cmp_lg_u32 s9, 0
	s_mov_b64 s[6:7], -1
	s_cselect_b64 s[14:15], -1, 0
.LBB129_362:
	s_andn2_b64 vcc, exec, s[14:15]
	s_cbranch_vccz .LBB129_371
; %bb.363:
	s_andn2_b64 vcc, exec, s[6:7]
	s_cbranch_vccnz .LBB129_365
.LBB129_364:
	v_cmp_le_f32_e32 vcc, s3, v16
	s_andn2_b64 s[6:7], s[10:11], exec
	s_and_b64 s[10:11], vcc, exec
	s_or_b64 s[10:11], s[6:7], s[10:11]
.LBB129_365:
	s_movk_i32 s6, 0xff00
	v_and_b32_sdwa v16, v5, s6 dst_sel:DWORD dst_unused:UNUSED_PAD src0_sel:WORD_1 src1_sel:DWORD
	v_cndmask_b32_e64 v17, 0, 1, s[10:11]
	v_or_b32_sdwa v16, v17, v16 dst_sel:WORD_1 dst_unused:UNUSED_PAD src0_sel:DWORD src1_sel:DWORD
	s_mov_b32 s6, 0xffff
	v_and_or_b32 v5, v5, s6, v16
.LBB129_366:
	s_or_b64 exec, exec, s[4:5]
	v_or_b32_e32 v16, 0x700, v0
	v_cmp_gt_i32_e32 vcc, s8, v16
	s_and_saveexec_b64 s[4:5], vcc
	s_cbranch_execz .LBB129_381
; %bb.367:
	s_cmp_lt_i32 s9, 1
	s_mov_b64 s[6:7], 0
	s_cbranch_scc1 .LBB129_372
; %bb.368:
	s_cmp_gt_i32 s9, 1
	s_cbranch_scc0 .LBB129_373
; %bb.369:
	s_cmp_eq_u32 s9, 2
	s_cbranch_scc0 .LBB129_541
; %bb.370:
	v_cmp_ge_f32_e64 s[10:11], s3, v15
	s_mov_b64 s[14:15], 0
	s_branch .LBB129_375
.LBB129_371:
	v_cmp_gt_f32_e32 vcc, s3, v16
	s_andn2_b64 s[10:11], s[10:11], exec
	s_and_b64 s[14:15], vcc, exec
	s_or_b64 s[10:11], s[10:11], s[14:15]
	s_cbranch_execz .LBB129_364
	s_branch .LBB129_365
.LBB129_372:
                                        ; implicit-def: $sgpr10_sgpr11
	s_mov_b64 s[14:15], 0
	s_cbranch_execnz .LBB129_376
	s_branch .LBB129_377
.LBB129_373:
	s_mov_b64 s[14:15], 0
                                        ; implicit-def: $sgpr10_sgpr11
	s_cbranch_execz .LBB129_375
; %bb.374:
	v_cmp_lt_f32_e32 vcc, s3, v15
	s_andn2_b64 s[10:11], s[10:11], exec
	s_and_b64 s[16:17], vcc, exec
	s_or_b64 s[10:11], s[10:11], s[16:17]
.LBB129_375:
	s_branch .LBB129_377
.LBB129_376:
	s_cmp_lg_u32 s9, 0
	s_mov_b64 s[6:7], -1
	s_cselect_b64 s[14:15], -1, 0
.LBB129_377:
	s_andn2_b64 vcc, exec, s[14:15]
	s_cbranch_vccz .LBB129_386
; %bb.378:
	s_andn2_b64 vcc, exec, s[6:7]
	s_cbranch_vccnz .LBB129_380
.LBB129_379:
	v_cmp_le_f32_e32 vcc, s3, v15
	s_andn2_b64 s[6:7], s[10:11], exec
	s_and_b64 s[10:11], vcc, exec
	s_or_b64 s[10:11], s[6:7], s[10:11]
.LBB129_380:
	s_movk_i32 s6, 0xff
	v_cndmask_b32_e64 v16, 0, 1, s[10:11]
	v_and_b32_sdwa v15, v5, s6 dst_sel:DWORD dst_unused:UNUSED_PAD src0_sel:WORD_1 src1_sel:DWORD
	v_lshlrev_b16_e32 v16, 8, v16
	v_or_b32_sdwa v15, v15, v16 dst_sel:WORD_1 dst_unused:UNUSED_PAD src0_sel:DWORD src1_sel:DWORD
	s_mov_b32 s6, 0xffff
	v_and_or_b32 v5, v5, s6, v15
.LBB129_381:
	s_or_b64 exec, exec, s[4:5]
	v_or_b32_e32 v15, 0x800, v0
	v_cmp_gt_i32_e32 vcc, s8, v15
	s_and_saveexec_b64 s[4:5], vcc
	s_cbranch_execz .LBB129_396
; %bb.382:
	s_cmp_lt_i32 s9, 1
	s_mov_b64 s[6:7], 0
	s_cbranch_scc1 .LBB129_387
; %bb.383:
	s_cmp_gt_i32 s9, 1
	s_cbranch_scc0 .LBB129_388
; %bb.384:
	s_cmp_eq_u32 s9, 2
	s_cbranch_scc0 .LBB129_542
; %bb.385:
	v_cmp_ge_f32_e64 s[10:11], s3, v14
	s_mov_b64 s[14:15], 0
	s_branch .LBB129_390
.LBB129_386:
	v_cmp_gt_f32_e32 vcc, s3, v15
	s_andn2_b64 s[10:11], s[10:11], exec
	s_and_b64 s[14:15], vcc, exec
	s_or_b64 s[10:11], s[10:11], s[14:15]
	s_cbranch_execz .LBB129_379
	s_branch .LBB129_380
.LBB129_387:
                                        ; implicit-def: $sgpr10_sgpr11
	s_mov_b64 s[14:15], 0
	s_cbranch_execnz .LBB129_391
	s_branch .LBB129_392
.LBB129_388:
	s_mov_b64 s[14:15], 0
                                        ; implicit-def: $sgpr10_sgpr11
	s_cbranch_execz .LBB129_390
; %bb.389:
	v_cmp_lt_f32_e32 vcc, s3, v14
	s_andn2_b64 s[10:11], s[10:11], exec
	s_and_b64 s[16:17], vcc, exec
	s_or_b64 s[10:11], s[10:11], s[16:17]
.LBB129_390:
	s_branch .LBB129_392
.LBB129_391:
	s_cmp_lg_u32 s9, 0
	s_mov_b64 s[6:7], -1
	s_cselect_b64 s[14:15], -1, 0
.LBB129_392:
	s_andn2_b64 vcc, exec, s[14:15]
	s_cbranch_vccz .LBB129_401
; %bb.393:
	s_andn2_b64 vcc, exec, s[6:7]
	s_cbranch_vccnz .LBB129_395
.LBB129_394:
	v_cmp_le_f32_e32 vcc, s3, v14
	s_andn2_b64 s[6:7], s[10:11], exec
	s_and_b64 s[10:11], vcc, exec
	s_or_b64 s[10:11], s[6:7], s[10:11]
.LBB129_395:
	v_and_b32_e32 v14, 0xffffff00, v3
	v_cndmask_b32_e64 v15, 0, 1, s[10:11]
	v_or_b32_e32 v14, v15, v14
	v_and_b32_e32 v14, 0xffff, v14
	s_mov_b32 s6, 0xffff0000
	v_and_or_b32 v3, v3, s6, v14
.LBB129_396:
	s_or_b64 exec, exec, s[4:5]
	v_or_b32_e32 v14, 0x900, v0
	v_cmp_gt_i32_e32 vcc, s8, v14
	s_and_saveexec_b64 s[4:5], vcc
	s_cbranch_execz .LBB129_411
; %bb.397:
	s_cmp_lt_i32 s9, 1
	s_mov_b64 s[6:7], 0
	s_cbranch_scc1 .LBB129_402
; %bb.398:
	s_cmp_gt_i32 s9, 1
	s_cbranch_scc0 .LBB129_403
; %bb.399:
	s_cmp_eq_u32 s9, 2
	s_cbranch_scc0 .LBB129_543
; %bb.400:
	v_cmp_ge_f32_e64 s[10:11], s3, v13
	s_mov_b64 s[14:15], 0
	s_branch .LBB129_405
.LBB129_401:
	v_cmp_gt_f32_e32 vcc, s3, v14
	s_andn2_b64 s[10:11], s[10:11], exec
	s_and_b64 s[14:15], vcc, exec
	s_or_b64 s[10:11], s[10:11], s[14:15]
	s_cbranch_execz .LBB129_394
	s_branch .LBB129_395
.LBB129_402:
                                        ; implicit-def: $sgpr10_sgpr11
	s_mov_b64 s[14:15], 0
	s_cbranch_execnz .LBB129_406
	s_branch .LBB129_407
.LBB129_403:
	s_mov_b64 s[14:15], 0
                                        ; implicit-def: $sgpr10_sgpr11
	s_cbranch_execz .LBB129_405
; %bb.404:
	v_cmp_lt_f32_e32 vcc, s3, v13
	s_andn2_b64 s[10:11], s[10:11], exec
	s_and_b64 s[16:17], vcc, exec
	s_or_b64 s[10:11], s[10:11], s[16:17]
.LBB129_405:
	s_branch .LBB129_407
.LBB129_406:
	s_cmp_lg_u32 s9, 0
	s_mov_b64 s[6:7], -1
	s_cselect_b64 s[14:15], -1, 0
.LBB129_407:
	s_andn2_b64 vcc, exec, s[14:15]
	s_cbranch_vccz .LBB129_416
; %bb.408:
	s_andn2_b64 vcc, exec, s[6:7]
	s_cbranch_vccnz .LBB129_410
.LBB129_409:
	v_cmp_le_f32_e32 vcc, s3, v13
	s_andn2_b64 s[6:7], s[10:11], exec
	s_and_b64 s[10:11], vcc, exec
	s_or_b64 s[10:11], s[6:7], s[10:11]
.LBB129_410:
	v_cndmask_b32_e64 v13, 0, 1, s[10:11]
	v_lshlrev_b16_e32 v13, 8, v13
	v_or_b32_sdwa v13, v3, v13 dst_sel:DWORD dst_unused:UNUSED_PAD src0_sel:BYTE_0 src1_sel:DWORD
	v_and_b32_e32 v13, 0xffff, v13
	s_mov_b32 s6, 0xffff0000
	v_and_or_b32 v3, v3, s6, v13
.LBB129_411:
	s_or_b64 exec, exec, s[4:5]
	v_or_b32_e32 v13, 0xa00, v0
	v_cmp_gt_i32_e32 vcc, s8, v13
	s_and_saveexec_b64 s[4:5], vcc
	s_cbranch_execz .LBB129_426
; %bb.412:
	s_cmp_lt_i32 s9, 1
	s_mov_b64 s[6:7], 0
	s_cbranch_scc1 .LBB129_417
; %bb.413:
	s_cmp_gt_i32 s9, 1
	s_cbranch_scc0 .LBB129_418
; %bb.414:
	s_cmp_eq_u32 s9, 2
	s_cbranch_scc0 .LBB129_544
; %bb.415:
	v_cmp_ge_f32_e64 s[10:11], s3, v12
	s_mov_b64 s[14:15], 0
	s_branch .LBB129_420
.LBB129_416:
	v_cmp_gt_f32_e32 vcc, s3, v13
	s_andn2_b64 s[10:11], s[10:11], exec
	s_and_b64 s[14:15], vcc, exec
	s_or_b64 s[10:11], s[10:11], s[14:15]
	s_cbranch_execz .LBB129_409
	s_branch .LBB129_410
.LBB129_417:
                                        ; implicit-def: $sgpr10_sgpr11
	s_mov_b64 s[14:15], 0
	s_cbranch_execnz .LBB129_421
	s_branch .LBB129_422
.LBB129_418:
	s_mov_b64 s[14:15], 0
                                        ; implicit-def: $sgpr10_sgpr11
	s_cbranch_execz .LBB129_420
; %bb.419:
	v_cmp_lt_f32_e32 vcc, s3, v12
	s_andn2_b64 s[10:11], s[10:11], exec
	s_and_b64 s[16:17], vcc, exec
	s_or_b64 s[10:11], s[10:11], s[16:17]
.LBB129_420:
	s_branch .LBB129_422
.LBB129_421:
	s_cmp_lg_u32 s9, 0
	s_mov_b64 s[6:7], -1
	s_cselect_b64 s[14:15], -1, 0
.LBB129_422:
	s_andn2_b64 vcc, exec, s[14:15]
	s_cbranch_vccz .LBB129_431
; %bb.423:
	s_andn2_b64 vcc, exec, s[6:7]
	s_cbranch_vccnz .LBB129_425
.LBB129_424:
	v_cmp_le_f32_e32 vcc, s3, v12
	s_andn2_b64 s[6:7], s[10:11], exec
	s_and_b64 s[10:11], vcc, exec
	s_or_b64 s[10:11], s[6:7], s[10:11]
.LBB129_425:
	s_movk_i32 s6, 0xff00
	v_and_b32_sdwa v12, v3, s6 dst_sel:DWORD dst_unused:UNUSED_PAD src0_sel:WORD_1 src1_sel:DWORD
	v_cndmask_b32_e64 v13, 0, 1, s[10:11]
	v_or_b32_sdwa v12, v13, v12 dst_sel:WORD_1 dst_unused:UNUSED_PAD src0_sel:DWORD src1_sel:DWORD
	s_mov_b32 s6, 0xffff
	v_and_or_b32 v3, v3, s6, v12
.LBB129_426:
	s_or_b64 exec, exec, s[4:5]
	v_or_b32_e32 v12, 0xb00, v0
	v_cmp_gt_i32_e32 vcc, s8, v12
	s_and_saveexec_b64 s[4:5], vcc
	s_cbranch_execz .LBB129_441
; %bb.427:
	s_cmp_lt_i32 s9, 1
	s_mov_b64 s[6:7], 0
	s_cbranch_scc1 .LBB129_432
; %bb.428:
	s_cmp_gt_i32 s9, 1
	s_cbranch_scc0 .LBB129_433
; %bb.429:
	s_cmp_eq_u32 s9, 2
	s_cbranch_scc0 .LBB129_545
; %bb.430:
	v_cmp_ge_f32_e64 s[10:11], s3, v11
	s_mov_b64 s[14:15], 0
	s_branch .LBB129_435
.LBB129_431:
	v_cmp_gt_f32_e32 vcc, s3, v12
	s_andn2_b64 s[10:11], s[10:11], exec
	s_and_b64 s[14:15], vcc, exec
	s_or_b64 s[10:11], s[10:11], s[14:15]
	s_cbranch_execz .LBB129_424
	s_branch .LBB129_425
.LBB129_432:
                                        ; implicit-def: $sgpr10_sgpr11
	s_mov_b64 s[14:15], 0
	s_cbranch_execnz .LBB129_436
	s_branch .LBB129_437
.LBB129_433:
	s_mov_b64 s[14:15], 0
                                        ; implicit-def: $sgpr10_sgpr11
	s_cbranch_execz .LBB129_435
; %bb.434:
	v_cmp_lt_f32_e32 vcc, s3, v11
	s_andn2_b64 s[10:11], s[10:11], exec
	s_and_b64 s[16:17], vcc, exec
	s_or_b64 s[10:11], s[10:11], s[16:17]
.LBB129_435:
	s_branch .LBB129_437
.LBB129_436:
	s_cmp_lg_u32 s9, 0
	s_mov_b64 s[6:7], -1
	s_cselect_b64 s[14:15], -1, 0
.LBB129_437:
	s_andn2_b64 vcc, exec, s[14:15]
	s_cbranch_vccz .LBB129_446
; %bb.438:
	s_andn2_b64 vcc, exec, s[6:7]
	s_cbranch_vccnz .LBB129_440
.LBB129_439:
	v_cmp_le_f32_e32 vcc, s3, v11
	s_andn2_b64 s[6:7], s[10:11], exec
	s_and_b64 s[10:11], vcc, exec
	s_or_b64 s[10:11], s[6:7], s[10:11]
.LBB129_440:
	s_movk_i32 s6, 0xff
	v_cndmask_b32_e64 v12, 0, 1, s[10:11]
	v_and_b32_sdwa v11, v3, s6 dst_sel:DWORD dst_unused:UNUSED_PAD src0_sel:WORD_1 src1_sel:DWORD
	v_lshlrev_b16_e32 v12, 8, v12
	v_or_b32_sdwa v11, v11, v12 dst_sel:WORD_1 dst_unused:UNUSED_PAD src0_sel:DWORD src1_sel:DWORD
	s_mov_b32 s6, 0xffff
	v_and_or_b32 v3, v3, s6, v11
.LBB129_441:
	s_or_b64 exec, exec, s[4:5]
	v_or_b32_e32 v11, 0xc00, v0
	v_cmp_gt_i32_e32 vcc, s8, v11
	s_and_saveexec_b64 s[4:5], vcc
	s_cbranch_execz .LBB129_456
; %bb.442:
	s_cmp_lt_i32 s9, 1
	s_mov_b64 s[6:7], 0
	s_cbranch_scc1 .LBB129_447
; %bb.443:
	s_cmp_gt_i32 s9, 1
	s_cbranch_scc0 .LBB129_448
; %bb.444:
	s_cmp_eq_u32 s9, 2
	s_cbranch_scc0 .LBB129_546
; %bb.445:
	v_cmp_ge_f32_e64 s[10:11], s3, v10
	s_mov_b64 s[14:15], 0
	s_branch .LBB129_450
.LBB129_446:
	v_cmp_gt_f32_e32 vcc, s3, v11
	s_andn2_b64 s[10:11], s[10:11], exec
	s_and_b64 s[14:15], vcc, exec
	s_or_b64 s[10:11], s[10:11], s[14:15]
	s_cbranch_execz .LBB129_439
	s_branch .LBB129_440
.LBB129_447:
                                        ; implicit-def: $sgpr10_sgpr11
	s_mov_b64 s[14:15], 0
	s_cbranch_execnz .LBB129_451
	s_branch .LBB129_452
.LBB129_448:
	s_mov_b64 s[14:15], 0
                                        ; implicit-def: $sgpr10_sgpr11
	s_cbranch_execz .LBB129_450
; %bb.449:
	v_cmp_lt_f32_e32 vcc, s3, v10
	s_andn2_b64 s[10:11], s[10:11], exec
	s_and_b64 s[16:17], vcc, exec
	s_or_b64 s[10:11], s[10:11], s[16:17]
.LBB129_450:
	s_branch .LBB129_452
.LBB129_451:
	s_cmp_lg_u32 s9, 0
	s_mov_b64 s[6:7], -1
	s_cselect_b64 s[14:15], -1, 0
.LBB129_452:
	s_andn2_b64 vcc, exec, s[14:15]
	s_cbranch_vccz .LBB129_461
; %bb.453:
	s_andn2_b64 vcc, exec, s[6:7]
	s_cbranch_vccnz .LBB129_455
.LBB129_454:
	v_cmp_le_f32_e32 vcc, s3, v10
	s_andn2_b64 s[6:7], s[10:11], exec
	s_and_b64 s[10:11], vcc, exec
	s_or_b64 s[10:11], s[6:7], s[10:11]
.LBB129_455:
	v_and_b32_e32 v10, 0xffffff00, v2
	v_cndmask_b32_e64 v11, 0, 1, s[10:11]
	v_or_b32_e32 v10, v11, v10
	v_and_b32_e32 v10, 0xffff, v10
	s_mov_b32 s6, 0xffff0000
	v_and_or_b32 v2, v2, s6, v10
.LBB129_456:
	s_or_b64 exec, exec, s[4:5]
	v_or_b32_e32 v10, 0xd00, v0
	v_cmp_gt_i32_e32 vcc, s8, v10
	s_and_saveexec_b64 s[4:5], vcc
	s_cbranch_execz .LBB129_471
; %bb.457:
	s_cmp_lt_i32 s9, 1
	s_mov_b64 s[6:7], 0
	s_cbranch_scc1 .LBB129_462
; %bb.458:
	s_cmp_gt_i32 s9, 1
	s_cbranch_scc0 .LBB129_463
; %bb.459:
	s_cmp_eq_u32 s9, 2
	s_cbranch_scc0 .LBB129_547
; %bb.460:
	v_cmp_ge_f32_e64 s[10:11], s3, v9
	s_mov_b64 s[14:15], 0
	s_branch .LBB129_465
.LBB129_461:
	v_cmp_gt_f32_e32 vcc, s3, v10
	s_andn2_b64 s[10:11], s[10:11], exec
	s_and_b64 s[14:15], vcc, exec
	s_or_b64 s[10:11], s[10:11], s[14:15]
	s_cbranch_execz .LBB129_454
	s_branch .LBB129_455
.LBB129_462:
                                        ; implicit-def: $sgpr10_sgpr11
	s_mov_b64 s[14:15], 0
	s_cbranch_execnz .LBB129_466
	s_branch .LBB129_467
.LBB129_463:
	s_mov_b64 s[14:15], 0
                                        ; implicit-def: $sgpr10_sgpr11
	s_cbranch_execz .LBB129_465
; %bb.464:
	v_cmp_lt_f32_e32 vcc, s3, v9
	s_andn2_b64 s[10:11], s[10:11], exec
	s_and_b64 s[16:17], vcc, exec
	s_or_b64 s[10:11], s[10:11], s[16:17]
.LBB129_465:
	s_branch .LBB129_467
.LBB129_466:
	s_cmp_lg_u32 s9, 0
	s_mov_b64 s[6:7], -1
	s_cselect_b64 s[14:15], -1, 0
.LBB129_467:
	s_andn2_b64 vcc, exec, s[14:15]
	s_cbranch_vccz .LBB129_476
; %bb.468:
	s_andn2_b64 vcc, exec, s[6:7]
	s_cbranch_vccnz .LBB129_470
.LBB129_469:
	v_cmp_le_f32_e32 vcc, s3, v9
	s_andn2_b64 s[6:7], s[10:11], exec
	s_and_b64 s[10:11], vcc, exec
	s_or_b64 s[10:11], s[6:7], s[10:11]
.LBB129_470:
	v_cndmask_b32_e64 v9, 0, 1, s[10:11]
	v_lshlrev_b16_e32 v9, 8, v9
	v_or_b32_sdwa v9, v2, v9 dst_sel:DWORD dst_unused:UNUSED_PAD src0_sel:BYTE_0 src1_sel:DWORD
	v_and_b32_e32 v9, 0xffff, v9
	s_mov_b32 s6, 0xffff0000
	v_and_or_b32 v2, v2, s6, v9
.LBB129_471:
	s_or_b64 exec, exec, s[4:5]
	v_or_b32_e32 v9, 0xe00, v0
	v_cmp_gt_i32_e32 vcc, s8, v9
	s_and_saveexec_b64 s[4:5], vcc
	s_cbranch_execz .LBB129_486
; %bb.472:
	s_cmp_lt_i32 s9, 1
	s_mov_b64 s[6:7], 0
	s_cbranch_scc1 .LBB129_477
; %bb.473:
	s_cmp_gt_i32 s9, 1
	s_cbranch_scc0 .LBB129_478
; %bb.474:
	s_cmp_eq_u32 s9, 2
	s_cbranch_scc0 .LBB129_548
; %bb.475:
	v_cmp_ge_f32_e64 s[10:11], s3, v8
	s_mov_b64 s[14:15], 0
	s_branch .LBB129_480
.LBB129_476:
	v_cmp_gt_f32_e32 vcc, s3, v9
	s_andn2_b64 s[10:11], s[10:11], exec
	s_and_b64 s[14:15], vcc, exec
	s_or_b64 s[10:11], s[10:11], s[14:15]
	s_cbranch_execz .LBB129_469
	s_branch .LBB129_470
.LBB129_477:
                                        ; implicit-def: $sgpr10_sgpr11
	s_mov_b64 s[14:15], 0
	s_cbranch_execnz .LBB129_481
	s_branch .LBB129_482
.LBB129_478:
	s_mov_b64 s[14:15], 0
                                        ; implicit-def: $sgpr10_sgpr11
	s_cbranch_execz .LBB129_480
; %bb.479:
	v_cmp_lt_f32_e32 vcc, s3, v8
	s_andn2_b64 s[10:11], s[10:11], exec
	s_and_b64 s[16:17], vcc, exec
	s_or_b64 s[10:11], s[10:11], s[16:17]
.LBB129_480:
	s_branch .LBB129_482
.LBB129_481:
	s_cmp_lg_u32 s9, 0
	s_mov_b64 s[6:7], -1
	s_cselect_b64 s[14:15], -1, 0
.LBB129_482:
	s_andn2_b64 vcc, exec, s[14:15]
	s_cbranch_vccz .LBB129_491
; %bb.483:
	s_andn2_b64 vcc, exec, s[6:7]
	s_cbranch_vccnz .LBB129_485
.LBB129_484:
	v_cmp_le_f32_e32 vcc, s3, v8
	s_andn2_b64 s[6:7], s[10:11], exec
	s_and_b64 s[10:11], vcc, exec
	s_or_b64 s[10:11], s[6:7], s[10:11]
.LBB129_485:
	s_movk_i32 s6, 0xff00
	v_and_b32_sdwa v8, v2, s6 dst_sel:DWORD dst_unused:UNUSED_PAD src0_sel:WORD_1 src1_sel:DWORD
	v_cndmask_b32_e64 v9, 0, 1, s[10:11]
	v_or_b32_sdwa v8, v9, v8 dst_sel:WORD_1 dst_unused:UNUSED_PAD src0_sel:DWORD src1_sel:DWORD
	s_mov_b32 s6, 0xffff
	v_and_or_b32 v2, v2, s6, v8
.LBB129_486:
	s_or_b64 exec, exec, s[4:5]
	v_or_b32_e32 v8, 0xf00, v0
	v_cmp_gt_i32_e32 vcc, s8, v8
	s_and_saveexec_b64 s[4:5], vcc
	s_cbranch_execz .LBB129_501
; %bb.487:
	s_cmp_lt_i32 s9, 1
	s_mov_b64 s[6:7], 0
	s_cbranch_scc1 .LBB129_492
; %bb.488:
	s_cmp_gt_i32 s9, 1
	s_cbranch_scc0 .LBB129_493
; %bb.489:
	s_cmp_eq_u32 s9, 2
	s_cbranch_scc0 .LBB129_549
; %bb.490:
	v_cmp_ge_f32_e64 s[10:11], s3, v4
	s_mov_b64 s[14:15], 0
	s_branch .LBB129_495
.LBB129_491:
	v_cmp_gt_f32_e32 vcc, s3, v8
	s_andn2_b64 s[10:11], s[10:11], exec
	s_and_b64 s[14:15], vcc, exec
	s_or_b64 s[10:11], s[10:11], s[14:15]
	s_cbranch_execz .LBB129_484
	s_branch .LBB129_485
.LBB129_492:
                                        ; implicit-def: $sgpr10_sgpr11
	s_mov_b64 s[14:15], 0
	s_cbranch_execnz .LBB129_496
	s_branch .LBB129_497
.LBB129_493:
	s_mov_b64 s[14:15], 0
                                        ; implicit-def: $sgpr10_sgpr11
	s_cbranch_execz .LBB129_495
; %bb.494:
	v_cmp_lt_f32_e32 vcc, s3, v4
	s_andn2_b64 s[10:11], s[10:11], exec
	s_and_b64 s[16:17], vcc, exec
	s_or_b64 s[10:11], s[10:11], s[16:17]
.LBB129_495:
	s_branch .LBB129_497
.LBB129_496:
	s_cmp_lg_u32 s9, 0
	s_mov_b64 s[6:7], -1
	s_cselect_b64 s[14:15], -1, 0
.LBB129_497:
	s_andn2_b64 vcc, exec, s[14:15]
	s_cbranch_vccz .LBB129_534
; %bb.498:
	s_andn2_b64 vcc, exec, s[6:7]
	s_cbranch_vccnz .LBB129_500
.LBB129_499:
	v_cmp_le_f32_e32 vcc, s3, v4
	s_andn2_b64 s[6:7], s[10:11], exec
	s_and_b64 s[10:11], vcc, exec
	s_or_b64 s[10:11], s[6:7], s[10:11]
.LBB129_500:
	s_movk_i32 s3, 0xff
	v_cndmask_b32_e64 v8, 0, 1, s[10:11]
	v_and_b32_sdwa v4, v2, s3 dst_sel:DWORD dst_unused:UNUSED_PAD src0_sel:WORD_1 src1_sel:DWORD
	v_lshlrev_b16_e32 v8, 8, v8
	v_or_b32_sdwa v4, v4, v8 dst_sel:WORD_1 dst_unused:UNUSED_PAD src0_sel:DWORD src1_sel:DWORD
	s_mov_b32 s3, 0xffff
	v_and_or_b32 v2, v2, s3, v4
.LBB129_501:
	s_or_b64 exec, exec, s[4:5]
	s_and_saveexec_b64 s[4:5], s[0:1]
	s_xor_b64 s[0:1], exec, s[4:5]
	s_cbranch_execz .LBB129_503
; %bb.502:
	v_mov_b32_e32 v0, v7
	global_store_byte v1, v6, s[12:13]
.LBB129_503:
	s_or_b64 exec, exec, s[0:1]
	v_cmp_gt_i32_e32 vcc, s8, v0
	s_and_saveexec_b64 s[0:1], vcc
	s_cbranch_execnz .LBB129_520
; %bb.504:
	s_or_b64 exec, exec, s[0:1]
	v_cmp_gt_i32_e32 vcc, s8, v0
	s_and_saveexec_b64 s[0:1], vcc
	s_cbranch_execnz .LBB129_521
.LBB129_505:
	s_or_b64 exec, exec, s[0:1]
	v_cmp_gt_i32_e32 vcc, s8, v0
	s_and_saveexec_b64 s[0:1], vcc
	s_cbranch_execnz .LBB129_522
.LBB129_506:
	s_or_b64 exec, exec, s[0:1]
	v_cmp_gt_i32_e32 vcc, s8, v0
	s_and_saveexec_b64 s[0:1], vcc
	s_cbranch_execnz .LBB129_523
.LBB129_507:
	s_or_b64 exec, exec, s[0:1]
	v_cmp_gt_i32_e32 vcc, s8, v0
	s_and_saveexec_b64 s[0:1], vcc
	s_cbranch_execnz .LBB129_524
.LBB129_508:
	s_or_b64 exec, exec, s[0:1]
	v_cmp_gt_i32_e32 vcc, s8, v0
	s_and_saveexec_b64 s[0:1], vcc
	s_cbranch_execnz .LBB129_525
.LBB129_509:
	s_or_b64 exec, exec, s[0:1]
	v_cmp_gt_i32_e32 vcc, s8, v0
	s_and_saveexec_b64 s[0:1], vcc
	s_cbranch_execnz .LBB129_526
.LBB129_510:
	s_or_b64 exec, exec, s[0:1]
	v_cmp_gt_i32_e32 vcc, s8, v0
	s_and_saveexec_b64 s[0:1], vcc
	s_cbranch_execnz .LBB129_527
.LBB129_511:
	s_or_b64 exec, exec, s[0:1]
	v_cmp_gt_i32_e32 vcc, s8, v0
	s_and_saveexec_b64 s[0:1], vcc
	s_cbranch_execnz .LBB129_528
.LBB129_512:
	s_or_b64 exec, exec, s[0:1]
	v_cmp_gt_i32_e32 vcc, s8, v0
	s_and_saveexec_b64 s[0:1], vcc
	s_cbranch_execnz .LBB129_529
.LBB129_513:
	s_or_b64 exec, exec, s[0:1]
	v_cmp_gt_i32_e32 vcc, s8, v0
	s_and_saveexec_b64 s[0:1], vcc
	s_cbranch_execnz .LBB129_530
.LBB129_514:
	s_or_b64 exec, exec, s[0:1]
	v_cmp_gt_i32_e32 vcc, s8, v0
	s_and_saveexec_b64 s[0:1], vcc
	s_cbranch_execnz .LBB129_531
.LBB129_515:
	s_or_b64 exec, exec, s[0:1]
	v_cmp_gt_i32_e32 vcc, s8, v0
	s_and_saveexec_b64 s[0:1], vcc
	s_cbranch_execnz .LBB129_532
.LBB129_516:
	s_or_b64 exec, exec, s[0:1]
	v_cmp_gt_i32_e32 vcc, s8, v0
	s_and_saveexec_b64 s[0:1], vcc
	s_cbranch_execnz .LBB129_533
.LBB129_517:
	s_or_b64 exec, exec, s[0:1]
	v_cmp_gt_i32_e32 vcc, s8, v0
	s_and_saveexec_b64 s[0:1], vcc
	s_cbranch_execz .LBB129_519
.LBB129_518:
	v_lshrrev_b32_e32 v1, 24, v2
	v_add_u32_e32 v0, s2, v0
	global_store_byte v0, v1, s[12:13]
.LBB129_519:
	s_endpgm
.LBB129_520:
	v_lshrrev_b32_e32 v1, 8, v6
	v_add_u32_e32 v4, s2, v0
	v_add_u32_e32 v0, 0x100, v0
	global_store_byte v4, v1, s[12:13]
	s_or_b64 exec, exec, s[0:1]
	v_cmp_gt_i32_e32 vcc, s8, v0
	s_and_saveexec_b64 s[0:1], vcc
	s_cbranch_execz .LBB129_505
.LBB129_521:
	v_add_u32_e32 v1, s2, v0
	v_add_u32_e32 v0, 0x100, v0
	global_store_byte_d16_hi v1, v6, s[12:13]
	s_or_b64 exec, exec, s[0:1]
	v_cmp_gt_i32_e32 vcc, s8, v0
	s_and_saveexec_b64 s[0:1], vcc
	s_cbranch_execz .LBB129_506
.LBB129_522:
	v_lshrrev_b32_e32 v1, 24, v6
	v_add_u32_e32 v4, s2, v0
	v_add_u32_e32 v0, 0x100, v0
	global_store_byte v4, v1, s[12:13]
	s_or_b64 exec, exec, s[0:1]
	v_cmp_gt_i32_e32 vcc, s8, v0
	s_and_saveexec_b64 s[0:1], vcc
	s_cbranch_execz .LBB129_507
.LBB129_523:
	v_add_u32_e32 v1, s2, v0
	v_add_u32_e32 v0, 0x100, v0
	global_store_byte v1, v5, s[12:13]
	s_or_b64 exec, exec, s[0:1]
	v_cmp_gt_i32_e32 vcc, s8, v0
	s_and_saveexec_b64 s[0:1], vcc
	s_cbranch_execz .LBB129_508
.LBB129_524:
	v_lshrrev_b32_e32 v1, 8, v5
	v_add_u32_e32 v4, s2, v0
	v_add_u32_e32 v0, 0x100, v0
	global_store_byte v4, v1, s[12:13]
	s_or_b64 exec, exec, s[0:1]
	v_cmp_gt_i32_e32 vcc, s8, v0
	s_and_saveexec_b64 s[0:1], vcc
	s_cbranch_execz .LBB129_509
.LBB129_525:
	v_add_u32_e32 v1, s2, v0
	v_add_u32_e32 v0, 0x100, v0
	global_store_byte_d16_hi v1, v5, s[12:13]
	s_or_b64 exec, exec, s[0:1]
	v_cmp_gt_i32_e32 vcc, s8, v0
	s_and_saveexec_b64 s[0:1], vcc
	s_cbranch_execz .LBB129_510
.LBB129_526:
	v_lshrrev_b32_e32 v1, 24, v5
	v_add_u32_e32 v4, s2, v0
	v_add_u32_e32 v0, 0x100, v0
	global_store_byte v4, v1, s[12:13]
	s_or_b64 exec, exec, s[0:1]
	v_cmp_gt_i32_e32 vcc, s8, v0
	s_and_saveexec_b64 s[0:1], vcc
	s_cbranch_execz .LBB129_511
.LBB129_527:
	v_add_u32_e32 v1, s2, v0
	v_add_u32_e32 v0, 0x100, v0
	global_store_byte v1, v3, s[12:13]
	s_or_b64 exec, exec, s[0:1]
	v_cmp_gt_i32_e32 vcc, s8, v0
	s_and_saveexec_b64 s[0:1], vcc
	s_cbranch_execz .LBB129_512
.LBB129_528:
	v_lshrrev_b32_e32 v1, 8, v3
	v_add_u32_e32 v4, s2, v0
	v_add_u32_e32 v0, 0x100, v0
	global_store_byte v4, v1, s[12:13]
	s_or_b64 exec, exec, s[0:1]
	v_cmp_gt_i32_e32 vcc, s8, v0
	s_and_saveexec_b64 s[0:1], vcc
	s_cbranch_execz .LBB129_513
.LBB129_529:
	v_add_u32_e32 v1, s2, v0
	v_add_u32_e32 v0, 0x100, v0
	global_store_byte_d16_hi v1, v3, s[12:13]
	s_or_b64 exec, exec, s[0:1]
	v_cmp_gt_i32_e32 vcc, s8, v0
	s_and_saveexec_b64 s[0:1], vcc
	s_cbranch_execz .LBB129_514
.LBB129_530:
	v_lshrrev_b32_e32 v1, 24, v3
	v_add_u32_e32 v3, s2, v0
	v_add_u32_e32 v0, 0x100, v0
	global_store_byte v3, v1, s[12:13]
	s_or_b64 exec, exec, s[0:1]
	v_cmp_gt_i32_e32 vcc, s8, v0
	s_and_saveexec_b64 s[0:1], vcc
	s_cbranch_execz .LBB129_515
.LBB129_531:
	v_add_u32_e32 v1, s2, v0
	v_add_u32_e32 v0, 0x100, v0
	global_store_byte v1, v2, s[12:13]
	s_or_b64 exec, exec, s[0:1]
	v_cmp_gt_i32_e32 vcc, s8, v0
	s_and_saveexec_b64 s[0:1], vcc
	s_cbranch_execz .LBB129_516
.LBB129_532:
	v_lshrrev_b32_e32 v1, 8, v2
	v_add_u32_e32 v3, s2, v0
	v_add_u32_e32 v0, 0x100, v0
	global_store_byte v3, v1, s[12:13]
	s_or_b64 exec, exec, s[0:1]
	v_cmp_gt_i32_e32 vcc, s8, v0
	s_and_saveexec_b64 s[0:1], vcc
	s_cbranch_execz .LBB129_517
.LBB129_533:
	v_add_u32_e32 v1, s2, v0
	v_add_u32_e32 v0, 0x100, v0
	global_store_byte_d16_hi v1, v2, s[12:13]
	s_or_b64 exec, exec, s[0:1]
	v_cmp_gt_i32_e32 vcc, s8, v0
	s_and_saveexec_b64 s[0:1], vcc
	s_cbranch_execnz .LBB129_518
	s_branch .LBB129_519
.LBB129_534:
	v_cmp_gt_f32_e32 vcc, s3, v4
	s_andn2_b64 s[10:11], s[10:11], exec
	s_and_b64 s[14:15], vcc, exec
	s_or_b64 s[10:11], s[10:11], s[14:15]
	s_cbranch_execz .LBB129_499
	s_branch .LBB129_500
.LBB129_535:
	s_mov_b64 s[14:15], -1
                                        ; implicit-def: $sgpr10_sgpr11
	s_branch .LBB129_285
.LBB129_536:
	s_mov_b64 s[14:15], -1
                                        ; implicit-def: $sgpr10_sgpr11
	s_branch .LBB129_300
.LBB129_537:
	s_mov_b64 s[14:15], -1
                                        ; implicit-def: $sgpr10_sgpr11
	s_branch .LBB129_315
.LBB129_538:
	s_mov_b64 s[14:15], -1
                                        ; implicit-def: $sgpr10_sgpr11
	s_branch .LBB129_330
.LBB129_539:
	s_mov_b64 s[14:15], -1
                                        ; implicit-def: $sgpr10_sgpr11
	s_branch .LBB129_345
.LBB129_540:
	s_mov_b64 s[14:15], -1
                                        ; implicit-def: $sgpr10_sgpr11
	s_branch .LBB129_360
.LBB129_541:
	s_mov_b64 s[14:15], -1
                                        ; implicit-def: $sgpr10_sgpr11
	s_branch .LBB129_375
.LBB129_542:
	s_mov_b64 s[14:15], -1
                                        ; implicit-def: $sgpr10_sgpr11
	s_branch .LBB129_390
.LBB129_543:
	s_mov_b64 s[14:15], -1
                                        ; implicit-def: $sgpr10_sgpr11
	s_branch .LBB129_405
.LBB129_544:
	s_mov_b64 s[14:15], -1
                                        ; implicit-def: $sgpr10_sgpr11
	s_branch .LBB129_420
.LBB129_545:
	s_mov_b64 s[14:15], -1
                                        ; implicit-def: $sgpr10_sgpr11
	s_branch .LBB129_435
.LBB129_546:
	s_mov_b64 s[14:15], -1
                                        ; implicit-def: $sgpr10_sgpr11
	s_branch .LBB129_450
.LBB129_547:
	s_mov_b64 s[14:15], -1
                                        ; implicit-def: $sgpr10_sgpr11
	s_branch .LBB129_465
.LBB129_548:
	s_mov_b64 s[14:15], -1
                                        ; implicit-def: $sgpr10_sgpr11
	s_branch .LBB129_480
.LBB129_549:
	s_mov_b64 s[14:15], -1
                                        ; implicit-def: $sgpr10_sgpr11
	s_branch .LBB129_495
	.section	.rodata,"a",@progbits
	.p2align	6, 0x0
	.amdhsa_kernel _ZN2at6native29vectorized_elementwise_kernelILi8EZNS0_21compare_scalar_kernelIN3c108BFloat16EEEvRNS_18TensorIteratorBaseENS0_12_GLOBAL__N_16OpTypeET_EUlS4_E_St5arrayIPcLm2EEEEviT0_T1_
		.amdhsa_group_segment_fixed_size 0
		.amdhsa_private_segment_fixed_size 0
		.amdhsa_kernarg_size 32
		.amdhsa_user_sgpr_count 6
		.amdhsa_user_sgpr_private_segment_buffer 1
		.amdhsa_user_sgpr_dispatch_ptr 0
		.amdhsa_user_sgpr_queue_ptr 0
		.amdhsa_user_sgpr_kernarg_segment_ptr 1
		.amdhsa_user_sgpr_dispatch_id 0
		.amdhsa_user_sgpr_flat_scratch_init 0
		.amdhsa_user_sgpr_private_segment_size 0
		.amdhsa_uses_dynamic_stack 0
		.amdhsa_system_sgpr_private_segment_wavefront_offset 0
		.amdhsa_system_sgpr_workgroup_id_x 1
		.amdhsa_system_sgpr_workgroup_id_y 0
		.amdhsa_system_sgpr_workgroup_id_z 0
		.amdhsa_system_sgpr_workgroup_info 0
		.amdhsa_system_vgpr_workitem_id 0
		.amdhsa_next_free_vgpr 22
		.amdhsa_next_free_sgpr 50
		.amdhsa_reserve_vcc 1
		.amdhsa_reserve_flat_scratch 0
		.amdhsa_float_round_mode_32 0
		.amdhsa_float_round_mode_16_64 0
		.amdhsa_float_denorm_mode_32 3
		.amdhsa_float_denorm_mode_16_64 3
		.amdhsa_dx10_clamp 1
		.amdhsa_ieee_mode 1
		.amdhsa_fp16_overflow 0
		.amdhsa_exception_fp_ieee_invalid_op 0
		.amdhsa_exception_fp_denorm_src 0
		.amdhsa_exception_fp_ieee_div_zero 0
		.amdhsa_exception_fp_ieee_overflow 0
		.amdhsa_exception_fp_ieee_underflow 0
		.amdhsa_exception_fp_ieee_inexact 0
		.amdhsa_exception_int_div_zero 0
	.end_amdhsa_kernel
	.section	.text._ZN2at6native29vectorized_elementwise_kernelILi8EZNS0_21compare_scalar_kernelIN3c108BFloat16EEEvRNS_18TensorIteratorBaseENS0_12_GLOBAL__N_16OpTypeET_EUlS4_E_St5arrayIPcLm2EEEEviT0_T1_,"axG",@progbits,_ZN2at6native29vectorized_elementwise_kernelILi8EZNS0_21compare_scalar_kernelIN3c108BFloat16EEEvRNS_18TensorIteratorBaseENS0_12_GLOBAL__N_16OpTypeET_EUlS4_E_St5arrayIPcLm2EEEEviT0_T1_,comdat
.Lfunc_end129:
	.size	_ZN2at6native29vectorized_elementwise_kernelILi8EZNS0_21compare_scalar_kernelIN3c108BFloat16EEEvRNS_18TensorIteratorBaseENS0_12_GLOBAL__N_16OpTypeET_EUlS4_E_St5arrayIPcLm2EEEEviT0_T1_, .Lfunc_end129-_ZN2at6native29vectorized_elementwise_kernelILi8EZNS0_21compare_scalar_kernelIN3c108BFloat16EEEvRNS_18TensorIteratorBaseENS0_12_GLOBAL__N_16OpTypeET_EUlS4_E_St5arrayIPcLm2EEEEviT0_T1_
                                        ; -- End function
	.set _ZN2at6native29vectorized_elementwise_kernelILi8EZNS0_21compare_scalar_kernelIN3c108BFloat16EEEvRNS_18TensorIteratorBaseENS0_12_GLOBAL__N_16OpTypeET_EUlS4_E_St5arrayIPcLm2EEEEviT0_T1_.num_vgpr, 22
	.set _ZN2at6native29vectorized_elementwise_kernelILi8EZNS0_21compare_scalar_kernelIN3c108BFloat16EEEvRNS_18TensorIteratorBaseENS0_12_GLOBAL__N_16OpTypeET_EUlS4_E_St5arrayIPcLm2EEEEviT0_T1_.num_agpr, 0
	.set _ZN2at6native29vectorized_elementwise_kernelILi8EZNS0_21compare_scalar_kernelIN3c108BFloat16EEEvRNS_18TensorIteratorBaseENS0_12_GLOBAL__N_16OpTypeET_EUlS4_E_St5arrayIPcLm2EEEEviT0_T1_.numbered_sgpr, 50
	.set _ZN2at6native29vectorized_elementwise_kernelILi8EZNS0_21compare_scalar_kernelIN3c108BFloat16EEEvRNS_18TensorIteratorBaseENS0_12_GLOBAL__N_16OpTypeET_EUlS4_E_St5arrayIPcLm2EEEEviT0_T1_.num_named_barrier, 0
	.set _ZN2at6native29vectorized_elementwise_kernelILi8EZNS0_21compare_scalar_kernelIN3c108BFloat16EEEvRNS_18TensorIteratorBaseENS0_12_GLOBAL__N_16OpTypeET_EUlS4_E_St5arrayIPcLm2EEEEviT0_T1_.private_seg_size, 0
	.set _ZN2at6native29vectorized_elementwise_kernelILi8EZNS0_21compare_scalar_kernelIN3c108BFloat16EEEvRNS_18TensorIteratorBaseENS0_12_GLOBAL__N_16OpTypeET_EUlS4_E_St5arrayIPcLm2EEEEviT0_T1_.uses_vcc, 1
	.set _ZN2at6native29vectorized_elementwise_kernelILi8EZNS0_21compare_scalar_kernelIN3c108BFloat16EEEvRNS_18TensorIteratorBaseENS0_12_GLOBAL__N_16OpTypeET_EUlS4_E_St5arrayIPcLm2EEEEviT0_T1_.uses_flat_scratch, 0
	.set _ZN2at6native29vectorized_elementwise_kernelILi8EZNS0_21compare_scalar_kernelIN3c108BFloat16EEEvRNS_18TensorIteratorBaseENS0_12_GLOBAL__N_16OpTypeET_EUlS4_E_St5arrayIPcLm2EEEEviT0_T1_.has_dyn_sized_stack, 0
	.set _ZN2at6native29vectorized_elementwise_kernelILi8EZNS0_21compare_scalar_kernelIN3c108BFloat16EEEvRNS_18TensorIteratorBaseENS0_12_GLOBAL__N_16OpTypeET_EUlS4_E_St5arrayIPcLm2EEEEviT0_T1_.has_recursion, 0
	.set _ZN2at6native29vectorized_elementwise_kernelILi8EZNS0_21compare_scalar_kernelIN3c108BFloat16EEEvRNS_18TensorIteratorBaseENS0_12_GLOBAL__N_16OpTypeET_EUlS4_E_St5arrayIPcLm2EEEEviT0_T1_.has_indirect_call, 0
	.section	.AMDGPU.csdata,"",@progbits
; Kernel info:
; codeLenInByte = 8892
; TotalNumSgprs: 54
; NumVgprs: 22
; ScratchSize: 0
; MemoryBound: 0
; FloatMode: 240
; IeeeMode: 1
; LDSByteSize: 0 bytes/workgroup (compile time only)
; SGPRBlocks: 6
; VGPRBlocks: 5
; NumSGPRsForWavesPerEU: 54
; NumVGPRsForWavesPerEU: 22
; Occupancy: 10
; WaveLimiterHint : 1
; COMPUTE_PGM_RSRC2:SCRATCH_EN: 0
; COMPUTE_PGM_RSRC2:USER_SGPR: 6
; COMPUTE_PGM_RSRC2:TRAP_HANDLER: 0
; COMPUTE_PGM_RSRC2:TGID_X_EN: 1
; COMPUTE_PGM_RSRC2:TGID_Y_EN: 0
; COMPUTE_PGM_RSRC2:TGID_Z_EN: 0
; COMPUTE_PGM_RSRC2:TIDIG_COMP_CNT: 0
	.section	.text._ZN2at6native29vectorized_elementwise_kernelILi4EZNS0_21compare_scalar_kernelIN3c108BFloat16EEEvRNS_18TensorIteratorBaseENS0_12_GLOBAL__N_16OpTypeET_EUlS4_E_St5arrayIPcLm2EEEEviT0_T1_,"axG",@progbits,_ZN2at6native29vectorized_elementwise_kernelILi4EZNS0_21compare_scalar_kernelIN3c108BFloat16EEEvRNS_18TensorIteratorBaseENS0_12_GLOBAL__N_16OpTypeET_EUlS4_E_St5arrayIPcLm2EEEEviT0_T1_,comdat
	.globl	_ZN2at6native29vectorized_elementwise_kernelILi4EZNS0_21compare_scalar_kernelIN3c108BFloat16EEEvRNS_18TensorIteratorBaseENS0_12_GLOBAL__N_16OpTypeET_EUlS4_E_St5arrayIPcLm2EEEEviT0_T1_ ; -- Begin function _ZN2at6native29vectorized_elementwise_kernelILi4EZNS0_21compare_scalar_kernelIN3c108BFloat16EEEvRNS_18TensorIteratorBaseENS0_12_GLOBAL__N_16OpTypeET_EUlS4_E_St5arrayIPcLm2EEEEviT0_T1_
	.p2align	8
	.type	_ZN2at6native29vectorized_elementwise_kernelILi4EZNS0_21compare_scalar_kernelIN3c108BFloat16EEEvRNS_18TensorIteratorBaseENS0_12_GLOBAL__N_16OpTypeET_EUlS4_E_St5arrayIPcLm2EEEEviT0_T1_,@function
_ZN2at6native29vectorized_elementwise_kernelILi4EZNS0_21compare_scalar_kernelIN3c108BFloat16EEEvRNS_18TensorIteratorBaseENS0_12_GLOBAL__N_16OpTypeET_EUlS4_E_St5arrayIPcLm2EEEEviT0_T1_: ; @_ZN2at6native29vectorized_elementwise_kernelILi4EZNS0_21compare_scalar_kernelIN3c108BFloat16EEEvRNS_18TensorIteratorBaseENS0_12_GLOBAL__N_16OpTypeET_EUlS4_E_St5arrayIPcLm2EEEEviT0_T1_
; %bb.0:
	s_load_dwordx8 s[8:15], s[4:5], 0x0
	s_lshl_b32 s2, s6, 12
	s_mov_b64 s[0:1], -1
	s_waitcnt lgkmcnt(0)
	s_sub_i32 s8, s8, s2
	s_cmpk_gt_i32 s8, 0xfff
	s_cbranch_scc0 .LBB130_211
; %bb.1:
	s_ashr_i32 s3, s2, 31
	s_lshl_b64 s[0:1], s[2:3], 1
	s_add_u32 s0, s14, s0
	s_addc_u32 s1, s15, s1
	v_lshlrev_b32_e32 v11, 3, v0
	v_mov_b32_e32 v1, s1
	v_add_co_u32_e32 v2, vcc, s0, v11
	v_addc_co_u32_e32 v1, vcc, 0, v1, vcc
	v_add_co_u32_e32 v9, vcc, 0x1000, v2
	v_addc_co_u32_e32 v10, vcc, 0, v1, vcc
	global_load_dwordx2 v[7:8], v11, s[0:1]
	global_load_dwordx2 v[5:6], v11, s[0:1] offset:2048
	global_load_dwordx2 v[3:4], v[9:10], off
	global_load_dwordx2 v[1:2], v[9:10], off offset:2048
	s_lshl_b32 s11, s10, 16
	s_cmp_lt_i32 s9, 1
	s_mov_b64 s[4:5], 0
	s_waitcnt vmcnt(3)
	v_lshlrev_b32_e32 v9, 16, v7
	s_cbranch_scc1 .LBB130_5
; %bb.2:
	s_cmp_gt_i32 s9, 1
	s_cbranch_scc0 .LBB130_6
; %bb.3:
	s_cmp_eq_u32 s9, 2
	s_cbranch_scc0 .LBB130_7
; %bb.4:
	v_cmp_ge_f32_e64 s[0:1], s11, v9
	s_mov_b64 s[6:7], 0
	s_branch .LBB130_8
.LBB130_5:
                                        ; implicit-def: $sgpr0_sgpr1
	s_mov_b64 s[6:7], 0
	s_cbranch_execnz .LBB130_11
	s_branch .LBB130_12
.LBB130_6:
	s_mov_b64 s[6:7], 0
                                        ; implicit-def: $sgpr0_sgpr1
	s_cbranch_execnz .LBB130_9
	s_branch .LBB130_10
.LBB130_7:
	s_mov_b64 s[6:7], -1
                                        ; implicit-def: $sgpr0_sgpr1
.LBB130_8:
	s_branch .LBB130_10
.LBB130_9:
	v_cmp_lt_f32_e32 vcc, s11, v9
	s_andn2_b64 s[0:1], s[0:1], exec
	s_and_b64 s[16:17], vcc, exec
	s_or_b64 s[0:1], s[0:1], s[16:17]
.LBB130_10:
	s_branch .LBB130_12
.LBB130_11:
	s_cmp_lg_u32 s9, 0
	s_mov_b64 s[4:5], -1
	s_cselect_b64 s[6:7], -1, 0
.LBB130_12:
	s_andn2_b64 vcc, exec, s[6:7]
	s_cbranch_vccz .LBB130_18
; %bb.13:
	s_andn2_b64 vcc, exec, s[4:5]
	s_cbranch_vccz .LBB130_19
.LBB130_14:
	v_and_b32_e32 v7, 0xffff0000, v7
	s_cmp_lt_i32 s9, 1
	s_mov_b64 s[6:7], 0
	s_cbranch_scc1 .LBB130_20
.LBB130_15:
	s_cmp_gt_i32 s9, 1
	s_cbranch_scc0 .LBB130_21
; %bb.16:
	s_cmp_eq_u32 s9, 2
	s_cbranch_scc0 .LBB130_251
; %bb.17:
	v_cmp_ge_f32_e64 s[4:5], s11, v7
	s_mov_b64 s[16:17], 0
	s_branch .LBB130_23
.LBB130_18:
	v_cmp_gt_f32_e32 vcc, s11, v9
	s_andn2_b64 s[0:1], s[0:1], exec
	s_and_b64 s[6:7], vcc, exec
	s_or_b64 s[0:1], s[0:1], s[6:7]
	s_cbranch_execnz .LBB130_14
.LBB130_19:
	v_cmp_le_f32_e32 vcc, s11, v9
	s_andn2_b64 s[0:1], s[0:1], exec
	s_and_b64 s[4:5], vcc, exec
	s_or_b64 s[0:1], s[0:1], s[4:5]
	v_and_b32_e32 v7, 0xffff0000, v7
	s_cmp_lt_i32 s9, 1
	s_mov_b64 s[6:7], 0
	s_cbranch_scc0 .LBB130_15
.LBB130_20:
                                        ; implicit-def: $sgpr4_sgpr5
	s_mov_b64 s[16:17], 0
	s_cbranch_execnz .LBB130_24
	s_branch .LBB130_25
.LBB130_21:
	s_mov_b64 s[16:17], 0
                                        ; implicit-def: $sgpr4_sgpr5
	s_cbranch_execz .LBB130_23
; %bb.22:
	v_cmp_lt_f32_e32 vcc, s11, v7
	s_andn2_b64 s[4:5], s[4:5], exec
	s_and_b64 s[18:19], vcc, exec
	s_or_b64 s[4:5], s[4:5], s[18:19]
.LBB130_23:
	s_branch .LBB130_25
.LBB130_24:
	s_cmp_lg_u32 s9, 0
	s_mov_b64 s[6:7], -1
	s_cselect_b64 s[16:17], -1, 0
.LBB130_25:
	s_andn2_b64 vcc, exec, s[16:17]
	s_cbranch_vccz .LBB130_31
; %bb.26:
	s_andn2_b64 vcc, exec, s[6:7]
	s_cbranch_vccz .LBB130_32
.LBB130_27:
	v_lshlrev_b32_e32 v7, 16, v8
	s_cmp_lt_i32 s9, 1
	s_mov_b64 s[16:17], 0
	s_cbranch_scc1 .LBB130_33
.LBB130_28:
	s_cmp_gt_i32 s9, 1
	s_cbranch_scc0 .LBB130_34
; %bb.29:
	s_cmp_eq_u32 s9, 2
	s_cbranch_scc0 .LBB130_252
; %bb.30:
	v_cmp_ge_f32_e64 s[6:7], s11, v7
	s_mov_b64 s[18:19], 0
	s_branch .LBB130_36
.LBB130_31:
	v_cmp_gt_f32_e32 vcc, s11, v7
	s_andn2_b64 s[4:5], s[4:5], exec
	s_and_b64 s[16:17], vcc, exec
	s_or_b64 s[4:5], s[4:5], s[16:17]
	s_cbranch_execnz .LBB130_27
.LBB130_32:
	v_cmp_le_f32_e32 vcc, s11, v7
	s_andn2_b64 s[4:5], s[4:5], exec
	s_and_b64 s[6:7], vcc, exec
	s_or_b64 s[4:5], s[4:5], s[6:7]
	v_lshlrev_b32_e32 v7, 16, v8
	s_cmp_lt_i32 s9, 1
	s_mov_b64 s[16:17], 0
	s_cbranch_scc0 .LBB130_28
.LBB130_33:
                                        ; implicit-def: $sgpr6_sgpr7
	s_mov_b64 s[18:19], 0
	s_cbranch_execnz .LBB130_37
	s_branch .LBB130_38
.LBB130_34:
	s_mov_b64 s[18:19], 0
                                        ; implicit-def: $sgpr6_sgpr7
	s_cbranch_execz .LBB130_36
; %bb.35:
	v_cmp_lt_f32_e32 vcc, s11, v7
	s_andn2_b64 s[6:7], s[6:7], exec
	s_and_b64 s[20:21], vcc, exec
	s_or_b64 s[6:7], s[6:7], s[20:21]
.LBB130_36:
	s_branch .LBB130_38
.LBB130_37:
	s_cmp_lg_u32 s9, 0
	s_mov_b64 s[16:17], -1
	s_cselect_b64 s[18:19], -1, 0
.LBB130_38:
	s_andn2_b64 vcc, exec, s[18:19]
	s_cbranch_vccz .LBB130_44
; %bb.39:
	s_andn2_b64 vcc, exec, s[16:17]
	s_cbranch_vccz .LBB130_45
.LBB130_40:
	v_and_b32_e32 v7, 0xffff0000, v8
	s_cmp_lt_i32 s9, 1
	s_mov_b64 s[18:19], 0
	s_cbranch_scc1 .LBB130_46
.LBB130_41:
	s_cmp_gt_i32 s9, 1
	s_cbranch_scc0 .LBB130_47
; %bb.42:
	s_cmp_eq_u32 s9, 2
	s_cbranch_scc0 .LBB130_253
; %bb.43:
	v_cmp_ge_f32_e64 s[16:17], s11, v7
	s_mov_b64 s[20:21], 0
	s_branch .LBB130_49
.LBB130_44:
	v_cmp_gt_f32_e32 vcc, s11, v7
	s_andn2_b64 s[6:7], s[6:7], exec
	s_and_b64 s[18:19], vcc, exec
	s_or_b64 s[6:7], s[6:7], s[18:19]
	s_cbranch_execnz .LBB130_40
.LBB130_45:
	v_cmp_le_f32_e32 vcc, s11, v7
	s_andn2_b64 s[6:7], s[6:7], exec
	s_and_b64 s[16:17], vcc, exec
	s_or_b64 s[6:7], s[6:7], s[16:17]
	v_and_b32_e32 v7, 0xffff0000, v8
	s_cmp_lt_i32 s9, 1
	s_mov_b64 s[18:19], 0
	s_cbranch_scc0 .LBB130_41
.LBB130_46:
                                        ; implicit-def: $sgpr16_sgpr17
	s_mov_b64 s[20:21], 0
	s_cbranch_execnz .LBB130_50
	s_branch .LBB130_51
.LBB130_47:
	s_mov_b64 s[20:21], 0
                                        ; implicit-def: $sgpr16_sgpr17
	s_cbranch_execz .LBB130_49
; %bb.48:
	v_cmp_lt_f32_e32 vcc, s11, v7
	s_andn2_b64 s[16:17], s[16:17], exec
	s_and_b64 s[22:23], vcc, exec
	s_or_b64 s[16:17], s[16:17], s[22:23]
.LBB130_49:
	s_branch .LBB130_51
.LBB130_50:
	s_cmp_lg_u32 s9, 0
	s_mov_b64 s[18:19], -1
	s_cselect_b64 s[20:21], -1, 0
.LBB130_51:
	s_andn2_b64 vcc, exec, s[20:21]
	s_cbranch_vccz .LBB130_57
; %bb.52:
	s_andn2_b64 vcc, exec, s[18:19]
	s_cbranch_vccz .LBB130_58
.LBB130_53:
	s_waitcnt vmcnt(2)
	v_lshlrev_b32_e32 v7, 16, v5
	s_cmp_lt_i32 s9, 1
	s_mov_b64 s[20:21], 0
	s_cbranch_scc1 .LBB130_59
.LBB130_54:
	s_cmp_gt_i32 s9, 1
	s_cbranch_scc0 .LBB130_60
; %bb.55:
	s_cmp_eq_u32 s9, 2
	s_cbranch_scc0 .LBB130_254
; %bb.56:
	v_cmp_ge_f32_e64 s[18:19], s11, v7
	s_mov_b64 s[22:23], 0
	s_branch .LBB130_62
.LBB130_57:
	v_cmp_gt_f32_e32 vcc, s11, v7
	s_andn2_b64 s[16:17], s[16:17], exec
	s_and_b64 s[20:21], vcc, exec
	s_or_b64 s[16:17], s[16:17], s[20:21]
	s_cbranch_execnz .LBB130_53
.LBB130_58:
	v_cmp_le_f32_e32 vcc, s11, v7
	s_andn2_b64 s[16:17], s[16:17], exec
	s_and_b64 s[18:19], vcc, exec
	s_or_b64 s[16:17], s[16:17], s[18:19]
	s_waitcnt vmcnt(2)
	v_lshlrev_b32_e32 v7, 16, v5
	s_cmp_lt_i32 s9, 1
	s_mov_b64 s[20:21], 0
	s_cbranch_scc0 .LBB130_54
.LBB130_59:
                                        ; implicit-def: $sgpr18_sgpr19
	s_mov_b64 s[22:23], 0
	s_cbranch_execnz .LBB130_63
	s_branch .LBB130_64
.LBB130_60:
	s_mov_b64 s[22:23], 0
                                        ; implicit-def: $sgpr18_sgpr19
	s_cbranch_execz .LBB130_62
; %bb.61:
	v_cmp_lt_f32_e32 vcc, s11, v7
	s_andn2_b64 s[18:19], s[18:19], exec
	s_and_b64 s[24:25], vcc, exec
	s_or_b64 s[18:19], s[18:19], s[24:25]
.LBB130_62:
	s_branch .LBB130_64
.LBB130_63:
	s_cmp_lg_u32 s9, 0
	s_mov_b64 s[20:21], -1
	s_cselect_b64 s[22:23], -1, 0
.LBB130_64:
	s_andn2_b64 vcc, exec, s[22:23]
	s_cbranch_vccz .LBB130_70
; %bb.65:
	s_andn2_b64 vcc, exec, s[20:21]
	s_cbranch_vccz .LBB130_71
.LBB130_66:
	v_and_b32_e32 v5, 0xffff0000, v5
	s_cmp_lt_i32 s9, 1
	s_mov_b64 s[22:23], 0
	s_cbranch_scc1 .LBB130_72
.LBB130_67:
	s_cmp_gt_i32 s9, 1
	s_cbranch_scc0 .LBB130_73
; %bb.68:
	s_cmp_eq_u32 s9, 2
	s_cbranch_scc0 .LBB130_255
; %bb.69:
	v_cmp_ge_f32_e64 s[20:21], s11, v5
	s_mov_b64 s[24:25], 0
	s_branch .LBB130_75
.LBB130_70:
	v_cmp_gt_f32_e32 vcc, s11, v7
	s_andn2_b64 s[18:19], s[18:19], exec
	s_and_b64 s[22:23], vcc, exec
	s_or_b64 s[18:19], s[18:19], s[22:23]
	s_cbranch_execnz .LBB130_66
.LBB130_71:
	v_cmp_le_f32_e32 vcc, s11, v7
	s_andn2_b64 s[18:19], s[18:19], exec
	s_and_b64 s[20:21], vcc, exec
	s_or_b64 s[18:19], s[18:19], s[20:21]
	v_and_b32_e32 v5, 0xffff0000, v5
	s_cmp_lt_i32 s9, 1
	s_mov_b64 s[22:23], 0
	s_cbranch_scc0 .LBB130_67
.LBB130_72:
                                        ; implicit-def: $sgpr20_sgpr21
	s_mov_b64 s[24:25], 0
	s_cbranch_execnz .LBB130_76
	s_branch .LBB130_77
.LBB130_73:
	s_mov_b64 s[24:25], 0
                                        ; implicit-def: $sgpr20_sgpr21
	s_cbranch_execz .LBB130_75
; %bb.74:
	v_cmp_lt_f32_e32 vcc, s11, v5
	s_andn2_b64 s[20:21], s[20:21], exec
	s_and_b64 s[26:27], vcc, exec
	s_or_b64 s[20:21], s[20:21], s[26:27]
.LBB130_75:
	s_branch .LBB130_77
.LBB130_76:
	s_cmp_lg_u32 s9, 0
	s_mov_b64 s[22:23], -1
	s_cselect_b64 s[24:25], -1, 0
.LBB130_77:
	s_andn2_b64 vcc, exec, s[24:25]
	s_cbranch_vccz .LBB130_83
; %bb.78:
	s_andn2_b64 vcc, exec, s[22:23]
	s_cbranch_vccz .LBB130_84
.LBB130_79:
	v_lshlrev_b32_e32 v5, 16, v6
	s_cmp_lt_i32 s9, 1
	s_mov_b64 s[24:25], 0
	s_cbranch_scc1 .LBB130_85
.LBB130_80:
	s_cmp_gt_i32 s9, 1
	s_cbranch_scc0 .LBB130_86
; %bb.81:
	s_cmp_eq_u32 s9, 2
	s_cbranch_scc0 .LBB130_256
; %bb.82:
	v_cmp_ge_f32_e64 s[22:23], s11, v5
	s_mov_b64 s[26:27], 0
	s_branch .LBB130_88
.LBB130_83:
	v_cmp_gt_f32_e32 vcc, s11, v5
	s_andn2_b64 s[20:21], s[20:21], exec
	s_and_b64 s[24:25], vcc, exec
	s_or_b64 s[20:21], s[20:21], s[24:25]
	s_cbranch_execnz .LBB130_79
.LBB130_84:
	v_cmp_le_f32_e32 vcc, s11, v5
	s_andn2_b64 s[20:21], s[20:21], exec
	s_and_b64 s[22:23], vcc, exec
	s_or_b64 s[20:21], s[20:21], s[22:23]
	v_lshlrev_b32_e32 v5, 16, v6
	s_cmp_lt_i32 s9, 1
	s_mov_b64 s[24:25], 0
	s_cbranch_scc0 .LBB130_80
.LBB130_85:
                                        ; implicit-def: $sgpr22_sgpr23
	s_mov_b64 s[26:27], 0
	s_cbranch_execnz .LBB130_89
	s_branch .LBB130_90
.LBB130_86:
	s_mov_b64 s[26:27], 0
                                        ; implicit-def: $sgpr22_sgpr23
	s_cbranch_execz .LBB130_88
; %bb.87:
	v_cmp_lt_f32_e32 vcc, s11, v5
	s_andn2_b64 s[22:23], s[22:23], exec
	s_and_b64 s[28:29], vcc, exec
	s_or_b64 s[22:23], s[22:23], s[28:29]
.LBB130_88:
	s_branch .LBB130_90
.LBB130_89:
	s_cmp_lg_u32 s9, 0
	s_mov_b64 s[24:25], -1
	s_cselect_b64 s[26:27], -1, 0
.LBB130_90:
	s_andn2_b64 vcc, exec, s[26:27]
	s_cbranch_vccz .LBB130_96
; %bb.91:
	s_andn2_b64 vcc, exec, s[24:25]
	s_cbranch_vccz .LBB130_97
.LBB130_92:
	v_and_b32_e32 v5, 0xffff0000, v6
	s_cmp_lt_i32 s9, 1
	s_mov_b64 s[26:27], 0
	s_cbranch_scc1 .LBB130_98
.LBB130_93:
	s_cmp_gt_i32 s9, 1
	s_cbranch_scc0 .LBB130_99
; %bb.94:
	s_cmp_eq_u32 s9, 2
	s_cbranch_scc0 .LBB130_257
; %bb.95:
	v_cmp_ge_f32_e64 s[24:25], s11, v5
	s_mov_b64 s[28:29], 0
	s_branch .LBB130_101
.LBB130_96:
	v_cmp_gt_f32_e32 vcc, s11, v5
	s_andn2_b64 s[22:23], s[22:23], exec
	s_and_b64 s[26:27], vcc, exec
	s_or_b64 s[22:23], s[22:23], s[26:27]
	s_cbranch_execnz .LBB130_92
.LBB130_97:
	v_cmp_le_f32_e32 vcc, s11, v5
	s_andn2_b64 s[22:23], s[22:23], exec
	s_and_b64 s[24:25], vcc, exec
	s_or_b64 s[22:23], s[22:23], s[24:25]
	v_and_b32_e32 v5, 0xffff0000, v6
	s_cmp_lt_i32 s9, 1
	s_mov_b64 s[26:27], 0
	s_cbranch_scc0 .LBB130_93
.LBB130_98:
                                        ; implicit-def: $sgpr24_sgpr25
	s_mov_b64 s[28:29], 0
	s_cbranch_execnz .LBB130_102
	s_branch .LBB130_103
.LBB130_99:
	s_mov_b64 s[28:29], 0
                                        ; implicit-def: $sgpr24_sgpr25
	s_cbranch_execz .LBB130_101
; %bb.100:
	v_cmp_lt_f32_e32 vcc, s11, v5
	s_andn2_b64 s[24:25], s[24:25], exec
	s_and_b64 s[30:31], vcc, exec
	s_or_b64 s[24:25], s[24:25], s[30:31]
.LBB130_101:
	s_branch .LBB130_103
.LBB130_102:
	s_cmp_lg_u32 s9, 0
	s_mov_b64 s[26:27], -1
	s_cselect_b64 s[28:29], -1, 0
.LBB130_103:
	s_andn2_b64 vcc, exec, s[28:29]
	s_cbranch_vccz .LBB130_109
; %bb.104:
	s_andn2_b64 vcc, exec, s[26:27]
	s_cbranch_vccz .LBB130_110
.LBB130_105:
	s_waitcnt vmcnt(1)
	v_lshlrev_b32_e32 v5, 16, v3
	s_cmp_lt_i32 s9, 1
	s_mov_b64 s[28:29], 0
	s_cbranch_scc1 .LBB130_111
.LBB130_106:
	s_cmp_gt_i32 s9, 1
	s_cbranch_scc0 .LBB130_112
; %bb.107:
	s_cmp_eq_u32 s9, 2
	s_cbranch_scc0 .LBB130_258
; %bb.108:
	v_cmp_ge_f32_e64 s[26:27], s11, v5
	s_mov_b64 s[30:31], 0
	s_branch .LBB130_114
.LBB130_109:
	v_cmp_gt_f32_e32 vcc, s11, v5
	s_andn2_b64 s[24:25], s[24:25], exec
	s_and_b64 s[28:29], vcc, exec
	s_or_b64 s[24:25], s[24:25], s[28:29]
	s_cbranch_execnz .LBB130_105
.LBB130_110:
	v_cmp_le_f32_e32 vcc, s11, v5
	s_andn2_b64 s[24:25], s[24:25], exec
	s_and_b64 s[26:27], vcc, exec
	s_or_b64 s[24:25], s[24:25], s[26:27]
	s_waitcnt vmcnt(1)
	v_lshlrev_b32_e32 v5, 16, v3
	s_cmp_lt_i32 s9, 1
	s_mov_b64 s[28:29], 0
	s_cbranch_scc0 .LBB130_106
.LBB130_111:
                                        ; implicit-def: $sgpr26_sgpr27
	s_mov_b64 s[30:31], 0
	s_cbranch_execnz .LBB130_115
	s_branch .LBB130_116
.LBB130_112:
	s_mov_b64 s[30:31], 0
                                        ; implicit-def: $sgpr26_sgpr27
	s_cbranch_execz .LBB130_114
; %bb.113:
	v_cmp_lt_f32_e32 vcc, s11, v5
	s_andn2_b64 s[26:27], s[26:27], exec
	s_and_b64 s[34:35], vcc, exec
	s_or_b64 s[26:27], s[26:27], s[34:35]
.LBB130_114:
	s_branch .LBB130_116
.LBB130_115:
	s_cmp_lg_u32 s9, 0
	s_mov_b64 s[28:29], -1
	s_cselect_b64 s[30:31], -1, 0
.LBB130_116:
	s_andn2_b64 vcc, exec, s[30:31]
	s_cbranch_vccz .LBB130_122
; %bb.117:
	s_andn2_b64 vcc, exec, s[28:29]
	s_cbranch_vccz .LBB130_123
.LBB130_118:
	v_and_b32_e32 v3, 0xffff0000, v3
	s_cmp_lt_i32 s9, 1
	s_mov_b64 s[30:31], 0
	s_cbranch_scc1 .LBB130_124
.LBB130_119:
	s_cmp_gt_i32 s9, 1
	s_cbranch_scc0 .LBB130_125
; %bb.120:
	s_cmp_eq_u32 s9, 2
	s_cbranch_scc0 .LBB130_259
; %bb.121:
	v_cmp_ge_f32_e64 s[28:29], s11, v3
	s_mov_b64 s[34:35], 0
	s_branch .LBB130_127
.LBB130_122:
	v_cmp_gt_f32_e32 vcc, s11, v5
	s_andn2_b64 s[26:27], s[26:27], exec
	s_and_b64 s[30:31], vcc, exec
	s_or_b64 s[26:27], s[26:27], s[30:31]
	s_cbranch_execnz .LBB130_118
.LBB130_123:
	v_cmp_le_f32_e32 vcc, s11, v5
	s_andn2_b64 s[26:27], s[26:27], exec
	s_and_b64 s[28:29], vcc, exec
	s_or_b64 s[26:27], s[26:27], s[28:29]
	v_and_b32_e32 v3, 0xffff0000, v3
	s_cmp_lt_i32 s9, 1
	s_mov_b64 s[30:31], 0
	s_cbranch_scc0 .LBB130_119
.LBB130_124:
                                        ; implicit-def: $sgpr28_sgpr29
	s_mov_b64 s[34:35], 0
	s_cbranch_execnz .LBB130_128
	s_branch .LBB130_129
.LBB130_125:
	s_mov_b64 s[34:35], 0
                                        ; implicit-def: $sgpr28_sgpr29
	s_cbranch_execz .LBB130_127
; %bb.126:
	v_cmp_lt_f32_e32 vcc, s11, v3
	s_andn2_b64 s[28:29], s[28:29], exec
	s_and_b64 s[36:37], vcc, exec
	s_or_b64 s[28:29], s[28:29], s[36:37]
.LBB130_127:
	s_branch .LBB130_129
.LBB130_128:
	s_cmp_lg_u32 s9, 0
	s_mov_b64 s[30:31], -1
	s_cselect_b64 s[34:35], -1, 0
.LBB130_129:
	s_andn2_b64 vcc, exec, s[34:35]
	s_cbranch_vccz .LBB130_135
; %bb.130:
	s_andn2_b64 vcc, exec, s[30:31]
	s_cbranch_vccz .LBB130_136
.LBB130_131:
	v_lshlrev_b32_e32 v3, 16, v4
	s_cmp_lt_i32 s9, 1
	s_mov_b64 s[34:35], 0
	s_cbranch_scc1 .LBB130_137
.LBB130_132:
	s_cmp_gt_i32 s9, 1
	s_cbranch_scc0 .LBB130_138
; %bb.133:
	s_cmp_eq_u32 s9, 2
	s_cbranch_scc0 .LBB130_260
; %bb.134:
	v_cmp_ge_f32_e64 s[30:31], s11, v3
	s_mov_b64 s[36:37], 0
	s_branch .LBB130_140
.LBB130_135:
	v_cmp_gt_f32_e32 vcc, s11, v3
	s_andn2_b64 s[28:29], s[28:29], exec
	s_and_b64 s[34:35], vcc, exec
	s_or_b64 s[28:29], s[28:29], s[34:35]
	s_cbranch_execnz .LBB130_131
.LBB130_136:
	v_cmp_le_f32_e32 vcc, s11, v3
	s_andn2_b64 s[28:29], s[28:29], exec
	s_and_b64 s[30:31], vcc, exec
	s_or_b64 s[28:29], s[28:29], s[30:31]
	v_lshlrev_b32_e32 v3, 16, v4
	s_cmp_lt_i32 s9, 1
	s_mov_b64 s[34:35], 0
	s_cbranch_scc0 .LBB130_132
.LBB130_137:
                                        ; implicit-def: $sgpr30_sgpr31
	s_mov_b64 s[36:37], 0
	s_cbranch_execnz .LBB130_141
	s_branch .LBB130_142
.LBB130_138:
	s_mov_b64 s[36:37], 0
                                        ; implicit-def: $sgpr30_sgpr31
	s_cbranch_execz .LBB130_140
; %bb.139:
	v_cmp_lt_f32_e32 vcc, s11, v3
	s_andn2_b64 s[30:31], s[30:31], exec
	s_and_b64 s[38:39], vcc, exec
	s_or_b64 s[30:31], s[30:31], s[38:39]
.LBB130_140:
	s_branch .LBB130_142
.LBB130_141:
	s_cmp_lg_u32 s9, 0
	s_mov_b64 s[34:35], -1
	s_cselect_b64 s[36:37], -1, 0
.LBB130_142:
	s_andn2_b64 vcc, exec, s[36:37]
	s_cbranch_vccz .LBB130_148
; %bb.143:
	s_andn2_b64 vcc, exec, s[34:35]
	s_cbranch_vccz .LBB130_149
.LBB130_144:
	v_and_b32_e32 v3, 0xffff0000, v4
	s_cmp_lt_i32 s9, 1
	s_mov_b64 s[36:37], 0
	s_cbranch_scc1 .LBB130_150
.LBB130_145:
	s_cmp_gt_i32 s9, 1
	s_cbranch_scc0 .LBB130_151
; %bb.146:
	s_cmp_eq_u32 s9, 2
	s_cbranch_scc0 .LBB130_261
; %bb.147:
	v_cmp_ge_f32_e64 s[34:35], s11, v3
	s_mov_b64 s[38:39], 0
	s_branch .LBB130_153
.LBB130_148:
	v_cmp_gt_f32_e32 vcc, s11, v3
	s_andn2_b64 s[30:31], s[30:31], exec
	s_and_b64 s[36:37], vcc, exec
	s_or_b64 s[30:31], s[30:31], s[36:37]
	s_cbranch_execnz .LBB130_144
.LBB130_149:
	v_cmp_le_f32_e32 vcc, s11, v3
	s_andn2_b64 s[30:31], s[30:31], exec
	s_and_b64 s[34:35], vcc, exec
	s_or_b64 s[30:31], s[30:31], s[34:35]
	v_and_b32_e32 v3, 0xffff0000, v4
	s_cmp_lt_i32 s9, 1
	s_mov_b64 s[36:37], 0
	s_cbranch_scc0 .LBB130_145
.LBB130_150:
                                        ; implicit-def: $sgpr34_sgpr35
	s_mov_b64 s[38:39], 0
	s_cbranch_execnz .LBB130_154
	s_branch .LBB130_155
.LBB130_151:
	s_mov_b64 s[38:39], 0
                                        ; implicit-def: $sgpr34_sgpr35
	s_cbranch_execz .LBB130_153
; %bb.152:
	v_cmp_lt_f32_e32 vcc, s11, v3
	s_andn2_b64 s[34:35], s[34:35], exec
	s_and_b64 s[40:41], vcc, exec
	s_or_b64 s[34:35], s[34:35], s[40:41]
.LBB130_153:
	s_branch .LBB130_155
.LBB130_154:
	s_cmp_lg_u32 s9, 0
	s_mov_b64 s[36:37], -1
	s_cselect_b64 s[38:39], -1, 0
.LBB130_155:
	s_andn2_b64 vcc, exec, s[38:39]
	s_cbranch_vccz .LBB130_161
; %bb.156:
	s_andn2_b64 vcc, exec, s[36:37]
	s_cbranch_vccz .LBB130_162
.LBB130_157:
	s_waitcnt vmcnt(0)
	v_lshlrev_b32_e32 v3, 16, v1
	s_cmp_lt_i32 s9, 1
	s_mov_b64 s[38:39], 0
	s_cbranch_scc1 .LBB130_163
.LBB130_158:
	s_cmp_gt_i32 s9, 1
	s_cbranch_scc0 .LBB130_164
; %bb.159:
	s_cmp_eq_u32 s9, 2
	s_cbranch_scc0 .LBB130_262
; %bb.160:
	v_cmp_ge_f32_e64 s[36:37], s11, v3
	s_mov_b64 s[40:41], 0
	s_branch .LBB130_166
.LBB130_161:
	v_cmp_gt_f32_e32 vcc, s11, v3
	s_andn2_b64 s[34:35], s[34:35], exec
	s_and_b64 s[38:39], vcc, exec
	s_or_b64 s[34:35], s[34:35], s[38:39]
	s_cbranch_execnz .LBB130_157
.LBB130_162:
	v_cmp_le_f32_e32 vcc, s11, v3
	s_andn2_b64 s[34:35], s[34:35], exec
	s_and_b64 s[36:37], vcc, exec
	s_or_b64 s[34:35], s[34:35], s[36:37]
	s_waitcnt vmcnt(0)
	v_lshlrev_b32_e32 v3, 16, v1
	s_cmp_lt_i32 s9, 1
	s_mov_b64 s[38:39], 0
	s_cbranch_scc0 .LBB130_158
.LBB130_163:
                                        ; implicit-def: $sgpr36_sgpr37
	s_mov_b64 s[40:41], 0
	s_cbranch_execnz .LBB130_167
	s_branch .LBB130_168
.LBB130_164:
	s_mov_b64 s[40:41], 0
                                        ; implicit-def: $sgpr36_sgpr37
	s_cbranch_execz .LBB130_166
; %bb.165:
	v_cmp_lt_f32_e32 vcc, s11, v3
	s_andn2_b64 s[36:37], s[36:37], exec
	s_and_b64 s[42:43], vcc, exec
	s_or_b64 s[36:37], s[36:37], s[42:43]
.LBB130_166:
	s_branch .LBB130_168
.LBB130_167:
	s_cmp_lg_u32 s9, 0
	s_mov_b64 s[38:39], -1
	s_cselect_b64 s[40:41], -1, 0
.LBB130_168:
	s_andn2_b64 vcc, exec, s[40:41]
	s_cbranch_vccz .LBB130_174
; %bb.169:
	s_andn2_b64 vcc, exec, s[38:39]
	s_cbranch_vccz .LBB130_175
.LBB130_170:
	v_and_b32_e32 v1, 0xffff0000, v1
	s_cmp_lt_i32 s9, 1
	s_mov_b64 s[40:41], 0
	s_cbranch_scc1 .LBB130_176
.LBB130_171:
	s_cmp_gt_i32 s9, 1
	s_cbranch_scc0 .LBB130_177
; %bb.172:
	s_cmp_eq_u32 s9, 2
	s_cbranch_scc0 .LBB130_263
; %bb.173:
	v_cmp_ge_f32_e64 s[38:39], s11, v1
	s_mov_b64 s[42:43], 0
	s_branch .LBB130_179
.LBB130_174:
	v_cmp_gt_f32_e32 vcc, s11, v3
	s_andn2_b64 s[36:37], s[36:37], exec
	s_and_b64 s[40:41], vcc, exec
	s_or_b64 s[36:37], s[36:37], s[40:41]
	s_cbranch_execnz .LBB130_170
.LBB130_175:
	v_cmp_le_f32_e32 vcc, s11, v3
	s_andn2_b64 s[36:37], s[36:37], exec
	s_and_b64 s[38:39], vcc, exec
	s_or_b64 s[36:37], s[36:37], s[38:39]
	v_and_b32_e32 v1, 0xffff0000, v1
	s_cmp_lt_i32 s9, 1
	s_mov_b64 s[40:41], 0
	s_cbranch_scc0 .LBB130_171
.LBB130_176:
                                        ; implicit-def: $sgpr38_sgpr39
	s_mov_b64 s[42:43], 0
	s_cbranch_execnz .LBB130_180
	s_branch .LBB130_181
.LBB130_177:
	s_mov_b64 s[42:43], 0
                                        ; implicit-def: $sgpr38_sgpr39
	s_cbranch_execz .LBB130_179
; %bb.178:
	v_cmp_lt_f32_e32 vcc, s11, v1
	s_andn2_b64 s[38:39], s[38:39], exec
	s_and_b64 s[44:45], vcc, exec
	s_or_b64 s[38:39], s[38:39], s[44:45]
.LBB130_179:
	s_branch .LBB130_181
.LBB130_180:
	s_cmp_lg_u32 s9, 0
	s_mov_b64 s[40:41], -1
	s_cselect_b64 s[42:43], -1, 0
.LBB130_181:
	s_andn2_b64 vcc, exec, s[42:43]
	s_cbranch_vccz .LBB130_187
; %bb.182:
	s_andn2_b64 vcc, exec, s[40:41]
	s_cbranch_vccz .LBB130_188
.LBB130_183:
	v_lshlrev_b32_e32 v1, 16, v2
	s_cmp_lt_i32 s9, 1
	s_mov_b64 s[42:43], 0
	s_cbranch_scc1 .LBB130_189
.LBB130_184:
	s_cmp_gt_i32 s9, 1
	s_cbranch_scc0 .LBB130_190
; %bb.185:
	s_cmp_eq_u32 s9, 2
	s_cbranch_scc0 .LBB130_264
; %bb.186:
	v_cmp_ge_f32_e64 s[40:41], s11, v1
	s_mov_b64 s[44:45], 0
	s_branch .LBB130_192
.LBB130_187:
	v_cmp_gt_f32_e32 vcc, s11, v1
	s_andn2_b64 s[38:39], s[38:39], exec
	s_and_b64 s[42:43], vcc, exec
	s_or_b64 s[38:39], s[38:39], s[42:43]
	s_cbranch_execnz .LBB130_183
.LBB130_188:
	v_cmp_le_f32_e32 vcc, s11, v1
	s_andn2_b64 s[38:39], s[38:39], exec
	s_and_b64 s[40:41], vcc, exec
	s_or_b64 s[38:39], s[38:39], s[40:41]
	v_lshlrev_b32_e32 v1, 16, v2
	s_cmp_lt_i32 s9, 1
	s_mov_b64 s[42:43], 0
	s_cbranch_scc0 .LBB130_184
.LBB130_189:
                                        ; implicit-def: $sgpr40_sgpr41
	s_mov_b64 s[44:45], 0
	s_cbranch_execnz .LBB130_193
	s_branch .LBB130_194
.LBB130_190:
	s_mov_b64 s[44:45], 0
                                        ; implicit-def: $sgpr40_sgpr41
	s_cbranch_execz .LBB130_192
; %bb.191:
	v_cmp_lt_f32_e32 vcc, s11, v1
	s_andn2_b64 s[40:41], s[40:41], exec
	s_and_b64 s[46:47], vcc, exec
	s_or_b64 s[40:41], s[40:41], s[46:47]
.LBB130_192:
	s_branch .LBB130_194
.LBB130_193:
	s_cmp_lg_u32 s9, 0
	s_mov_b64 s[42:43], -1
	s_cselect_b64 s[44:45], -1, 0
.LBB130_194:
	s_andn2_b64 vcc, exec, s[44:45]
	s_cbranch_vccz .LBB130_200
; %bb.195:
	s_andn2_b64 vcc, exec, s[42:43]
	s_cbranch_vccz .LBB130_201
.LBB130_196:
	v_and_b32_e32 v1, 0xffff0000, v2
	s_cmp_lt_i32 s9, 1
	s_mov_b64 s[44:45], 0
	s_cbranch_scc1 .LBB130_202
.LBB130_197:
	s_cmp_gt_i32 s9, 1
	s_cbranch_scc0 .LBB130_203
; %bb.198:
	s_cmp_eq_u32 s9, 2
	s_cbranch_scc0 .LBB130_265
; %bb.199:
	v_cmp_ge_f32_e64 s[42:43], s11, v1
	s_mov_b64 s[46:47], 0
	s_branch .LBB130_205
.LBB130_200:
	v_cmp_gt_f32_e32 vcc, s11, v1
	s_andn2_b64 s[40:41], s[40:41], exec
	s_and_b64 s[44:45], vcc, exec
	s_or_b64 s[40:41], s[40:41], s[44:45]
	s_cbranch_execnz .LBB130_196
.LBB130_201:
	v_cmp_le_f32_e32 vcc, s11, v1
	s_andn2_b64 s[40:41], s[40:41], exec
	s_and_b64 s[42:43], vcc, exec
	s_or_b64 s[40:41], s[40:41], s[42:43]
	v_and_b32_e32 v1, 0xffff0000, v2
	s_cmp_lt_i32 s9, 1
	s_mov_b64 s[44:45], 0
	s_cbranch_scc0 .LBB130_197
.LBB130_202:
                                        ; implicit-def: $sgpr42_sgpr43
	s_mov_b64 s[46:47], 0
	s_cbranch_execnz .LBB130_206
	s_branch .LBB130_207
.LBB130_203:
	s_mov_b64 s[46:47], 0
                                        ; implicit-def: $sgpr42_sgpr43
	s_cbranch_execz .LBB130_205
; %bb.204:
	v_cmp_lt_f32_e32 vcc, s11, v1
	s_andn2_b64 s[42:43], s[42:43], exec
	s_and_b64 s[48:49], vcc, exec
	s_or_b64 s[42:43], s[42:43], s[48:49]
.LBB130_205:
	s_branch .LBB130_207
.LBB130_206:
	s_cmp_lg_u32 s9, 0
	s_mov_b64 s[44:45], -1
	s_cselect_b64 s[46:47], -1, 0
.LBB130_207:
	s_andn2_b64 vcc, exec, s[46:47]
	s_cbranch_vccz .LBB130_249
; %bb.208:
	s_andn2_b64 vcc, exec, s[44:45]
	s_cbranch_vccnz .LBB130_210
.LBB130_209:
	v_cmp_le_f32_e32 vcc, s11, v1
	s_andn2_b64 s[42:43], s[42:43], exec
	s_and_b64 s[44:45], vcc, exec
	s_or_b64 s[42:43], s[42:43], s[44:45]
.LBB130_210:
	v_cndmask_b32_e64 v1, 0, 1, s[4:5]
	v_lshlrev_b16_e32 v1, 8, v1
	v_cndmask_b32_e64 v2, 0, 1, s[0:1]
	v_or_b32_e32 v1, v2, v1
	v_cndmask_b32_e64 v2, 0, 1, s[16:17]
	v_lshlrev_b16_e32 v2, 8, v2
	v_cndmask_b32_e64 v3, 0, 1, s[6:7]
	v_or_b32_sdwa v2, v3, v2 dst_sel:WORD_1 dst_unused:UNUSED_PAD src0_sel:DWORD src1_sel:DWORD
	v_or_b32_sdwa v1, v1, v2 dst_sel:DWORD dst_unused:UNUSED_PAD src0_sel:WORD_0 src1_sel:DWORD
	v_cndmask_b32_e64 v2, 0, 1, s[20:21]
	v_lshlrev_b16_e32 v2, 8, v2
	v_cndmask_b32_e64 v3, 0, 1, s[18:19]
	v_or_b32_e32 v2, v3, v2
	v_cndmask_b32_e64 v3, 0, 1, s[24:25]
	v_lshlrev_b16_e32 v3, 8, v3
	v_cndmask_b32_e64 v4, 0, 1, s[22:23]
	v_or_b32_sdwa v3, v4, v3 dst_sel:WORD_1 dst_unused:UNUSED_PAD src0_sel:DWORD src1_sel:DWORD
	v_or_b32_sdwa v2, v2, v3 dst_sel:DWORD dst_unused:UNUSED_PAD src0_sel:WORD_0 src1_sel:DWORD
	v_cndmask_b32_e64 v3, 0, 1, s[28:29]
	v_lshlrev_b16_e32 v3, 8, v3
	v_cndmask_b32_e64 v4, 0, 1, s[26:27]
	v_or_b32_e32 v3, v4, v3
	v_cndmask_b32_e64 v4, 0, 1, s[34:35]
	v_lshlrev_b16_e32 v4, 8, v4
	v_cndmask_b32_e64 v5, 0, 1, s[30:31]
	v_or_b32_sdwa v4, v5, v4 dst_sel:WORD_1 dst_unused:UNUSED_PAD src0_sel:DWORD src1_sel:DWORD
	v_or_b32_sdwa v3, v3, v4 dst_sel:DWORD dst_unused:UNUSED_PAD src0_sel:WORD_0 src1_sel:DWORD
	v_cndmask_b32_e64 v4, 0, 1, s[38:39]
	v_lshlrev_b16_e32 v4, 8, v4
	v_cndmask_b32_e64 v5, 0, 1, s[36:37]
	v_or_b32_e32 v4, v5, v4
	v_cndmask_b32_e64 v5, 0, 1, s[42:43]
	v_lshlrev_b16_e32 v5, 8, v5
	v_cndmask_b32_e64 v6, 0, 1, s[40:41]
	v_or_b32_sdwa v5, v6, v5 dst_sel:WORD_1 dst_unused:UNUSED_PAD src0_sel:DWORD src1_sel:DWORD
	s_add_u32 s0, s12, s2
	v_or_b32_sdwa v4, v4, v5 dst_sel:DWORD dst_unused:UNUSED_PAD src0_sel:WORD_0 src1_sel:DWORD
	s_addc_u32 s1, s13, s3
	v_lshlrev_b32_e32 v5, 2, v0
	global_store_dword v5, v1, s[0:1]
	global_store_dword v5, v2, s[0:1] offset:1024
	global_store_dword v5, v3, s[0:1] offset:2048
	;; [unrolled: 1-line block ×3, first 2 shown]
	s_mov_b64 s[0:1], 0
.LBB130_211:
	s_and_b64 vcc, exec, s[0:1]
	s_cbranch_vccz .LBB130_519
; %bb.212:
	v_cmp_gt_i32_e64 s[0:1], s8, v0
	v_mov_b32_e32 v21, 0
	v_or_b32_e32 v1, s2, v0
	v_mov_b32_e32 v7, 0
	v_mov_b32_e32 v2, v0
	s_and_saveexec_b64 s[4:5], s[0:1]
	s_cbranch_execz .LBB130_214
; %bb.213:
	v_mov_b32_e32 v2, 0
	v_lshlrev_b64 v[2:3], 1, v[1:2]
	v_mov_b32_e32 v4, s15
	v_add_co_u32_e32 v2, vcc, s14, v2
	v_addc_co_u32_e32 v3, vcc, v4, v3, vcc
	global_load_ushort v3, v[2:3], off
	v_or_b32_e32 v2, 0x100, v0
	s_waitcnt vmcnt(0)
	v_lshlrev_b32_e32 v7, 16, v3
.LBB130_214:
	s_or_b64 exec, exec, s[4:5]
	v_cmp_gt_i32_e32 vcc, s8, v2
	s_and_saveexec_b64 s[4:5], vcc
	s_cbranch_execz .LBB130_216
; %bb.215:
	v_add_u32_e32 v3, s2, v2
	v_mov_b32_e32 v4, 0
	v_lshlrev_b64 v[3:4], 1, v[3:4]
	v_mov_b32_e32 v5, s15
	v_add_co_u32_e32 v3, vcc, s14, v3
	v_addc_co_u32_e32 v4, vcc, v5, v4, vcc
	global_load_ushort v3, v[3:4], off
	v_add_u32_e32 v2, 0x100, v2
	s_waitcnt vmcnt(0)
	v_lshlrev_b32_e32 v21, 16, v3
.LBB130_216:
	s_or_b64 exec, exec, s[4:5]
	v_cmp_gt_i32_e32 vcc, s8, v2
	v_mov_b32_e32 v19, 0
	v_mov_b32_e32 v20, 0
	s_and_saveexec_b64 s[4:5], vcc
	s_cbranch_execz .LBB130_218
; %bb.217:
	v_add_u32_e32 v3, s2, v2
	v_mov_b32_e32 v4, 0
	v_lshlrev_b64 v[3:4], 1, v[3:4]
	v_mov_b32_e32 v5, s15
	v_add_co_u32_e32 v3, vcc, s14, v3
	v_addc_co_u32_e32 v4, vcc, v5, v4, vcc
	global_load_ushort v3, v[3:4], off
	v_add_u32_e32 v2, 0x100, v2
	s_waitcnt vmcnt(0)
	v_lshlrev_b32_e32 v20, 16, v3
.LBB130_218:
	s_or_b64 exec, exec, s[4:5]
	v_cmp_gt_i32_e32 vcc, s8, v2
	s_and_saveexec_b64 s[4:5], vcc
	s_cbranch_execz .LBB130_220
; %bb.219:
	v_add_u32_e32 v3, s2, v2
	v_mov_b32_e32 v4, 0
	v_lshlrev_b64 v[3:4], 1, v[3:4]
	v_mov_b32_e32 v5, s15
	v_add_co_u32_e32 v3, vcc, s14, v3
	v_addc_co_u32_e32 v4, vcc, v5, v4, vcc
	global_load_ushort v3, v[3:4], off
	v_add_u32_e32 v2, 0x100, v2
	s_waitcnt vmcnt(0)
	v_lshlrev_b32_e32 v19, 16, v3
.LBB130_220:
	s_or_b64 exec, exec, s[4:5]
	v_cmp_gt_i32_e32 vcc, s8, v2
	v_mov_b32_e32 v17, 0
	v_mov_b32_e32 v18, 0
	s_and_saveexec_b64 s[4:5], vcc
	s_cbranch_execz .LBB130_222
; %bb.221:
	v_add_u32_e32 v3, s2, v2
	v_mov_b32_e32 v4, 0
	v_lshlrev_b64 v[3:4], 1, v[3:4]
	v_mov_b32_e32 v5, s15
	v_add_co_u32_e32 v3, vcc, s14, v3
	v_addc_co_u32_e32 v4, vcc, v5, v4, vcc
	global_load_ushort v3, v[3:4], off
	v_add_u32_e32 v2, 0x100, v2
	s_waitcnt vmcnt(0)
	v_lshlrev_b32_e32 v18, 16, v3
.LBB130_222:
	;; [unrolled: 34-line block ×7, first 2 shown]
	s_or_b64 exec, exec, s[4:5]
	v_cmp_gt_i32_e32 vcc, s8, v2
	s_and_saveexec_b64 s[4:5], vcc
	s_cbranch_execz .LBB130_244
; %bb.243:
	v_add_u32_e32 v2, s2, v2
	v_mov_b32_e32 v3, 0
	v_lshlrev_b64 v[2:3], 1, v[2:3]
	v_mov_b32_e32 v4, s15
	v_add_co_u32_e32 v2, vcc, s14, v2
	v_addc_co_u32_e32 v3, vcc, v4, v3, vcc
	global_load_ushort v2, v[2:3], off
	s_waitcnt vmcnt(0)
	v_lshlrev_b32_e32 v4, 16, v2
.LBB130_244:
	s_or_b64 exec, exec, s[4:5]
	v_mov_b32_e32 v6, 0
	s_lshl_b32 s3, s10, 16
	v_mov_b32_e32 v5, v6
	v_mov_b32_e32 v3, v6
	;; [unrolled: 1-line block ×3, first 2 shown]
	s_and_saveexec_b64 s[4:5], s[0:1]
	s_cbranch_execz .LBB130_276
; %bb.245:
	s_cmp_lt_i32 s9, 1
	s_mov_b64 s[6:7], 0
	s_cbranch_scc1 .LBB130_250
; %bb.246:
	s_cmp_gt_i32 s9, 1
	s_cbranch_scc0 .LBB130_266
; %bb.247:
	s_cmp_eq_u32 s9, 2
	s_cbranch_scc0 .LBB130_267
; %bb.248:
	v_cmp_ge_f32_e64 s[10:11], s3, v7
	s_mov_b64 s[14:15], 0
	s_branch .LBB130_268
.LBB130_249:
	v_cmp_gt_f32_e32 vcc, s11, v1
	s_andn2_b64 s[42:43], s[42:43], exec
	s_and_b64 s[46:47], vcc, exec
	s_or_b64 s[42:43], s[42:43], s[46:47]
	s_cbranch_execz .LBB130_209
	s_branch .LBB130_210
.LBB130_250:
                                        ; implicit-def: $sgpr10_sgpr11
	s_mov_b64 s[14:15], 0
	s_cbranch_execnz .LBB130_271
	s_branch .LBB130_272
.LBB130_251:
	s_mov_b64 s[16:17], -1
                                        ; implicit-def: $sgpr4_sgpr5
	s_branch .LBB130_23
.LBB130_252:
	s_mov_b64 s[18:19], -1
                                        ; implicit-def: $sgpr6_sgpr7
	s_branch .LBB130_36
.LBB130_253:
	s_mov_b64 s[20:21], -1
                                        ; implicit-def: $sgpr16_sgpr17
	s_branch .LBB130_49
.LBB130_254:
	s_mov_b64 s[22:23], -1
                                        ; implicit-def: $sgpr18_sgpr19
	s_branch .LBB130_62
.LBB130_255:
	s_mov_b64 s[24:25], -1
                                        ; implicit-def: $sgpr20_sgpr21
	s_branch .LBB130_75
.LBB130_256:
	s_mov_b64 s[26:27], -1
                                        ; implicit-def: $sgpr22_sgpr23
	s_branch .LBB130_88
.LBB130_257:
	s_mov_b64 s[28:29], -1
                                        ; implicit-def: $sgpr24_sgpr25
	s_branch .LBB130_101
.LBB130_258:
	s_mov_b64 s[30:31], -1
                                        ; implicit-def: $sgpr26_sgpr27
	s_branch .LBB130_114
.LBB130_259:
	s_mov_b64 s[34:35], -1
                                        ; implicit-def: $sgpr28_sgpr29
	s_branch .LBB130_127
.LBB130_260:
	s_mov_b64 s[36:37], -1
                                        ; implicit-def: $sgpr30_sgpr31
	s_branch .LBB130_140
.LBB130_261:
	s_mov_b64 s[38:39], -1
                                        ; implicit-def: $sgpr34_sgpr35
	s_branch .LBB130_153
.LBB130_262:
	s_mov_b64 s[40:41], -1
                                        ; implicit-def: $sgpr36_sgpr37
	s_branch .LBB130_166
.LBB130_263:
	s_mov_b64 s[42:43], -1
                                        ; implicit-def: $sgpr38_sgpr39
	s_branch .LBB130_179
.LBB130_264:
	s_mov_b64 s[44:45], -1
                                        ; implicit-def: $sgpr40_sgpr41
	s_branch .LBB130_192
.LBB130_265:
	s_mov_b64 s[46:47], -1
                                        ; implicit-def: $sgpr42_sgpr43
	s_branch .LBB130_205
.LBB130_266:
	s_mov_b64 s[14:15], 0
                                        ; implicit-def: $sgpr10_sgpr11
	s_cbranch_execnz .LBB130_269
	s_branch .LBB130_270
.LBB130_267:
	s_mov_b64 s[14:15], -1
                                        ; implicit-def: $sgpr10_sgpr11
.LBB130_268:
	s_branch .LBB130_270
.LBB130_269:
	v_cmp_lt_f32_e32 vcc, s3, v7
	s_andn2_b64 s[10:11], s[10:11], exec
	s_and_b64 s[16:17], vcc, exec
	s_or_b64 s[10:11], s[10:11], s[16:17]
.LBB130_270:
	s_branch .LBB130_272
.LBB130_271:
	s_cmp_lg_u32 s9, 0
	s_mov_b64 s[6:7], -1
	s_cselect_b64 s[14:15], -1, 0
.LBB130_272:
	s_andn2_b64 vcc, exec, s[14:15]
	s_cbranch_vccz .LBB130_281
; %bb.273:
	s_andn2_b64 vcc, exec, s[6:7]
	s_cbranch_vccnz .LBB130_275
.LBB130_274:
	v_cmp_le_f32_e32 vcc, s3, v7
	s_andn2_b64 s[6:7], s[10:11], exec
	s_and_b64 s[10:11], vcc, exec
	s_or_b64 s[10:11], s[6:7], s[10:11]
.LBB130_275:
	v_cndmask_b32_e64 v2, 0, 1, s[10:11]
	v_mov_b32_e32 v5, 0
	v_and_b32_e32 v6, 0xffff, v2
	v_mov_b32_e32 v3, v5
	v_mov_b32_e32 v2, v5
.LBB130_276:
	s_or_b64 exec, exec, s[4:5]
	v_or_b32_e32 v7, 0x100, v0
	v_cmp_gt_i32_e32 vcc, s8, v7
	s_and_saveexec_b64 s[4:5], vcc
	s_cbranch_execz .LBB130_291
; %bb.277:
	s_cmp_lt_i32 s9, 1
	s_mov_b64 s[6:7], 0
	s_cbranch_scc1 .LBB130_282
; %bb.278:
	s_cmp_gt_i32 s9, 1
	s_cbranch_scc0 .LBB130_283
; %bb.279:
	s_cmp_eq_u32 s9, 2
	s_cbranch_scc0 .LBB130_535
; %bb.280:
	v_cmp_ge_f32_e64 s[10:11], s3, v21
	s_mov_b64 s[14:15], 0
	s_branch .LBB130_285
.LBB130_281:
	v_cmp_gt_f32_e32 vcc, s3, v7
	s_andn2_b64 s[10:11], s[10:11], exec
	s_and_b64 s[14:15], vcc, exec
	s_or_b64 s[10:11], s[10:11], s[14:15]
	s_cbranch_execz .LBB130_274
	s_branch .LBB130_275
.LBB130_282:
                                        ; implicit-def: $sgpr10_sgpr11
	s_mov_b64 s[14:15], 0
	s_cbranch_execnz .LBB130_286
	s_branch .LBB130_287
.LBB130_283:
	s_mov_b64 s[14:15], 0
                                        ; implicit-def: $sgpr10_sgpr11
	s_cbranch_execz .LBB130_285
; %bb.284:
	v_cmp_lt_f32_e32 vcc, s3, v21
	s_andn2_b64 s[10:11], s[10:11], exec
	s_and_b64 s[16:17], vcc, exec
	s_or_b64 s[10:11], s[10:11], s[16:17]
.LBB130_285:
	s_branch .LBB130_287
.LBB130_286:
	s_cmp_lg_u32 s9, 0
	s_mov_b64 s[6:7], -1
	s_cselect_b64 s[14:15], -1, 0
.LBB130_287:
	s_andn2_b64 vcc, exec, s[14:15]
	s_cbranch_vccz .LBB130_296
; %bb.288:
	s_andn2_b64 vcc, exec, s[6:7]
	s_cbranch_vccnz .LBB130_290
.LBB130_289:
	v_cmp_le_f32_e32 vcc, s3, v21
	s_andn2_b64 s[6:7], s[10:11], exec
	s_and_b64 s[10:11], vcc, exec
	s_or_b64 s[10:11], s[6:7], s[10:11]
.LBB130_290:
	v_cndmask_b32_e64 v21, 0, 1, s[10:11]
	v_lshlrev_b16_e32 v21, 8, v21
	v_or_b32_sdwa v21, v6, v21 dst_sel:DWORD dst_unused:UNUSED_PAD src0_sel:BYTE_0 src1_sel:DWORD
	v_and_b32_e32 v21, 0xffff, v21
	s_mov_b32 s6, 0xffff0000
	v_and_or_b32 v6, v6, s6, v21
.LBB130_291:
	s_or_b64 exec, exec, s[4:5]
	v_or_b32_e32 v21, 0x200, v0
	v_cmp_gt_i32_e32 vcc, s8, v21
	s_and_saveexec_b64 s[4:5], vcc
	s_cbranch_execz .LBB130_306
; %bb.292:
	s_cmp_lt_i32 s9, 1
	s_mov_b64 s[6:7], 0
	s_cbranch_scc1 .LBB130_297
; %bb.293:
	s_cmp_gt_i32 s9, 1
	s_cbranch_scc0 .LBB130_298
; %bb.294:
	s_cmp_eq_u32 s9, 2
	s_cbranch_scc0 .LBB130_536
; %bb.295:
	v_cmp_ge_f32_e64 s[10:11], s3, v20
	s_mov_b64 s[14:15], 0
	s_branch .LBB130_300
.LBB130_296:
	v_cmp_gt_f32_e32 vcc, s3, v21
	s_andn2_b64 s[10:11], s[10:11], exec
	s_and_b64 s[14:15], vcc, exec
	s_or_b64 s[10:11], s[10:11], s[14:15]
	s_cbranch_execz .LBB130_289
	s_branch .LBB130_290
.LBB130_297:
                                        ; implicit-def: $sgpr10_sgpr11
	s_mov_b64 s[14:15], 0
	s_cbranch_execnz .LBB130_301
	s_branch .LBB130_302
.LBB130_298:
	s_mov_b64 s[14:15], 0
                                        ; implicit-def: $sgpr10_sgpr11
	s_cbranch_execz .LBB130_300
; %bb.299:
	v_cmp_lt_f32_e32 vcc, s3, v20
	s_andn2_b64 s[10:11], s[10:11], exec
	s_and_b64 s[16:17], vcc, exec
	s_or_b64 s[10:11], s[10:11], s[16:17]
.LBB130_300:
	s_branch .LBB130_302
.LBB130_301:
	s_cmp_lg_u32 s9, 0
	s_mov_b64 s[6:7], -1
	s_cselect_b64 s[14:15], -1, 0
.LBB130_302:
	s_andn2_b64 vcc, exec, s[14:15]
	s_cbranch_vccz .LBB130_311
; %bb.303:
	s_andn2_b64 vcc, exec, s[6:7]
	s_cbranch_vccnz .LBB130_305
.LBB130_304:
	v_cmp_le_f32_e32 vcc, s3, v20
	s_andn2_b64 s[6:7], s[10:11], exec
	s_and_b64 s[10:11], vcc, exec
	s_or_b64 s[10:11], s[6:7], s[10:11]
.LBB130_305:
	s_movk_i32 s6, 0xff00
	v_and_b32_sdwa v20, v6, s6 dst_sel:DWORD dst_unused:UNUSED_PAD src0_sel:WORD_1 src1_sel:DWORD
	v_cndmask_b32_e64 v21, 0, 1, s[10:11]
	v_or_b32_sdwa v20, v21, v20 dst_sel:WORD_1 dst_unused:UNUSED_PAD src0_sel:DWORD src1_sel:DWORD
	s_mov_b32 s6, 0xffff
	v_and_or_b32 v6, v6, s6, v20
.LBB130_306:
	s_or_b64 exec, exec, s[4:5]
	v_or_b32_e32 v20, 0x300, v0
	v_cmp_gt_i32_e32 vcc, s8, v20
	s_and_saveexec_b64 s[4:5], vcc
	s_cbranch_execz .LBB130_321
; %bb.307:
	s_cmp_lt_i32 s9, 1
	s_mov_b64 s[6:7], 0
	s_cbranch_scc1 .LBB130_312
; %bb.308:
	s_cmp_gt_i32 s9, 1
	s_cbranch_scc0 .LBB130_313
; %bb.309:
	s_cmp_eq_u32 s9, 2
	s_cbranch_scc0 .LBB130_537
; %bb.310:
	v_cmp_ge_f32_e64 s[10:11], s3, v19
	s_mov_b64 s[14:15], 0
	s_branch .LBB130_315
.LBB130_311:
	v_cmp_gt_f32_e32 vcc, s3, v20
	s_andn2_b64 s[10:11], s[10:11], exec
	s_and_b64 s[14:15], vcc, exec
	s_or_b64 s[10:11], s[10:11], s[14:15]
	s_cbranch_execz .LBB130_304
	s_branch .LBB130_305
.LBB130_312:
                                        ; implicit-def: $sgpr10_sgpr11
	s_mov_b64 s[14:15], 0
	s_cbranch_execnz .LBB130_316
	s_branch .LBB130_317
.LBB130_313:
	s_mov_b64 s[14:15], 0
                                        ; implicit-def: $sgpr10_sgpr11
	s_cbranch_execz .LBB130_315
; %bb.314:
	v_cmp_lt_f32_e32 vcc, s3, v19
	s_andn2_b64 s[10:11], s[10:11], exec
	s_and_b64 s[16:17], vcc, exec
	s_or_b64 s[10:11], s[10:11], s[16:17]
.LBB130_315:
	s_branch .LBB130_317
.LBB130_316:
	s_cmp_lg_u32 s9, 0
	s_mov_b64 s[6:7], -1
	s_cselect_b64 s[14:15], -1, 0
.LBB130_317:
	s_andn2_b64 vcc, exec, s[14:15]
	s_cbranch_vccz .LBB130_326
; %bb.318:
	s_andn2_b64 vcc, exec, s[6:7]
	s_cbranch_vccnz .LBB130_320
.LBB130_319:
	v_cmp_le_f32_e32 vcc, s3, v19
	s_andn2_b64 s[6:7], s[10:11], exec
	s_and_b64 s[10:11], vcc, exec
	s_or_b64 s[10:11], s[6:7], s[10:11]
.LBB130_320:
	s_movk_i32 s6, 0xff
	v_cndmask_b32_e64 v20, 0, 1, s[10:11]
	v_and_b32_sdwa v19, v6, s6 dst_sel:DWORD dst_unused:UNUSED_PAD src0_sel:WORD_1 src1_sel:DWORD
	v_lshlrev_b16_e32 v20, 8, v20
	v_or_b32_sdwa v19, v19, v20 dst_sel:WORD_1 dst_unused:UNUSED_PAD src0_sel:DWORD src1_sel:DWORD
	s_mov_b32 s6, 0xffff
	v_and_or_b32 v6, v6, s6, v19
.LBB130_321:
	s_or_b64 exec, exec, s[4:5]
	v_or_b32_e32 v19, 0x400, v0
	v_cmp_gt_i32_e32 vcc, s8, v19
	s_and_saveexec_b64 s[4:5], vcc
	s_cbranch_execz .LBB130_336
; %bb.322:
	s_cmp_lt_i32 s9, 1
	s_mov_b64 s[6:7], 0
	s_cbranch_scc1 .LBB130_327
; %bb.323:
	s_cmp_gt_i32 s9, 1
	s_cbranch_scc0 .LBB130_328
; %bb.324:
	s_cmp_eq_u32 s9, 2
	s_cbranch_scc0 .LBB130_538
; %bb.325:
	v_cmp_ge_f32_e64 s[10:11], s3, v18
	s_mov_b64 s[14:15], 0
	s_branch .LBB130_330
.LBB130_326:
	v_cmp_gt_f32_e32 vcc, s3, v19
	s_andn2_b64 s[10:11], s[10:11], exec
	s_and_b64 s[14:15], vcc, exec
	s_or_b64 s[10:11], s[10:11], s[14:15]
	s_cbranch_execz .LBB130_319
	s_branch .LBB130_320
.LBB130_327:
                                        ; implicit-def: $sgpr10_sgpr11
	s_mov_b64 s[14:15], 0
	s_cbranch_execnz .LBB130_331
	s_branch .LBB130_332
.LBB130_328:
	s_mov_b64 s[14:15], 0
                                        ; implicit-def: $sgpr10_sgpr11
	s_cbranch_execz .LBB130_330
; %bb.329:
	v_cmp_lt_f32_e32 vcc, s3, v18
	s_andn2_b64 s[10:11], s[10:11], exec
	s_and_b64 s[16:17], vcc, exec
	s_or_b64 s[10:11], s[10:11], s[16:17]
.LBB130_330:
	s_branch .LBB130_332
.LBB130_331:
	s_cmp_lg_u32 s9, 0
	s_mov_b64 s[6:7], -1
	s_cselect_b64 s[14:15], -1, 0
.LBB130_332:
	s_andn2_b64 vcc, exec, s[14:15]
	s_cbranch_vccz .LBB130_341
; %bb.333:
	s_andn2_b64 vcc, exec, s[6:7]
	s_cbranch_vccnz .LBB130_335
.LBB130_334:
	v_cmp_le_f32_e32 vcc, s3, v18
	s_andn2_b64 s[6:7], s[10:11], exec
	s_and_b64 s[10:11], vcc, exec
	s_or_b64 s[10:11], s[6:7], s[10:11]
.LBB130_335:
	v_and_b32_e32 v18, 0xffffff00, v5
	v_cndmask_b32_e64 v19, 0, 1, s[10:11]
	v_or_b32_e32 v18, v19, v18
	v_and_b32_e32 v18, 0xffff, v18
	s_mov_b32 s6, 0xffff0000
	v_and_or_b32 v5, v5, s6, v18
.LBB130_336:
	s_or_b64 exec, exec, s[4:5]
	v_or_b32_e32 v18, 0x500, v0
	v_cmp_gt_i32_e32 vcc, s8, v18
	s_and_saveexec_b64 s[4:5], vcc
	s_cbranch_execz .LBB130_351
; %bb.337:
	s_cmp_lt_i32 s9, 1
	s_mov_b64 s[6:7], 0
	s_cbranch_scc1 .LBB130_342
; %bb.338:
	s_cmp_gt_i32 s9, 1
	s_cbranch_scc0 .LBB130_343
; %bb.339:
	s_cmp_eq_u32 s9, 2
	s_cbranch_scc0 .LBB130_539
; %bb.340:
	v_cmp_ge_f32_e64 s[10:11], s3, v17
	s_mov_b64 s[14:15], 0
	s_branch .LBB130_345
.LBB130_341:
	v_cmp_gt_f32_e32 vcc, s3, v18
	s_andn2_b64 s[10:11], s[10:11], exec
	s_and_b64 s[14:15], vcc, exec
	s_or_b64 s[10:11], s[10:11], s[14:15]
	s_cbranch_execz .LBB130_334
	s_branch .LBB130_335
.LBB130_342:
                                        ; implicit-def: $sgpr10_sgpr11
	s_mov_b64 s[14:15], 0
	s_cbranch_execnz .LBB130_346
	s_branch .LBB130_347
.LBB130_343:
	s_mov_b64 s[14:15], 0
                                        ; implicit-def: $sgpr10_sgpr11
	s_cbranch_execz .LBB130_345
; %bb.344:
	v_cmp_lt_f32_e32 vcc, s3, v17
	s_andn2_b64 s[10:11], s[10:11], exec
	s_and_b64 s[16:17], vcc, exec
	s_or_b64 s[10:11], s[10:11], s[16:17]
.LBB130_345:
	s_branch .LBB130_347
.LBB130_346:
	s_cmp_lg_u32 s9, 0
	s_mov_b64 s[6:7], -1
	s_cselect_b64 s[14:15], -1, 0
.LBB130_347:
	s_andn2_b64 vcc, exec, s[14:15]
	s_cbranch_vccz .LBB130_356
; %bb.348:
	s_andn2_b64 vcc, exec, s[6:7]
	s_cbranch_vccnz .LBB130_350
.LBB130_349:
	v_cmp_le_f32_e32 vcc, s3, v17
	s_andn2_b64 s[6:7], s[10:11], exec
	s_and_b64 s[10:11], vcc, exec
	s_or_b64 s[10:11], s[6:7], s[10:11]
.LBB130_350:
	v_cndmask_b32_e64 v17, 0, 1, s[10:11]
	v_lshlrev_b16_e32 v17, 8, v17
	v_or_b32_sdwa v17, v5, v17 dst_sel:DWORD dst_unused:UNUSED_PAD src0_sel:BYTE_0 src1_sel:DWORD
	v_and_b32_e32 v17, 0xffff, v17
	s_mov_b32 s6, 0xffff0000
	v_and_or_b32 v5, v5, s6, v17
.LBB130_351:
	s_or_b64 exec, exec, s[4:5]
	v_or_b32_e32 v17, 0x600, v0
	v_cmp_gt_i32_e32 vcc, s8, v17
	s_and_saveexec_b64 s[4:5], vcc
	s_cbranch_execz .LBB130_366
; %bb.352:
	s_cmp_lt_i32 s9, 1
	s_mov_b64 s[6:7], 0
	s_cbranch_scc1 .LBB130_357
; %bb.353:
	s_cmp_gt_i32 s9, 1
	s_cbranch_scc0 .LBB130_358
; %bb.354:
	s_cmp_eq_u32 s9, 2
	s_cbranch_scc0 .LBB130_540
; %bb.355:
	v_cmp_ge_f32_e64 s[10:11], s3, v16
	s_mov_b64 s[14:15], 0
	s_branch .LBB130_360
.LBB130_356:
	v_cmp_gt_f32_e32 vcc, s3, v17
	s_andn2_b64 s[10:11], s[10:11], exec
	s_and_b64 s[14:15], vcc, exec
	s_or_b64 s[10:11], s[10:11], s[14:15]
	s_cbranch_execz .LBB130_349
	s_branch .LBB130_350
.LBB130_357:
                                        ; implicit-def: $sgpr10_sgpr11
	s_mov_b64 s[14:15], 0
	s_cbranch_execnz .LBB130_361
	s_branch .LBB130_362
.LBB130_358:
	s_mov_b64 s[14:15], 0
                                        ; implicit-def: $sgpr10_sgpr11
	s_cbranch_execz .LBB130_360
; %bb.359:
	v_cmp_lt_f32_e32 vcc, s3, v16
	s_andn2_b64 s[10:11], s[10:11], exec
	s_and_b64 s[16:17], vcc, exec
	s_or_b64 s[10:11], s[10:11], s[16:17]
.LBB130_360:
	s_branch .LBB130_362
.LBB130_361:
	s_cmp_lg_u32 s9, 0
	s_mov_b64 s[6:7], -1
	s_cselect_b64 s[14:15], -1, 0
.LBB130_362:
	s_andn2_b64 vcc, exec, s[14:15]
	s_cbranch_vccz .LBB130_371
; %bb.363:
	s_andn2_b64 vcc, exec, s[6:7]
	s_cbranch_vccnz .LBB130_365
.LBB130_364:
	v_cmp_le_f32_e32 vcc, s3, v16
	s_andn2_b64 s[6:7], s[10:11], exec
	s_and_b64 s[10:11], vcc, exec
	s_or_b64 s[10:11], s[6:7], s[10:11]
.LBB130_365:
	s_movk_i32 s6, 0xff00
	v_and_b32_sdwa v16, v5, s6 dst_sel:DWORD dst_unused:UNUSED_PAD src0_sel:WORD_1 src1_sel:DWORD
	v_cndmask_b32_e64 v17, 0, 1, s[10:11]
	v_or_b32_sdwa v16, v17, v16 dst_sel:WORD_1 dst_unused:UNUSED_PAD src0_sel:DWORD src1_sel:DWORD
	s_mov_b32 s6, 0xffff
	v_and_or_b32 v5, v5, s6, v16
.LBB130_366:
	s_or_b64 exec, exec, s[4:5]
	v_or_b32_e32 v16, 0x700, v0
	v_cmp_gt_i32_e32 vcc, s8, v16
	s_and_saveexec_b64 s[4:5], vcc
	s_cbranch_execz .LBB130_381
; %bb.367:
	s_cmp_lt_i32 s9, 1
	s_mov_b64 s[6:7], 0
	s_cbranch_scc1 .LBB130_372
; %bb.368:
	s_cmp_gt_i32 s9, 1
	s_cbranch_scc0 .LBB130_373
; %bb.369:
	s_cmp_eq_u32 s9, 2
	s_cbranch_scc0 .LBB130_541
; %bb.370:
	v_cmp_ge_f32_e64 s[10:11], s3, v15
	s_mov_b64 s[14:15], 0
	s_branch .LBB130_375
.LBB130_371:
	v_cmp_gt_f32_e32 vcc, s3, v16
	s_andn2_b64 s[10:11], s[10:11], exec
	s_and_b64 s[14:15], vcc, exec
	s_or_b64 s[10:11], s[10:11], s[14:15]
	s_cbranch_execz .LBB130_364
	s_branch .LBB130_365
.LBB130_372:
                                        ; implicit-def: $sgpr10_sgpr11
	s_mov_b64 s[14:15], 0
	s_cbranch_execnz .LBB130_376
	s_branch .LBB130_377
.LBB130_373:
	s_mov_b64 s[14:15], 0
                                        ; implicit-def: $sgpr10_sgpr11
	s_cbranch_execz .LBB130_375
; %bb.374:
	v_cmp_lt_f32_e32 vcc, s3, v15
	s_andn2_b64 s[10:11], s[10:11], exec
	s_and_b64 s[16:17], vcc, exec
	s_or_b64 s[10:11], s[10:11], s[16:17]
.LBB130_375:
	s_branch .LBB130_377
.LBB130_376:
	s_cmp_lg_u32 s9, 0
	s_mov_b64 s[6:7], -1
	s_cselect_b64 s[14:15], -1, 0
.LBB130_377:
	s_andn2_b64 vcc, exec, s[14:15]
	s_cbranch_vccz .LBB130_386
; %bb.378:
	s_andn2_b64 vcc, exec, s[6:7]
	s_cbranch_vccnz .LBB130_380
.LBB130_379:
	v_cmp_le_f32_e32 vcc, s3, v15
	s_andn2_b64 s[6:7], s[10:11], exec
	s_and_b64 s[10:11], vcc, exec
	s_or_b64 s[10:11], s[6:7], s[10:11]
.LBB130_380:
	s_movk_i32 s6, 0xff
	v_cndmask_b32_e64 v16, 0, 1, s[10:11]
	v_and_b32_sdwa v15, v5, s6 dst_sel:DWORD dst_unused:UNUSED_PAD src0_sel:WORD_1 src1_sel:DWORD
	v_lshlrev_b16_e32 v16, 8, v16
	v_or_b32_sdwa v15, v15, v16 dst_sel:WORD_1 dst_unused:UNUSED_PAD src0_sel:DWORD src1_sel:DWORD
	s_mov_b32 s6, 0xffff
	v_and_or_b32 v5, v5, s6, v15
.LBB130_381:
	s_or_b64 exec, exec, s[4:5]
	v_or_b32_e32 v15, 0x800, v0
	v_cmp_gt_i32_e32 vcc, s8, v15
	s_and_saveexec_b64 s[4:5], vcc
	s_cbranch_execz .LBB130_396
; %bb.382:
	s_cmp_lt_i32 s9, 1
	s_mov_b64 s[6:7], 0
	s_cbranch_scc1 .LBB130_387
; %bb.383:
	s_cmp_gt_i32 s9, 1
	s_cbranch_scc0 .LBB130_388
; %bb.384:
	s_cmp_eq_u32 s9, 2
	s_cbranch_scc0 .LBB130_542
; %bb.385:
	v_cmp_ge_f32_e64 s[10:11], s3, v14
	s_mov_b64 s[14:15], 0
	s_branch .LBB130_390
.LBB130_386:
	v_cmp_gt_f32_e32 vcc, s3, v15
	s_andn2_b64 s[10:11], s[10:11], exec
	s_and_b64 s[14:15], vcc, exec
	s_or_b64 s[10:11], s[10:11], s[14:15]
	s_cbranch_execz .LBB130_379
	s_branch .LBB130_380
.LBB130_387:
                                        ; implicit-def: $sgpr10_sgpr11
	s_mov_b64 s[14:15], 0
	s_cbranch_execnz .LBB130_391
	s_branch .LBB130_392
.LBB130_388:
	s_mov_b64 s[14:15], 0
                                        ; implicit-def: $sgpr10_sgpr11
	s_cbranch_execz .LBB130_390
; %bb.389:
	v_cmp_lt_f32_e32 vcc, s3, v14
	s_andn2_b64 s[10:11], s[10:11], exec
	s_and_b64 s[16:17], vcc, exec
	s_or_b64 s[10:11], s[10:11], s[16:17]
.LBB130_390:
	s_branch .LBB130_392
.LBB130_391:
	s_cmp_lg_u32 s9, 0
	s_mov_b64 s[6:7], -1
	s_cselect_b64 s[14:15], -1, 0
.LBB130_392:
	s_andn2_b64 vcc, exec, s[14:15]
	s_cbranch_vccz .LBB130_401
; %bb.393:
	s_andn2_b64 vcc, exec, s[6:7]
	s_cbranch_vccnz .LBB130_395
.LBB130_394:
	v_cmp_le_f32_e32 vcc, s3, v14
	s_andn2_b64 s[6:7], s[10:11], exec
	s_and_b64 s[10:11], vcc, exec
	s_or_b64 s[10:11], s[6:7], s[10:11]
.LBB130_395:
	v_and_b32_e32 v14, 0xffffff00, v3
	v_cndmask_b32_e64 v15, 0, 1, s[10:11]
	v_or_b32_e32 v14, v15, v14
	v_and_b32_e32 v14, 0xffff, v14
	s_mov_b32 s6, 0xffff0000
	v_and_or_b32 v3, v3, s6, v14
.LBB130_396:
	s_or_b64 exec, exec, s[4:5]
	v_or_b32_e32 v14, 0x900, v0
	v_cmp_gt_i32_e32 vcc, s8, v14
	s_and_saveexec_b64 s[4:5], vcc
	s_cbranch_execz .LBB130_411
; %bb.397:
	s_cmp_lt_i32 s9, 1
	s_mov_b64 s[6:7], 0
	s_cbranch_scc1 .LBB130_402
; %bb.398:
	s_cmp_gt_i32 s9, 1
	s_cbranch_scc0 .LBB130_403
; %bb.399:
	s_cmp_eq_u32 s9, 2
	s_cbranch_scc0 .LBB130_543
; %bb.400:
	v_cmp_ge_f32_e64 s[10:11], s3, v13
	s_mov_b64 s[14:15], 0
	s_branch .LBB130_405
.LBB130_401:
	v_cmp_gt_f32_e32 vcc, s3, v14
	s_andn2_b64 s[10:11], s[10:11], exec
	s_and_b64 s[14:15], vcc, exec
	s_or_b64 s[10:11], s[10:11], s[14:15]
	s_cbranch_execz .LBB130_394
	s_branch .LBB130_395
.LBB130_402:
                                        ; implicit-def: $sgpr10_sgpr11
	s_mov_b64 s[14:15], 0
	s_cbranch_execnz .LBB130_406
	s_branch .LBB130_407
.LBB130_403:
	s_mov_b64 s[14:15], 0
                                        ; implicit-def: $sgpr10_sgpr11
	s_cbranch_execz .LBB130_405
; %bb.404:
	v_cmp_lt_f32_e32 vcc, s3, v13
	s_andn2_b64 s[10:11], s[10:11], exec
	s_and_b64 s[16:17], vcc, exec
	s_or_b64 s[10:11], s[10:11], s[16:17]
.LBB130_405:
	s_branch .LBB130_407
.LBB130_406:
	s_cmp_lg_u32 s9, 0
	s_mov_b64 s[6:7], -1
	s_cselect_b64 s[14:15], -1, 0
.LBB130_407:
	s_andn2_b64 vcc, exec, s[14:15]
	s_cbranch_vccz .LBB130_416
; %bb.408:
	s_andn2_b64 vcc, exec, s[6:7]
	s_cbranch_vccnz .LBB130_410
.LBB130_409:
	v_cmp_le_f32_e32 vcc, s3, v13
	s_andn2_b64 s[6:7], s[10:11], exec
	s_and_b64 s[10:11], vcc, exec
	s_or_b64 s[10:11], s[6:7], s[10:11]
.LBB130_410:
	v_cndmask_b32_e64 v13, 0, 1, s[10:11]
	v_lshlrev_b16_e32 v13, 8, v13
	v_or_b32_sdwa v13, v3, v13 dst_sel:DWORD dst_unused:UNUSED_PAD src0_sel:BYTE_0 src1_sel:DWORD
	v_and_b32_e32 v13, 0xffff, v13
	s_mov_b32 s6, 0xffff0000
	v_and_or_b32 v3, v3, s6, v13
.LBB130_411:
	s_or_b64 exec, exec, s[4:5]
	v_or_b32_e32 v13, 0xa00, v0
	v_cmp_gt_i32_e32 vcc, s8, v13
	s_and_saveexec_b64 s[4:5], vcc
	s_cbranch_execz .LBB130_426
; %bb.412:
	s_cmp_lt_i32 s9, 1
	s_mov_b64 s[6:7], 0
	s_cbranch_scc1 .LBB130_417
; %bb.413:
	s_cmp_gt_i32 s9, 1
	s_cbranch_scc0 .LBB130_418
; %bb.414:
	s_cmp_eq_u32 s9, 2
	s_cbranch_scc0 .LBB130_544
; %bb.415:
	v_cmp_ge_f32_e64 s[10:11], s3, v12
	s_mov_b64 s[14:15], 0
	s_branch .LBB130_420
.LBB130_416:
	v_cmp_gt_f32_e32 vcc, s3, v13
	s_andn2_b64 s[10:11], s[10:11], exec
	s_and_b64 s[14:15], vcc, exec
	s_or_b64 s[10:11], s[10:11], s[14:15]
	s_cbranch_execz .LBB130_409
	s_branch .LBB130_410
.LBB130_417:
                                        ; implicit-def: $sgpr10_sgpr11
	s_mov_b64 s[14:15], 0
	s_cbranch_execnz .LBB130_421
	s_branch .LBB130_422
.LBB130_418:
	s_mov_b64 s[14:15], 0
                                        ; implicit-def: $sgpr10_sgpr11
	s_cbranch_execz .LBB130_420
; %bb.419:
	v_cmp_lt_f32_e32 vcc, s3, v12
	s_andn2_b64 s[10:11], s[10:11], exec
	s_and_b64 s[16:17], vcc, exec
	s_or_b64 s[10:11], s[10:11], s[16:17]
.LBB130_420:
	s_branch .LBB130_422
.LBB130_421:
	s_cmp_lg_u32 s9, 0
	s_mov_b64 s[6:7], -1
	s_cselect_b64 s[14:15], -1, 0
.LBB130_422:
	s_andn2_b64 vcc, exec, s[14:15]
	s_cbranch_vccz .LBB130_431
; %bb.423:
	s_andn2_b64 vcc, exec, s[6:7]
	s_cbranch_vccnz .LBB130_425
.LBB130_424:
	v_cmp_le_f32_e32 vcc, s3, v12
	s_andn2_b64 s[6:7], s[10:11], exec
	s_and_b64 s[10:11], vcc, exec
	s_or_b64 s[10:11], s[6:7], s[10:11]
.LBB130_425:
	s_movk_i32 s6, 0xff00
	v_and_b32_sdwa v12, v3, s6 dst_sel:DWORD dst_unused:UNUSED_PAD src0_sel:WORD_1 src1_sel:DWORD
	v_cndmask_b32_e64 v13, 0, 1, s[10:11]
	v_or_b32_sdwa v12, v13, v12 dst_sel:WORD_1 dst_unused:UNUSED_PAD src0_sel:DWORD src1_sel:DWORD
	s_mov_b32 s6, 0xffff
	v_and_or_b32 v3, v3, s6, v12
.LBB130_426:
	s_or_b64 exec, exec, s[4:5]
	v_or_b32_e32 v12, 0xb00, v0
	v_cmp_gt_i32_e32 vcc, s8, v12
	s_and_saveexec_b64 s[4:5], vcc
	s_cbranch_execz .LBB130_441
; %bb.427:
	s_cmp_lt_i32 s9, 1
	s_mov_b64 s[6:7], 0
	s_cbranch_scc1 .LBB130_432
; %bb.428:
	s_cmp_gt_i32 s9, 1
	s_cbranch_scc0 .LBB130_433
; %bb.429:
	s_cmp_eq_u32 s9, 2
	s_cbranch_scc0 .LBB130_545
; %bb.430:
	v_cmp_ge_f32_e64 s[10:11], s3, v11
	s_mov_b64 s[14:15], 0
	s_branch .LBB130_435
.LBB130_431:
	v_cmp_gt_f32_e32 vcc, s3, v12
	s_andn2_b64 s[10:11], s[10:11], exec
	s_and_b64 s[14:15], vcc, exec
	s_or_b64 s[10:11], s[10:11], s[14:15]
	s_cbranch_execz .LBB130_424
	s_branch .LBB130_425
.LBB130_432:
                                        ; implicit-def: $sgpr10_sgpr11
	s_mov_b64 s[14:15], 0
	s_cbranch_execnz .LBB130_436
	s_branch .LBB130_437
.LBB130_433:
	s_mov_b64 s[14:15], 0
                                        ; implicit-def: $sgpr10_sgpr11
	s_cbranch_execz .LBB130_435
; %bb.434:
	v_cmp_lt_f32_e32 vcc, s3, v11
	s_andn2_b64 s[10:11], s[10:11], exec
	s_and_b64 s[16:17], vcc, exec
	s_or_b64 s[10:11], s[10:11], s[16:17]
.LBB130_435:
	s_branch .LBB130_437
.LBB130_436:
	s_cmp_lg_u32 s9, 0
	s_mov_b64 s[6:7], -1
	s_cselect_b64 s[14:15], -1, 0
.LBB130_437:
	s_andn2_b64 vcc, exec, s[14:15]
	s_cbranch_vccz .LBB130_446
; %bb.438:
	s_andn2_b64 vcc, exec, s[6:7]
	s_cbranch_vccnz .LBB130_440
.LBB130_439:
	v_cmp_le_f32_e32 vcc, s3, v11
	s_andn2_b64 s[6:7], s[10:11], exec
	s_and_b64 s[10:11], vcc, exec
	s_or_b64 s[10:11], s[6:7], s[10:11]
.LBB130_440:
	s_movk_i32 s6, 0xff
	v_cndmask_b32_e64 v12, 0, 1, s[10:11]
	v_and_b32_sdwa v11, v3, s6 dst_sel:DWORD dst_unused:UNUSED_PAD src0_sel:WORD_1 src1_sel:DWORD
	v_lshlrev_b16_e32 v12, 8, v12
	v_or_b32_sdwa v11, v11, v12 dst_sel:WORD_1 dst_unused:UNUSED_PAD src0_sel:DWORD src1_sel:DWORD
	s_mov_b32 s6, 0xffff
	v_and_or_b32 v3, v3, s6, v11
.LBB130_441:
	s_or_b64 exec, exec, s[4:5]
	v_or_b32_e32 v11, 0xc00, v0
	v_cmp_gt_i32_e32 vcc, s8, v11
	s_and_saveexec_b64 s[4:5], vcc
	s_cbranch_execz .LBB130_456
; %bb.442:
	s_cmp_lt_i32 s9, 1
	s_mov_b64 s[6:7], 0
	s_cbranch_scc1 .LBB130_447
; %bb.443:
	s_cmp_gt_i32 s9, 1
	s_cbranch_scc0 .LBB130_448
; %bb.444:
	s_cmp_eq_u32 s9, 2
	s_cbranch_scc0 .LBB130_546
; %bb.445:
	v_cmp_ge_f32_e64 s[10:11], s3, v10
	s_mov_b64 s[14:15], 0
	s_branch .LBB130_450
.LBB130_446:
	v_cmp_gt_f32_e32 vcc, s3, v11
	s_andn2_b64 s[10:11], s[10:11], exec
	s_and_b64 s[14:15], vcc, exec
	s_or_b64 s[10:11], s[10:11], s[14:15]
	s_cbranch_execz .LBB130_439
	s_branch .LBB130_440
.LBB130_447:
                                        ; implicit-def: $sgpr10_sgpr11
	s_mov_b64 s[14:15], 0
	s_cbranch_execnz .LBB130_451
	s_branch .LBB130_452
.LBB130_448:
	s_mov_b64 s[14:15], 0
                                        ; implicit-def: $sgpr10_sgpr11
	s_cbranch_execz .LBB130_450
; %bb.449:
	v_cmp_lt_f32_e32 vcc, s3, v10
	s_andn2_b64 s[10:11], s[10:11], exec
	s_and_b64 s[16:17], vcc, exec
	s_or_b64 s[10:11], s[10:11], s[16:17]
.LBB130_450:
	s_branch .LBB130_452
.LBB130_451:
	s_cmp_lg_u32 s9, 0
	s_mov_b64 s[6:7], -1
	s_cselect_b64 s[14:15], -1, 0
.LBB130_452:
	s_andn2_b64 vcc, exec, s[14:15]
	s_cbranch_vccz .LBB130_461
; %bb.453:
	s_andn2_b64 vcc, exec, s[6:7]
	s_cbranch_vccnz .LBB130_455
.LBB130_454:
	v_cmp_le_f32_e32 vcc, s3, v10
	s_andn2_b64 s[6:7], s[10:11], exec
	s_and_b64 s[10:11], vcc, exec
	s_or_b64 s[10:11], s[6:7], s[10:11]
.LBB130_455:
	v_and_b32_e32 v10, 0xffffff00, v2
	v_cndmask_b32_e64 v11, 0, 1, s[10:11]
	v_or_b32_e32 v10, v11, v10
	v_and_b32_e32 v10, 0xffff, v10
	s_mov_b32 s6, 0xffff0000
	v_and_or_b32 v2, v2, s6, v10
.LBB130_456:
	s_or_b64 exec, exec, s[4:5]
	v_or_b32_e32 v10, 0xd00, v0
	v_cmp_gt_i32_e32 vcc, s8, v10
	s_and_saveexec_b64 s[4:5], vcc
	s_cbranch_execz .LBB130_471
; %bb.457:
	s_cmp_lt_i32 s9, 1
	s_mov_b64 s[6:7], 0
	s_cbranch_scc1 .LBB130_462
; %bb.458:
	s_cmp_gt_i32 s9, 1
	s_cbranch_scc0 .LBB130_463
; %bb.459:
	s_cmp_eq_u32 s9, 2
	s_cbranch_scc0 .LBB130_547
; %bb.460:
	v_cmp_ge_f32_e64 s[10:11], s3, v9
	s_mov_b64 s[14:15], 0
	s_branch .LBB130_465
.LBB130_461:
	v_cmp_gt_f32_e32 vcc, s3, v10
	s_andn2_b64 s[10:11], s[10:11], exec
	s_and_b64 s[14:15], vcc, exec
	s_or_b64 s[10:11], s[10:11], s[14:15]
	s_cbranch_execz .LBB130_454
	s_branch .LBB130_455
.LBB130_462:
                                        ; implicit-def: $sgpr10_sgpr11
	s_mov_b64 s[14:15], 0
	s_cbranch_execnz .LBB130_466
	s_branch .LBB130_467
.LBB130_463:
	s_mov_b64 s[14:15], 0
                                        ; implicit-def: $sgpr10_sgpr11
	s_cbranch_execz .LBB130_465
; %bb.464:
	v_cmp_lt_f32_e32 vcc, s3, v9
	s_andn2_b64 s[10:11], s[10:11], exec
	s_and_b64 s[16:17], vcc, exec
	s_or_b64 s[10:11], s[10:11], s[16:17]
.LBB130_465:
	s_branch .LBB130_467
.LBB130_466:
	s_cmp_lg_u32 s9, 0
	s_mov_b64 s[6:7], -1
	s_cselect_b64 s[14:15], -1, 0
.LBB130_467:
	s_andn2_b64 vcc, exec, s[14:15]
	s_cbranch_vccz .LBB130_476
; %bb.468:
	s_andn2_b64 vcc, exec, s[6:7]
	s_cbranch_vccnz .LBB130_470
.LBB130_469:
	v_cmp_le_f32_e32 vcc, s3, v9
	s_andn2_b64 s[6:7], s[10:11], exec
	s_and_b64 s[10:11], vcc, exec
	s_or_b64 s[10:11], s[6:7], s[10:11]
.LBB130_470:
	v_cndmask_b32_e64 v9, 0, 1, s[10:11]
	v_lshlrev_b16_e32 v9, 8, v9
	v_or_b32_sdwa v9, v2, v9 dst_sel:DWORD dst_unused:UNUSED_PAD src0_sel:BYTE_0 src1_sel:DWORD
	v_and_b32_e32 v9, 0xffff, v9
	s_mov_b32 s6, 0xffff0000
	v_and_or_b32 v2, v2, s6, v9
.LBB130_471:
	s_or_b64 exec, exec, s[4:5]
	v_or_b32_e32 v9, 0xe00, v0
	v_cmp_gt_i32_e32 vcc, s8, v9
	s_and_saveexec_b64 s[4:5], vcc
	s_cbranch_execz .LBB130_486
; %bb.472:
	s_cmp_lt_i32 s9, 1
	s_mov_b64 s[6:7], 0
	s_cbranch_scc1 .LBB130_477
; %bb.473:
	s_cmp_gt_i32 s9, 1
	s_cbranch_scc0 .LBB130_478
; %bb.474:
	s_cmp_eq_u32 s9, 2
	s_cbranch_scc0 .LBB130_548
; %bb.475:
	v_cmp_ge_f32_e64 s[10:11], s3, v8
	s_mov_b64 s[14:15], 0
	s_branch .LBB130_480
.LBB130_476:
	v_cmp_gt_f32_e32 vcc, s3, v9
	s_andn2_b64 s[10:11], s[10:11], exec
	s_and_b64 s[14:15], vcc, exec
	s_or_b64 s[10:11], s[10:11], s[14:15]
	s_cbranch_execz .LBB130_469
	s_branch .LBB130_470
.LBB130_477:
                                        ; implicit-def: $sgpr10_sgpr11
	s_mov_b64 s[14:15], 0
	s_cbranch_execnz .LBB130_481
	s_branch .LBB130_482
.LBB130_478:
	s_mov_b64 s[14:15], 0
                                        ; implicit-def: $sgpr10_sgpr11
	s_cbranch_execz .LBB130_480
; %bb.479:
	v_cmp_lt_f32_e32 vcc, s3, v8
	s_andn2_b64 s[10:11], s[10:11], exec
	s_and_b64 s[16:17], vcc, exec
	s_or_b64 s[10:11], s[10:11], s[16:17]
.LBB130_480:
	s_branch .LBB130_482
.LBB130_481:
	s_cmp_lg_u32 s9, 0
	s_mov_b64 s[6:7], -1
	s_cselect_b64 s[14:15], -1, 0
.LBB130_482:
	s_andn2_b64 vcc, exec, s[14:15]
	s_cbranch_vccz .LBB130_491
; %bb.483:
	s_andn2_b64 vcc, exec, s[6:7]
	s_cbranch_vccnz .LBB130_485
.LBB130_484:
	v_cmp_le_f32_e32 vcc, s3, v8
	s_andn2_b64 s[6:7], s[10:11], exec
	s_and_b64 s[10:11], vcc, exec
	s_or_b64 s[10:11], s[6:7], s[10:11]
.LBB130_485:
	s_movk_i32 s6, 0xff00
	v_and_b32_sdwa v8, v2, s6 dst_sel:DWORD dst_unused:UNUSED_PAD src0_sel:WORD_1 src1_sel:DWORD
	v_cndmask_b32_e64 v9, 0, 1, s[10:11]
	v_or_b32_sdwa v8, v9, v8 dst_sel:WORD_1 dst_unused:UNUSED_PAD src0_sel:DWORD src1_sel:DWORD
	s_mov_b32 s6, 0xffff
	v_and_or_b32 v2, v2, s6, v8
.LBB130_486:
	s_or_b64 exec, exec, s[4:5]
	v_or_b32_e32 v8, 0xf00, v0
	v_cmp_gt_i32_e32 vcc, s8, v8
	s_and_saveexec_b64 s[4:5], vcc
	s_cbranch_execz .LBB130_501
; %bb.487:
	s_cmp_lt_i32 s9, 1
	s_mov_b64 s[6:7], 0
	s_cbranch_scc1 .LBB130_492
; %bb.488:
	s_cmp_gt_i32 s9, 1
	s_cbranch_scc0 .LBB130_493
; %bb.489:
	s_cmp_eq_u32 s9, 2
	s_cbranch_scc0 .LBB130_549
; %bb.490:
	v_cmp_ge_f32_e64 s[10:11], s3, v4
	s_mov_b64 s[14:15], 0
	s_branch .LBB130_495
.LBB130_491:
	v_cmp_gt_f32_e32 vcc, s3, v8
	s_andn2_b64 s[10:11], s[10:11], exec
	s_and_b64 s[14:15], vcc, exec
	s_or_b64 s[10:11], s[10:11], s[14:15]
	s_cbranch_execz .LBB130_484
	s_branch .LBB130_485
.LBB130_492:
                                        ; implicit-def: $sgpr10_sgpr11
	s_mov_b64 s[14:15], 0
	s_cbranch_execnz .LBB130_496
	s_branch .LBB130_497
.LBB130_493:
	s_mov_b64 s[14:15], 0
                                        ; implicit-def: $sgpr10_sgpr11
	s_cbranch_execz .LBB130_495
; %bb.494:
	v_cmp_lt_f32_e32 vcc, s3, v4
	s_andn2_b64 s[10:11], s[10:11], exec
	s_and_b64 s[16:17], vcc, exec
	s_or_b64 s[10:11], s[10:11], s[16:17]
.LBB130_495:
	s_branch .LBB130_497
.LBB130_496:
	s_cmp_lg_u32 s9, 0
	s_mov_b64 s[6:7], -1
	s_cselect_b64 s[14:15], -1, 0
.LBB130_497:
	s_andn2_b64 vcc, exec, s[14:15]
	s_cbranch_vccz .LBB130_534
; %bb.498:
	s_andn2_b64 vcc, exec, s[6:7]
	s_cbranch_vccnz .LBB130_500
.LBB130_499:
	v_cmp_le_f32_e32 vcc, s3, v4
	s_andn2_b64 s[6:7], s[10:11], exec
	s_and_b64 s[10:11], vcc, exec
	s_or_b64 s[10:11], s[6:7], s[10:11]
.LBB130_500:
	s_movk_i32 s3, 0xff
	v_cndmask_b32_e64 v8, 0, 1, s[10:11]
	v_and_b32_sdwa v4, v2, s3 dst_sel:DWORD dst_unused:UNUSED_PAD src0_sel:WORD_1 src1_sel:DWORD
	v_lshlrev_b16_e32 v8, 8, v8
	v_or_b32_sdwa v4, v4, v8 dst_sel:WORD_1 dst_unused:UNUSED_PAD src0_sel:DWORD src1_sel:DWORD
	s_mov_b32 s3, 0xffff
	v_and_or_b32 v2, v2, s3, v4
.LBB130_501:
	s_or_b64 exec, exec, s[4:5]
	s_and_saveexec_b64 s[4:5], s[0:1]
	s_xor_b64 s[0:1], exec, s[4:5]
	s_cbranch_execz .LBB130_503
; %bb.502:
	v_mov_b32_e32 v0, v7
	global_store_byte v1, v6, s[12:13]
.LBB130_503:
	s_or_b64 exec, exec, s[0:1]
	v_cmp_gt_i32_e32 vcc, s8, v0
	s_and_saveexec_b64 s[0:1], vcc
	s_cbranch_execnz .LBB130_520
; %bb.504:
	s_or_b64 exec, exec, s[0:1]
	v_cmp_gt_i32_e32 vcc, s8, v0
	s_and_saveexec_b64 s[0:1], vcc
	s_cbranch_execnz .LBB130_521
.LBB130_505:
	s_or_b64 exec, exec, s[0:1]
	v_cmp_gt_i32_e32 vcc, s8, v0
	s_and_saveexec_b64 s[0:1], vcc
	s_cbranch_execnz .LBB130_522
.LBB130_506:
	s_or_b64 exec, exec, s[0:1]
	v_cmp_gt_i32_e32 vcc, s8, v0
	s_and_saveexec_b64 s[0:1], vcc
	s_cbranch_execnz .LBB130_523
.LBB130_507:
	s_or_b64 exec, exec, s[0:1]
	v_cmp_gt_i32_e32 vcc, s8, v0
	s_and_saveexec_b64 s[0:1], vcc
	s_cbranch_execnz .LBB130_524
.LBB130_508:
	s_or_b64 exec, exec, s[0:1]
	v_cmp_gt_i32_e32 vcc, s8, v0
	s_and_saveexec_b64 s[0:1], vcc
	s_cbranch_execnz .LBB130_525
.LBB130_509:
	s_or_b64 exec, exec, s[0:1]
	v_cmp_gt_i32_e32 vcc, s8, v0
	s_and_saveexec_b64 s[0:1], vcc
	s_cbranch_execnz .LBB130_526
.LBB130_510:
	s_or_b64 exec, exec, s[0:1]
	v_cmp_gt_i32_e32 vcc, s8, v0
	s_and_saveexec_b64 s[0:1], vcc
	s_cbranch_execnz .LBB130_527
.LBB130_511:
	s_or_b64 exec, exec, s[0:1]
	v_cmp_gt_i32_e32 vcc, s8, v0
	s_and_saveexec_b64 s[0:1], vcc
	s_cbranch_execnz .LBB130_528
.LBB130_512:
	s_or_b64 exec, exec, s[0:1]
	v_cmp_gt_i32_e32 vcc, s8, v0
	s_and_saveexec_b64 s[0:1], vcc
	s_cbranch_execnz .LBB130_529
.LBB130_513:
	s_or_b64 exec, exec, s[0:1]
	v_cmp_gt_i32_e32 vcc, s8, v0
	s_and_saveexec_b64 s[0:1], vcc
	s_cbranch_execnz .LBB130_530
.LBB130_514:
	s_or_b64 exec, exec, s[0:1]
	v_cmp_gt_i32_e32 vcc, s8, v0
	s_and_saveexec_b64 s[0:1], vcc
	s_cbranch_execnz .LBB130_531
.LBB130_515:
	s_or_b64 exec, exec, s[0:1]
	v_cmp_gt_i32_e32 vcc, s8, v0
	s_and_saveexec_b64 s[0:1], vcc
	s_cbranch_execnz .LBB130_532
.LBB130_516:
	s_or_b64 exec, exec, s[0:1]
	v_cmp_gt_i32_e32 vcc, s8, v0
	s_and_saveexec_b64 s[0:1], vcc
	s_cbranch_execnz .LBB130_533
.LBB130_517:
	s_or_b64 exec, exec, s[0:1]
	v_cmp_gt_i32_e32 vcc, s8, v0
	s_and_saveexec_b64 s[0:1], vcc
	s_cbranch_execz .LBB130_519
.LBB130_518:
	v_lshrrev_b32_e32 v1, 24, v2
	v_add_u32_e32 v0, s2, v0
	global_store_byte v0, v1, s[12:13]
.LBB130_519:
	s_endpgm
.LBB130_520:
	v_lshrrev_b32_e32 v1, 8, v6
	v_add_u32_e32 v4, s2, v0
	v_add_u32_e32 v0, 0x100, v0
	global_store_byte v4, v1, s[12:13]
	s_or_b64 exec, exec, s[0:1]
	v_cmp_gt_i32_e32 vcc, s8, v0
	s_and_saveexec_b64 s[0:1], vcc
	s_cbranch_execz .LBB130_505
.LBB130_521:
	v_add_u32_e32 v1, s2, v0
	v_add_u32_e32 v0, 0x100, v0
	global_store_byte_d16_hi v1, v6, s[12:13]
	s_or_b64 exec, exec, s[0:1]
	v_cmp_gt_i32_e32 vcc, s8, v0
	s_and_saveexec_b64 s[0:1], vcc
	s_cbranch_execz .LBB130_506
.LBB130_522:
	v_lshrrev_b32_e32 v1, 24, v6
	v_add_u32_e32 v4, s2, v0
	v_add_u32_e32 v0, 0x100, v0
	global_store_byte v4, v1, s[12:13]
	s_or_b64 exec, exec, s[0:1]
	v_cmp_gt_i32_e32 vcc, s8, v0
	s_and_saveexec_b64 s[0:1], vcc
	s_cbranch_execz .LBB130_507
.LBB130_523:
	v_add_u32_e32 v1, s2, v0
	v_add_u32_e32 v0, 0x100, v0
	global_store_byte v1, v5, s[12:13]
	s_or_b64 exec, exec, s[0:1]
	v_cmp_gt_i32_e32 vcc, s8, v0
	s_and_saveexec_b64 s[0:1], vcc
	s_cbranch_execz .LBB130_508
.LBB130_524:
	v_lshrrev_b32_e32 v1, 8, v5
	v_add_u32_e32 v4, s2, v0
	v_add_u32_e32 v0, 0x100, v0
	global_store_byte v4, v1, s[12:13]
	s_or_b64 exec, exec, s[0:1]
	v_cmp_gt_i32_e32 vcc, s8, v0
	s_and_saveexec_b64 s[0:1], vcc
	s_cbranch_execz .LBB130_509
.LBB130_525:
	v_add_u32_e32 v1, s2, v0
	v_add_u32_e32 v0, 0x100, v0
	global_store_byte_d16_hi v1, v5, s[12:13]
	s_or_b64 exec, exec, s[0:1]
	v_cmp_gt_i32_e32 vcc, s8, v0
	s_and_saveexec_b64 s[0:1], vcc
	s_cbranch_execz .LBB130_510
.LBB130_526:
	v_lshrrev_b32_e32 v1, 24, v5
	v_add_u32_e32 v4, s2, v0
	v_add_u32_e32 v0, 0x100, v0
	global_store_byte v4, v1, s[12:13]
	s_or_b64 exec, exec, s[0:1]
	v_cmp_gt_i32_e32 vcc, s8, v0
	s_and_saveexec_b64 s[0:1], vcc
	s_cbranch_execz .LBB130_511
.LBB130_527:
	v_add_u32_e32 v1, s2, v0
	v_add_u32_e32 v0, 0x100, v0
	global_store_byte v1, v3, s[12:13]
	s_or_b64 exec, exec, s[0:1]
	v_cmp_gt_i32_e32 vcc, s8, v0
	s_and_saveexec_b64 s[0:1], vcc
	s_cbranch_execz .LBB130_512
.LBB130_528:
	v_lshrrev_b32_e32 v1, 8, v3
	v_add_u32_e32 v4, s2, v0
	v_add_u32_e32 v0, 0x100, v0
	global_store_byte v4, v1, s[12:13]
	s_or_b64 exec, exec, s[0:1]
	v_cmp_gt_i32_e32 vcc, s8, v0
	s_and_saveexec_b64 s[0:1], vcc
	s_cbranch_execz .LBB130_513
.LBB130_529:
	v_add_u32_e32 v1, s2, v0
	v_add_u32_e32 v0, 0x100, v0
	global_store_byte_d16_hi v1, v3, s[12:13]
	s_or_b64 exec, exec, s[0:1]
	v_cmp_gt_i32_e32 vcc, s8, v0
	s_and_saveexec_b64 s[0:1], vcc
	s_cbranch_execz .LBB130_514
.LBB130_530:
	v_lshrrev_b32_e32 v1, 24, v3
	v_add_u32_e32 v3, s2, v0
	v_add_u32_e32 v0, 0x100, v0
	global_store_byte v3, v1, s[12:13]
	s_or_b64 exec, exec, s[0:1]
	v_cmp_gt_i32_e32 vcc, s8, v0
	s_and_saveexec_b64 s[0:1], vcc
	s_cbranch_execz .LBB130_515
.LBB130_531:
	v_add_u32_e32 v1, s2, v0
	v_add_u32_e32 v0, 0x100, v0
	global_store_byte v1, v2, s[12:13]
	s_or_b64 exec, exec, s[0:1]
	v_cmp_gt_i32_e32 vcc, s8, v0
	s_and_saveexec_b64 s[0:1], vcc
	s_cbranch_execz .LBB130_516
.LBB130_532:
	v_lshrrev_b32_e32 v1, 8, v2
	v_add_u32_e32 v3, s2, v0
	v_add_u32_e32 v0, 0x100, v0
	global_store_byte v3, v1, s[12:13]
	s_or_b64 exec, exec, s[0:1]
	v_cmp_gt_i32_e32 vcc, s8, v0
	s_and_saveexec_b64 s[0:1], vcc
	s_cbranch_execz .LBB130_517
.LBB130_533:
	v_add_u32_e32 v1, s2, v0
	v_add_u32_e32 v0, 0x100, v0
	global_store_byte_d16_hi v1, v2, s[12:13]
	s_or_b64 exec, exec, s[0:1]
	v_cmp_gt_i32_e32 vcc, s8, v0
	s_and_saveexec_b64 s[0:1], vcc
	s_cbranch_execnz .LBB130_518
	s_branch .LBB130_519
.LBB130_534:
	v_cmp_gt_f32_e32 vcc, s3, v4
	s_andn2_b64 s[10:11], s[10:11], exec
	s_and_b64 s[14:15], vcc, exec
	s_or_b64 s[10:11], s[10:11], s[14:15]
	s_cbranch_execz .LBB130_499
	s_branch .LBB130_500
.LBB130_535:
	s_mov_b64 s[14:15], -1
                                        ; implicit-def: $sgpr10_sgpr11
	s_branch .LBB130_285
.LBB130_536:
	s_mov_b64 s[14:15], -1
                                        ; implicit-def: $sgpr10_sgpr11
	s_branch .LBB130_300
.LBB130_537:
	s_mov_b64 s[14:15], -1
                                        ; implicit-def: $sgpr10_sgpr11
	s_branch .LBB130_315
.LBB130_538:
	s_mov_b64 s[14:15], -1
                                        ; implicit-def: $sgpr10_sgpr11
	s_branch .LBB130_330
.LBB130_539:
	s_mov_b64 s[14:15], -1
                                        ; implicit-def: $sgpr10_sgpr11
	s_branch .LBB130_345
.LBB130_540:
	s_mov_b64 s[14:15], -1
                                        ; implicit-def: $sgpr10_sgpr11
	s_branch .LBB130_360
.LBB130_541:
	s_mov_b64 s[14:15], -1
                                        ; implicit-def: $sgpr10_sgpr11
	s_branch .LBB130_375
.LBB130_542:
	s_mov_b64 s[14:15], -1
                                        ; implicit-def: $sgpr10_sgpr11
	s_branch .LBB130_390
.LBB130_543:
	s_mov_b64 s[14:15], -1
                                        ; implicit-def: $sgpr10_sgpr11
	s_branch .LBB130_405
.LBB130_544:
	s_mov_b64 s[14:15], -1
                                        ; implicit-def: $sgpr10_sgpr11
	s_branch .LBB130_420
.LBB130_545:
	s_mov_b64 s[14:15], -1
                                        ; implicit-def: $sgpr10_sgpr11
	s_branch .LBB130_435
.LBB130_546:
	s_mov_b64 s[14:15], -1
                                        ; implicit-def: $sgpr10_sgpr11
	s_branch .LBB130_450
.LBB130_547:
	s_mov_b64 s[14:15], -1
                                        ; implicit-def: $sgpr10_sgpr11
	s_branch .LBB130_465
.LBB130_548:
	s_mov_b64 s[14:15], -1
                                        ; implicit-def: $sgpr10_sgpr11
	s_branch .LBB130_480
.LBB130_549:
	s_mov_b64 s[14:15], -1
                                        ; implicit-def: $sgpr10_sgpr11
	s_branch .LBB130_495
	.section	.rodata,"a",@progbits
	.p2align	6, 0x0
	.amdhsa_kernel _ZN2at6native29vectorized_elementwise_kernelILi4EZNS0_21compare_scalar_kernelIN3c108BFloat16EEEvRNS_18TensorIteratorBaseENS0_12_GLOBAL__N_16OpTypeET_EUlS4_E_St5arrayIPcLm2EEEEviT0_T1_
		.amdhsa_group_segment_fixed_size 0
		.amdhsa_private_segment_fixed_size 0
		.amdhsa_kernarg_size 32
		.amdhsa_user_sgpr_count 6
		.amdhsa_user_sgpr_private_segment_buffer 1
		.amdhsa_user_sgpr_dispatch_ptr 0
		.amdhsa_user_sgpr_queue_ptr 0
		.amdhsa_user_sgpr_kernarg_segment_ptr 1
		.amdhsa_user_sgpr_dispatch_id 0
		.amdhsa_user_sgpr_flat_scratch_init 0
		.amdhsa_user_sgpr_private_segment_size 0
		.amdhsa_uses_dynamic_stack 0
		.amdhsa_system_sgpr_private_segment_wavefront_offset 0
		.amdhsa_system_sgpr_workgroup_id_x 1
		.amdhsa_system_sgpr_workgroup_id_y 0
		.amdhsa_system_sgpr_workgroup_id_z 0
		.amdhsa_system_sgpr_workgroup_info 0
		.amdhsa_system_vgpr_workitem_id 0
		.amdhsa_next_free_vgpr 22
		.amdhsa_next_free_sgpr 50
		.amdhsa_reserve_vcc 1
		.amdhsa_reserve_flat_scratch 0
		.amdhsa_float_round_mode_32 0
		.amdhsa_float_round_mode_16_64 0
		.amdhsa_float_denorm_mode_32 3
		.amdhsa_float_denorm_mode_16_64 3
		.amdhsa_dx10_clamp 1
		.amdhsa_ieee_mode 1
		.amdhsa_fp16_overflow 0
		.amdhsa_exception_fp_ieee_invalid_op 0
		.amdhsa_exception_fp_denorm_src 0
		.amdhsa_exception_fp_ieee_div_zero 0
		.amdhsa_exception_fp_ieee_overflow 0
		.amdhsa_exception_fp_ieee_underflow 0
		.amdhsa_exception_fp_ieee_inexact 0
		.amdhsa_exception_int_div_zero 0
	.end_amdhsa_kernel
	.section	.text._ZN2at6native29vectorized_elementwise_kernelILi4EZNS0_21compare_scalar_kernelIN3c108BFloat16EEEvRNS_18TensorIteratorBaseENS0_12_GLOBAL__N_16OpTypeET_EUlS4_E_St5arrayIPcLm2EEEEviT0_T1_,"axG",@progbits,_ZN2at6native29vectorized_elementwise_kernelILi4EZNS0_21compare_scalar_kernelIN3c108BFloat16EEEvRNS_18TensorIteratorBaseENS0_12_GLOBAL__N_16OpTypeET_EUlS4_E_St5arrayIPcLm2EEEEviT0_T1_,comdat
.Lfunc_end130:
	.size	_ZN2at6native29vectorized_elementwise_kernelILi4EZNS0_21compare_scalar_kernelIN3c108BFloat16EEEvRNS_18TensorIteratorBaseENS0_12_GLOBAL__N_16OpTypeET_EUlS4_E_St5arrayIPcLm2EEEEviT0_T1_, .Lfunc_end130-_ZN2at6native29vectorized_elementwise_kernelILi4EZNS0_21compare_scalar_kernelIN3c108BFloat16EEEvRNS_18TensorIteratorBaseENS0_12_GLOBAL__N_16OpTypeET_EUlS4_E_St5arrayIPcLm2EEEEviT0_T1_
                                        ; -- End function
	.set _ZN2at6native29vectorized_elementwise_kernelILi4EZNS0_21compare_scalar_kernelIN3c108BFloat16EEEvRNS_18TensorIteratorBaseENS0_12_GLOBAL__N_16OpTypeET_EUlS4_E_St5arrayIPcLm2EEEEviT0_T1_.num_vgpr, 22
	.set _ZN2at6native29vectorized_elementwise_kernelILi4EZNS0_21compare_scalar_kernelIN3c108BFloat16EEEvRNS_18TensorIteratorBaseENS0_12_GLOBAL__N_16OpTypeET_EUlS4_E_St5arrayIPcLm2EEEEviT0_T1_.num_agpr, 0
	.set _ZN2at6native29vectorized_elementwise_kernelILi4EZNS0_21compare_scalar_kernelIN3c108BFloat16EEEvRNS_18TensorIteratorBaseENS0_12_GLOBAL__N_16OpTypeET_EUlS4_E_St5arrayIPcLm2EEEEviT0_T1_.numbered_sgpr, 50
	.set _ZN2at6native29vectorized_elementwise_kernelILi4EZNS0_21compare_scalar_kernelIN3c108BFloat16EEEvRNS_18TensorIteratorBaseENS0_12_GLOBAL__N_16OpTypeET_EUlS4_E_St5arrayIPcLm2EEEEviT0_T1_.num_named_barrier, 0
	.set _ZN2at6native29vectorized_elementwise_kernelILi4EZNS0_21compare_scalar_kernelIN3c108BFloat16EEEvRNS_18TensorIteratorBaseENS0_12_GLOBAL__N_16OpTypeET_EUlS4_E_St5arrayIPcLm2EEEEviT0_T1_.private_seg_size, 0
	.set _ZN2at6native29vectorized_elementwise_kernelILi4EZNS0_21compare_scalar_kernelIN3c108BFloat16EEEvRNS_18TensorIteratorBaseENS0_12_GLOBAL__N_16OpTypeET_EUlS4_E_St5arrayIPcLm2EEEEviT0_T1_.uses_vcc, 1
	.set _ZN2at6native29vectorized_elementwise_kernelILi4EZNS0_21compare_scalar_kernelIN3c108BFloat16EEEvRNS_18TensorIteratorBaseENS0_12_GLOBAL__N_16OpTypeET_EUlS4_E_St5arrayIPcLm2EEEEviT0_T1_.uses_flat_scratch, 0
	.set _ZN2at6native29vectorized_elementwise_kernelILi4EZNS0_21compare_scalar_kernelIN3c108BFloat16EEEvRNS_18TensorIteratorBaseENS0_12_GLOBAL__N_16OpTypeET_EUlS4_E_St5arrayIPcLm2EEEEviT0_T1_.has_dyn_sized_stack, 0
	.set _ZN2at6native29vectorized_elementwise_kernelILi4EZNS0_21compare_scalar_kernelIN3c108BFloat16EEEvRNS_18TensorIteratorBaseENS0_12_GLOBAL__N_16OpTypeET_EUlS4_E_St5arrayIPcLm2EEEEviT0_T1_.has_recursion, 0
	.set _ZN2at6native29vectorized_elementwise_kernelILi4EZNS0_21compare_scalar_kernelIN3c108BFloat16EEEvRNS_18TensorIteratorBaseENS0_12_GLOBAL__N_16OpTypeET_EUlS4_E_St5arrayIPcLm2EEEEviT0_T1_.has_indirect_call, 0
	.section	.AMDGPU.csdata,"",@progbits
; Kernel info:
; codeLenInByte = 8940
; TotalNumSgprs: 54
; NumVgprs: 22
; ScratchSize: 0
; MemoryBound: 0
; FloatMode: 240
; IeeeMode: 1
; LDSByteSize: 0 bytes/workgroup (compile time only)
; SGPRBlocks: 6
; VGPRBlocks: 5
; NumSGPRsForWavesPerEU: 54
; NumVGPRsForWavesPerEU: 22
; Occupancy: 10
; WaveLimiterHint : 1
; COMPUTE_PGM_RSRC2:SCRATCH_EN: 0
; COMPUTE_PGM_RSRC2:USER_SGPR: 6
; COMPUTE_PGM_RSRC2:TRAP_HANDLER: 0
; COMPUTE_PGM_RSRC2:TGID_X_EN: 1
; COMPUTE_PGM_RSRC2:TGID_Y_EN: 0
; COMPUTE_PGM_RSRC2:TGID_Z_EN: 0
; COMPUTE_PGM_RSRC2:TIDIG_COMP_CNT: 0
	.section	.text._ZN2at6native29vectorized_elementwise_kernelILi2EZNS0_21compare_scalar_kernelIN3c108BFloat16EEEvRNS_18TensorIteratorBaseENS0_12_GLOBAL__N_16OpTypeET_EUlS4_E_St5arrayIPcLm2EEEEviT0_T1_,"axG",@progbits,_ZN2at6native29vectorized_elementwise_kernelILi2EZNS0_21compare_scalar_kernelIN3c108BFloat16EEEvRNS_18TensorIteratorBaseENS0_12_GLOBAL__N_16OpTypeET_EUlS4_E_St5arrayIPcLm2EEEEviT0_T1_,comdat
	.globl	_ZN2at6native29vectorized_elementwise_kernelILi2EZNS0_21compare_scalar_kernelIN3c108BFloat16EEEvRNS_18TensorIteratorBaseENS0_12_GLOBAL__N_16OpTypeET_EUlS4_E_St5arrayIPcLm2EEEEviT0_T1_ ; -- Begin function _ZN2at6native29vectorized_elementwise_kernelILi2EZNS0_21compare_scalar_kernelIN3c108BFloat16EEEvRNS_18TensorIteratorBaseENS0_12_GLOBAL__N_16OpTypeET_EUlS4_E_St5arrayIPcLm2EEEEviT0_T1_
	.p2align	8
	.type	_ZN2at6native29vectorized_elementwise_kernelILi2EZNS0_21compare_scalar_kernelIN3c108BFloat16EEEvRNS_18TensorIteratorBaseENS0_12_GLOBAL__N_16OpTypeET_EUlS4_E_St5arrayIPcLm2EEEEviT0_T1_,@function
_ZN2at6native29vectorized_elementwise_kernelILi2EZNS0_21compare_scalar_kernelIN3c108BFloat16EEEvRNS_18TensorIteratorBaseENS0_12_GLOBAL__N_16OpTypeET_EUlS4_E_St5arrayIPcLm2EEEEviT0_T1_: ; @_ZN2at6native29vectorized_elementwise_kernelILi2EZNS0_21compare_scalar_kernelIN3c108BFloat16EEEvRNS_18TensorIteratorBaseENS0_12_GLOBAL__N_16OpTypeET_EUlS4_E_St5arrayIPcLm2EEEEviT0_T1_
; %bb.0:
	s_load_dwordx8 s[8:15], s[4:5], 0x0
	s_lshl_b32 s2, s6, 12
	s_mov_b64 s[0:1], -1
	s_waitcnt lgkmcnt(0)
	s_sub_i32 s8, s8, s2
	s_cmpk_gt_i32 s8, 0xfff
	s_cbranch_scc0 .LBB131_211
; %bb.1:
	s_ashr_i32 s3, s2, 31
	s_lshl_b64 s[0:1], s[2:3], 1
	s_add_u32 s0, s14, s0
	s_addc_u32 s1, s15, s1
	v_lshlrev_b32_e32 v11, 2, v0
	v_mov_b32_e32 v1, s1
	v_add_co_u32_e32 v2, vcc, s0, v11
	v_addc_co_u32_e32 v1, vcc, 0, v1, vcc
	v_add_co_u32_e32 v9, vcc, 0x1000, v2
	v_addc_co_u32_e32 v10, vcc, 0, v1, vcc
	global_load_dword v8, v11, s[0:1]
	global_load_dword v7, v11, s[0:1] offset:1024
	global_load_dword v6, v11, s[0:1] offset:2048
	;; [unrolled: 1-line block ×3, first 2 shown]
	global_load_dword v4, v[9:10], off
	global_load_dword v3, v[9:10], off offset:1024
	global_load_dword v2, v[9:10], off offset:2048
	;; [unrolled: 1-line block ×3, first 2 shown]
	s_lshl_b32 s11, s10, 16
	s_cmp_lt_i32 s9, 1
	s_mov_b64 s[4:5], 0
	s_waitcnt vmcnt(7)
	v_lshlrev_b32_e32 v9, 16, v8
	s_cbranch_scc1 .LBB131_5
; %bb.2:
	s_cmp_gt_i32 s9, 1
	s_cbranch_scc0 .LBB131_6
; %bb.3:
	s_cmp_eq_u32 s9, 2
	s_cbranch_scc0 .LBB131_7
; %bb.4:
	v_cmp_ge_f32_e64 s[0:1], s11, v9
	s_mov_b64 s[6:7], 0
	s_branch .LBB131_8
.LBB131_5:
                                        ; implicit-def: $sgpr0_sgpr1
	s_mov_b64 s[6:7], 0
	s_cbranch_execnz .LBB131_11
	s_branch .LBB131_12
.LBB131_6:
	s_mov_b64 s[6:7], 0
                                        ; implicit-def: $sgpr0_sgpr1
	s_cbranch_execnz .LBB131_9
	s_branch .LBB131_10
.LBB131_7:
	s_mov_b64 s[6:7], -1
                                        ; implicit-def: $sgpr0_sgpr1
.LBB131_8:
	s_branch .LBB131_10
.LBB131_9:
	v_cmp_lt_f32_e32 vcc, s11, v9
	s_andn2_b64 s[0:1], s[0:1], exec
	s_and_b64 s[16:17], vcc, exec
	s_or_b64 s[0:1], s[0:1], s[16:17]
.LBB131_10:
	s_branch .LBB131_12
.LBB131_11:
	s_cmp_lg_u32 s9, 0
	s_mov_b64 s[4:5], -1
	s_cselect_b64 s[6:7], -1, 0
.LBB131_12:
	s_andn2_b64 vcc, exec, s[6:7]
	s_cbranch_vccz .LBB131_18
; %bb.13:
	s_andn2_b64 vcc, exec, s[4:5]
	s_cbranch_vccz .LBB131_19
.LBB131_14:
	v_and_b32_e32 v8, 0xffff0000, v8
	s_cmp_lt_i32 s9, 1
	s_mov_b64 s[6:7], 0
	s_cbranch_scc1 .LBB131_20
.LBB131_15:
	s_cmp_gt_i32 s9, 1
	s_cbranch_scc0 .LBB131_21
; %bb.16:
	s_cmp_eq_u32 s9, 2
	s_cbranch_scc0 .LBB131_251
; %bb.17:
	v_cmp_ge_f32_e64 s[4:5], s11, v8
	s_mov_b64 s[16:17], 0
	s_branch .LBB131_23
.LBB131_18:
	v_cmp_gt_f32_e32 vcc, s11, v9
	s_andn2_b64 s[0:1], s[0:1], exec
	s_and_b64 s[6:7], vcc, exec
	s_or_b64 s[0:1], s[0:1], s[6:7]
	s_cbranch_execnz .LBB131_14
.LBB131_19:
	v_cmp_le_f32_e32 vcc, s11, v9
	s_andn2_b64 s[0:1], s[0:1], exec
	s_and_b64 s[4:5], vcc, exec
	s_or_b64 s[0:1], s[0:1], s[4:5]
	v_and_b32_e32 v8, 0xffff0000, v8
	s_cmp_lt_i32 s9, 1
	s_mov_b64 s[6:7], 0
	s_cbranch_scc0 .LBB131_15
.LBB131_20:
                                        ; implicit-def: $sgpr4_sgpr5
	s_mov_b64 s[16:17], 0
	s_cbranch_execnz .LBB131_24
	s_branch .LBB131_25
.LBB131_21:
	s_mov_b64 s[16:17], 0
                                        ; implicit-def: $sgpr4_sgpr5
	s_cbranch_execz .LBB131_23
; %bb.22:
	v_cmp_lt_f32_e32 vcc, s11, v8
	s_andn2_b64 s[4:5], s[4:5], exec
	s_and_b64 s[18:19], vcc, exec
	s_or_b64 s[4:5], s[4:5], s[18:19]
.LBB131_23:
	s_branch .LBB131_25
.LBB131_24:
	s_cmp_lg_u32 s9, 0
	s_mov_b64 s[6:7], -1
	s_cselect_b64 s[16:17], -1, 0
.LBB131_25:
	s_andn2_b64 vcc, exec, s[16:17]
	s_cbranch_vccz .LBB131_31
; %bb.26:
	s_andn2_b64 vcc, exec, s[6:7]
	s_cbranch_vccz .LBB131_32
.LBB131_27:
	s_waitcnt vmcnt(6)
	v_lshlrev_b32_e32 v8, 16, v7
	s_cmp_lt_i32 s9, 1
	s_mov_b64 s[16:17], 0
	s_cbranch_scc1 .LBB131_33
.LBB131_28:
	s_cmp_gt_i32 s9, 1
	s_cbranch_scc0 .LBB131_34
; %bb.29:
	s_cmp_eq_u32 s9, 2
	s_cbranch_scc0 .LBB131_252
; %bb.30:
	v_cmp_ge_f32_e64 s[6:7], s11, v8
	s_mov_b64 s[18:19], 0
	s_branch .LBB131_36
.LBB131_31:
	v_cmp_gt_f32_e32 vcc, s11, v8
	s_andn2_b64 s[4:5], s[4:5], exec
	s_and_b64 s[16:17], vcc, exec
	s_or_b64 s[4:5], s[4:5], s[16:17]
	s_cbranch_execnz .LBB131_27
.LBB131_32:
	v_cmp_le_f32_e32 vcc, s11, v8
	s_andn2_b64 s[4:5], s[4:5], exec
	s_and_b64 s[6:7], vcc, exec
	s_or_b64 s[4:5], s[4:5], s[6:7]
	s_waitcnt vmcnt(6)
	v_lshlrev_b32_e32 v8, 16, v7
	s_cmp_lt_i32 s9, 1
	s_mov_b64 s[16:17], 0
	s_cbranch_scc0 .LBB131_28
.LBB131_33:
                                        ; implicit-def: $sgpr6_sgpr7
	s_mov_b64 s[18:19], 0
	s_cbranch_execnz .LBB131_37
	s_branch .LBB131_38
.LBB131_34:
	s_mov_b64 s[18:19], 0
                                        ; implicit-def: $sgpr6_sgpr7
	s_cbranch_execz .LBB131_36
; %bb.35:
	v_cmp_lt_f32_e32 vcc, s11, v8
	s_andn2_b64 s[6:7], s[6:7], exec
	s_and_b64 s[20:21], vcc, exec
	s_or_b64 s[6:7], s[6:7], s[20:21]
.LBB131_36:
	s_branch .LBB131_38
.LBB131_37:
	s_cmp_lg_u32 s9, 0
	s_mov_b64 s[16:17], -1
	s_cselect_b64 s[18:19], -1, 0
.LBB131_38:
	s_andn2_b64 vcc, exec, s[18:19]
	s_cbranch_vccz .LBB131_44
; %bb.39:
	s_andn2_b64 vcc, exec, s[16:17]
	s_cbranch_vccz .LBB131_45
.LBB131_40:
	v_and_b32_e32 v7, 0xffff0000, v7
	s_cmp_lt_i32 s9, 1
	s_mov_b64 s[18:19], 0
	s_cbranch_scc1 .LBB131_46
.LBB131_41:
	s_cmp_gt_i32 s9, 1
	s_cbranch_scc0 .LBB131_47
; %bb.42:
	s_cmp_eq_u32 s9, 2
	s_cbranch_scc0 .LBB131_253
; %bb.43:
	v_cmp_ge_f32_e64 s[16:17], s11, v7
	s_mov_b64 s[20:21], 0
	s_branch .LBB131_49
.LBB131_44:
	v_cmp_gt_f32_e32 vcc, s11, v8
	s_andn2_b64 s[6:7], s[6:7], exec
	s_and_b64 s[18:19], vcc, exec
	s_or_b64 s[6:7], s[6:7], s[18:19]
	s_cbranch_execnz .LBB131_40
.LBB131_45:
	v_cmp_le_f32_e32 vcc, s11, v8
	s_andn2_b64 s[6:7], s[6:7], exec
	s_and_b64 s[16:17], vcc, exec
	s_or_b64 s[6:7], s[6:7], s[16:17]
	v_and_b32_e32 v7, 0xffff0000, v7
	s_cmp_lt_i32 s9, 1
	s_mov_b64 s[18:19], 0
	s_cbranch_scc0 .LBB131_41
.LBB131_46:
                                        ; implicit-def: $sgpr16_sgpr17
	s_mov_b64 s[20:21], 0
	s_cbranch_execnz .LBB131_50
	s_branch .LBB131_51
.LBB131_47:
	s_mov_b64 s[20:21], 0
                                        ; implicit-def: $sgpr16_sgpr17
	s_cbranch_execz .LBB131_49
; %bb.48:
	v_cmp_lt_f32_e32 vcc, s11, v7
	s_andn2_b64 s[16:17], s[16:17], exec
	s_and_b64 s[22:23], vcc, exec
	s_or_b64 s[16:17], s[16:17], s[22:23]
.LBB131_49:
	s_branch .LBB131_51
.LBB131_50:
	s_cmp_lg_u32 s9, 0
	s_mov_b64 s[18:19], -1
	s_cselect_b64 s[20:21], -1, 0
.LBB131_51:
	s_andn2_b64 vcc, exec, s[20:21]
	s_cbranch_vccz .LBB131_57
; %bb.52:
	s_andn2_b64 vcc, exec, s[18:19]
	s_cbranch_vccz .LBB131_58
.LBB131_53:
	s_waitcnt vmcnt(5)
	v_lshlrev_b32_e32 v7, 16, v6
	s_cmp_lt_i32 s9, 1
	s_mov_b64 s[20:21], 0
	s_cbranch_scc1 .LBB131_59
.LBB131_54:
	s_cmp_gt_i32 s9, 1
	s_cbranch_scc0 .LBB131_60
; %bb.55:
	s_cmp_eq_u32 s9, 2
	s_cbranch_scc0 .LBB131_254
; %bb.56:
	v_cmp_ge_f32_e64 s[18:19], s11, v7
	s_mov_b64 s[22:23], 0
	s_branch .LBB131_62
.LBB131_57:
	v_cmp_gt_f32_e32 vcc, s11, v7
	s_andn2_b64 s[16:17], s[16:17], exec
	s_and_b64 s[20:21], vcc, exec
	s_or_b64 s[16:17], s[16:17], s[20:21]
	s_cbranch_execnz .LBB131_53
.LBB131_58:
	v_cmp_le_f32_e32 vcc, s11, v7
	s_andn2_b64 s[16:17], s[16:17], exec
	s_and_b64 s[18:19], vcc, exec
	s_or_b64 s[16:17], s[16:17], s[18:19]
	s_waitcnt vmcnt(5)
	v_lshlrev_b32_e32 v7, 16, v6
	s_cmp_lt_i32 s9, 1
	s_mov_b64 s[20:21], 0
	s_cbranch_scc0 .LBB131_54
.LBB131_59:
                                        ; implicit-def: $sgpr18_sgpr19
	s_mov_b64 s[22:23], 0
	s_cbranch_execnz .LBB131_63
	s_branch .LBB131_64
.LBB131_60:
	s_mov_b64 s[22:23], 0
                                        ; implicit-def: $sgpr18_sgpr19
	s_cbranch_execz .LBB131_62
; %bb.61:
	v_cmp_lt_f32_e32 vcc, s11, v7
	s_andn2_b64 s[18:19], s[18:19], exec
	s_and_b64 s[24:25], vcc, exec
	s_or_b64 s[18:19], s[18:19], s[24:25]
.LBB131_62:
	s_branch .LBB131_64
.LBB131_63:
	s_cmp_lg_u32 s9, 0
	s_mov_b64 s[20:21], -1
	s_cselect_b64 s[22:23], -1, 0
.LBB131_64:
	s_andn2_b64 vcc, exec, s[22:23]
	s_cbranch_vccz .LBB131_70
; %bb.65:
	s_andn2_b64 vcc, exec, s[20:21]
	s_cbranch_vccz .LBB131_71
.LBB131_66:
	v_and_b32_e32 v6, 0xffff0000, v6
	s_cmp_lt_i32 s9, 1
	s_mov_b64 s[22:23], 0
	s_cbranch_scc1 .LBB131_72
.LBB131_67:
	s_cmp_gt_i32 s9, 1
	s_cbranch_scc0 .LBB131_73
; %bb.68:
	s_cmp_eq_u32 s9, 2
	s_cbranch_scc0 .LBB131_255
; %bb.69:
	v_cmp_ge_f32_e64 s[20:21], s11, v6
	s_mov_b64 s[24:25], 0
	s_branch .LBB131_75
.LBB131_70:
	v_cmp_gt_f32_e32 vcc, s11, v7
	s_andn2_b64 s[18:19], s[18:19], exec
	s_and_b64 s[22:23], vcc, exec
	s_or_b64 s[18:19], s[18:19], s[22:23]
	s_cbranch_execnz .LBB131_66
.LBB131_71:
	v_cmp_le_f32_e32 vcc, s11, v7
	s_andn2_b64 s[18:19], s[18:19], exec
	s_and_b64 s[20:21], vcc, exec
	s_or_b64 s[18:19], s[18:19], s[20:21]
	v_and_b32_e32 v6, 0xffff0000, v6
	s_cmp_lt_i32 s9, 1
	s_mov_b64 s[22:23], 0
	s_cbranch_scc0 .LBB131_67
.LBB131_72:
                                        ; implicit-def: $sgpr20_sgpr21
	s_mov_b64 s[24:25], 0
	s_cbranch_execnz .LBB131_76
	s_branch .LBB131_77
.LBB131_73:
	s_mov_b64 s[24:25], 0
                                        ; implicit-def: $sgpr20_sgpr21
	s_cbranch_execz .LBB131_75
; %bb.74:
	v_cmp_lt_f32_e32 vcc, s11, v6
	s_andn2_b64 s[20:21], s[20:21], exec
	s_and_b64 s[26:27], vcc, exec
	s_or_b64 s[20:21], s[20:21], s[26:27]
.LBB131_75:
	s_branch .LBB131_77
.LBB131_76:
	s_cmp_lg_u32 s9, 0
	s_mov_b64 s[22:23], -1
	s_cselect_b64 s[24:25], -1, 0
.LBB131_77:
	s_andn2_b64 vcc, exec, s[24:25]
	s_cbranch_vccz .LBB131_83
; %bb.78:
	s_andn2_b64 vcc, exec, s[22:23]
	s_cbranch_vccz .LBB131_84
.LBB131_79:
	s_waitcnt vmcnt(4)
	v_lshlrev_b32_e32 v6, 16, v5
	s_cmp_lt_i32 s9, 1
	s_mov_b64 s[24:25], 0
	s_cbranch_scc1 .LBB131_85
.LBB131_80:
	s_cmp_gt_i32 s9, 1
	s_cbranch_scc0 .LBB131_86
; %bb.81:
	s_cmp_eq_u32 s9, 2
	s_cbranch_scc0 .LBB131_256
; %bb.82:
	v_cmp_ge_f32_e64 s[22:23], s11, v6
	s_mov_b64 s[26:27], 0
	s_branch .LBB131_88
.LBB131_83:
	v_cmp_gt_f32_e32 vcc, s11, v6
	s_andn2_b64 s[20:21], s[20:21], exec
	s_and_b64 s[24:25], vcc, exec
	s_or_b64 s[20:21], s[20:21], s[24:25]
	s_cbranch_execnz .LBB131_79
.LBB131_84:
	v_cmp_le_f32_e32 vcc, s11, v6
	s_andn2_b64 s[20:21], s[20:21], exec
	s_and_b64 s[22:23], vcc, exec
	s_or_b64 s[20:21], s[20:21], s[22:23]
	s_waitcnt vmcnt(4)
	v_lshlrev_b32_e32 v6, 16, v5
	s_cmp_lt_i32 s9, 1
	s_mov_b64 s[24:25], 0
	s_cbranch_scc0 .LBB131_80
.LBB131_85:
                                        ; implicit-def: $sgpr22_sgpr23
	s_mov_b64 s[26:27], 0
	s_cbranch_execnz .LBB131_89
	s_branch .LBB131_90
.LBB131_86:
	s_mov_b64 s[26:27], 0
                                        ; implicit-def: $sgpr22_sgpr23
	s_cbranch_execz .LBB131_88
; %bb.87:
	v_cmp_lt_f32_e32 vcc, s11, v6
	s_andn2_b64 s[22:23], s[22:23], exec
	s_and_b64 s[28:29], vcc, exec
	s_or_b64 s[22:23], s[22:23], s[28:29]
.LBB131_88:
	s_branch .LBB131_90
.LBB131_89:
	s_cmp_lg_u32 s9, 0
	s_mov_b64 s[24:25], -1
	s_cselect_b64 s[26:27], -1, 0
.LBB131_90:
	s_andn2_b64 vcc, exec, s[26:27]
	s_cbranch_vccz .LBB131_96
; %bb.91:
	s_andn2_b64 vcc, exec, s[24:25]
	s_cbranch_vccz .LBB131_97
.LBB131_92:
	v_and_b32_e32 v5, 0xffff0000, v5
	s_cmp_lt_i32 s9, 1
	s_mov_b64 s[26:27], 0
	s_cbranch_scc1 .LBB131_98
.LBB131_93:
	s_cmp_gt_i32 s9, 1
	s_cbranch_scc0 .LBB131_99
; %bb.94:
	s_cmp_eq_u32 s9, 2
	s_cbranch_scc0 .LBB131_257
; %bb.95:
	v_cmp_ge_f32_e64 s[24:25], s11, v5
	s_mov_b64 s[28:29], 0
	s_branch .LBB131_101
.LBB131_96:
	v_cmp_gt_f32_e32 vcc, s11, v6
	s_andn2_b64 s[22:23], s[22:23], exec
	s_and_b64 s[26:27], vcc, exec
	s_or_b64 s[22:23], s[22:23], s[26:27]
	s_cbranch_execnz .LBB131_92
.LBB131_97:
	v_cmp_le_f32_e32 vcc, s11, v6
	s_andn2_b64 s[22:23], s[22:23], exec
	s_and_b64 s[24:25], vcc, exec
	s_or_b64 s[22:23], s[22:23], s[24:25]
	v_and_b32_e32 v5, 0xffff0000, v5
	s_cmp_lt_i32 s9, 1
	s_mov_b64 s[26:27], 0
	s_cbranch_scc0 .LBB131_93
.LBB131_98:
                                        ; implicit-def: $sgpr24_sgpr25
	s_mov_b64 s[28:29], 0
	s_cbranch_execnz .LBB131_102
	s_branch .LBB131_103
.LBB131_99:
	s_mov_b64 s[28:29], 0
                                        ; implicit-def: $sgpr24_sgpr25
	s_cbranch_execz .LBB131_101
; %bb.100:
	v_cmp_lt_f32_e32 vcc, s11, v5
	s_andn2_b64 s[24:25], s[24:25], exec
	s_and_b64 s[30:31], vcc, exec
	s_or_b64 s[24:25], s[24:25], s[30:31]
.LBB131_101:
	s_branch .LBB131_103
.LBB131_102:
	s_cmp_lg_u32 s9, 0
	s_mov_b64 s[26:27], -1
	s_cselect_b64 s[28:29], -1, 0
.LBB131_103:
	s_andn2_b64 vcc, exec, s[28:29]
	s_cbranch_vccz .LBB131_109
; %bb.104:
	s_andn2_b64 vcc, exec, s[26:27]
	s_cbranch_vccz .LBB131_110
.LBB131_105:
	s_waitcnt vmcnt(3)
	v_lshlrev_b32_e32 v5, 16, v4
	s_cmp_lt_i32 s9, 1
	s_mov_b64 s[28:29], 0
	s_cbranch_scc1 .LBB131_111
.LBB131_106:
	s_cmp_gt_i32 s9, 1
	s_cbranch_scc0 .LBB131_112
; %bb.107:
	s_cmp_eq_u32 s9, 2
	s_cbranch_scc0 .LBB131_258
; %bb.108:
	v_cmp_ge_f32_e64 s[26:27], s11, v5
	s_mov_b64 s[30:31], 0
	s_branch .LBB131_114
.LBB131_109:
	v_cmp_gt_f32_e32 vcc, s11, v5
	s_andn2_b64 s[24:25], s[24:25], exec
	s_and_b64 s[28:29], vcc, exec
	s_or_b64 s[24:25], s[24:25], s[28:29]
	s_cbranch_execnz .LBB131_105
.LBB131_110:
	v_cmp_le_f32_e32 vcc, s11, v5
	s_andn2_b64 s[24:25], s[24:25], exec
	s_and_b64 s[26:27], vcc, exec
	s_or_b64 s[24:25], s[24:25], s[26:27]
	s_waitcnt vmcnt(3)
	v_lshlrev_b32_e32 v5, 16, v4
	s_cmp_lt_i32 s9, 1
	s_mov_b64 s[28:29], 0
	s_cbranch_scc0 .LBB131_106
.LBB131_111:
                                        ; implicit-def: $sgpr26_sgpr27
	s_mov_b64 s[30:31], 0
	s_cbranch_execnz .LBB131_115
	s_branch .LBB131_116
.LBB131_112:
	s_mov_b64 s[30:31], 0
                                        ; implicit-def: $sgpr26_sgpr27
	s_cbranch_execz .LBB131_114
; %bb.113:
	v_cmp_lt_f32_e32 vcc, s11, v5
	s_andn2_b64 s[26:27], s[26:27], exec
	s_and_b64 s[34:35], vcc, exec
	s_or_b64 s[26:27], s[26:27], s[34:35]
.LBB131_114:
	s_branch .LBB131_116
.LBB131_115:
	s_cmp_lg_u32 s9, 0
	s_mov_b64 s[28:29], -1
	s_cselect_b64 s[30:31], -1, 0
.LBB131_116:
	s_andn2_b64 vcc, exec, s[30:31]
	s_cbranch_vccz .LBB131_122
; %bb.117:
	s_andn2_b64 vcc, exec, s[28:29]
	s_cbranch_vccz .LBB131_123
.LBB131_118:
	v_and_b32_e32 v4, 0xffff0000, v4
	s_cmp_lt_i32 s9, 1
	s_mov_b64 s[30:31], 0
	s_cbranch_scc1 .LBB131_124
.LBB131_119:
	s_cmp_gt_i32 s9, 1
	s_cbranch_scc0 .LBB131_125
; %bb.120:
	s_cmp_eq_u32 s9, 2
	s_cbranch_scc0 .LBB131_259
; %bb.121:
	v_cmp_ge_f32_e64 s[28:29], s11, v4
	s_mov_b64 s[34:35], 0
	s_branch .LBB131_127
.LBB131_122:
	v_cmp_gt_f32_e32 vcc, s11, v5
	s_andn2_b64 s[26:27], s[26:27], exec
	s_and_b64 s[30:31], vcc, exec
	s_or_b64 s[26:27], s[26:27], s[30:31]
	s_cbranch_execnz .LBB131_118
.LBB131_123:
	v_cmp_le_f32_e32 vcc, s11, v5
	s_andn2_b64 s[26:27], s[26:27], exec
	s_and_b64 s[28:29], vcc, exec
	s_or_b64 s[26:27], s[26:27], s[28:29]
	v_and_b32_e32 v4, 0xffff0000, v4
	s_cmp_lt_i32 s9, 1
	s_mov_b64 s[30:31], 0
	s_cbranch_scc0 .LBB131_119
.LBB131_124:
                                        ; implicit-def: $sgpr28_sgpr29
	s_mov_b64 s[34:35], 0
	s_cbranch_execnz .LBB131_128
	s_branch .LBB131_129
.LBB131_125:
	s_mov_b64 s[34:35], 0
                                        ; implicit-def: $sgpr28_sgpr29
	s_cbranch_execz .LBB131_127
; %bb.126:
	v_cmp_lt_f32_e32 vcc, s11, v4
	s_andn2_b64 s[28:29], s[28:29], exec
	s_and_b64 s[36:37], vcc, exec
	s_or_b64 s[28:29], s[28:29], s[36:37]
.LBB131_127:
	s_branch .LBB131_129
.LBB131_128:
	s_cmp_lg_u32 s9, 0
	s_mov_b64 s[30:31], -1
	s_cselect_b64 s[34:35], -1, 0
.LBB131_129:
	s_andn2_b64 vcc, exec, s[34:35]
	s_cbranch_vccz .LBB131_135
; %bb.130:
	s_andn2_b64 vcc, exec, s[30:31]
	s_cbranch_vccz .LBB131_136
.LBB131_131:
	s_waitcnt vmcnt(2)
	v_lshlrev_b32_e32 v4, 16, v3
	s_cmp_lt_i32 s9, 1
	s_mov_b64 s[34:35], 0
	s_cbranch_scc1 .LBB131_137
.LBB131_132:
	s_cmp_gt_i32 s9, 1
	s_cbranch_scc0 .LBB131_138
; %bb.133:
	s_cmp_eq_u32 s9, 2
	s_cbranch_scc0 .LBB131_260
; %bb.134:
	v_cmp_ge_f32_e64 s[30:31], s11, v4
	s_mov_b64 s[36:37], 0
	s_branch .LBB131_140
.LBB131_135:
	v_cmp_gt_f32_e32 vcc, s11, v4
	s_andn2_b64 s[28:29], s[28:29], exec
	s_and_b64 s[34:35], vcc, exec
	s_or_b64 s[28:29], s[28:29], s[34:35]
	s_cbranch_execnz .LBB131_131
.LBB131_136:
	v_cmp_le_f32_e32 vcc, s11, v4
	s_andn2_b64 s[28:29], s[28:29], exec
	s_and_b64 s[30:31], vcc, exec
	s_or_b64 s[28:29], s[28:29], s[30:31]
	s_waitcnt vmcnt(2)
	v_lshlrev_b32_e32 v4, 16, v3
	s_cmp_lt_i32 s9, 1
	s_mov_b64 s[34:35], 0
	s_cbranch_scc0 .LBB131_132
.LBB131_137:
                                        ; implicit-def: $sgpr30_sgpr31
	s_mov_b64 s[36:37], 0
	s_cbranch_execnz .LBB131_141
	s_branch .LBB131_142
.LBB131_138:
	s_mov_b64 s[36:37], 0
                                        ; implicit-def: $sgpr30_sgpr31
	s_cbranch_execz .LBB131_140
; %bb.139:
	v_cmp_lt_f32_e32 vcc, s11, v4
	s_andn2_b64 s[30:31], s[30:31], exec
	s_and_b64 s[38:39], vcc, exec
	s_or_b64 s[30:31], s[30:31], s[38:39]
.LBB131_140:
	s_branch .LBB131_142
.LBB131_141:
	s_cmp_lg_u32 s9, 0
	s_mov_b64 s[34:35], -1
	s_cselect_b64 s[36:37], -1, 0
.LBB131_142:
	s_andn2_b64 vcc, exec, s[36:37]
	s_cbranch_vccz .LBB131_148
; %bb.143:
	s_andn2_b64 vcc, exec, s[34:35]
	s_cbranch_vccz .LBB131_149
.LBB131_144:
	v_and_b32_e32 v3, 0xffff0000, v3
	s_cmp_lt_i32 s9, 1
	s_mov_b64 s[36:37], 0
	s_cbranch_scc1 .LBB131_150
.LBB131_145:
	s_cmp_gt_i32 s9, 1
	s_cbranch_scc0 .LBB131_151
; %bb.146:
	s_cmp_eq_u32 s9, 2
	s_cbranch_scc0 .LBB131_261
; %bb.147:
	v_cmp_ge_f32_e64 s[34:35], s11, v3
	s_mov_b64 s[38:39], 0
	s_branch .LBB131_153
.LBB131_148:
	v_cmp_gt_f32_e32 vcc, s11, v4
	s_andn2_b64 s[30:31], s[30:31], exec
	s_and_b64 s[36:37], vcc, exec
	s_or_b64 s[30:31], s[30:31], s[36:37]
	s_cbranch_execnz .LBB131_144
.LBB131_149:
	v_cmp_le_f32_e32 vcc, s11, v4
	s_andn2_b64 s[30:31], s[30:31], exec
	s_and_b64 s[34:35], vcc, exec
	s_or_b64 s[30:31], s[30:31], s[34:35]
	v_and_b32_e32 v3, 0xffff0000, v3
	s_cmp_lt_i32 s9, 1
	s_mov_b64 s[36:37], 0
	s_cbranch_scc0 .LBB131_145
.LBB131_150:
                                        ; implicit-def: $sgpr34_sgpr35
	s_mov_b64 s[38:39], 0
	s_cbranch_execnz .LBB131_154
	s_branch .LBB131_155
.LBB131_151:
	s_mov_b64 s[38:39], 0
                                        ; implicit-def: $sgpr34_sgpr35
	s_cbranch_execz .LBB131_153
; %bb.152:
	v_cmp_lt_f32_e32 vcc, s11, v3
	s_andn2_b64 s[34:35], s[34:35], exec
	s_and_b64 s[40:41], vcc, exec
	s_or_b64 s[34:35], s[34:35], s[40:41]
.LBB131_153:
	s_branch .LBB131_155
.LBB131_154:
	s_cmp_lg_u32 s9, 0
	s_mov_b64 s[36:37], -1
	s_cselect_b64 s[38:39], -1, 0
.LBB131_155:
	s_andn2_b64 vcc, exec, s[38:39]
	s_cbranch_vccz .LBB131_161
; %bb.156:
	s_andn2_b64 vcc, exec, s[36:37]
	s_cbranch_vccz .LBB131_162
.LBB131_157:
	s_waitcnt vmcnt(1)
	v_lshlrev_b32_e32 v3, 16, v2
	s_cmp_lt_i32 s9, 1
	s_mov_b64 s[38:39], 0
	s_cbranch_scc1 .LBB131_163
.LBB131_158:
	s_cmp_gt_i32 s9, 1
	s_cbranch_scc0 .LBB131_164
; %bb.159:
	s_cmp_eq_u32 s9, 2
	s_cbranch_scc0 .LBB131_262
; %bb.160:
	v_cmp_ge_f32_e64 s[36:37], s11, v3
	s_mov_b64 s[40:41], 0
	s_branch .LBB131_166
.LBB131_161:
	v_cmp_gt_f32_e32 vcc, s11, v3
	s_andn2_b64 s[34:35], s[34:35], exec
	s_and_b64 s[38:39], vcc, exec
	s_or_b64 s[34:35], s[34:35], s[38:39]
	s_cbranch_execnz .LBB131_157
.LBB131_162:
	v_cmp_le_f32_e32 vcc, s11, v3
	s_andn2_b64 s[34:35], s[34:35], exec
	s_and_b64 s[36:37], vcc, exec
	s_or_b64 s[34:35], s[34:35], s[36:37]
	s_waitcnt vmcnt(1)
	v_lshlrev_b32_e32 v3, 16, v2
	s_cmp_lt_i32 s9, 1
	s_mov_b64 s[38:39], 0
	s_cbranch_scc0 .LBB131_158
.LBB131_163:
                                        ; implicit-def: $sgpr36_sgpr37
	s_mov_b64 s[40:41], 0
	s_cbranch_execnz .LBB131_167
	s_branch .LBB131_168
.LBB131_164:
	s_mov_b64 s[40:41], 0
                                        ; implicit-def: $sgpr36_sgpr37
	s_cbranch_execz .LBB131_166
; %bb.165:
	v_cmp_lt_f32_e32 vcc, s11, v3
	s_andn2_b64 s[36:37], s[36:37], exec
	s_and_b64 s[42:43], vcc, exec
	s_or_b64 s[36:37], s[36:37], s[42:43]
.LBB131_166:
	s_branch .LBB131_168
.LBB131_167:
	s_cmp_lg_u32 s9, 0
	s_mov_b64 s[38:39], -1
	s_cselect_b64 s[40:41], -1, 0
.LBB131_168:
	s_andn2_b64 vcc, exec, s[40:41]
	s_cbranch_vccz .LBB131_174
; %bb.169:
	s_andn2_b64 vcc, exec, s[38:39]
	s_cbranch_vccz .LBB131_175
.LBB131_170:
	v_and_b32_e32 v2, 0xffff0000, v2
	s_cmp_lt_i32 s9, 1
	s_mov_b64 s[40:41], 0
	s_cbranch_scc1 .LBB131_176
.LBB131_171:
	s_cmp_gt_i32 s9, 1
	s_cbranch_scc0 .LBB131_177
; %bb.172:
	s_cmp_eq_u32 s9, 2
	s_cbranch_scc0 .LBB131_263
; %bb.173:
	v_cmp_ge_f32_e64 s[38:39], s11, v2
	s_mov_b64 s[42:43], 0
	s_branch .LBB131_179
.LBB131_174:
	v_cmp_gt_f32_e32 vcc, s11, v3
	s_andn2_b64 s[36:37], s[36:37], exec
	s_and_b64 s[40:41], vcc, exec
	s_or_b64 s[36:37], s[36:37], s[40:41]
	s_cbranch_execnz .LBB131_170
.LBB131_175:
	v_cmp_le_f32_e32 vcc, s11, v3
	s_andn2_b64 s[36:37], s[36:37], exec
	s_and_b64 s[38:39], vcc, exec
	s_or_b64 s[36:37], s[36:37], s[38:39]
	v_and_b32_e32 v2, 0xffff0000, v2
	s_cmp_lt_i32 s9, 1
	s_mov_b64 s[40:41], 0
	s_cbranch_scc0 .LBB131_171
.LBB131_176:
                                        ; implicit-def: $sgpr38_sgpr39
	s_mov_b64 s[42:43], 0
	s_cbranch_execnz .LBB131_180
	s_branch .LBB131_181
.LBB131_177:
	s_mov_b64 s[42:43], 0
                                        ; implicit-def: $sgpr38_sgpr39
	s_cbranch_execz .LBB131_179
; %bb.178:
	v_cmp_lt_f32_e32 vcc, s11, v2
	s_andn2_b64 s[38:39], s[38:39], exec
	s_and_b64 s[44:45], vcc, exec
	s_or_b64 s[38:39], s[38:39], s[44:45]
.LBB131_179:
	s_branch .LBB131_181
.LBB131_180:
	s_cmp_lg_u32 s9, 0
	s_mov_b64 s[40:41], -1
	s_cselect_b64 s[42:43], -1, 0
.LBB131_181:
	s_andn2_b64 vcc, exec, s[42:43]
	s_cbranch_vccz .LBB131_187
; %bb.182:
	s_andn2_b64 vcc, exec, s[40:41]
	s_cbranch_vccz .LBB131_188
.LBB131_183:
	s_waitcnt vmcnt(0)
	v_lshlrev_b32_e32 v2, 16, v1
	s_cmp_lt_i32 s9, 1
	s_mov_b64 s[42:43], 0
	s_cbranch_scc1 .LBB131_189
.LBB131_184:
	s_cmp_gt_i32 s9, 1
	s_cbranch_scc0 .LBB131_190
; %bb.185:
	s_cmp_eq_u32 s9, 2
	s_cbranch_scc0 .LBB131_264
; %bb.186:
	v_cmp_ge_f32_e64 s[40:41], s11, v2
	s_mov_b64 s[44:45], 0
	s_branch .LBB131_192
.LBB131_187:
	v_cmp_gt_f32_e32 vcc, s11, v2
	s_andn2_b64 s[38:39], s[38:39], exec
	s_and_b64 s[42:43], vcc, exec
	s_or_b64 s[38:39], s[38:39], s[42:43]
	s_cbranch_execnz .LBB131_183
.LBB131_188:
	v_cmp_le_f32_e32 vcc, s11, v2
	s_andn2_b64 s[38:39], s[38:39], exec
	s_and_b64 s[40:41], vcc, exec
	s_or_b64 s[38:39], s[38:39], s[40:41]
	s_waitcnt vmcnt(0)
	v_lshlrev_b32_e32 v2, 16, v1
	s_cmp_lt_i32 s9, 1
	s_mov_b64 s[42:43], 0
	s_cbranch_scc0 .LBB131_184
.LBB131_189:
                                        ; implicit-def: $sgpr40_sgpr41
	s_mov_b64 s[44:45], 0
	s_cbranch_execnz .LBB131_193
	s_branch .LBB131_194
.LBB131_190:
	s_mov_b64 s[44:45], 0
                                        ; implicit-def: $sgpr40_sgpr41
	s_cbranch_execz .LBB131_192
; %bb.191:
	v_cmp_lt_f32_e32 vcc, s11, v2
	s_andn2_b64 s[40:41], s[40:41], exec
	s_and_b64 s[46:47], vcc, exec
	s_or_b64 s[40:41], s[40:41], s[46:47]
.LBB131_192:
	s_branch .LBB131_194
.LBB131_193:
	s_cmp_lg_u32 s9, 0
	s_mov_b64 s[42:43], -1
	s_cselect_b64 s[44:45], -1, 0
.LBB131_194:
	s_andn2_b64 vcc, exec, s[44:45]
	s_cbranch_vccz .LBB131_200
; %bb.195:
	s_andn2_b64 vcc, exec, s[42:43]
	s_cbranch_vccz .LBB131_201
.LBB131_196:
	v_and_b32_e32 v1, 0xffff0000, v1
	s_cmp_lt_i32 s9, 1
	s_mov_b64 s[44:45], 0
	s_cbranch_scc1 .LBB131_202
.LBB131_197:
	s_cmp_gt_i32 s9, 1
	s_cbranch_scc0 .LBB131_203
; %bb.198:
	s_cmp_eq_u32 s9, 2
	s_cbranch_scc0 .LBB131_265
; %bb.199:
	v_cmp_ge_f32_e64 s[42:43], s11, v1
	s_mov_b64 s[46:47], 0
	s_branch .LBB131_205
.LBB131_200:
	v_cmp_gt_f32_e32 vcc, s11, v2
	s_andn2_b64 s[40:41], s[40:41], exec
	s_and_b64 s[44:45], vcc, exec
	s_or_b64 s[40:41], s[40:41], s[44:45]
	s_cbranch_execnz .LBB131_196
.LBB131_201:
	v_cmp_le_f32_e32 vcc, s11, v2
	s_andn2_b64 s[40:41], s[40:41], exec
	s_and_b64 s[42:43], vcc, exec
	s_or_b64 s[40:41], s[40:41], s[42:43]
	v_and_b32_e32 v1, 0xffff0000, v1
	s_cmp_lt_i32 s9, 1
	s_mov_b64 s[44:45], 0
	s_cbranch_scc0 .LBB131_197
.LBB131_202:
                                        ; implicit-def: $sgpr42_sgpr43
	s_mov_b64 s[46:47], 0
	s_cbranch_execnz .LBB131_206
	s_branch .LBB131_207
.LBB131_203:
	s_mov_b64 s[46:47], 0
                                        ; implicit-def: $sgpr42_sgpr43
	s_cbranch_execz .LBB131_205
; %bb.204:
	v_cmp_lt_f32_e32 vcc, s11, v1
	s_andn2_b64 s[42:43], s[42:43], exec
	s_and_b64 s[48:49], vcc, exec
	s_or_b64 s[42:43], s[42:43], s[48:49]
.LBB131_205:
	s_branch .LBB131_207
.LBB131_206:
	s_cmp_lg_u32 s9, 0
	s_mov_b64 s[44:45], -1
	s_cselect_b64 s[46:47], -1, 0
.LBB131_207:
	s_andn2_b64 vcc, exec, s[46:47]
	s_cbranch_vccz .LBB131_249
; %bb.208:
	s_andn2_b64 vcc, exec, s[44:45]
	s_cbranch_vccnz .LBB131_210
.LBB131_209:
	v_cmp_le_f32_e32 vcc, s11, v1
	s_andn2_b64 s[42:43], s[42:43], exec
	s_and_b64 s[44:45], vcc, exec
	s_or_b64 s[42:43], s[42:43], s[44:45]
.LBB131_210:
	v_cndmask_b32_e64 v1, 0, 1, s[16:17]
	v_lshlrev_b16_e32 v1, 8, v1
	v_cndmask_b32_e64 v2, 0, 1, s[6:7]
	v_or_b32_e32 v1, v2, v1
	v_cndmask_b32_e64 v2, 0, 1, s[4:5]
	v_lshlrev_b16_e32 v2, 8, v2
	v_cndmask_b32_e64 v3, 0, 1, s[0:1]
	v_or_b32_e32 v2, v3, v2
	;; [unrolled: 4-line block ×7, first 2 shown]
	v_cndmask_b32_e64 v8, 0, 1, s[38:39]
	v_lshlrev_b16_e32 v8, 8, v8
	v_cndmask_b32_e64 v9, 0, 1, s[36:37]
	s_add_u32 s0, s12, s2
	v_or_b32_e32 v8, v9, v8
	s_addc_u32 s1, s13, s3
	v_lshlrev_b32_e32 v9, 1, v0
	global_store_short v9, v2, s[0:1]
	global_store_short v9, v1, s[0:1] offset:512
	global_store_short v9, v4, s[0:1] offset:1024
	;; [unrolled: 1-line block ×7, first 2 shown]
	s_mov_b64 s[0:1], 0
.LBB131_211:
	s_and_b64 vcc, exec, s[0:1]
	s_cbranch_vccz .LBB131_519
; %bb.212:
	v_cmp_gt_i32_e64 s[0:1], s8, v0
	v_mov_b32_e32 v21, 0
	v_or_b32_e32 v1, s2, v0
	v_mov_b32_e32 v7, 0
	v_mov_b32_e32 v2, v0
	s_and_saveexec_b64 s[4:5], s[0:1]
	s_cbranch_execz .LBB131_214
; %bb.213:
	v_mov_b32_e32 v2, 0
	v_lshlrev_b64 v[2:3], 1, v[1:2]
	v_mov_b32_e32 v4, s15
	v_add_co_u32_e32 v2, vcc, s14, v2
	v_addc_co_u32_e32 v3, vcc, v4, v3, vcc
	global_load_ushort v3, v[2:3], off
	v_or_b32_e32 v2, 0x100, v0
	s_waitcnt vmcnt(0)
	v_lshlrev_b32_e32 v7, 16, v3
.LBB131_214:
	s_or_b64 exec, exec, s[4:5]
	v_cmp_gt_i32_e32 vcc, s8, v2
	s_and_saveexec_b64 s[4:5], vcc
	s_cbranch_execz .LBB131_216
; %bb.215:
	v_add_u32_e32 v3, s2, v2
	v_mov_b32_e32 v4, 0
	v_lshlrev_b64 v[3:4], 1, v[3:4]
	v_mov_b32_e32 v5, s15
	v_add_co_u32_e32 v3, vcc, s14, v3
	v_addc_co_u32_e32 v4, vcc, v5, v4, vcc
	global_load_ushort v3, v[3:4], off
	v_add_u32_e32 v2, 0x100, v2
	s_waitcnt vmcnt(0)
	v_lshlrev_b32_e32 v21, 16, v3
.LBB131_216:
	s_or_b64 exec, exec, s[4:5]
	v_cmp_gt_i32_e32 vcc, s8, v2
	v_mov_b32_e32 v19, 0
	v_mov_b32_e32 v20, 0
	s_and_saveexec_b64 s[4:5], vcc
	s_cbranch_execz .LBB131_218
; %bb.217:
	v_add_u32_e32 v3, s2, v2
	v_mov_b32_e32 v4, 0
	v_lshlrev_b64 v[3:4], 1, v[3:4]
	v_mov_b32_e32 v5, s15
	v_add_co_u32_e32 v3, vcc, s14, v3
	v_addc_co_u32_e32 v4, vcc, v5, v4, vcc
	global_load_ushort v3, v[3:4], off
	v_add_u32_e32 v2, 0x100, v2
	s_waitcnt vmcnt(0)
	v_lshlrev_b32_e32 v20, 16, v3
.LBB131_218:
	s_or_b64 exec, exec, s[4:5]
	v_cmp_gt_i32_e32 vcc, s8, v2
	s_and_saveexec_b64 s[4:5], vcc
	s_cbranch_execz .LBB131_220
; %bb.219:
	v_add_u32_e32 v3, s2, v2
	v_mov_b32_e32 v4, 0
	v_lshlrev_b64 v[3:4], 1, v[3:4]
	v_mov_b32_e32 v5, s15
	v_add_co_u32_e32 v3, vcc, s14, v3
	v_addc_co_u32_e32 v4, vcc, v5, v4, vcc
	global_load_ushort v3, v[3:4], off
	v_add_u32_e32 v2, 0x100, v2
	s_waitcnt vmcnt(0)
	v_lshlrev_b32_e32 v19, 16, v3
.LBB131_220:
	s_or_b64 exec, exec, s[4:5]
	v_cmp_gt_i32_e32 vcc, s8, v2
	v_mov_b32_e32 v17, 0
	v_mov_b32_e32 v18, 0
	s_and_saveexec_b64 s[4:5], vcc
	s_cbranch_execz .LBB131_222
; %bb.221:
	v_add_u32_e32 v3, s2, v2
	v_mov_b32_e32 v4, 0
	v_lshlrev_b64 v[3:4], 1, v[3:4]
	v_mov_b32_e32 v5, s15
	v_add_co_u32_e32 v3, vcc, s14, v3
	v_addc_co_u32_e32 v4, vcc, v5, v4, vcc
	global_load_ushort v3, v[3:4], off
	v_add_u32_e32 v2, 0x100, v2
	s_waitcnt vmcnt(0)
	v_lshlrev_b32_e32 v18, 16, v3
.LBB131_222:
	;; [unrolled: 34-line block ×7, first 2 shown]
	s_or_b64 exec, exec, s[4:5]
	v_cmp_gt_i32_e32 vcc, s8, v2
	s_and_saveexec_b64 s[4:5], vcc
	s_cbranch_execz .LBB131_244
; %bb.243:
	v_add_u32_e32 v2, s2, v2
	v_mov_b32_e32 v3, 0
	v_lshlrev_b64 v[2:3], 1, v[2:3]
	v_mov_b32_e32 v4, s15
	v_add_co_u32_e32 v2, vcc, s14, v2
	v_addc_co_u32_e32 v3, vcc, v4, v3, vcc
	global_load_ushort v2, v[2:3], off
	s_waitcnt vmcnt(0)
	v_lshlrev_b32_e32 v4, 16, v2
.LBB131_244:
	s_or_b64 exec, exec, s[4:5]
	v_mov_b32_e32 v6, 0
	s_lshl_b32 s3, s10, 16
	v_mov_b32_e32 v5, v6
	v_mov_b32_e32 v3, v6
	;; [unrolled: 1-line block ×3, first 2 shown]
	s_and_saveexec_b64 s[4:5], s[0:1]
	s_cbranch_execz .LBB131_276
; %bb.245:
	s_cmp_lt_i32 s9, 1
	s_mov_b64 s[6:7], 0
	s_cbranch_scc1 .LBB131_250
; %bb.246:
	s_cmp_gt_i32 s9, 1
	s_cbranch_scc0 .LBB131_266
; %bb.247:
	s_cmp_eq_u32 s9, 2
	s_cbranch_scc0 .LBB131_267
; %bb.248:
	v_cmp_ge_f32_e64 s[10:11], s3, v7
	s_mov_b64 s[14:15], 0
	s_branch .LBB131_268
.LBB131_249:
	v_cmp_gt_f32_e32 vcc, s11, v1
	s_andn2_b64 s[42:43], s[42:43], exec
	s_and_b64 s[46:47], vcc, exec
	s_or_b64 s[42:43], s[42:43], s[46:47]
	s_cbranch_execz .LBB131_209
	s_branch .LBB131_210
.LBB131_250:
                                        ; implicit-def: $sgpr10_sgpr11
	s_mov_b64 s[14:15], 0
	s_cbranch_execnz .LBB131_271
	s_branch .LBB131_272
.LBB131_251:
	s_mov_b64 s[16:17], -1
                                        ; implicit-def: $sgpr4_sgpr5
	s_branch .LBB131_23
.LBB131_252:
	s_mov_b64 s[18:19], -1
                                        ; implicit-def: $sgpr6_sgpr7
	s_branch .LBB131_36
.LBB131_253:
	s_mov_b64 s[20:21], -1
                                        ; implicit-def: $sgpr16_sgpr17
	s_branch .LBB131_49
.LBB131_254:
	s_mov_b64 s[22:23], -1
                                        ; implicit-def: $sgpr18_sgpr19
	s_branch .LBB131_62
.LBB131_255:
	s_mov_b64 s[24:25], -1
                                        ; implicit-def: $sgpr20_sgpr21
	s_branch .LBB131_75
.LBB131_256:
	s_mov_b64 s[26:27], -1
                                        ; implicit-def: $sgpr22_sgpr23
	s_branch .LBB131_88
.LBB131_257:
	s_mov_b64 s[28:29], -1
                                        ; implicit-def: $sgpr24_sgpr25
	s_branch .LBB131_101
.LBB131_258:
	s_mov_b64 s[30:31], -1
                                        ; implicit-def: $sgpr26_sgpr27
	s_branch .LBB131_114
.LBB131_259:
	s_mov_b64 s[34:35], -1
                                        ; implicit-def: $sgpr28_sgpr29
	s_branch .LBB131_127
.LBB131_260:
	s_mov_b64 s[36:37], -1
                                        ; implicit-def: $sgpr30_sgpr31
	s_branch .LBB131_140
.LBB131_261:
	s_mov_b64 s[38:39], -1
                                        ; implicit-def: $sgpr34_sgpr35
	s_branch .LBB131_153
.LBB131_262:
	s_mov_b64 s[40:41], -1
                                        ; implicit-def: $sgpr36_sgpr37
	s_branch .LBB131_166
.LBB131_263:
	s_mov_b64 s[42:43], -1
                                        ; implicit-def: $sgpr38_sgpr39
	s_branch .LBB131_179
.LBB131_264:
	s_mov_b64 s[44:45], -1
                                        ; implicit-def: $sgpr40_sgpr41
	s_branch .LBB131_192
.LBB131_265:
	s_mov_b64 s[46:47], -1
                                        ; implicit-def: $sgpr42_sgpr43
	s_branch .LBB131_205
.LBB131_266:
	s_mov_b64 s[14:15], 0
                                        ; implicit-def: $sgpr10_sgpr11
	s_cbranch_execnz .LBB131_269
	s_branch .LBB131_270
.LBB131_267:
	s_mov_b64 s[14:15], -1
                                        ; implicit-def: $sgpr10_sgpr11
.LBB131_268:
	s_branch .LBB131_270
.LBB131_269:
	v_cmp_lt_f32_e32 vcc, s3, v7
	s_andn2_b64 s[10:11], s[10:11], exec
	s_and_b64 s[16:17], vcc, exec
	s_or_b64 s[10:11], s[10:11], s[16:17]
.LBB131_270:
	s_branch .LBB131_272
.LBB131_271:
	s_cmp_lg_u32 s9, 0
	s_mov_b64 s[6:7], -1
	s_cselect_b64 s[14:15], -1, 0
.LBB131_272:
	s_andn2_b64 vcc, exec, s[14:15]
	s_cbranch_vccz .LBB131_281
; %bb.273:
	s_andn2_b64 vcc, exec, s[6:7]
	s_cbranch_vccnz .LBB131_275
.LBB131_274:
	v_cmp_le_f32_e32 vcc, s3, v7
	s_andn2_b64 s[6:7], s[10:11], exec
	s_and_b64 s[10:11], vcc, exec
	s_or_b64 s[10:11], s[6:7], s[10:11]
.LBB131_275:
	v_cndmask_b32_e64 v2, 0, 1, s[10:11]
	v_mov_b32_e32 v5, 0
	v_and_b32_e32 v6, 0xffff, v2
	v_mov_b32_e32 v3, v5
	v_mov_b32_e32 v2, v5
.LBB131_276:
	s_or_b64 exec, exec, s[4:5]
	v_or_b32_e32 v7, 0x100, v0
	v_cmp_gt_i32_e32 vcc, s8, v7
	s_and_saveexec_b64 s[4:5], vcc
	s_cbranch_execz .LBB131_291
; %bb.277:
	s_cmp_lt_i32 s9, 1
	s_mov_b64 s[6:7], 0
	s_cbranch_scc1 .LBB131_282
; %bb.278:
	s_cmp_gt_i32 s9, 1
	s_cbranch_scc0 .LBB131_283
; %bb.279:
	s_cmp_eq_u32 s9, 2
	s_cbranch_scc0 .LBB131_535
; %bb.280:
	v_cmp_ge_f32_e64 s[10:11], s3, v21
	s_mov_b64 s[14:15], 0
	s_branch .LBB131_285
.LBB131_281:
	v_cmp_gt_f32_e32 vcc, s3, v7
	s_andn2_b64 s[10:11], s[10:11], exec
	s_and_b64 s[14:15], vcc, exec
	s_or_b64 s[10:11], s[10:11], s[14:15]
	s_cbranch_execz .LBB131_274
	s_branch .LBB131_275
.LBB131_282:
                                        ; implicit-def: $sgpr10_sgpr11
	s_mov_b64 s[14:15], 0
	s_cbranch_execnz .LBB131_286
	s_branch .LBB131_287
.LBB131_283:
	s_mov_b64 s[14:15], 0
                                        ; implicit-def: $sgpr10_sgpr11
	s_cbranch_execz .LBB131_285
; %bb.284:
	v_cmp_lt_f32_e32 vcc, s3, v21
	s_andn2_b64 s[10:11], s[10:11], exec
	s_and_b64 s[16:17], vcc, exec
	s_or_b64 s[10:11], s[10:11], s[16:17]
.LBB131_285:
	s_branch .LBB131_287
.LBB131_286:
	s_cmp_lg_u32 s9, 0
	s_mov_b64 s[6:7], -1
	s_cselect_b64 s[14:15], -1, 0
.LBB131_287:
	s_andn2_b64 vcc, exec, s[14:15]
	s_cbranch_vccz .LBB131_296
; %bb.288:
	s_andn2_b64 vcc, exec, s[6:7]
	s_cbranch_vccnz .LBB131_290
.LBB131_289:
	v_cmp_le_f32_e32 vcc, s3, v21
	s_andn2_b64 s[6:7], s[10:11], exec
	s_and_b64 s[10:11], vcc, exec
	s_or_b64 s[10:11], s[6:7], s[10:11]
.LBB131_290:
	v_cndmask_b32_e64 v21, 0, 1, s[10:11]
	v_lshlrev_b16_e32 v21, 8, v21
	v_or_b32_sdwa v21, v6, v21 dst_sel:DWORD dst_unused:UNUSED_PAD src0_sel:BYTE_0 src1_sel:DWORD
	v_and_b32_e32 v21, 0xffff, v21
	s_mov_b32 s6, 0xffff0000
	v_and_or_b32 v6, v6, s6, v21
.LBB131_291:
	s_or_b64 exec, exec, s[4:5]
	v_or_b32_e32 v21, 0x200, v0
	v_cmp_gt_i32_e32 vcc, s8, v21
	s_and_saveexec_b64 s[4:5], vcc
	s_cbranch_execz .LBB131_306
; %bb.292:
	s_cmp_lt_i32 s9, 1
	s_mov_b64 s[6:7], 0
	s_cbranch_scc1 .LBB131_297
; %bb.293:
	s_cmp_gt_i32 s9, 1
	s_cbranch_scc0 .LBB131_298
; %bb.294:
	s_cmp_eq_u32 s9, 2
	s_cbranch_scc0 .LBB131_536
; %bb.295:
	v_cmp_ge_f32_e64 s[10:11], s3, v20
	s_mov_b64 s[14:15], 0
	s_branch .LBB131_300
.LBB131_296:
	v_cmp_gt_f32_e32 vcc, s3, v21
	s_andn2_b64 s[10:11], s[10:11], exec
	s_and_b64 s[14:15], vcc, exec
	s_or_b64 s[10:11], s[10:11], s[14:15]
	s_cbranch_execz .LBB131_289
	s_branch .LBB131_290
.LBB131_297:
                                        ; implicit-def: $sgpr10_sgpr11
	s_mov_b64 s[14:15], 0
	s_cbranch_execnz .LBB131_301
	s_branch .LBB131_302
.LBB131_298:
	s_mov_b64 s[14:15], 0
                                        ; implicit-def: $sgpr10_sgpr11
	s_cbranch_execz .LBB131_300
; %bb.299:
	v_cmp_lt_f32_e32 vcc, s3, v20
	s_andn2_b64 s[10:11], s[10:11], exec
	s_and_b64 s[16:17], vcc, exec
	s_or_b64 s[10:11], s[10:11], s[16:17]
.LBB131_300:
	s_branch .LBB131_302
.LBB131_301:
	s_cmp_lg_u32 s9, 0
	s_mov_b64 s[6:7], -1
	s_cselect_b64 s[14:15], -1, 0
.LBB131_302:
	s_andn2_b64 vcc, exec, s[14:15]
	s_cbranch_vccz .LBB131_311
; %bb.303:
	s_andn2_b64 vcc, exec, s[6:7]
	s_cbranch_vccnz .LBB131_305
.LBB131_304:
	v_cmp_le_f32_e32 vcc, s3, v20
	s_andn2_b64 s[6:7], s[10:11], exec
	s_and_b64 s[10:11], vcc, exec
	s_or_b64 s[10:11], s[6:7], s[10:11]
.LBB131_305:
	s_movk_i32 s6, 0xff00
	v_and_b32_sdwa v20, v6, s6 dst_sel:DWORD dst_unused:UNUSED_PAD src0_sel:WORD_1 src1_sel:DWORD
	v_cndmask_b32_e64 v21, 0, 1, s[10:11]
	v_or_b32_sdwa v20, v21, v20 dst_sel:WORD_1 dst_unused:UNUSED_PAD src0_sel:DWORD src1_sel:DWORD
	s_mov_b32 s6, 0xffff
	v_and_or_b32 v6, v6, s6, v20
.LBB131_306:
	s_or_b64 exec, exec, s[4:5]
	v_or_b32_e32 v20, 0x300, v0
	v_cmp_gt_i32_e32 vcc, s8, v20
	s_and_saveexec_b64 s[4:5], vcc
	s_cbranch_execz .LBB131_321
; %bb.307:
	s_cmp_lt_i32 s9, 1
	s_mov_b64 s[6:7], 0
	s_cbranch_scc1 .LBB131_312
; %bb.308:
	s_cmp_gt_i32 s9, 1
	s_cbranch_scc0 .LBB131_313
; %bb.309:
	s_cmp_eq_u32 s9, 2
	s_cbranch_scc0 .LBB131_537
; %bb.310:
	v_cmp_ge_f32_e64 s[10:11], s3, v19
	s_mov_b64 s[14:15], 0
	s_branch .LBB131_315
.LBB131_311:
	v_cmp_gt_f32_e32 vcc, s3, v20
	s_andn2_b64 s[10:11], s[10:11], exec
	s_and_b64 s[14:15], vcc, exec
	s_or_b64 s[10:11], s[10:11], s[14:15]
	s_cbranch_execz .LBB131_304
	s_branch .LBB131_305
.LBB131_312:
                                        ; implicit-def: $sgpr10_sgpr11
	s_mov_b64 s[14:15], 0
	s_cbranch_execnz .LBB131_316
	s_branch .LBB131_317
.LBB131_313:
	s_mov_b64 s[14:15], 0
                                        ; implicit-def: $sgpr10_sgpr11
	s_cbranch_execz .LBB131_315
; %bb.314:
	v_cmp_lt_f32_e32 vcc, s3, v19
	s_andn2_b64 s[10:11], s[10:11], exec
	s_and_b64 s[16:17], vcc, exec
	s_or_b64 s[10:11], s[10:11], s[16:17]
.LBB131_315:
	s_branch .LBB131_317
.LBB131_316:
	s_cmp_lg_u32 s9, 0
	s_mov_b64 s[6:7], -1
	s_cselect_b64 s[14:15], -1, 0
.LBB131_317:
	s_andn2_b64 vcc, exec, s[14:15]
	s_cbranch_vccz .LBB131_326
; %bb.318:
	s_andn2_b64 vcc, exec, s[6:7]
	s_cbranch_vccnz .LBB131_320
.LBB131_319:
	v_cmp_le_f32_e32 vcc, s3, v19
	s_andn2_b64 s[6:7], s[10:11], exec
	s_and_b64 s[10:11], vcc, exec
	s_or_b64 s[10:11], s[6:7], s[10:11]
.LBB131_320:
	s_movk_i32 s6, 0xff
	v_cndmask_b32_e64 v20, 0, 1, s[10:11]
	v_and_b32_sdwa v19, v6, s6 dst_sel:DWORD dst_unused:UNUSED_PAD src0_sel:WORD_1 src1_sel:DWORD
	v_lshlrev_b16_e32 v20, 8, v20
	v_or_b32_sdwa v19, v19, v20 dst_sel:WORD_1 dst_unused:UNUSED_PAD src0_sel:DWORD src1_sel:DWORD
	s_mov_b32 s6, 0xffff
	v_and_or_b32 v6, v6, s6, v19
.LBB131_321:
	s_or_b64 exec, exec, s[4:5]
	v_or_b32_e32 v19, 0x400, v0
	v_cmp_gt_i32_e32 vcc, s8, v19
	s_and_saveexec_b64 s[4:5], vcc
	s_cbranch_execz .LBB131_336
; %bb.322:
	s_cmp_lt_i32 s9, 1
	s_mov_b64 s[6:7], 0
	s_cbranch_scc1 .LBB131_327
; %bb.323:
	s_cmp_gt_i32 s9, 1
	s_cbranch_scc0 .LBB131_328
; %bb.324:
	s_cmp_eq_u32 s9, 2
	s_cbranch_scc0 .LBB131_538
; %bb.325:
	v_cmp_ge_f32_e64 s[10:11], s3, v18
	s_mov_b64 s[14:15], 0
	s_branch .LBB131_330
.LBB131_326:
	v_cmp_gt_f32_e32 vcc, s3, v19
	s_andn2_b64 s[10:11], s[10:11], exec
	s_and_b64 s[14:15], vcc, exec
	s_or_b64 s[10:11], s[10:11], s[14:15]
	s_cbranch_execz .LBB131_319
	s_branch .LBB131_320
.LBB131_327:
                                        ; implicit-def: $sgpr10_sgpr11
	s_mov_b64 s[14:15], 0
	s_cbranch_execnz .LBB131_331
	s_branch .LBB131_332
.LBB131_328:
	s_mov_b64 s[14:15], 0
                                        ; implicit-def: $sgpr10_sgpr11
	s_cbranch_execz .LBB131_330
; %bb.329:
	v_cmp_lt_f32_e32 vcc, s3, v18
	s_andn2_b64 s[10:11], s[10:11], exec
	s_and_b64 s[16:17], vcc, exec
	s_or_b64 s[10:11], s[10:11], s[16:17]
.LBB131_330:
	s_branch .LBB131_332
.LBB131_331:
	s_cmp_lg_u32 s9, 0
	s_mov_b64 s[6:7], -1
	s_cselect_b64 s[14:15], -1, 0
.LBB131_332:
	s_andn2_b64 vcc, exec, s[14:15]
	s_cbranch_vccz .LBB131_341
; %bb.333:
	s_andn2_b64 vcc, exec, s[6:7]
	s_cbranch_vccnz .LBB131_335
.LBB131_334:
	v_cmp_le_f32_e32 vcc, s3, v18
	s_andn2_b64 s[6:7], s[10:11], exec
	s_and_b64 s[10:11], vcc, exec
	s_or_b64 s[10:11], s[6:7], s[10:11]
.LBB131_335:
	v_and_b32_e32 v18, 0xffffff00, v5
	v_cndmask_b32_e64 v19, 0, 1, s[10:11]
	v_or_b32_e32 v18, v19, v18
	v_and_b32_e32 v18, 0xffff, v18
	s_mov_b32 s6, 0xffff0000
	v_and_or_b32 v5, v5, s6, v18
.LBB131_336:
	s_or_b64 exec, exec, s[4:5]
	v_or_b32_e32 v18, 0x500, v0
	v_cmp_gt_i32_e32 vcc, s8, v18
	s_and_saveexec_b64 s[4:5], vcc
	s_cbranch_execz .LBB131_351
; %bb.337:
	s_cmp_lt_i32 s9, 1
	s_mov_b64 s[6:7], 0
	s_cbranch_scc1 .LBB131_342
; %bb.338:
	s_cmp_gt_i32 s9, 1
	s_cbranch_scc0 .LBB131_343
; %bb.339:
	s_cmp_eq_u32 s9, 2
	s_cbranch_scc0 .LBB131_539
; %bb.340:
	v_cmp_ge_f32_e64 s[10:11], s3, v17
	s_mov_b64 s[14:15], 0
	s_branch .LBB131_345
.LBB131_341:
	v_cmp_gt_f32_e32 vcc, s3, v18
	s_andn2_b64 s[10:11], s[10:11], exec
	s_and_b64 s[14:15], vcc, exec
	s_or_b64 s[10:11], s[10:11], s[14:15]
	s_cbranch_execz .LBB131_334
	s_branch .LBB131_335
.LBB131_342:
                                        ; implicit-def: $sgpr10_sgpr11
	s_mov_b64 s[14:15], 0
	s_cbranch_execnz .LBB131_346
	s_branch .LBB131_347
.LBB131_343:
	s_mov_b64 s[14:15], 0
                                        ; implicit-def: $sgpr10_sgpr11
	s_cbranch_execz .LBB131_345
; %bb.344:
	v_cmp_lt_f32_e32 vcc, s3, v17
	s_andn2_b64 s[10:11], s[10:11], exec
	s_and_b64 s[16:17], vcc, exec
	s_or_b64 s[10:11], s[10:11], s[16:17]
.LBB131_345:
	s_branch .LBB131_347
.LBB131_346:
	s_cmp_lg_u32 s9, 0
	s_mov_b64 s[6:7], -1
	s_cselect_b64 s[14:15], -1, 0
.LBB131_347:
	s_andn2_b64 vcc, exec, s[14:15]
	s_cbranch_vccz .LBB131_356
; %bb.348:
	s_andn2_b64 vcc, exec, s[6:7]
	s_cbranch_vccnz .LBB131_350
.LBB131_349:
	v_cmp_le_f32_e32 vcc, s3, v17
	s_andn2_b64 s[6:7], s[10:11], exec
	s_and_b64 s[10:11], vcc, exec
	s_or_b64 s[10:11], s[6:7], s[10:11]
.LBB131_350:
	v_cndmask_b32_e64 v17, 0, 1, s[10:11]
	v_lshlrev_b16_e32 v17, 8, v17
	v_or_b32_sdwa v17, v5, v17 dst_sel:DWORD dst_unused:UNUSED_PAD src0_sel:BYTE_0 src1_sel:DWORD
	v_and_b32_e32 v17, 0xffff, v17
	s_mov_b32 s6, 0xffff0000
	v_and_or_b32 v5, v5, s6, v17
.LBB131_351:
	s_or_b64 exec, exec, s[4:5]
	v_or_b32_e32 v17, 0x600, v0
	v_cmp_gt_i32_e32 vcc, s8, v17
	s_and_saveexec_b64 s[4:5], vcc
	s_cbranch_execz .LBB131_366
; %bb.352:
	s_cmp_lt_i32 s9, 1
	s_mov_b64 s[6:7], 0
	s_cbranch_scc1 .LBB131_357
; %bb.353:
	s_cmp_gt_i32 s9, 1
	s_cbranch_scc0 .LBB131_358
; %bb.354:
	s_cmp_eq_u32 s9, 2
	s_cbranch_scc0 .LBB131_540
; %bb.355:
	v_cmp_ge_f32_e64 s[10:11], s3, v16
	s_mov_b64 s[14:15], 0
	s_branch .LBB131_360
.LBB131_356:
	v_cmp_gt_f32_e32 vcc, s3, v17
	s_andn2_b64 s[10:11], s[10:11], exec
	s_and_b64 s[14:15], vcc, exec
	s_or_b64 s[10:11], s[10:11], s[14:15]
	s_cbranch_execz .LBB131_349
	s_branch .LBB131_350
.LBB131_357:
                                        ; implicit-def: $sgpr10_sgpr11
	s_mov_b64 s[14:15], 0
	s_cbranch_execnz .LBB131_361
	s_branch .LBB131_362
.LBB131_358:
	s_mov_b64 s[14:15], 0
                                        ; implicit-def: $sgpr10_sgpr11
	s_cbranch_execz .LBB131_360
; %bb.359:
	v_cmp_lt_f32_e32 vcc, s3, v16
	s_andn2_b64 s[10:11], s[10:11], exec
	s_and_b64 s[16:17], vcc, exec
	s_or_b64 s[10:11], s[10:11], s[16:17]
.LBB131_360:
	s_branch .LBB131_362
.LBB131_361:
	s_cmp_lg_u32 s9, 0
	s_mov_b64 s[6:7], -1
	s_cselect_b64 s[14:15], -1, 0
.LBB131_362:
	s_andn2_b64 vcc, exec, s[14:15]
	s_cbranch_vccz .LBB131_371
; %bb.363:
	s_andn2_b64 vcc, exec, s[6:7]
	s_cbranch_vccnz .LBB131_365
.LBB131_364:
	v_cmp_le_f32_e32 vcc, s3, v16
	s_andn2_b64 s[6:7], s[10:11], exec
	s_and_b64 s[10:11], vcc, exec
	s_or_b64 s[10:11], s[6:7], s[10:11]
.LBB131_365:
	s_movk_i32 s6, 0xff00
	v_and_b32_sdwa v16, v5, s6 dst_sel:DWORD dst_unused:UNUSED_PAD src0_sel:WORD_1 src1_sel:DWORD
	v_cndmask_b32_e64 v17, 0, 1, s[10:11]
	v_or_b32_sdwa v16, v17, v16 dst_sel:WORD_1 dst_unused:UNUSED_PAD src0_sel:DWORD src1_sel:DWORD
	s_mov_b32 s6, 0xffff
	v_and_or_b32 v5, v5, s6, v16
.LBB131_366:
	s_or_b64 exec, exec, s[4:5]
	v_or_b32_e32 v16, 0x700, v0
	v_cmp_gt_i32_e32 vcc, s8, v16
	s_and_saveexec_b64 s[4:5], vcc
	s_cbranch_execz .LBB131_381
; %bb.367:
	s_cmp_lt_i32 s9, 1
	s_mov_b64 s[6:7], 0
	s_cbranch_scc1 .LBB131_372
; %bb.368:
	s_cmp_gt_i32 s9, 1
	s_cbranch_scc0 .LBB131_373
; %bb.369:
	s_cmp_eq_u32 s9, 2
	s_cbranch_scc0 .LBB131_541
; %bb.370:
	v_cmp_ge_f32_e64 s[10:11], s3, v15
	s_mov_b64 s[14:15], 0
	s_branch .LBB131_375
.LBB131_371:
	v_cmp_gt_f32_e32 vcc, s3, v16
	s_andn2_b64 s[10:11], s[10:11], exec
	s_and_b64 s[14:15], vcc, exec
	s_or_b64 s[10:11], s[10:11], s[14:15]
	s_cbranch_execz .LBB131_364
	s_branch .LBB131_365
.LBB131_372:
                                        ; implicit-def: $sgpr10_sgpr11
	s_mov_b64 s[14:15], 0
	s_cbranch_execnz .LBB131_376
	s_branch .LBB131_377
.LBB131_373:
	s_mov_b64 s[14:15], 0
                                        ; implicit-def: $sgpr10_sgpr11
	s_cbranch_execz .LBB131_375
; %bb.374:
	v_cmp_lt_f32_e32 vcc, s3, v15
	s_andn2_b64 s[10:11], s[10:11], exec
	s_and_b64 s[16:17], vcc, exec
	s_or_b64 s[10:11], s[10:11], s[16:17]
.LBB131_375:
	s_branch .LBB131_377
.LBB131_376:
	s_cmp_lg_u32 s9, 0
	s_mov_b64 s[6:7], -1
	s_cselect_b64 s[14:15], -1, 0
.LBB131_377:
	s_andn2_b64 vcc, exec, s[14:15]
	s_cbranch_vccz .LBB131_386
; %bb.378:
	s_andn2_b64 vcc, exec, s[6:7]
	s_cbranch_vccnz .LBB131_380
.LBB131_379:
	v_cmp_le_f32_e32 vcc, s3, v15
	s_andn2_b64 s[6:7], s[10:11], exec
	s_and_b64 s[10:11], vcc, exec
	s_or_b64 s[10:11], s[6:7], s[10:11]
.LBB131_380:
	s_movk_i32 s6, 0xff
	v_cndmask_b32_e64 v16, 0, 1, s[10:11]
	v_and_b32_sdwa v15, v5, s6 dst_sel:DWORD dst_unused:UNUSED_PAD src0_sel:WORD_1 src1_sel:DWORD
	v_lshlrev_b16_e32 v16, 8, v16
	v_or_b32_sdwa v15, v15, v16 dst_sel:WORD_1 dst_unused:UNUSED_PAD src0_sel:DWORD src1_sel:DWORD
	s_mov_b32 s6, 0xffff
	v_and_or_b32 v5, v5, s6, v15
.LBB131_381:
	s_or_b64 exec, exec, s[4:5]
	v_or_b32_e32 v15, 0x800, v0
	v_cmp_gt_i32_e32 vcc, s8, v15
	s_and_saveexec_b64 s[4:5], vcc
	s_cbranch_execz .LBB131_396
; %bb.382:
	s_cmp_lt_i32 s9, 1
	s_mov_b64 s[6:7], 0
	s_cbranch_scc1 .LBB131_387
; %bb.383:
	s_cmp_gt_i32 s9, 1
	s_cbranch_scc0 .LBB131_388
; %bb.384:
	s_cmp_eq_u32 s9, 2
	s_cbranch_scc0 .LBB131_542
; %bb.385:
	v_cmp_ge_f32_e64 s[10:11], s3, v14
	s_mov_b64 s[14:15], 0
	s_branch .LBB131_390
.LBB131_386:
	v_cmp_gt_f32_e32 vcc, s3, v15
	s_andn2_b64 s[10:11], s[10:11], exec
	s_and_b64 s[14:15], vcc, exec
	s_or_b64 s[10:11], s[10:11], s[14:15]
	s_cbranch_execz .LBB131_379
	s_branch .LBB131_380
.LBB131_387:
                                        ; implicit-def: $sgpr10_sgpr11
	s_mov_b64 s[14:15], 0
	s_cbranch_execnz .LBB131_391
	s_branch .LBB131_392
.LBB131_388:
	s_mov_b64 s[14:15], 0
                                        ; implicit-def: $sgpr10_sgpr11
	s_cbranch_execz .LBB131_390
; %bb.389:
	v_cmp_lt_f32_e32 vcc, s3, v14
	s_andn2_b64 s[10:11], s[10:11], exec
	s_and_b64 s[16:17], vcc, exec
	s_or_b64 s[10:11], s[10:11], s[16:17]
.LBB131_390:
	s_branch .LBB131_392
.LBB131_391:
	s_cmp_lg_u32 s9, 0
	s_mov_b64 s[6:7], -1
	s_cselect_b64 s[14:15], -1, 0
.LBB131_392:
	s_andn2_b64 vcc, exec, s[14:15]
	s_cbranch_vccz .LBB131_401
; %bb.393:
	s_andn2_b64 vcc, exec, s[6:7]
	s_cbranch_vccnz .LBB131_395
.LBB131_394:
	v_cmp_le_f32_e32 vcc, s3, v14
	s_andn2_b64 s[6:7], s[10:11], exec
	s_and_b64 s[10:11], vcc, exec
	s_or_b64 s[10:11], s[6:7], s[10:11]
.LBB131_395:
	v_and_b32_e32 v14, 0xffffff00, v3
	v_cndmask_b32_e64 v15, 0, 1, s[10:11]
	v_or_b32_e32 v14, v15, v14
	v_and_b32_e32 v14, 0xffff, v14
	s_mov_b32 s6, 0xffff0000
	v_and_or_b32 v3, v3, s6, v14
.LBB131_396:
	s_or_b64 exec, exec, s[4:5]
	v_or_b32_e32 v14, 0x900, v0
	v_cmp_gt_i32_e32 vcc, s8, v14
	s_and_saveexec_b64 s[4:5], vcc
	s_cbranch_execz .LBB131_411
; %bb.397:
	s_cmp_lt_i32 s9, 1
	s_mov_b64 s[6:7], 0
	s_cbranch_scc1 .LBB131_402
; %bb.398:
	s_cmp_gt_i32 s9, 1
	s_cbranch_scc0 .LBB131_403
; %bb.399:
	s_cmp_eq_u32 s9, 2
	s_cbranch_scc0 .LBB131_543
; %bb.400:
	v_cmp_ge_f32_e64 s[10:11], s3, v13
	s_mov_b64 s[14:15], 0
	s_branch .LBB131_405
.LBB131_401:
	v_cmp_gt_f32_e32 vcc, s3, v14
	s_andn2_b64 s[10:11], s[10:11], exec
	s_and_b64 s[14:15], vcc, exec
	s_or_b64 s[10:11], s[10:11], s[14:15]
	s_cbranch_execz .LBB131_394
	s_branch .LBB131_395
.LBB131_402:
                                        ; implicit-def: $sgpr10_sgpr11
	s_mov_b64 s[14:15], 0
	s_cbranch_execnz .LBB131_406
	s_branch .LBB131_407
.LBB131_403:
	s_mov_b64 s[14:15], 0
                                        ; implicit-def: $sgpr10_sgpr11
	s_cbranch_execz .LBB131_405
; %bb.404:
	v_cmp_lt_f32_e32 vcc, s3, v13
	s_andn2_b64 s[10:11], s[10:11], exec
	s_and_b64 s[16:17], vcc, exec
	s_or_b64 s[10:11], s[10:11], s[16:17]
.LBB131_405:
	s_branch .LBB131_407
.LBB131_406:
	s_cmp_lg_u32 s9, 0
	s_mov_b64 s[6:7], -1
	s_cselect_b64 s[14:15], -1, 0
.LBB131_407:
	s_andn2_b64 vcc, exec, s[14:15]
	s_cbranch_vccz .LBB131_416
; %bb.408:
	s_andn2_b64 vcc, exec, s[6:7]
	s_cbranch_vccnz .LBB131_410
.LBB131_409:
	v_cmp_le_f32_e32 vcc, s3, v13
	s_andn2_b64 s[6:7], s[10:11], exec
	s_and_b64 s[10:11], vcc, exec
	s_or_b64 s[10:11], s[6:7], s[10:11]
.LBB131_410:
	v_cndmask_b32_e64 v13, 0, 1, s[10:11]
	v_lshlrev_b16_e32 v13, 8, v13
	v_or_b32_sdwa v13, v3, v13 dst_sel:DWORD dst_unused:UNUSED_PAD src0_sel:BYTE_0 src1_sel:DWORD
	v_and_b32_e32 v13, 0xffff, v13
	s_mov_b32 s6, 0xffff0000
	v_and_or_b32 v3, v3, s6, v13
.LBB131_411:
	s_or_b64 exec, exec, s[4:5]
	v_or_b32_e32 v13, 0xa00, v0
	v_cmp_gt_i32_e32 vcc, s8, v13
	s_and_saveexec_b64 s[4:5], vcc
	s_cbranch_execz .LBB131_426
; %bb.412:
	s_cmp_lt_i32 s9, 1
	s_mov_b64 s[6:7], 0
	s_cbranch_scc1 .LBB131_417
; %bb.413:
	s_cmp_gt_i32 s9, 1
	s_cbranch_scc0 .LBB131_418
; %bb.414:
	s_cmp_eq_u32 s9, 2
	s_cbranch_scc0 .LBB131_544
; %bb.415:
	v_cmp_ge_f32_e64 s[10:11], s3, v12
	s_mov_b64 s[14:15], 0
	s_branch .LBB131_420
.LBB131_416:
	v_cmp_gt_f32_e32 vcc, s3, v13
	s_andn2_b64 s[10:11], s[10:11], exec
	s_and_b64 s[14:15], vcc, exec
	s_or_b64 s[10:11], s[10:11], s[14:15]
	s_cbranch_execz .LBB131_409
	s_branch .LBB131_410
.LBB131_417:
                                        ; implicit-def: $sgpr10_sgpr11
	s_mov_b64 s[14:15], 0
	s_cbranch_execnz .LBB131_421
	s_branch .LBB131_422
.LBB131_418:
	s_mov_b64 s[14:15], 0
                                        ; implicit-def: $sgpr10_sgpr11
	s_cbranch_execz .LBB131_420
; %bb.419:
	v_cmp_lt_f32_e32 vcc, s3, v12
	s_andn2_b64 s[10:11], s[10:11], exec
	s_and_b64 s[16:17], vcc, exec
	s_or_b64 s[10:11], s[10:11], s[16:17]
.LBB131_420:
	s_branch .LBB131_422
.LBB131_421:
	s_cmp_lg_u32 s9, 0
	s_mov_b64 s[6:7], -1
	s_cselect_b64 s[14:15], -1, 0
.LBB131_422:
	s_andn2_b64 vcc, exec, s[14:15]
	s_cbranch_vccz .LBB131_431
; %bb.423:
	s_andn2_b64 vcc, exec, s[6:7]
	s_cbranch_vccnz .LBB131_425
.LBB131_424:
	v_cmp_le_f32_e32 vcc, s3, v12
	s_andn2_b64 s[6:7], s[10:11], exec
	s_and_b64 s[10:11], vcc, exec
	s_or_b64 s[10:11], s[6:7], s[10:11]
.LBB131_425:
	s_movk_i32 s6, 0xff00
	v_and_b32_sdwa v12, v3, s6 dst_sel:DWORD dst_unused:UNUSED_PAD src0_sel:WORD_1 src1_sel:DWORD
	v_cndmask_b32_e64 v13, 0, 1, s[10:11]
	v_or_b32_sdwa v12, v13, v12 dst_sel:WORD_1 dst_unused:UNUSED_PAD src0_sel:DWORD src1_sel:DWORD
	s_mov_b32 s6, 0xffff
	v_and_or_b32 v3, v3, s6, v12
.LBB131_426:
	s_or_b64 exec, exec, s[4:5]
	v_or_b32_e32 v12, 0xb00, v0
	v_cmp_gt_i32_e32 vcc, s8, v12
	s_and_saveexec_b64 s[4:5], vcc
	s_cbranch_execz .LBB131_441
; %bb.427:
	s_cmp_lt_i32 s9, 1
	s_mov_b64 s[6:7], 0
	s_cbranch_scc1 .LBB131_432
; %bb.428:
	s_cmp_gt_i32 s9, 1
	s_cbranch_scc0 .LBB131_433
; %bb.429:
	s_cmp_eq_u32 s9, 2
	s_cbranch_scc0 .LBB131_545
; %bb.430:
	v_cmp_ge_f32_e64 s[10:11], s3, v11
	s_mov_b64 s[14:15], 0
	s_branch .LBB131_435
.LBB131_431:
	v_cmp_gt_f32_e32 vcc, s3, v12
	s_andn2_b64 s[10:11], s[10:11], exec
	s_and_b64 s[14:15], vcc, exec
	s_or_b64 s[10:11], s[10:11], s[14:15]
	s_cbranch_execz .LBB131_424
	s_branch .LBB131_425
.LBB131_432:
                                        ; implicit-def: $sgpr10_sgpr11
	s_mov_b64 s[14:15], 0
	s_cbranch_execnz .LBB131_436
	s_branch .LBB131_437
.LBB131_433:
	s_mov_b64 s[14:15], 0
                                        ; implicit-def: $sgpr10_sgpr11
	s_cbranch_execz .LBB131_435
; %bb.434:
	v_cmp_lt_f32_e32 vcc, s3, v11
	s_andn2_b64 s[10:11], s[10:11], exec
	s_and_b64 s[16:17], vcc, exec
	s_or_b64 s[10:11], s[10:11], s[16:17]
.LBB131_435:
	s_branch .LBB131_437
.LBB131_436:
	s_cmp_lg_u32 s9, 0
	s_mov_b64 s[6:7], -1
	s_cselect_b64 s[14:15], -1, 0
.LBB131_437:
	s_andn2_b64 vcc, exec, s[14:15]
	s_cbranch_vccz .LBB131_446
; %bb.438:
	s_andn2_b64 vcc, exec, s[6:7]
	s_cbranch_vccnz .LBB131_440
.LBB131_439:
	v_cmp_le_f32_e32 vcc, s3, v11
	s_andn2_b64 s[6:7], s[10:11], exec
	s_and_b64 s[10:11], vcc, exec
	s_or_b64 s[10:11], s[6:7], s[10:11]
.LBB131_440:
	s_movk_i32 s6, 0xff
	v_cndmask_b32_e64 v12, 0, 1, s[10:11]
	v_and_b32_sdwa v11, v3, s6 dst_sel:DWORD dst_unused:UNUSED_PAD src0_sel:WORD_1 src1_sel:DWORD
	v_lshlrev_b16_e32 v12, 8, v12
	v_or_b32_sdwa v11, v11, v12 dst_sel:WORD_1 dst_unused:UNUSED_PAD src0_sel:DWORD src1_sel:DWORD
	s_mov_b32 s6, 0xffff
	v_and_or_b32 v3, v3, s6, v11
.LBB131_441:
	s_or_b64 exec, exec, s[4:5]
	v_or_b32_e32 v11, 0xc00, v0
	v_cmp_gt_i32_e32 vcc, s8, v11
	s_and_saveexec_b64 s[4:5], vcc
	s_cbranch_execz .LBB131_456
; %bb.442:
	s_cmp_lt_i32 s9, 1
	s_mov_b64 s[6:7], 0
	s_cbranch_scc1 .LBB131_447
; %bb.443:
	s_cmp_gt_i32 s9, 1
	s_cbranch_scc0 .LBB131_448
; %bb.444:
	s_cmp_eq_u32 s9, 2
	s_cbranch_scc0 .LBB131_546
; %bb.445:
	v_cmp_ge_f32_e64 s[10:11], s3, v10
	s_mov_b64 s[14:15], 0
	s_branch .LBB131_450
.LBB131_446:
	v_cmp_gt_f32_e32 vcc, s3, v11
	s_andn2_b64 s[10:11], s[10:11], exec
	s_and_b64 s[14:15], vcc, exec
	s_or_b64 s[10:11], s[10:11], s[14:15]
	s_cbranch_execz .LBB131_439
	s_branch .LBB131_440
.LBB131_447:
                                        ; implicit-def: $sgpr10_sgpr11
	s_mov_b64 s[14:15], 0
	s_cbranch_execnz .LBB131_451
	s_branch .LBB131_452
.LBB131_448:
	s_mov_b64 s[14:15], 0
                                        ; implicit-def: $sgpr10_sgpr11
	s_cbranch_execz .LBB131_450
; %bb.449:
	v_cmp_lt_f32_e32 vcc, s3, v10
	s_andn2_b64 s[10:11], s[10:11], exec
	s_and_b64 s[16:17], vcc, exec
	s_or_b64 s[10:11], s[10:11], s[16:17]
.LBB131_450:
	s_branch .LBB131_452
.LBB131_451:
	s_cmp_lg_u32 s9, 0
	s_mov_b64 s[6:7], -1
	s_cselect_b64 s[14:15], -1, 0
.LBB131_452:
	s_andn2_b64 vcc, exec, s[14:15]
	s_cbranch_vccz .LBB131_461
; %bb.453:
	s_andn2_b64 vcc, exec, s[6:7]
	s_cbranch_vccnz .LBB131_455
.LBB131_454:
	v_cmp_le_f32_e32 vcc, s3, v10
	s_andn2_b64 s[6:7], s[10:11], exec
	s_and_b64 s[10:11], vcc, exec
	s_or_b64 s[10:11], s[6:7], s[10:11]
.LBB131_455:
	v_and_b32_e32 v10, 0xffffff00, v2
	v_cndmask_b32_e64 v11, 0, 1, s[10:11]
	v_or_b32_e32 v10, v11, v10
	v_and_b32_e32 v10, 0xffff, v10
	s_mov_b32 s6, 0xffff0000
	v_and_or_b32 v2, v2, s6, v10
.LBB131_456:
	s_or_b64 exec, exec, s[4:5]
	v_or_b32_e32 v10, 0xd00, v0
	v_cmp_gt_i32_e32 vcc, s8, v10
	s_and_saveexec_b64 s[4:5], vcc
	s_cbranch_execz .LBB131_471
; %bb.457:
	s_cmp_lt_i32 s9, 1
	s_mov_b64 s[6:7], 0
	s_cbranch_scc1 .LBB131_462
; %bb.458:
	s_cmp_gt_i32 s9, 1
	s_cbranch_scc0 .LBB131_463
; %bb.459:
	s_cmp_eq_u32 s9, 2
	s_cbranch_scc0 .LBB131_547
; %bb.460:
	v_cmp_ge_f32_e64 s[10:11], s3, v9
	s_mov_b64 s[14:15], 0
	s_branch .LBB131_465
.LBB131_461:
	v_cmp_gt_f32_e32 vcc, s3, v10
	s_andn2_b64 s[10:11], s[10:11], exec
	s_and_b64 s[14:15], vcc, exec
	s_or_b64 s[10:11], s[10:11], s[14:15]
	s_cbranch_execz .LBB131_454
	s_branch .LBB131_455
.LBB131_462:
                                        ; implicit-def: $sgpr10_sgpr11
	s_mov_b64 s[14:15], 0
	s_cbranch_execnz .LBB131_466
	s_branch .LBB131_467
.LBB131_463:
	s_mov_b64 s[14:15], 0
                                        ; implicit-def: $sgpr10_sgpr11
	s_cbranch_execz .LBB131_465
; %bb.464:
	v_cmp_lt_f32_e32 vcc, s3, v9
	s_andn2_b64 s[10:11], s[10:11], exec
	s_and_b64 s[16:17], vcc, exec
	s_or_b64 s[10:11], s[10:11], s[16:17]
.LBB131_465:
	s_branch .LBB131_467
.LBB131_466:
	s_cmp_lg_u32 s9, 0
	s_mov_b64 s[6:7], -1
	s_cselect_b64 s[14:15], -1, 0
.LBB131_467:
	s_andn2_b64 vcc, exec, s[14:15]
	s_cbranch_vccz .LBB131_476
; %bb.468:
	s_andn2_b64 vcc, exec, s[6:7]
	s_cbranch_vccnz .LBB131_470
.LBB131_469:
	v_cmp_le_f32_e32 vcc, s3, v9
	s_andn2_b64 s[6:7], s[10:11], exec
	s_and_b64 s[10:11], vcc, exec
	s_or_b64 s[10:11], s[6:7], s[10:11]
.LBB131_470:
	v_cndmask_b32_e64 v9, 0, 1, s[10:11]
	v_lshlrev_b16_e32 v9, 8, v9
	v_or_b32_sdwa v9, v2, v9 dst_sel:DWORD dst_unused:UNUSED_PAD src0_sel:BYTE_0 src1_sel:DWORD
	v_and_b32_e32 v9, 0xffff, v9
	s_mov_b32 s6, 0xffff0000
	v_and_or_b32 v2, v2, s6, v9
.LBB131_471:
	s_or_b64 exec, exec, s[4:5]
	v_or_b32_e32 v9, 0xe00, v0
	v_cmp_gt_i32_e32 vcc, s8, v9
	s_and_saveexec_b64 s[4:5], vcc
	s_cbranch_execz .LBB131_486
; %bb.472:
	s_cmp_lt_i32 s9, 1
	s_mov_b64 s[6:7], 0
	s_cbranch_scc1 .LBB131_477
; %bb.473:
	s_cmp_gt_i32 s9, 1
	s_cbranch_scc0 .LBB131_478
; %bb.474:
	s_cmp_eq_u32 s9, 2
	s_cbranch_scc0 .LBB131_548
; %bb.475:
	v_cmp_ge_f32_e64 s[10:11], s3, v8
	s_mov_b64 s[14:15], 0
	s_branch .LBB131_480
.LBB131_476:
	v_cmp_gt_f32_e32 vcc, s3, v9
	s_andn2_b64 s[10:11], s[10:11], exec
	s_and_b64 s[14:15], vcc, exec
	s_or_b64 s[10:11], s[10:11], s[14:15]
	s_cbranch_execz .LBB131_469
	s_branch .LBB131_470
.LBB131_477:
                                        ; implicit-def: $sgpr10_sgpr11
	s_mov_b64 s[14:15], 0
	s_cbranch_execnz .LBB131_481
	s_branch .LBB131_482
.LBB131_478:
	s_mov_b64 s[14:15], 0
                                        ; implicit-def: $sgpr10_sgpr11
	s_cbranch_execz .LBB131_480
; %bb.479:
	v_cmp_lt_f32_e32 vcc, s3, v8
	s_andn2_b64 s[10:11], s[10:11], exec
	s_and_b64 s[16:17], vcc, exec
	s_or_b64 s[10:11], s[10:11], s[16:17]
.LBB131_480:
	s_branch .LBB131_482
.LBB131_481:
	s_cmp_lg_u32 s9, 0
	s_mov_b64 s[6:7], -1
	s_cselect_b64 s[14:15], -1, 0
.LBB131_482:
	s_andn2_b64 vcc, exec, s[14:15]
	s_cbranch_vccz .LBB131_491
; %bb.483:
	s_andn2_b64 vcc, exec, s[6:7]
	s_cbranch_vccnz .LBB131_485
.LBB131_484:
	v_cmp_le_f32_e32 vcc, s3, v8
	s_andn2_b64 s[6:7], s[10:11], exec
	s_and_b64 s[10:11], vcc, exec
	s_or_b64 s[10:11], s[6:7], s[10:11]
.LBB131_485:
	s_movk_i32 s6, 0xff00
	v_and_b32_sdwa v8, v2, s6 dst_sel:DWORD dst_unused:UNUSED_PAD src0_sel:WORD_1 src1_sel:DWORD
	v_cndmask_b32_e64 v9, 0, 1, s[10:11]
	v_or_b32_sdwa v8, v9, v8 dst_sel:WORD_1 dst_unused:UNUSED_PAD src0_sel:DWORD src1_sel:DWORD
	s_mov_b32 s6, 0xffff
	v_and_or_b32 v2, v2, s6, v8
.LBB131_486:
	s_or_b64 exec, exec, s[4:5]
	v_or_b32_e32 v8, 0xf00, v0
	v_cmp_gt_i32_e32 vcc, s8, v8
	s_and_saveexec_b64 s[4:5], vcc
	s_cbranch_execz .LBB131_501
; %bb.487:
	s_cmp_lt_i32 s9, 1
	s_mov_b64 s[6:7], 0
	s_cbranch_scc1 .LBB131_492
; %bb.488:
	s_cmp_gt_i32 s9, 1
	s_cbranch_scc0 .LBB131_493
; %bb.489:
	s_cmp_eq_u32 s9, 2
	s_cbranch_scc0 .LBB131_549
; %bb.490:
	v_cmp_ge_f32_e64 s[10:11], s3, v4
	s_mov_b64 s[14:15], 0
	s_branch .LBB131_495
.LBB131_491:
	v_cmp_gt_f32_e32 vcc, s3, v8
	s_andn2_b64 s[10:11], s[10:11], exec
	s_and_b64 s[14:15], vcc, exec
	s_or_b64 s[10:11], s[10:11], s[14:15]
	s_cbranch_execz .LBB131_484
	s_branch .LBB131_485
.LBB131_492:
                                        ; implicit-def: $sgpr10_sgpr11
	s_mov_b64 s[14:15], 0
	s_cbranch_execnz .LBB131_496
	s_branch .LBB131_497
.LBB131_493:
	s_mov_b64 s[14:15], 0
                                        ; implicit-def: $sgpr10_sgpr11
	s_cbranch_execz .LBB131_495
; %bb.494:
	v_cmp_lt_f32_e32 vcc, s3, v4
	s_andn2_b64 s[10:11], s[10:11], exec
	s_and_b64 s[16:17], vcc, exec
	s_or_b64 s[10:11], s[10:11], s[16:17]
.LBB131_495:
	s_branch .LBB131_497
.LBB131_496:
	s_cmp_lg_u32 s9, 0
	s_mov_b64 s[6:7], -1
	s_cselect_b64 s[14:15], -1, 0
.LBB131_497:
	s_andn2_b64 vcc, exec, s[14:15]
	s_cbranch_vccz .LBB131_534
; %bb.498:
	s_andn2_b64 vcc, exec, s[6:7]
	s_cbranch_vccnz .LBB131_500
.LBB131_499:
	v_cmp_le_f32_e32 vcc, s3, v4
	s_andn2_b64 s[6:7], s[10:11], exec
	s_and_b64 s[10:11], vcc, exec
	s_or_b64 s[10:11], s[6:7], s[10:11]
.LBB131_500:
	s_movk_i32 s3, 0xff
	v_cndmask_b32_e64 v8, 0, 1, s[10:11]
	v_and_b32_sdwa v4, v2, s3 dst_sel:DWORD dst_unused:UNUSED_PAD src0_sel:WORD_1 src1_sel:DWORD
	v_lshlrev_b16_e32 v8, 8, v8
	v_or_b32_sdwa v4, v4, v8 dst_sel:WORD_1 dst_unused:UNUSED_PAD src0_sel:DWORD src1_sel:DWORD
	s_mov_b32 s3, 0xffff
	v_and_or_b32 v2, v2, s3, v4
.LBB131_501:
	s_or_b64 exec, exec, s[4:5]
	s_and_saveexec_b64 s[4:5], s[0:1]
	s_xor_b64 s[0:1], exec, s[4:5]
	s_cbranch_execz .LBB131_503
; %bb.502:
	v_mov_b32_e32 v0, v7
	global_store_byte v1, v6, s[12:13]
.LBB131_503:
	s_or_b64 exec, exec, s[0:1]
	v_cmp_gt_i32_e32 vcc, s8, v0
	s_and_saveexec_b64 s[0:1], vcc
	s_cbranch_execnz .LBB131_520
; %bb.504:
	s_or_b64 exec, exec, s[0:1]
	v_cmp_gt_i32_e32 vcc, s8, v0
	s_and_saveexec_b64 s[0:1], vcc
	s_cbranch_execnz .LBB131_521
.LBB131_505:
	s_or_b64 exec, exec, s[0:1]
	v_cmp_gt_i32_e32 vcc, s8, v0
	s_and_saveexec_b64 s[0:1], vcc
	s_cbranch_execnz .LBB131_522
.LBB131_506:
	s_or_b64 exec, exec, s[0:1]
	v_cmp_gt_i32_e32 vcc, s8, v0
	s_and_saveexec_b64 s[0:1], vcc
	s_cbranch_execnz .LBB131_523
.LBB131_507:
	s_or_b64 exec, exec, s[0:1]
	v_cmp_gt_i32_e32 vcc, s8, v0
	s_and_saveexec_b64 s[0:1], vcc
	s_cbranch_execnz .LBB131_524
.LBB131_508:
	s_or_b64 exec, exec, s[0:1]
	v_cmp_gt_i32_e32 vcc, s8, v0
	s_and_saveexec_b64 s[0:1], vcc
	s_cbranch_execnz .LBB131_525
.LBB131_509:
	s_or_b64 exec, exec, s[0:1]
	v_cmp_gt_i32_e32 vcc, s8, v0
	s_and_saveexec_b64 s[0:1], vcc
	s_cbranch_execnz .LBB131_526
.LBB131_510:
	s_or_b64 exec, exec, s[0:1]
	v_cmp_gt_i32_e32 vcc, s8, v0
	s_and_saveexec_b64 s[0:1], vcc
	s_cbranch_execnz .LBB131_527
.LBB131_511:
	s_or_b64 exec, exec, s[0:1]
	v_cmp_gt_i32_e32 vcc, s8, v0
	s_and_saveexec_b64 s[0:1], vcc
	s_cbranch_execnz .LBB131_528
.LBB131_512:
	s_or_b64 exec, exec, s[0:1]
	v_cmp_gt_i32_e32 vcc, s8, v0
	s_and_saveexec_b64 s[0:1], vcc
	s_cbranch_execnz .LBB131_529
.LBB131_513:
	s_or_b64 exec, exec, s[0:1]
	v_cmp_gt_i32_e32 vcc, s8, v0
	s_and_saveexec_b64 s[0:1], vcc
	s_cbranch_execnz .LBB131_530
.LBB131_514:
	s_or_b64 exec, exec, s[0:1]
	v_cmp_gt_i32_e32 vcc, s8, v0
	s_and_saveexec_b64 s[0:1], vcc
	s_cbranch_execnz .LBB131_531
.LBB131_515:
	s_or_b64 exec, exec, s[0:1]
	v_cmp_gt_i32_e32 vcc, s8, v0
	s_and_saveexec_b64 s[0:1], vcc
	s_cbranch_execnz .LBB131_532
.LBB131_516:
	s_or_b64 exec, exec, s[0:1]
	v_cmp_gt_i32_e32 vcc, s8, v0
	s_and_saveexec_b64 s[0:1], vcc
	s_cbranch_execnz .LBB131_533
.LBB131_517:
	s_or_b64 exec, exec, s[0:1]
	v_cmp_gt_i32_e32 vcc, s8, v0
	s_and_saveexec_b64 s[0:1], vcc
	s_cbranch_execz .LBB131_519
.LBB131_518:
	v_lshrrev_b32_e32 v1, 24, v2
	v_add_u32_e32 v0, s2, v0
	global_store_byte v0, v1, s[12:13]
.LBB131_519:
	s_endpgm
.LBB131_520:
	v_lshrrev_b32_e32 v1, 8, v6
	v_add_u32_e32 v4, s2, v0
	v_add_u32_e32 v0, 0x100, v0
	global_store_byte v4, v1, s[12:13]
	s_or_b64 exec, exec, s[0:1]
	v_cmp_gt_i32_e32 vcc, s8, v0
	s_and_saveexec_b64 s[0:1], vcc
	s_cbranch_execz .LBB131_505
.LBB131_521:
	v_add_u32_e32 v1, s2, v0
	v_add_u32_e32 v0, 0x100, v0
	global_store_byte_d16_hi v1, v6, s[12:13]
	s_or_b64 exec, exec, s[0:1]
	v_cmp_gt_i32_e32 vcc, s8, v0
	s_and_saveexec_b64 s[0:1], vcc
	s_cbranch_execz .LBB131_506
.LBB131_522:
	v_lshrrev_b32_e32 v1, 24, v6
	v_add_u32_e32 v4, s2, v0
	v_add_u32_e32 v0, 0x100, v0
	global_store_byte v4, v1, s[12:13]
	s_or_b64 exec, exec, s[0:1]
	v_cmp_gt_i32_e32 vcc, s8, v0
	s_and_saveexec_b64 s[0:1], vcc
	s_cbranch_execz .LBB131_507
.LBB131_523:
	v_add_u32_e32 v1, s2, v0
	v_add_u32_e32 v0, 0x100, v0
	global_store_byte v1, v5, s[12:13]
	s_or_b64 exec, exec, s[0:1]
	v_cmp_gt_i32_e32 vcc, s8, v0
	s_and_saveexec_b64 s[0:1], vcc
	s_cbranch_execz .LBB131_508
.LBB131_524:
	v_lshrrev_b32_e32 v1, 8, v5
	v_add_u32_e32 v4, s2, v0
	v_add_u32_e32 v0, 0x100, v0
	global_store_byte v4, v1, s[12:13]
	s_or_b64 exec, exec, s[0:1]
	v_cmp_gt_i32_e32 vcc, s8, v0
	s_and_saveexec_b64 s[0:1], vcc
	s_cbranch_execz .LBB131_509
.LBB131_525:
	v_add_u32_e32 v1, s2, v0
	v_add_u32_e32 v0, 0x100, v0
	global_store_byte_d16_hi v1, v5, s[12:13]
	s_or_b64 exec, exec, s[0:1]
	v_cmp_gt_i32_e32 vcc, s8, v0
	s_and_saveexec_b64 s[0:1], vcc
	s_cbranch_execz .LBB131_510
.LBB131_526:
	v_lshrrev_b32_e32 v1, 24, v5
	v_add_u32_e32 v4, s2, v0
	v_add_u32_e32 v0, 0x100, v0
	global_store_byte v4, v1, s[12:13]
	s_or_b64 exec, exec, s[0:1]
	v_cmp_gt_i32_e32 vcc, s8, v0
	s_and_saveexec_b64 s[0:1], vcc
	s_cbranch_execz .LBB131_511
.LBB131_527:
	v_add_u32_e32 v1, s2, v0
	v_add_u32_e32 v0, 0x100, v0
	global_store_byte v1, v3, s[12:13]
	s_or_b64 exec, exec, s[0:1]
	v_cmp_gt_i32_e32 vcc, s8, v0
	s_and_saveexec_b64 s[0:1], vcc
	s_cbranch_execz .LBB131_512
.LBB131_528:
	v_lshrrev_b32_e32 v1, 8, v3
	v_add_u32_e32 v4, s2, v0
	v_add_u32_e32 v0, 0x100, v0
	global_store_byte v4, v1, s[12:13]
	s_or_b64 exec, exec, s[0:1]
	v_cmp_gt_i32_e32 vcc, s8, v0
	s_and_saveexec_b64 s[0:1], vcc
	s_cbranch_execz .LBB131_513
.LBB131_529:
	v_add_u32_e32 v1, s2, v0
	v_add_u32_e32 v0, 0x100, v0
	global_store_byte_d16_hi v1, v3, s[12:13]
	s_or_b64 exec, exec, s[0:1]
	v_cmp_gt_i32_e32 vcc, s8, v0
	s_and_saveexec_b64 s[0:1], vcc
	s_cbranch_execz .LBB131_514
.LBB131_530:
	v_lshrrev_b32_e32 v1, 24, v3
	v_add_u32_e32 v3, s2, v0
	v_add_u32_e32 v0, 0x100, v0
	global_store_byte v3, v1, s[12:13]
	s_or_b64 exec, exec, s[0:1]
	v_cmp_gt_i32_e32 vcc, s8, v0
	s_and_saveexec_b64 s[0:1], vcc
	s_cbranch_execz .LBB131_515
.LBB131_531:
	v_add_u32_e32 v1, s2, v0
	v_add_u32_e32 v0, 0x100, v0
	global_store_byte v1, v2, s[12:13]
	s_or_b64 exec, exec, s[0:1]
	v_cmp_gt_i32_e32 vcc, s8, v0
	s_and_saveexec_b64 s[0:1], vcc
	s_cbranch_execz .LBB131_516
.LBB131_532:
	v_lshrrev_b32_e32 v1, 8, v2
	v_add_u32_e32 v3, s2, v0
	v_add_u32_e32 v0, 0x100, v0
	global_store_byte v3, v1, s[12:13]
	s_or_b64 exec, exec, s[0:1]
	v_cmp_gt_i32_e32 vcc, s8, v0
	s_and_saveexec_b64 s[0:1], vcc
	s_cbranch_execz .LBB131_517
.LBB131_533:
	v_add_u32_e32 v1, s2, v0
	v_add_u32_e32 v0, 0x100, v0
	global_store_byte_d16_hi v1, v2, s[12:13]
	s_or_b64 exec, exec, s[0:1]
	v_cmp_gt_i32_e32 vcc, s8, v0
	s_and_saveexec_b64 s[0:1], vcc
	s_cbranch_execnz .LBB131_518
	s_branch .LBB131_519
.LBB131_534:
	v_cmp_gt_f32_e32 vcc, s3, v4
	s_andn2_b64 s[10:11], s[10:11], exec
	s_and_b64 s[14:15], vcc, exec
	s_or_b64 s[10:11], s[10:11], s[14:15]
	s_cbranch_execz .LBB131_499
	s_branch .LBB131_500
.LBB131_535:
	s_mov_b64 s[14:15], -1
                                        ; implicit-def: $sgpr10_sgpr11
	s_branch .LBB131_285
.LBB131_536:
	s_mov_b64 s[14:15], -1
                                        ; implicit-def: $sgpr10_sgpr11
	s_branch .LBB131_300
.LBB131_537:
	s_mov_b64 s[14:15], -1
                                        ; implicit-def: $sgpr10_sgpr11
	s_branch .LBB131_315
.LBB131_538:
	s_mov_b64 s[14:15], -1
                                        ; implicit-def: $sgpr10_sgpr11
	s_branch .LBB131_330
.LBB131_539:
	s_mov_b64 s[14:15], -1
                                        ; implicit-def: $sgpr10_sgpr11
	s_branch .LBB131_345
.LBB131_540:
	s_mov_b64 s[14:15], -1
                                        ; implicit-def: $sgpr10_sgpr11
	s_branch .LBB131_360
.LBB131_541:
	s_mov_b64 s[14:15], -1
                                        ; implicit-def: $sgpr10_sgpr11
	s_branch .LBB131_375
.LBB131_542:
	s_mov_b64 s[14:15], -1
                                        ; implicit-def: $sgpr10_sgpr11
	s_branch .LBB131_390
.LBB131_543:
	s_mov_b64 s[14:15], -1
                                        ; implicit-def: $sgpr10_sgpr11
	s_branch .LBB131_405
.LBB131_544:
	s_mov_b64 s[14:15], -1
                                        ; implicit-def: $sgpr10_sgpr11
	s_branch .LBB131_420
.LBB131_545:
	s_mov_b64 s[14:15], -1
                                        ; implicit-def: $sgpr10_sgpr11
	s_branch .LBB131_435
.LBB131_546:
	s_mov_b64 s[14:15], -1
                                        ; implicit-def: $sgpr10_sgpr11
	s_branch .LBB131_450
.LBB131_547:
	s_mov_b64 s[14:15], -1
                                        ; implicit-def: $sgpr10_sgpr11
	s_branch .LBB131_465
.LBB131_548:
	s_mov_b64 s[14:15], -1
                                        ; implicit-def: $sgpr10_sgpr11
	s_branch .LBB131_480
.LBB131_549:
	s_mov_b64 s[14:15], -1
                                        ; implicit-def: $sgpr10_sgpr11
	s_branch .LBB131_495
	.section	.rodata,"a",@progbits
	.p2align	6, 0x0
	.amdhsa_kernel _ZN2at6native29vectorized_elementwise_kernelILi2EZNS0_21compare_scalar_kernelIN3c108BFloat16EEEvRNS_18TensorIteratorBaseENS0_12_GLOBAL__N_16OpTypeET_EUlS4_E_St5arrayIPcLm2EEEEviT0_T1_
		.amdhsa_group_segment_fixed_size 0
		.amdhsa_private_segment_fixed_size 0
		.amdhsa_kernarg_size 32
		.amdhsa_user_sgpr_count 6
		.amdhsa_user_sgpr_private_segment_buffer 1
		.amdhsa_user_sgpr_dispatch_ptr 0
		.amdhsa_user_sgpr_queue_ptr 0
		.amdhsa_user_sgpr_kernarg_segment_ptr 1
		.amdhsa_user_sgpr_dispatch_id 0
		.amdhsa_user_sgpr_flat_scratch_init 0
		.amdhsa_user_sgpr_private_segment_size 0
		.amdhsa_uses_dynamic_stack 0
		.amdhsa_system_sgpr_private_segment_wavefront_offset 0
		.amdhsa_system_sgpr_workgroup_id_x 1
		.amdhsa_system_sgpr_workgroup_id_y 0
		.amdhsa_system_sgpr_workgroup_id_z 0
		.amdhsa_system_sgpr_workgroup_info 0
		.amdhsa_system_vgpr_workitem_id 0
		.amdhsa_next_free_vgpr 22
		.amdhsa_next_free_sgpr 50
		.amdhsa_reserve_vcc 1
		.amdhsa_reserve_flat_scratch 0
		.amdhsa_float_round_mode_32 0
		.amdhsa_float_round_mode_16_64 0
		.amdhsa_float_denorm_mode_32 3
		.amdhsa_float_denorm_mode_16_64 3
		.amdhsa_dx10_clamp 1
		.amdhsa_ieee_mode 1
		.amdhsa_fp16_overflow 0
		.amdhsa_exception_fp_ieee_invalid_op 0
		.amdhsa_exception_fp_denorm_src 0
		.amdhsa_exception_fp_ieee_div_zero 0
		.amdhsa_exception_fp_ieee_overflow 0
		.amdhsa_exception_fp_ieee_underflow 0
		.amdhsa_exception_fp_ieee_inexact 0
		.amdhsa_exception_int_div_zero 0
	.end_amdhsa_kernel
	.section	.text._ZN2at6native29vectorized_elementwise_kernelILi2EZNS0_21compare_scalar_kernelIN3c108BFloat16EEEvRNS_18TensorIteratorBaseENS0_12_GLOBAL__N_16OpTypeET_EUlS4_E_St5arrayIPcLm2EEEEviT0_T1_,"axG",@progbits,_ZN2at6native29vectorized_elementwise_kernelILi2EZNS0_21compare_scalar_kernelIN3c108BFloat16EEEvRNS_18TensorIteratorBaseENS0_12_GLOBAL__N_16OpTypeET_EUlS4_E_St5arrayIPcLm2EEEEviT0_T1_,comdat
.Lfunc_end131:
	.size	_ZN2at6native29vectorized_elementwise_kernelILi2EZNS0_21compare_scalar_kernelIN3c108BFloat16EEEvRNS_18TensorIteratorBaseENS0_12_GLOBAL__N_16OpTypeET_EUlS4_E_St5arrayIPcLm2EEEEviT0_T1_, .Lfunc_end131-_ZN2at6native29vectorized_elementwise_kernelILi2EZNS0_21compare_scalar_kernelIN3c108BFloat16EEEvRNS_18TensorIteratorBaseENS0_12_GLOBAL__N_16OpTypeET_EUlS4_E_St5arrayIPcLm2EEEEviT0_T1_
                                        ; -- End function
	.set _ZN2at6native29vectorized_elementwise_kernelILi2EZNS0_21compare_scalar_kernelIN3c108BFloat16EEEvRNS_18TensorIteratorBaseENS0_12_GLOBAL__N_16OpTypeET_EUlS4_E_St5arrayIPcLm2EEEEviT0_T1_.num_vgpr, 22
	.set _ZN2at6native29vectorized_elementwise_kernelILi2EZNS0_21compare_scalar_kernelIN3c108BFloat16EEEvRNS_18TensorIteratorBaseENS0_12_GLOBAL__N_16OpTypeET_EUlS4_E_St5arrayIPcLm2EEEEviT0_T1_.num_agpr, 0
	.set _ZN2at6native29vectorized_elementwise_kernelILi2EZNS0_21compare_scalar_kernelIN3c108BFloat16EEEvRNS_18TensorIteratorBaseENS0_12_GLOBAL__N_16OpTypeET_EUlS4_E_St5arrayIPcLm2EEEEviT0_T1_.numbered_sgpr, 50
	.set _ZN2at6native29vectorized_elementwise_kernelILi2EZNS0_21compare_scalar_kernelIN3c108BFloat16EEEvRNS_18TensorIteratorBaseENS0_12_GLOBAL__N_16OpTypeET_EUlS4_E_St5arrayIPcLm2EEEEviT0_T1_.num_named_barrier, 0
	.set _ZN2at6native29vectorized_elementwise_kernelILi2EZNS0_21compare_scalar_kernelIN3c108BFloat16EEEvRNS_18TensorIteratorBaseENS0_12_GLOBAL__N_16OpTypeET_EUlS4_E_St5arrayIPcLm2EEEEviT0_T1_.private_seg_size, 0
	.set _ZN2at6native29vectorized_elementwise_kernelILi2EZNS0_21compare_scalar_kernelIN3c108BFloat16EEEvRNS_18TensorIteratorBaseENS0_12_GLOBAL__N_16OpTypeET_EUlS4_E_St5arrayIPcLm2EEEEviT0_T1_.uses_vcc, 1
	.set _ZN2at6native29vectorized_elementwise_kernelILi2EZNS0_21compare_scalar_kernelIN3c108BFloat16EEEvRNS_18TensorIteratorBaseENS0_12_GLOBAL__N_16OpTypeET_EUlS4_E_St5arrayIPcLm2EEEEviT0_T1_.uses_flat_scratch, 0
	.set _ZN2at6native29vectorized_elementwise_kernelILi2EZNS0_21compare_scalar_kernelIN3c108BFloat16EEEvRNS_18TensorIteratorBaseENS0_12_GLOBAL__N_16OpTypeET_EUlS4_E_St5arrayIPcLm2EEEEviT0_T1_.has_dyn_sized_stack, 0
	.set _ZN2at6native29vectorized_elementwise_kernelILi2EZNS0_21compare_scalar_kernelIN3c108BFloat16EEEvRNS_18TensorIteratorBaseENS0_12_GLOBAL__N_16OpTypeET_EUlS4_E_St5arrayIPcLm2EEEEviT0_T1_.has_recursion, 0
	.set _ZN2at6native29vectorized_elementwise_kernelILi2EZNS0_21compare_scalar_kernelIN3c108BFloat16EEEvRNS_18TensorIteratorBaseENS0_12_GLOBAL__N_16OpTypeET_EUlS4_E_St5arrayIPcLm2EEEEviT0_T1_.has_indirect_call, 0
	.section	.AMDGPU.csdata,"",@progbits
; Kernel info:
; codeLenInByte = 8988
; TotalNumSgprs: 54
; NumVgprs: 22
; ScratchSize: 0
; MemoryBound: 0
; FloatMode: 240
; IeeeMode: 1
; LDSByteSize: 0 bytes/workgroup (compile time only)
; SGPRBlocks: 6
; VGPRBlocks: 5
; NumSGPRsForWavesPerEU: 54
; NumVGPRsForWavesPerEU: 22
; Occupancy: 10
; WaveLimiterHint : 1
; COMPUTE_PGM_RSRC2:SCRATCH_EN: 0
; COMPUTE_PGM_RSRC2:USER_SGPR: 6
; COMPUTE_PGM_RSRC2:TRAP_HANDLER: 0
; COMPUTE_PGM_RSRC2:TGID_X_EN: 1
; COMPUTE_PGM_RSRC2:TGID_Y_EN: 0
; COMPUTE_PGM_RSRC2:TGID_Z_EN: 0
; COMPUTE_PGM_RSRC2:TIDIG_COMP_CNT: 0
	.section	.text._ZN2at6native27unrolled_elementwise_kernelIZNS0_21compare_scalar_kernelIN3c108BFloat16EEEvRNS_18TensorIteratorBaseENS0_12_GLOBAL__N_16OpTypeET_EUlS4_E_St5arrayIPcLm2EELi4E23TrivialOffsetCalculatorILi1EjESF_NS0_6memory15LoadWithoutCastENSG_16StoreWithoutCastEEEviS9_T0_T2_T3_T4_T5_,"axG",@progbits,_ZN2at6native27unrolled_elementwise_kernelIZNS0_21compare_scalar_kernelIN3c108BFloat16EEEvRNS_18TensorIteratorBaseENS0_12_GLOBAL__N_16OpTypeET_EUlS4_E_St5arrayIPcLm2EELi4E23TrivialOffsetCalculatorILi1EjESF_NS0_6memory15LoadWithoutCastENSG_16StoreWithoutCastEEEviS9_T0_T2_T3_T4_T5_,comdat
	.globl	_ZN2at6native27unrolled_elementwise_kernelIZNS0_21compare_scalar_kernelIN3c108BFloat16EEEvRNS_18TensorIteratorBaseENS0_12_GLOBAL__N_16OpTypeET_EUlS4_E_St5arrayIPcLm2EELi4E23TrivialOffsetCalculatorILi1EjESF_NS0_6memory15LoadWithoutCastENSG_16StoreWithoutCastEEEviS9_T0_T2_T3_T4_T5_ ; -- Begin function _ZN2at6native27unrolled_elementwise_kernelIZNS0_21compare_scalar_kernelIN3c108BFloat16EEEvRNS_18TensorIteratorBaseENS0_12_GLOBAL__N_16OpTypeET_EUlS4_E_St5arrayIPcLm2EELi4E23TrivialOffsetCalculatorILi1EjESF_NS0_6memory15LoadWithoutCastENSG_16StoreWithoutCastEEEviS9_T0_T2_T3_T4_T5_
	.p2align	8
	.type	_ZN2at6native27unrolled_elementwise_kernelIZNS0_21compare_scalar_kernelIN3c108BFloat16EEEvRNS_18TensorIteratorBaseENS0_12_GLOBAL__N_16OpTypeET_EUlS4_E_St5arrayIPcLm2EELi4E23TrivialOffsetCalculatorILi1EjESF_NS0_6memory15LoadWithoutCastENSG_16StoreWithoutCastEEEviS9_T0_T2_T3_T4_T5_,@function
_ZN2at6native27unrolled_elementwise_kernelIZNS0_21compare_scalar_kernelIN3c108BFloat16EEEvRNS_18TensorIteratorBaseENS0_12_GLOBAL__N_16OpTypeET_EUlS4_E_St5arrayIPcLm2EELi4E23TrivialOffsetCalculatorILi1EjESF_NS0_6memory15LoadWithoutCastENSG_16StoreWithoutCastEEEviS9_T0_T2_T3_T4_T5_: ; @_ZN2at6native27unrolled_elementwise_kernelIZNS0_21compare_scalar_kernelIN3c108BFloat16EEEvRNS_18TensorIteratorBaseENS0_12_GLOBAL__N_16OpTypeET_EUlS4_E_St5arrayIPcLm2EELi4E23TrivialOffsetCalculatorILi1EjESF_NS0_6memory15LoadWithoutCastENSG_16StoreWithoutCastEEEviS9_T0_T2_T3_T4_T5_
; %bb.0:
	s_load_dwordx8 s[8:15], s[4:5], 0x0
	s_lshl_b32 s16, s6, 10
	v_mov_b32_e32 v6, 0
	v_or_b32_e32 v1, s16, v0
	v_mov_b32_e32 v5, 0
	s_waitcnt lgkmcnt(0)
	s_sub_i32 s8, s8, s16
	v_cmp_gt_i32_e64 s[0:1], s8, v0
	v_mov_b32_e32 v3, v0
	s_and_saveexec_b64 s[2:3], s[0:1]
	s_cbranch_execz .LBB132_2
; %bb.1:
	v_mov_b32_e32 v2, 0
	v_lshlrev_b64 v[2:3], 1, v[1:2]
	v_mov_b32_e32 v4, s15
	v_add_co_u32_e32 v2, vcc, s14, v2
	v_addc_co_u32_e32 v3, vcc, v4, v3, vcc
	global_load_ushort v2, v[2:3], off
	v_or_b32_e32 v3, 0x100, v0
	s_waitcnt vmcnt(0)
	v_lshlrev_b32_e32 v5, 16, v2
.LBB132_2:
	s_or_b64 exec, exec, s[2:3]
	v_cmp_gt_i32_e32 vcc, s8, v3
	s_and_saveexec_b64 s[2:3], vcc
	s_cbranch_execz .LBB132_4
; %bb.3:
	v_add_u32_e32 v6, s16, v3
	v_mov_b32_e32 v7, 0
	v_lshlrev_b64 v[6:7], 1, v[6:7]
	v_mov_b32_e32 v2, s15
	v_add_co_u32_e32 v6, vcc, s14, v6
	v_addc_co_u32_e32 v7, vcc, v2, v7, vcc
	global_load_ushort v2, v[6:7], off
	v_add_u32_e32 v3, 0x100, v3
	s_waitcnt vmcnt(0)
	v_lshlrev_b32_e32 v6, 16, v2
.LBB132_4:
	s_or_b64 exec, exec, s[2:3]
	v_cmp_gt_i32_e32 vcc, s8, v3
	v_mov_b32_e32 v2, 0
	v_mov_b32_e32 v4, 0
	s_and_saveexec_b64 s[2:3], vcc
	s_cbranch_execz .LBB132_6
; %bb.5:
	v_add_u32_e32 v7, s16, v3
	v_mov_b32_e32 v8, 0
	v_lshlrev_b64 v[7:8], 1, v[7:8]
	v_mov_b32_e32 v4, s15
	v_add_co_u32_e32 v7, vcc, s14, v7
	v_addc_co_u32_e32 v8, vcc, v4, v8, vcc
	global_load_ushort v4, v[7:8], off
	v_add_u32_e32 v3, 0x100, v3
	s_waitcnt vmcnt(0)
	v_lshlrev_b32_e32 v4, 16, v4
.LBB132_6:
	s_or_b64 exec, exec, s[2:3]
	v_cmp_gt_i32_e32 vcc, s8, v3
	s_and_saveexec_b64 s[2:3], vcc
	s_cbranch_execz .LBB132_8
; %bb.7:
	v_add_u32_e32 v2, s16, v3
	v_mov_b32_e32 v3, 0
	v_lshlrev_b64 v[2:3], 1, v[2:3]
	v_mov_b32_e32 v7, s15
	v_add_co_u32_e32 v2, vcc, s14, v2
	v_addc_co_u32_e32 v3, vcc, v7, v3, vcc
	global_load_ushort v2, v[2:3], off
	s_waitcnt vmcnt(0)
	v_lshlrev_b32_e32 v2, 16, v2
.LBB132_8:
	s_or_b64 exec, exec, s[2:3]
	s_lshl_b32 s17, s10, 16
	v_mov_b32_e32 v3, 0
	s_and_saveexec_b64 s[2:3], s[0:1]
	s_cbranch_execz .LBB132_24
; %bb.9:
	s_cmp_lt_i32 s9, 1
	s_mov_b64 s[4:5], 0
	s_cbranch_scc1 .LBB132_13
; %bb.10:
	s_cmp_gt_i32 s9, 1
	s_cbranch_scc0 .LBB132_14
; %bb.11:
	s_cmp_eq_u32 s9, 2
	s_cbranch_scc0 .LBB132_15
; %bb.12:
	v_cmp_ge_f32_e64 s[6:7], s17, v5
	s_mov_b64 s[10:11], 0
	s_branch .LBB132_16
.LBB132_13:
                                        ; implicit-def: $sgpr6_sgpr7
	s_mov_b64 s[10:11], 0
	s_cbranch_execnz .LBB132_19
	s_branch .LBB132_20
.LBB132_14:
	s_mov_b64 s[10:11], 0
                                        ; implicit-def: $sgpr6_sgpr7
	s_cbranch_execnz .LBB132_17
	s_branch .LBB132_18
.LBB132_15:
	s_mov_b64 s[10:11], -1
                                        ; implicit-def: $sgpr6_sgpr7
.LBB132_16:
	s_branch .LBB132_18
.LBB132_17:
	v_cmp_lt_f32_e32 vcc, s17, v5
	s_andn2_b64 s[6:7], s[6:7], exec
	s_and_b64 s[14:15], vcc, exec
	s_or_b64 s[6:7], s[6:7], s[14:15]
.LBB132_18:
	s_branch .LBB132_20
.LBB132_19:
	s_cmp_lg_u32 s9, 0
	s_mov_b64 s[4:5], -1
	s_cselect_b64 s[10:11], -1, 0
.LBB132_20:
	s_andn2_b64 vcc, exec, s[10:11]
	s_cbranch_vccz .LBB132_29
; %bb.21:
	s_andn2_b64 vcc, exec, s[4:5]
	s_cbranch_vccnz .LBB132_23
.LBB132_22:
	v_cmp_le_f32_e32 vcc, s17, v5
	s_andn2_b64 s[4:5], s[6:7], exec
	s_and_b64 s[6:7], vcc, exec
	s_or_b64 s[6:7], s[4:5], s[6:7]
.LBB132_23:
	v_cndmask_b32_e64 v3, 0, 1, s[6:7]
.LBB132_24:
	s_or_b64 exec, exec, s[2:3]
	v_or_b32_e32 v5, 0x100, v0
	v_cmp_gt_i32_e32 vcc, s8, v5
	s_and_saveexec_b64 s[2:3], vcc
	s_cbranch_execz .LBB132_39
; %bb.25:
	s_cmp_lt_i32 s9, 1
	s_mov_b64 s[4:5], 0
	s_cbranch_scc1 .LBB132_30
; %bb.26:
	s_cmp_gt_i32 s9, 1
	s_cbranch_scc0 .LBB132_31
; %bb.27:
	s_cmp_eq_u32 s9, 2
	s_cbranch_scc0 .LBB132_79
; %bb.28:
	v_cmp_ge_f32_e64 s[6:7], s17, v6
	s_mov_b64 s[10:11], 0
	s_branch .LBB132_33
.LBB132_29:
	v_cmp_gt_f32_e32 vcc, s17, v5
	s_andn2_b64 s[6:7], s[6:7], exec
	s_and_b64 s[10:11], vcc, exec
	s_or_b64 s[6:7], s[6:7], s[10:11]
	s_cbranch_execz .LBB132_22
	s_branch .LBB132_23
.LBB132_30:
                                        ; implicit-def: $sgpr6_sgpr7
	s_mov_b64 s[10:11], 0
	s_cbranch_execnz .LBB132_34
	s_branch .LBB132_35
.LBB132_31:
	s_mov_b64 s[10:11], 0
                                        ; implicit-def: $sgpr6_sgpr7
	s_cbranch_execz .LBB132_33
; %bb.32:
	v_cmp_lt_f32_e32 vcc, s17, v6
	s_andn2_b64 s[6:7], s[6:7], exec
	s_and_b64 s[14:15], vcc, exec
	s_or_b64 s[6:7], s[6:7], s[14:15]
.LBB132_33:
	s_branch .LBB132_35
.LBB132_34:
	s_cmp_lg_u32 s9, 0
	s_mov_b64 s[4:5], -1
	s_cselect_b64 s[10:11], -1, 0
.LBB132_35:
	s_andn2_b64 vcc, exec, s[10:11]
	s_cbranch_vccz .LBB132_44
; %bb.36:
	s_andn2_b64 vcc, exec, s[4:5]
	s_cbranch_vccnz .LBB132_38
.LBB132_37:
	v_cmp_le_f32_e32 vcc, s17, v6
	s_andn2_b64 s[4:5], s[6:7], exec
	s_and_b64 s[6:7], vcc, exec
	s_or_b64 s[6:7], s[4:5], s[6:7]
.LBB132_38:
	v_cndmask_b32_e64 v6, 0, 1, s[6:7]
	v_lshlrev_b16_e32 v6, 8, v6
	v_or_b32_e32 v3, v3, v6
	v_and_b32_e32 v3, 0xffff, v3
.LBB132_39:
	s_or_b64 exec, exec, s[2:3]
	v_or_b32_e32 v6, 0x200, v0
	v_cmp_gt_i32_e32 vcc, s8, v6
	s_and_saveexec_b64 s[2:3], vcc
	s_cbranch_execz .LBB132_54
; %bb.40:
	s_cmp_lt_i32 s9, 1
	s_mov_b64 s[4:5], 0
	s_cbranch_scc1 .LBB132_45
; %bb.41:
	s_cmp_gt_i32 s9, 1
	s_cbranch_scc0 .LBB132_46
; %bb.42:
	s_cmp_eq_u32 s9, 2
	s_cbranch_scc0 .LBB132_80
; %bb.43:
	v_cmp_ge_f32_e64 s[6:7], s17, v4
	s_mov_b64 s[10:11], 0
	s_branch .LBB132_48
.LBB132_44:
	v_cmp_gt_f32_e32 vcc, s17, v6
	s_andn2_b64 s[6:7], s[6:7], exec
	s_and_b64 s[10:11], vcc, exec
	s_or_b64 s[6:7], s[6:7], s[10:11]
	s_cbranch_execz .LBB132_37
	s_branch .LBB132_38
.LBB132_45:
                                        ; implicit-def: $sgpr6_sgpr7
	s_mov_b64 s[10:11], 0
	s_cbranch_execnz .LBB132_49
	s_branch .LBB132_50
.LBB132_46:
	s_mov_b64 s[10:11], 0
                                        ; implicit-def: $sgpr6_sgpr7
	s_cbranch_execz .LBB132_48
; %bb.47:
	v_cmp_lt_f32_e32 vcc, s17, v4
	s_andn2_b64 s[6:7], s[6:7], exec
	s_and_b64 s[14:15], vcc, exec
	s_or_b64 s[6:7], s[6:7], s[14:15]
.LBB132_48:
	s_branch .LBB132_50
.LBB132_49:
	s_cmp_lg_u32 s9, 0
	s_mov_b64 s[4:5], -1
	s_cselect_b64 s[10:11], -1, 0
.LBB132_50:
	s_andn2_b64 vcc, exec, s[10:11]
	s_cbranch_vccz .LBB132_59
; %bb.51:
	s_andn2_b64 vcc, exec, s[4:5]
	s_cbranch_vccnz .LBB132_53
.LBB132_52:
	v_cmp_le_f32_e32 vcc, s17, v4
	s_andn2_b64 s[4:5], s[6:7], exec
	s_and_b64 s[6:7], vcc, exec
	s_or_b64 s[6:7], s[4:5], s[6:7]
.LBB132_53:
	v_cndmask_b32_e64 v4, 0, 1, s[6:7]
	v_lshl_or_b32 v3, v4, 16, v3
.LBB132_54:
	s_or_b64 exec, exec, s[2:3]
	v_or_b32_e32 v4, 0x300, v0
	v_cmp_gt_i32_e32 vcc, s8, v4
	s_and_saveexec_b64 s[2:3], vcc
	s_cbranch_execz .LBB132_69
; %bb.55:
	s_cmp_lt_i32 s9, 1
	s_mov_b64 s[4:5], 0
	s_cbranch_scc1 .LBB132_60
; %bb.56:
	s_cmp_gt_i32 s9, 1
	s_cbranch_scc0 .LBB132_61
; %bb.57:
	s_cmp_eq_u32 s9, 2
	s_cbranch_scc0 .LBB132_81
; %bb.58:
	v_cmp_ge_f32_e64 s[6:7], s17, v2
	s_mov_b64 s[10:11], 0
	s_branch .LBB132_63
.LBB132_59:
	v_cmp_gt_f32_e32 vcc, s17, v4
	s_andn2_b64 s[6:7], s[6:7], exec
	s_and_b64 s[10:11], vcc, exec
	s_or_b64 s[6:7], s[6:7], s[10:11]
	s_cbranch_execz .LBB132_52
	s_branch .LBB132_53
.LBB132_60:
                                        ; implicit-def: $sgpr6_sgpr7
	s_mov_b64 s[10:11], 0
	s_cbranch_execnz .LBB132_64
	s_branch .LBB132_65
.LBB132_61:
	s_mov_b64 s[10:11], 0
                                        ; implicit-def: $sgpr6_sgpr7
	s_cbranch_execz .LBB132_63
; %bb.62:
	v_cmp_lt_f32_e32 vcc, s17, v2
	s_andn2_b64 s[6:7], s[6:7], exec
	s_and_b64 s[14:15], vcc, exec
	s_or_b64 s[6:7], s[6:7], s[14:15]
.LBB132_63:
	s_branch .LBB132_65
.LBB132_64:
	s_cmp_lg_u32 s9, 0
	s_mov_b64 s[4:5], -1
	s_cselect_b64 s[10:11], -1, 0
.LBB132_65:
	s_andn2_b64 vcc, exec, s[10:11]
	s_cbranch_vccz .LBB132_78
; %bb.66:
	s_andn2_b64 vcc, exec, s[4:5]
	s_cbranch_vccnz .LBB132_68
.LBB132_67:
	v_cmp_le_f32_e32 vcc, s17, v2
	s_andn2_b64 s[4:5], s[6:7], exec
	s_and_b64 s[6:7], vcc, exec
	s_or_b64 s[6:7], s[4:5], s[6:7]
.LBB132_68:
	v_cndmask_b32_e64 v2, 0, 1, s[6:7]
	v_lshlrev_b16_e32 v2, 8, v2
	v_or_b32_sdwa v2, v3, v2 dst_sel:WORD_1 dst_unused:UNUSED_PAD src0_sel:WORD_1 src1_sel:DWORD
	s_mov_b32 s4, 0xffff
	v_and_or_b32 v3, v3, s4, v2
.LBB132_69:
	s_or_b64 exec, exec, s[2:3]
	s_and_saveexec_b64 s[2:3], s[0:1]
	s_xor_b64 s[0:1], exec, s[2:3]
	s_cbranch_execz .LBB132_71
; %bb.70:
	v_mov_b32_e32 v0, v5
	global_store_byte v1, v3, s[12:13]
.LBB132_71:
	s_or_b64 exec, exec, s[0:1]
	v_cmp_gt_i32_e32 vcc, s8, v0
	s_and_saveexec_b64 s[0:1], vcc
	s_cbranch_execnz .LBB132_75
; %bb.72:
	s_or_b64 exec, exec, s[0:1]
	v_cmp_gt_i32_e32 vcc, s8, v0
	s_and_saveexec_b64 s[0:1], vcc
	s_cbranch_execnz .LBB132_76
.LBB132_73:
	s_or_b64 exec, exec, s[0:1]
	v_cmp_gt_i32_e32 vcc, s8, v0
	s_and_saveexec_b64 s[0:1], vcc
	s_cbranch_execnz .LBB132_77
.LBB132_74:
	s_endpgm
.LBB132_75:
	v_add_u32_e32 v1, 0x100, v0
	v_add_u32_e32 v0, s16, v0
	v_lshrrev_b32_e32 v2, 8, v3
	global_store_byte v0, v2, s[12:13]
	v_mov_b32_e32 v0, v1
	s_or_b64 exec, exec, s[0:1]
	v_cmp_gt_i32_e32 vcc, s8, v0
	s_and_saveexec_b64 s[0:1], vcc
	s_cbranch_execz .LBB132_73
.LBB132_76:
	v_add_u32_e32 v1, 0x100, v0
	v_add_u32_e32 v0, s16, v0
	global_store_byte_d16_hi v0, v3, s[12:13]
	v_mov_b32_e32 v0, v1
	s_or_b64 exec, exec, s[0:1]
	v_cmp_gt_i32_e32 vcc, s8, v0
	s_and_saveexec_b64 s[0:1], vcc
	s_cbranch_execz .LBB132_74
.LBB132_77:
	v_add_u32_e32 v0, s16, v0
	v_lshrrev_b32_e32 v1, 24, v3
	global_store_byte v0, v1, s[12:13]
	s_endpgm
.LBB132_78:
	v_cmp_gt_f32_e32 vcc, s17, v2
	s_andn2_b64 s[6:7], s[6:7], exec
	s_and_b64 s[10:11], vcc, exec
	s_or_b64 s[6:7], s[6:7], s[10:11]
	s_cbranch_execz .LBB132_67
	s_branch .LBB132_68
.LBB132_79:
	s_mov_b64 s[10:11], -1
                                        ; implicit-def: $sgpr6_sgpr7
	s_branch .LBB132_33
.LBB132_80:
	s_mov_b64 s[10:11], -1
                                        ; implicit-def: $sgpr6_sgpr7
	s_branch .LBB132_48
.LBB132_81:
	s_mov_b64 s[10:11], -1
                                        ; implicit-def: $sgpr6_sgpr7
	s_branch .LBB132_63
	.section	.rodata,"a",@progbits
	.p2align	6, 0x0
	.amdhsa_kernel _ZN2at6native27unrolled_elementwise_kernelIZNS0_21compare_scalar_kernelIN3c108BFloat16EEEvRNS_18TensorIteratorBaseENS0_12_GLOBAL__N_16OpTypeET_EUlS4_E_St5arrayIPcLm2EELi4E23TrivialOffsetCalculatorILi1EjESF_NS0_6memory15LoadWithoutCastENSG_16StoreWithoutCastEEEviS9_T0_T2_T3_T4_T5_
		.amdhsa_group_segment_fixed_size 0
		.amdhsa_private_segment_fixed_size 0
		.amdhsa_kernarg_size 36
		.amdhsa_user_sgpr_count 6
		.amdhsa_user_sgpr_private_segment_buffer 1
		.amdhsa_user_sgpr_dispatch_ptr 0
		.amdhsa_user_sgpr_queue_ptr 0
		.amdhsa_user_sgpr_kernarg_segment_ptr 1
		.amdhsa_user_sgpr_dispatch_id 0
		.amdhsa_user_sgpr_flat_scratch_init 0
		.amdhsa_user_sgpr_private_segment_size 0
		.amdhsa_uses_dynamic_stack 0
		.amdhsa_system_sgpr_private_segment_wavefront_offset 0
		.amdhsa_system_sgpr_workgroup_id_x 1
		.amdhsa_system_sgpr_workgroup_id_y 0
		.amdhsa_system_sgpr_workgroup_id_z 0
		.amdhsa_system_sgpr_workgroup_info 0
		.amdhsa_system_vgpr_workitem_id 0
		.amdhsa_next_free_vgpr 9
		.amdhsa_next_free_sgpr 18
		.amdhsa_reserve_vcc 1
		.amdhsa_reserve_flat_scratch 0
		.amdhsa_float_round_mode_32 0
		.amdhsa_float_round_mode_16_64 0
		.amdhsa_float_denorm_mode_32 3
		.amdhsa_float_denorm_mode_16_64 3
		.amdhsa_dx10_clamp 1
		.amdhsa_ieee_mode 1
		.amdhsa_fp16_overflow 0
		.amdhsa_exception_fp_ieee_invalid_op 0
		.amdhsa_exception_fp_denorm_src 0
		.amdhsa_exception_fp_ieee_div_zero 0
		.amdhsa_exception_fp_ieee_overflow 0
		.amdhsa_exception_fp_ieee_underflow 0
		.amdhsa_exception_fp_ieee_inexact 0
		.amdhsa_exception_int_div_zero 0
	.end_amdhsa_kernel
	.section	.text._ZN2at6native27unrolled_elementwise_kernelIZNS0_21compare_scalar_kernelIN3c108BFloat16EEEvRNS_18TensorIteratorBaseENS0_12_GLOBAL__N_16OpTypeET_EUlS4_E_St5arrayIPcLm2EELi4E23TrivialOffsetCalculatorILi1EjESF_NS0_6memory15LoadWithoutCastENSG_16StoreWithoutCastEEEviS9_T0_T2_T3_T4_T5_,"axG",@progbits,_ZN2at6native27unrolled_elementwise_kernelIZNS0_21compare_scalar_kernelIN3c108BFloat16EEEvRNS_18TensorIteratorBaseENS0_12_GLOBAL__N_16OpTypeET_EUlS4_E_St5arrayIPcLm2EELi4E23TrivialOffsetCalculatorILi1EjESF_NS0_6memory15LoadWithoutCastENSG_16StoreWithoutCastEEEviS9_T0_T2_T3_T4_T5_,comdat
.Lfunc_end132:
	.size	_ZN2at6native27unrolled_elementwise_kernelIZNS0_21compare_scalar_kernelIN3c108BFloat16EEEvRNS_18TensorIteratorBaseENS0_12_GLOBAL__N_16OpTypeET_EUlS4_E_St5arrayIPcLm2EELi4E23TrivialOffsetCalculatorILi1EjESF_NS0_6memory15LoadWithoutCastENSG_16StoreWithoutCastEEEviS9_T0_T2_T3_T4_T5_, .Lfunc_end132-_ZN2at6native27unrolled_elementwise_kernelIZNS0_21compare_scalar_kernelIN3c108BFloat16EEEvRNS_18TensorIteratorBaseENS0_12_GLOBAL__N_16OpTypeET_EUlS4_E_St5arrayIPcLm2EELi4E23TrivialOffsetCalculatorILi1EjESF_NS0_6memory15LoadWithoutCastENSG_16StoreWithoutCastEEEviS9_T0_T2_T3_T4_T5_
                                        ; -- End function
	.set _ZN2at6native27unrolled_elementwise_kernelIZNS0_21compare_scalar_kernelIN3c108BFloat16EEEvRNS_18TensorIteratorBaseENS0_12_GLOBAL__N_16OpTypeET_EUlS4_E_St5arrayIPcLm2EELi4E23TrivialOffsetCalculatorILi1EjESF_NS0_6memory15LoadWithoutCastENSG_16StoreWithoutCastEEEviS9_T0_T2_T3_T4_T5_.num_vgpr, 9
	.set _ZN2at6native27unrolled_elementwise_kernelIZNS0_21compare_scalar_kernelIN3c108BFloat16EEEvRNS_18TensorIteratorBaseENS0_12_GLOBAL__N_16OpTypeET_EUlS4_E_St5arrayIPcLm2EELi4E23TrivialOffsetCalculatorILi1EjESF_NS0_6memory15LoadWithoutCastENSG_16StoreWithoutCastEEEviS9_T0_T2_T3_T4_T5_.num_agpr, 0
	.set _ZN2at6native27unrolled_elementwise_kernelIZNS0_21compare_scalar_kernelIN3c108BFloat16EEEvRNS_18TensorIteratorBaseENS0_12_GLOBAL__N_16OpTypeET_EUlS4_E_St5arrayIPcLm2EELi4E23TrivialOffsetCalculatorILi1EjESF_NS0_6memory15LoadWithoutCastENSG_16StoreWithoutCastEEEviS9_T0_T2_T3_T4_T5_.numbered_sgpr, 18
	.set _ZN2at6native27unrolled_elementwise_kernelIZNS0_21compare_scalar_kernelIN3c108BFloat16EEEvRNS_18TensorIteratorBaseENS0_12_GLOBAL__N_16OpTypeET_EUlS4_E_St5arrayIPcLm2EELi4E23TrivialOffsetCalculatorILi1EjESF_NS0_6memory15LoadWithoutCastENSG_16StoreWithoutCastEEEviS9_T0_T2_T3_T4_T5_.num_named_barrier, 0
	.set _ZN2at6native27unrolled_elementwise_kernelIZNS0_21compare_scalar_kernelIN3c108BFloat16EEEvRNS_18TensorIteratorBaseENS0_12_GLOBAL__N_16OpTypeET_EUlS4_E_St5arrayIPcLm2EELi4E23TrivialOffsetCalculatorILi1EjESF_NS0_6memory15LoadWithoutCastENSG_16StoreWithoutCastEEEviS9_T0_T2_T3_T4_T5_.private_seg_size, 0
	.set _ZN2at6native27unrolled_elementwise_kernelIZNS0_21compare_scalar_kernelIN3c108BFloat16EEEvRNS_18TensorIteratorBaseENS0_12_GLOBAL__N_16OpTypeET_EUlS4_E_St5arrayIPcLm2EELi4E23TrivialOffsetCalculatorILi1EjESF_NS0_6memory15LoadWithoutCastENSG_16StoreWithoutCastEEEviS9_T0_T2_T3_T4_T5_.uses_vcc, 1
	.set _ZN2at6native27unrolled_elementwise_kernelIZNS0_21compare_scalar_kernelIN3c108BFloat16EEEvRNS_18TensorIteratorBaseENS0_12_GLOBAL__N_16OpTypeET_EUlS4_E_St5arrayIPcLm2EELi4E23TrivialOffsetCalculatorILi1EjESF_NS0_6memory15LoadWithoutCastENSG_16StoreWithoutCastEEEviS9_T0_T2_T3_T4_T5_.uses_flat_scratch, 0
	.set _ZN2at6native27unrolled_elementwise_kernelIZNS0_21compare_scalar_kernelIN3c108BFloat16EEEvRNS_18TensorIteratorBaseENS0_12_GLOBAL__N_16OpTypeET_EUlS4_E_St5arrayIPcLm2EELi4E23TrivialOffsetCalculatorILi1EjESF_NS0_6memory15LoadWithoutCastENSG_16StoreWithoutCastEEEviS9_T0_T2_T3_T4_T5_.has_dyn_sized_stack, 0
	.set _ZN2at6native27unrolled_elementwise_kernelIZNS0_21compare_scalar_kernelIN3c108BFloat16EEEvRNS_18TensorIteratorBaseENS0_12_GLOBAL__N_16OpTypeET_EUlS4_E_St5arrayIPcLm2EELi4E23TrivialOffsetCalculatorILi1EjESF_NS0_6memory15LoadWithoutCastENSG_16StoreWithoutCastEEEviS9_T0_T2_T3_T4_T5_.has_recursion, 0
	.set _ZN2at6native27unrolled_elementwise_kernelIZNS0_21compare_scalar_kernelIN3c108BFloat16EEEvRNS_18TensorIteratorBaseENS0_12_GLOBAL__N_16OpTypeET_EUlS4_E_St5arrayIPcLm2EELi4E23TrivialOffsetCalculatorILi1EjESF_NS0_6memory15LoadWithoutCastENSG_16StoreWithoutCastEEEviS9_T0_T2_T3_T4_T5_.has_indirect_call, 0
	.section	.AMDGPU.csdata,"",@progbits
; Kernel info:
; codeLenInByte = 1308
; TotalNumSgprs: 22
; NumVgprs: 9
; ScratchSize: 0
; MemoryBound: 0
; FloatMode: 240
; IeeeMode: 1
; LDSByteSize: 0 bytes/workgroup (compile time only)
; SGPRBlocks: 2
; VGPRBlocks: 2
; NumSGPRsForWavesPerEU: 22
; NumVGPRsForWavesPerEU: 9
; Occupancy: 10
; WaveLimiterHint : 0
; COMPUTE_PGM_RSRC2:SCRATCH_EN: 0
; COMPUTE_PGM_RSRC2:USER_SGPR: 6
; COMPUTE_PGM_RSRC2:TRAP_HANDLER: 0
; COMPUTE_PGM_RSRC2:TGID_X_EN: 1
; COMPUTE_PGM_RSRC2:TGID_Y_EN: 0
; COMPUTE_PGM_RSRC2:TGID_Z_EN: 0
; COMPUTE_PGM_RSRC2:TIDIG_COMP_CNT: 0
	.section	.text._ZN2at6native32elementwise_kernel_manual_unrollILi128ELi8EZNS0_22gpu_kernel_impl_nocastIZNS0_21compare_scalar_kernelIN3c108BFloat16EEEvRNS_18TensorIteratorBaseENS0_12_GLOBAL__N_16OpTypeET_EUlS5_E_EEvS7_RKSA_EUlibE_EEviT1_,"axG",@progbits,_ZN2at6native32elementwise_kernel_manual_unrollILi128ELi8EZNS0_22gpu_kernel_impl_nocastIZNS0_21compare_scalar_kernelIN3c108BFloat16EEEvRNS_18TensorIteratorBaseENS0_12_GLOBAL__N_16OpTypeET_EUlS5_E_EEvS7_RKSA_EUlibE_EEviT1_,comdat
	.globl	_ZN2at6native32elementwise_kernel_manual_unrollILi128ELi8EZNS0_22gpu_kernel_impl_nocastIZNS0_21compare_scalar_kernelIN3c108BFloat16EEEvRNS_18TensorIteratorBaseENS0_12_GLOBAL__N_16OpTypeET_EUlS5_E_EEvS7_RKSA_EUlibE_EEviT1_ ; -- Begin function _ZN2at6native32elementwise_kernel_manual_unrollILi128ELi8EZNS0_22gpu_kernel_impl_nocastIZNS0_21compare_scalar_kernelIN3c108BFloat16EEEvRNS_18TensorIteratorBaseENS0_12_GLOBAL__N_16OpTypeET_EUlS5_E_EEvS7_RKSA_EUlibE_EEviT1_
	.p2align	8
	.type	_ZN2at6native32elementwise_kernel_manual_unrollILi128ELi8EZNS0_22gpu_kernel_impl_nocastIZNS0_21compare_scalar_kernelIN3c108BFloat16EEEvRNS_18TensorIteratorBaseENS0_12_GLOBAL__N_16OpTypeET_EUlS5_E_EEvS7_RKSA_EUlibE_EEviT1_,@function
_ZN2at6native32elementwise_kernel_manual_unrollILi128ELi8EZNS0_22gpu_kernel_impl_nocastIZNS0_21compare_scalar_kernelIN3c108BFloat16EEEvRNS_18TensorIteratorBaseENS0_12_GLOBAL__N_16OpTypeET_EUlS5_E_EEvS7_RKSA_EUlibE_EEviT1_: ; @_ZN2at6native32elementwise_kernel_manual_unrollILi128ELi8EZNS0_22gpu_kernel_impl_nocastIZNS0_21compare_scalar_kernelIN3c108BFloat16EEEvRNS_18TensorIteratorBaseENS0_12_GLOBAL__N_16OpTypeET_EUlS5_E_EEvS7_RKSA_EUlibE_EEviT1_
; %bb.0:
	s_load_dword s57, s[4:5], 0x0
	s_load_dword s33, s[4:5], 0x8
	s_add_u32 s34, s4, 8
	s_addc_u32 s35, s5, 0
	v_lshl_or_b32 v15, s6, 10, v0
	v_or_b32_e32 v22, 0x380, v15
	s_waitcnt lgkmcnt(0)
	s_add_i32 s56, s33, -1
	s_cmp_gt_u32 s56, 1
	v_cmp_le_i32_e32 vcc, s57, v22
	s_cselect_b64 s[36:37], -1, 0
	s_and_saveexec_b64 s[0:1], vcc
	s_xor_b64 s[38:39], exec, s[0:1]
	s_cbranch_execz .LBB133_235
; %bb.1:
	s_cmp_lg_u32 s33, 0
	s_cselect_b64 s[48:49], -1, 0
	s_add_u32 s46, s34, 0xc4
	s_load_dwordx4 s[20:23], s[34:35], 0x4
	s_load_dwordx2 s[42:43], s[34:35], 0x14
	s_load_dwordx2 s[40:41], s[34:35], 0x158
	s_load_dwordx4 s[24:27], s[34:35], 0xc4
	s_load_dwordx4 s[16:19], s[34:35], 0x148
	s_addc_u32 s47, s35, 0
	s_min_u32 s58, s56, 15
	s_cmp_gt_u32 s33, 1
	s_cselect_b64 s[44:45], -1, 0
	s_waitcnt lgkmcnt(0)
	s_lshl_b32 s41, s41, 16
	v_cmp_gt_i32_e32 vcc, s57, v15
	s_and_saveexec_b64 s[50:51], vcc
	s_cbranch_execnz .LBB133_9
; %bb.2:
	s_or_b64 exec, exec, s[50:51]
	v_cmp_gt_i32_e32 vcc, s57, v15
	s_and_saveexec_b64 s[50:51], vcc
	s_cbranch_execnz .LBB133_38
.LBB133_3:
	s_or_b64 exec, exec, s[50:51]
	v_cmp_gt_i32_e32 vcc, s57, v15
	s_and_saveexec_b64 s[50:51], vcc
	s_cbranch_execnz .LBB133_66
.LBB133_4:
	s_or_b64 exec, exec, s[50:51]
	v_cmp_gt_i32_e32 vcc, s57, v15
	s_and_saveexec_b64 s[50:51], vcc
	s_cbranch_execnz .LBB133_94
.LBB133_5:
	s_or_b64 exec, exec, s[50:51]
	v_cmp_gt_i32_e32 vcc, s57, v15
	s_and_saveexec_b64 s[50:51], vcc
	s_cbranch_execnz .LBB133_122
.LBB133_6:
	s_or_b64 exec, exec, s[50:51]
	v_cmp_gt_i32_e32 vcc, s57, v15
	s_and_saveexec_b64 s[50:51], vcc
	s_cbranch_execnz .LBB133_150
.LBB133_7:
	s_or_b64 exec, exec, s[50:51]
	v_cmp_gt_i32_e32 vcc, s57, v15
	s_and_saveexec_b64 s[50:51], vcc
	s_cbranch_execnz .LBB133_178
.LBB133_8:
	s_or_b64 exec, exec, s[50:51]
	v_cmp_gt_i32_e32 vcc, s57, v15
	s_and_saveexec_b64 s[50:51], vcc
	s_cbranch_execnz .LBB133_206
	s_branch .LBB133_234
.LBB133_9:
	s_andn2_b64 vcc, exec, s[36:37]
	s_cbranch_vccnz .LBB133_14
; %bb.10:
	s_andn2_b64 vcc, exec, s[48:49]
	s_cbranch_vccnz .LBB133_15
; %bb.11:
	s_add_i32 s60, s58, 1
	s_cmp_eq_u32 s56, 2
	s_cbranch_scc1 .LBB133_16
; %bb.12:
	s_and_b32 s59, s60, 28
	v_mov_b32_e32 v2, 0
	s_mov_b32 s61, 0
	s_mov_b64 s[52:53], s[34:35]
	s_mov_b64 s[54:55], s[46:47]
	v_mov_b32_e32 v0, 0
	v_mov_b32_e32 v1, v15
.LBB133_13:                             ; =>This Inner Loop Header: Depth=1
	s_load_dwordx8 s[8:15], s[52:53], 0x4
	s_load_dwordx4 s[28:31], s[52:53], 0x24
	s_load_dwordx8 s[0:7], s[54:55], 0x0
	s_add_u32 s52, s52, 48
	s_addc_u32 s53, s53, 0
	s_waitcnt lgkmcnt(0)
	v_mul_hi_u32 v3, s9, v1
	s_add_i32 s61, s61, 4
	s_add_u32 s54, s54, 32
	s_addc_u32 s55, s55, 0
	v_add_u32_e32 v3, v1, v3
	v_lshrrev_b32_e32 v3, s10, v3
	v_mul_lo_u32 v4, v3, s8
	v_mul_hi_u32 v5, s12, v3
	s_cmp_lg_u32 s59, s61
	v_sub_u32_e32 v1, v1, v4
	v_add_u32_e32 v4, v3, v5
	v_mul_lo_u32 v5, v1, s0
	v_mul_lo_u32 v6, v1, s1
	v_lshrrev_b32_e32 v1, s13, v4
	v_mul_lo_u32 v4, v1, s11
	v_mul_hi_u32 v7, s15, v1
	v_sub_u32_e32 v3, v3, v4
	v_add_u32_e32 v4, v1, v7
	v_lshrrev_b32_e32 v4, s28, v4
	v_mul_hi_u32 v8, s30, v4
	v_mul_lo_u32 v9, v4, s14
	v_mul_lo_u32 v7, v3, s2
	;; [unrolled: 1-line block ×3, first 2 shown]
	v_sub_u32_e32 v9, v1, v9
	v_add_u32_e32 v1, v4, v8
	v_lshrrev_b32_e32 v1, s31, v1
	v_mul_lo_u32 v8, v1, s29
	v_mul_lo_u32 v10, v9, s4
	v_mul_lo_u32 v9, v9, s5
	v_add3_u32 v0, v5, v0, v7
	v_sub_u32_e32 v4, v4, v8
	v_mul_lo_u32 v8, v4, s6
	v_mul_lo_u32 v4, v4, s7
	v_add3_u32 v2, v6, v2, v3
	v_add3_u32 v0, v10, v0, v8
	;; [unrolled: 1-line block ×3, first 2 shown]
	s_cbranch_scc1 .LBB133_13
	s_branch .LBB133_17
.LBB133_14:
                                        ; implicit-def: $vgpr0
                                        ; implicit-def: $vgpr2
	s_branch .LBB133_21
.LBB133_15:
	v_mov_b32_e32 v0, 0
	v_mov_b32_e32 v2, 0
	s_branch .LBB133_20
.LBB133_16:
	s_mov_b32 s59, 0
	v_mov_b32_e32 v0, 0
	v_mov_b32_e32 v2, 0
	;; [unrolled: 1-line block ×3, first 2 shown]
.LBB133_17:
	s_and_b32 s4, s60, 3
	s_cmp_eq_u32 s4, 0
	s_cbranch_scc1 .LBB133_20
; %bb.18:
	s_lshl_b32 s0, s59, 3
	s_add_u32 s0, s34, s0
	s_addc_u32 s1, s35, 0
	s_add_u32 s0, s0, 0xc4
	s_addc_u32 s1, s1, 0
	s_mul_i32 s2, s59, 12
	s_add_u32 s2, s34, s2
	s_addc_u32 s3, s35, 0
.LBB133_19:                             ; =>This Inner Loop Header: Depth=1
	s_load_dwordx2 s[6:7], s[2:3], 0x4
	s_load_dword s5, s[2:3], 0xc
	s_load_dwordx2 s[8:9], s[0:1], 0x0
	s_add_u32 s2, s2, 12
	s_addc_u32 s3, s3, 0
	s_waitcnt lgkmcnt(0)
	v_mul_hi_u32 v3, s7, v1
	s_add_u32 s0, s0, 8
	s_addc_u32 s1, s1, 0
	s_add_i32 s4, s4, -1
	v_add_u32_e32 v3, v1, v3
	v_lshrrev_b32_e32 v4, s5, v3
	v_mul_lo_u32 v3, v4, s6
	s_cmp_lg_u32 s4, 0
	v_sub_u32_e32 v3, v1, v3
	v_mad_u64_u32 v[0:1], s[6:7], v3, s8, v[0:1]
	v_mad_u64_u32 v[2:3], s[6:7], v3, s9, v[2:3]
	v_mov_b32_e32 v1, v4
	s_cbranch_scc1 .LBB133_19
.LBB133_20:
	s_cbranch_execnz .LBB133_23
.LBB133_21:
	v_mul_hi_u32 v0, s21, v15
	s_andn2_b64 vcc, exec, s[44:45]
	v_add_u32_e32 v0, v15, v0
	v_lshrrev_b32_e32 v1, s22, v0
	v_mul_lo_u32 v0, v1, s20
	v_sub_u32_e32 v2, v15, v0
	v_mul_lo_u32 v0, v2, s24
	v_mul_lo_u32 v2, v2, s25
	s_cbranch_vccnz .LBB133_23
; %bb.22:
	v_mul_hi_u32 v3, s42, v1
	v_add_u32_e32 v3, v1, v3
	v_lshrrev_b32_e32 v3, s43, v3
	v_mul_lo_u32 v3, v3, s23
	v_sub_u32_e32 v3, v1, v3
	v_mad_u64_u32 v[0:1], s[0:1], v3, s26, v[0:1]
	v_mad_u64_u32 v[2:3], s[0:1], v3, s27, v[2:3]
.LBB133_23:
	global_load_ushort v1, v2, s[18:19]
	s_cmp_lt_i32 s40, 1
	s_mov_b64 s[0:1], 0
	s_waitcnt vmcnt(0)
	v_lshlrev_b32_e32 v1, 16, v1
	s_cbranch_scc1 .LBB133_27
; %bb.24:
	s_cmp_gt_i32 s40, 1
	s_cbranch_scc0 .LBB133_28
; %bb.25:
	s_cmp_eq_u32 s40, 2
	s_cbranch_scc0 .LBB133_29
; %bb.26:
	v_cmp_ge_f32_e64 s[2:3], s41, v1
	s_mov_b64 s[4:5], 0
	s_branch .LBB133_30
.LBB133_27:
                                        ; implicit-def: $sgpr2_sgpr3
	s_mov_b64 s[4:5], 0
	s_cbranch_execnz .LBB133_33
	s_branch .LBB133_34
.LBB133_28:
	s_mov_b64 s[4:5], 0
                                        ; implicit-def: $sgpr2_sgpr3
	s_cbranch_execnz .LBB133_31
	s_branch .LBB133_32
.LBB133_29:
	s_mov_b64 s[4:5], -1
                                        ; implicit-def: $sgpr2_sgpr3
.LBB133_30:
	s_branch .LBB133_32
.LBB133_31:
	v_cmp_lt_f32_e32 vcc, s41, v1
	s_andn2_b64 s[2:3], s[2:3], exec
	s_and_b64 s[6:7], vcc, exec
	s_or_b64 s[2:3], s[2:3], s[6:7]
.LBB133_32:
	s_branch .LBB133_34
.LBB133_33:
	s_cmp_lg_u32 s40, 0
	s_mov_b64 s[0:1], -1
	s_cselect_b64 s[4:5], -1, 0
.LBB133_34:
	s_andn2_b64 vcc, exec, s[4:5]
	s_cbranch_vccz .LBB133_43
; %bb.35:
	s_andn2_b64 vcc, exec, s[0:1]
	s_cbranch_vccnz .LBB133_37
.LBB133_36:
	v_cmp_le_f32_e32 vcc, s41, v1
	s_andn2_b64 s[0:1], s[2:3], exec
	s_and_b64 s[2:3], vcc, exec
	s_or_b64 s[2:3], s[0:1], s[2:3]
.LBB133_37:
	v_cndmask_b32_e64 v1, 0, 1, s[2:3]
	v_add_u32_e32 v15, 0x80, v15
	global_store_byte v0, v1, s[16:17]
	s_or_b64 exec, exec, s[50:51]
	v_cmp_gt_i32_e32 vcc, s57, v15
	s_and_saveexec_b64 s[50:51], vcc
	s_cbranch_execz .LBB133_3
.LBB133_38:
	s_andn2_b64 vcc, exec, s[36:37]
	s_cbranch_vccnz .LBB133_44
; %bb.39:
	s_andn2_b64 vcc, exec, s[48:49]
	s_cbranch_vccnz .LBB133_45
; %bb.40:
	s_add_i32 s60, s58, 1
	s_cmp_eq_u32 s56, 2
	s_cbranch_scc1 .LBB133_46
; %bb.41:
	s_and_b32 s59, s60, 28
	v_mov_b32_e32 v2, 0
	s_mov_b32 s61, 0
	s_mov_b64 s[52:53], s[34:35]
	s_mov_b64 s[54:55], s[46:47]
	v_mov_b32_e32 v0, 0
	v_mov_b32_e32 v1, v15
.LBB133_42:                             ; =>This Inner Loop Header: Depth=1
	s_load_dwordx8 s[8:15], s[52:53], 0x4
	s_load_dwordx4 s[28:31], s[52:53], 0x24
	s_load_dwordx8 s[0:7], s[54:55], 0x0
	s_add_u32 s52, s52, 48
	s_addc_u32 s53, s53, 0
	s_waitcnt lgkmcnt(0)
	v_mul_hi_u32 v3, s9, v1
	s_add_i32 s61, s61, 4
	s_add_u32 s54, s54, 32
	s_addc_u32 s55, s55, 0
	v_add_u32_e32 v3, v1, v3
	v_lshrrev_b32_e32 v3, s10, v3
	v_mul_lo_u32 v4, v3, s8
	v_mul_hi_u32 v5, s12, v3
	s_cmp_eq_u32 s59, s61
	v_sub_u32_e32 v1, v1, v4
	v_add_u32_e32 v4, v3, v5
	v_mul_lo_u32 v5, v1, s0
	v_mul_lo_u32 v6, v1, s1
	v_lshrrev_b32_e32 v1, s13, v4
	v_mul_lo_u32 v4, v1, s11
	v_mul_hi_u32 v7, s15, v1
	v_sub_u32_e32 v3, v3, v4
	v_add_u32_e32 v4, v1, v7
	v_lshrrev_b32_e32 v4, s28, v4
	v_mul_hi_u32 v8, s30, v4
	v_mul_lo_u32 v9, v4, s14
	v_mul_lo_u32 v7, v3, s2
	;; [unrolled: 1-line block ×3, first 2 shown]
	v_sub_u32_e32 v9, v1, v9
	v_add_u32_e32 v1, v4, v8
	v_lshrrev_b32_e32 v1, s31, v1
	v_mul_lo_u32 v8, v1, s29
	v_mul_lo_u32 v10, v9, s4
	;; [unrolled: 1-line block ×3, first 2 shown]
	v_add3_u32 v0, v5, v0, v7
	v_sub_u32_e32 v4, v4, v8
	v_mul_lo_u32 v8, v4, s6
	v_mul_lo_u32 v4, v4, s7
	v_add3_u32 v2, v6, v2, v3
	v_add3_u32 v0, v10, v0, v8
	;; [unrolled: 1-line block ×3, first 2 shown]
	s_cbranch_scc0 .LBB133_42
	s_branch .LBB133_47
.LBB133_43:
	v_cmp_gt_f32_e32 vcc, s41, v1
	s_andn2_b64 s[2:3], s[2:3], exec
	s_and_b64 s[4:5], vcc, exec
	s_or_b64 s[2:3], s[2:3], s[4:5]
	s_cbranch_execz .LBB133_36
	s_branch .LBB133_37
.LBB133_44:
                                        ; implicit-def: $vgpr0
                                        ; implicit-def: $vgpr2
	s_branch .LBB133_51
.LBB133_45:
	v_mov_b32_e32 v0, 0
	v_mov_b32_e32 v2, 0
	s_branch .LBB133_50
.LBB133_46:
	s_mov_b32 s59, 0
	v_mov_b32_e32 v0, 0
	v_mov_b32_e32 v2, 0
	;; [unrolled: 1-line block ×3, first 2 shown]
.LBB133_47:
	s_and_b32 s4, s60, 3
	s_cmp_eq_u32 s4, 0
	s_cbranch_scc1 .LBB133_50
; %bb.48:
	s_lshl_b32 s0, s59, 3
	s_add_u32 s0, s34, s0
	s_addc_u32 s1, s35, 0
	s_add_u32 s0, s0, 0xc4
	s_addc_u32 s1, s1, 0
	s_mul_i32 s2, s59, 12
	s_add_u32 s2, s34, s2
	s_addc_u32 s3, s35, 0
.LBB133_49:                             ; =>This Inner Loop Header: Depth=1
	s_load_dwordx2 s[6:7], s[2:3], 0x4
	s_load_dword s5, s[2:3], 0xc
	s_load_dwordx2 s[8:9], s[0:1], 0x0
	s_add_u32 s2, s2, 12
	s_addc_u32 s3, s3, 0
	s_waitcnt lgkmcnt(0)
	v_mul_hi_u32 v3, s7, v1
	s_add_u32 s0, s0, 8
	s_addc_u32 s1, s1, 0
	s_add_i32 s4, s4, -1
	v_add_u32_e32 v3, v1, v3
	v_lshrrev_b32_e32 v4, s5, v3
	v_mul_lo_u32 v3, v4, s6
	s_cmp_lg_u32 s4, 0
	v_sub_u32_e32 v3, v1, v3
	v_mad_u64_u32 v[0:1], s[6:7], v3, s8, v[0:1]
	v_mad_u64_u32 v[2:3], s[6:7], v3, s9, v[2:3]
	v_mov_b32_e32 v1, v4
	s_cbranch_scc1 .LBB133_49
.LBB133_50:
	s_cbranch_execnz .LBB133_53
.LBB133_51:
	v_mul_hi_u32 v0, s21, v15
	s_andn2_b64 vcc, exec, s[44:45]
	v_add_u32_e32 v0, v15, v0
	v_lshrrev_b32_e32 v1, s22, v0
	v_mul_lo_u32 v0, v1, s20
	v_sub_u32_e32 v2, v15, v0
	v_mul_lo_u32 v0, v2, s24
	v_mul_lo_u32 v2, v2, s25
	s_cbranch_vccnz .LBB133_53
; %bb.52:
	v_mul_hi_u32 v3, s42, v1
	v_add_u32_e32 v3, v1, v3
	v_lshrrev_b32_e32 v3, s43, v3
	v_mul_lo_u32 v3, v3, s23
	v_sub_u32_e32 v3, v1, v3
	v_mad_u64_u32 v[0:1], s[0:1], v3, s26, v[0:1]
	v_mad_u64_u32 v[2:3], s[0:1], v3, s27, v[2:3]
.LBB133_53:
	global_load_ushort v1, v2, s[18:19]
	s_cmp_lt_i32 s40, 1
	s_mov_b64 s[0:1], 0
	s_waitcnt vmcnt(0)
	v_lshlrev_b32_e32 v1, 16, v1
	s_cbranch_scc1 .LBB133_57
; %bb.54:
	s_cmp_gt_i32 s40, 1
	s_cbranch_scc0 .LBB133_58
; %bb.55:
	s_cmp_eq_u32 s40, 2
	s_cbranch_scc0 .LBB133_471
; %bb.56:
	v_cmp_ge_f32_e64 s[2:3], s41, v1
	s_mov_b64 s[4:5], 0
	s_branch .LBB133_60
.LBB133_57:
                                        ; implicit-def: $sgpr2_sgpr3
	s_mov_b64 s[4:5], 0
	s_cbranch_execnz .LBB133_61
	s_branch .LBB133_62
.LBB133_58:
	s_mov_b64 s[4:5], 0
                                        ; implicit-def: $sgpr2_sgpr3
	s_cbranch_execz .LBB133_60
; %bb.59:
	v_cmp_lt_f32_e32 vcc, s41, v1
	s_andn2_b64 s[2:3], s[2:3], exec
	s_and_b64 s[6:7], vcc, exec
	s_or_b64 s[2:3], s[2:3], s[6:7]
.LBB133_60:
	s_branch .LBB133_62
.LBB133_61:
	s_cmp_lg_u32 s40, 0
	s_mov_b64 s[0:1], -1
	s_cselect_b64 s[4:5], -1, 0
.LBB133_62:
	s_andn2_b64 vcc, exec, s[4:5]
	s_cbranch_vccz .LBB133_71
; %bb.63:
	s_andn2_b64 vcc, exec, s[0:1]
	s_cbranch_vccnz .LBB133_65
.LBB133_64:
	v_cmp_le_f32_e32 vcc, s41, v1
	s_andn2_b64 s[0:1], s[2:3], exec
	s_and_b64 s[2:3], vcc, exec
	s_or_b64 s[2:3], s[0:1], s[2:3]
.LBB133_65:
	v_cndmask_b32_e64 v1, 0, 1, s[2:3]
	v_add_u32_e32 v15, 0x80, v15
	global_store_byte v0, v1, s[16:17]
	s_or_b64 exec, exec, s[50:51]
	v_cmp_gt_i32_e32 vcc, s57, v15
	s_and_saveexec_b64 s[50:51], vcc
	s_cbranch_execz .LBB133_4
.LBB133_66:
	s_andn2_b64 vcc, exec, s[36:37]
	s_cbranch_vccnz .LBB133_72
; %bb.67:
	s_andn2_b64 vcc, exec, s[48:49]
	s_cbranch_vccnz .LBB133_73
; %bb.68:
	s_add_i32 s60, s58, 1
	s_cmp_eq_u32 s56, 2
	s_cbranch_scc1 .LBB133_74
; %bb.69:
	s_and_b32 s59, s60, 28
	v_mov_b32_e32 v2, 0
	s_mov_b32 s61, 0
	s_mov_b64 s[52:53], s[34:35]
	s_mov_b64 s[54:55], s[46:47]
	v_mov_b32_e32 v0, 0
	v_mov_b32_e32 v1, v15
.LBB133_70:                             ; =>This Inner Loop Header: Depth=1
	s_load_dwordx8 s[8:15], s[52:53], 0x4
	s_load_dwordx4 s[28:31], s[52:53], 0x24
	s_load_dwordx8 s[0:7], s[54:55], 0x0
	s_add_u32 s52, s52, 48
	s_addc_u32 s53, s53, 0
	s_waitcnt lgkmcnt(0)
	v_mul_hi_u32 v3, s9, v1
	s_add_i32 s61, s61, 4
	s_add_u32 s54, s54, 32
	s_addc_u32 s55, s55, 0
	v_add_u32_e32 v3, v1, v3
	v_lshrrev_b32_e32 v3, s10, v3
	v_mul_lo_u32 v4, v3, s8
	v_mul_hi_u32 v5, s12, v3
	s_cmp_eq_u32 s59, s61
	v_sub_u32_e32 v1, v1, v4
	v_add_u32_e32 v4, v3, v5
	v_mul_lo_u32 v5, v1, s0
	v_mul_lo_u32 v6, v1, s1
	v_lshrrev_b32_e32 v1, s13, v4
	v_mul_lo_u32 v4, v1, s11
	v_mul_hi_u32 v7, s15, v1
	v_sub_u32_e32 v3, v3, v4
	v_add_u32_e32 v4, v1, v7
	v_lshrrev_b32_e32 v4, s28, v4
	v_mul_hi_u32 v8, s30, v4
	v_mul_lo_u32 v9, v4, s14
	v_mul_lo_u32 v7, v3, s2
	;; [unrolled: 1-line block ×3, first 2 shown]
	v_sub_u32_e32 v9, v1, v9
	v_add_u32_e32 v1, v4, v8
	v_lshrrev_b32_e32 v1, s31, v1
	v_mul_lo_u32 v8, v1, s29
	v_mul_lo_u32 v10, v9, s4
	;; [unrolled: 1-line block ×3, first 2 shown]
	v_add3_u32 v0, v5, v0, v7
	v_sub_u32_e32 v4, v4, v8
	v_mul_lo_u32 v8, v4, s6
	v_mul_lo_u32 v4, v4, s7
	v_add3_u32 v2, v6, v2, v3
	v_add3_u32 v0, v10, v0, v8
	;; [unrolled: 1-line block ×3, first 2 shown]
	s_cbranch_scc0 .LBB133_70
	s_branch .LBB133_75
.LBB133_71:
	v_cmp_gt_f32_e32 vcc, s41, v1
	s_andn2_b64 s[2:3], s[2:3], exec
	s_and_b64 s[4:5], vcc, exec
	s_or_b64 s[2:3], s[2:3], s[4:5]
	s_cbranch_execz .LBB133_64
	s_branch .LBB133_65
.LBB133_72:
                                        ; implicit-def: $vgpr0
                                        ; implicit-def: $vgpr2
	s_branch .LBB133_79
.LBB133_73:
	v_mov_b32_e32 v0, 0
	v_mov_b32_e32 v2, 0
	s_branch .LBB133_78
.LBB133_74:
	s_mov_b32 s59, 0
	v_mov_b32_e32 v0, 0
	v_mov_b32_e32 v2, 0
	;; [unrolled: 1-line block ×3, first 2 shown]
.LBB133_75:
	s_and_b32 s4, s60, 3
	s_cmp_eq_u32 s4, 0
	s_cbranch_scc1 .LBB133_78
; %bb.76:
	s_lshl_b32 s0, s59, 3
	s_add_u32 s0, s34, s0
	s_addc_u32 s1, s35, 0
	s_add_u32 s0, s0, 0xc4
	s_addc_u32 s1, s1, 0
	s_mul_i32 s2, s59, 12
	s_add_u32 s2, s34, s2
	s_addc_u32 s3, s35, 0
.LBB133_77:                             ; =>This Inner Loop Header: Depth=1
	s_load_dwordx2 s[6:7], s[2:3], 0x4
	s_load_dword s5, s[2:3], 0xc
	s_load_dwordx2 s[8:9], s[0:1], 0x0
	s_add_u32 s2, s2, 12
	s_addc_u32 s3, s3, 0
	s_waitcnt lgkmcnt(0)
	v_mul_hi_u32 v3, s7, v1
	s_add_u32 s0, s0, 8
	s_addc_u32 s1, s1, 0
	s_add_i32 s4, s4, -1
	v_add_u32_e32 v3, v1, v3
	v_lshrrev_b32_e32 v4, s5, v3
	v_mul_lo_u32 v3, v4, s6
	s_cmp_lg_u32 s4, 0
	v_sub_u32_e32 v3, v1, v3
	v_mad_u64_u32 v[0:1], s[6:7], v3, s8, v[0:1]
	v_mad_u64_u32 v[2:3], s[6:7], v3, s9, v[2:3]
	v_mov_b32_e32 v1, v4
	s_cbranch_scc1 .LBB133_77
.LBB133_78:
	s_cbranch_execnz .LBB133_81
.LBB133_79:
	v_mul_hi_u32 v0, s21, v15
	s_andn2_b64 vcc, exec, s[44:45]
	v_add_u32_e32 v0, v15, v0
	v_lshrrev_b32_e32 v1, s22, v0
	v_mul_lo_u32 v0, v1, s20
	v_sub_u32_e32 v2, v15, v0
	v_mul_lo_u32 v0, v2, s24
	v_mul_lo_u32 v2, v2, s25
	s_cbranch_vccnz .LBB133_81
; %bb.80:
	v_mul_hi_u32 v3, s42, v1
	v_add_u32_e32 v3, v1, v3
	v_lshrrev_b32_e32 v3, s43, v3
	v_mul_lo_u32 v3, v3, s23
	v_sub_u32_e32 v3, v1, v3
	v_mad_u64_u32 v[0:1], s[0:1], v3, s26, v[0:1]
	v_mad_u64_u32 v[2:3], s[0:1], v3, s27, v[2:3]
.LBB133_81:
	global_load_ushort v1, v2, s[18:19]
	s_cmp_lt_i32 s40, 1
	s_mov_b64 s[0:1], 0
	s_waitcnt vmcnt(0)
	v_lshlrev_b32_e32 v1, 16, v1
	s_cbranch_scc1 .LBB133_85
; %bb.82:
	s_cmp_gt_i32 s40, 1
	s_cbranch_scc0 .LBB133_86
; %bb.83:
	s_cmp_eq_u32 s40, 2
	s_cbranch_scc0 .LBB133_472
; %bb.84:
	v_cmp_ge_f32_e64 s[2:3], s41, v1
	s_mov_b64 s[4:5], 0
	s_branch .LBB133_88
.LBB133_85:
                                        ; implicit-def: $sgpr2_sgpr3
	s_mov_b64 s[4:5], 0
	s_cbranch_execnz .LBB133_89
	s_branch .LBB133_90
.LBB133_86:
	s_mov_b64 s[4:5], 0
                                        ; implicit-def: $sgpr2_sgpr3
	s_cbranch_execz .LBB133_88
; %bb.87:
	v_cmp_lt_f32_e32 vcc, s41, v1
	s_andn2_b64 s[2:3], s[2:3], exec
	s_and_b64 s[6:7], vcc, exec
	s_or_b64 s[2:3], s[2:3], s[6:7]
.LBB133_88:
	s_branch .LBB133_90
.LBB133_89:
	s_cmp_lg_u32 s40, 0
	s_mov_b64 s[0:1], -1
	s_cselect_b64 s[4:5], -1, 0
.LBB133_90:
	s_andn2_b64 vcc, exec, s[4:5]
	s_cbranch_vccz .LBB133_99
; %bb.91:
	s_andn2_b64 vcc, exec, s[0:1]
	s_cbranch_vccnz .LBB133_93
.LBB133_92:
	v_cmp_le_f32_e32 vcc, s41, v1
	s_andn2_b64 s[0:1], s[2:3], exec
	s_and_b64 s[2:3], vcc, exec
	s_or_b64 s[2:3], s[0:1], s[2:3]
.LBB133_93:
	v_cndmask_b32_e64 v1, 0, 1, s[2:3]
	v_add_u32_e32 v15, 0x80, v15
	global_store_byte v0, v1, s[16:17]
	s_or_b64 exec, exec, s[50:51]
	v_cmp_gt_i32_e32 vcc, s57, v15
	s_and_saveexec_b64 s[50:51], vcc
	s_cbranch_execz .LBB133_5
.LBB133_94:
	s_andn2_b64 vcc, exec, s[36:37]
	s_cbranch_vccnz .LBB133_100
; %bb.95:
	s_andn2_b64 vcc, exec, s[48:49]
	s_cbranch_vccnz .LBB133_101
; %bb.96:
	s_add_i32 s60, s58, 1
	s_cmp_eq_u32 s56, 2
	s_cbranch_scc1 .LBB133_102
; %bb.97:
	s_and_b32 s59, s60, 28
	v_mov_b32_e32 v2, 0
	s_mov_b32 s61, 0
	s_mov_b64 s[52:53], s[34:35]
	s_mov_b64 s[54:55], s[46:47]
	v_mov_b32_e32 v0, 0
	v_mov_b32_e32 v1, v15
.LBB133_98:                             ; =>This Inner Loop Header: Depth=1
	s_load_dwordx8 s[8:15], s[52:53], 0x4
	s_load_dwordx4 s[28:31], s[52:53], 0x24
	s_load_dwordx8 s[0:7], s[54:55], 0x0
	s_add_u32 s52, s52, 48
	s_addc_u32 s53, s53, 0
	s_waitcnt lgkmcnt(0)
	v_mul_hi_u32 v3, s9, v1
	s_add_i32 s61, s61, 4
	s_add_u32 s54, s54, 32
	s_addc_u32 s55, s55, 0
	v_add_u32_e32 v3, v1, v3
	v_lshrrev_b32_e32 v3, s10, v3
	v_mul_lo_u32 v4, v3, s8
	v_mul_hi_u32 v5, s12, v3
	s_cmp_eq_u32 s59, s61
	v_sub_u32_e32 v1, v1, v4
	v_add_u32_e32 v4, v3, v5
	v_mul_lo_u32 v5, v1, s0
	v_mul_lo_u32 v6, v1, s1
	v_lshrrev_b32_e32 v1, s13, v4
	v_mul_lo_u32 v4, v1, s11
	v_mul_hi_u32 v7, s15, v1
	v_sub_u32_e32 v3, v3, v4
	v_add_u32_e32 v4, v1, v7
	v_lshrrev_b32_e32 v4, s28, v4
	v_mul_hi_u32 v8, s30, v4
	v_mul_lo_u32 v9, v4, s14
	v_mul_lo_u32 v7, v3, s2
	v_mul_lo_u32 v3, v3, s3
	v_sub_u32_e32 v9, v1, v9
	v_add_u32_e32 v1, v4, v8
	v_lshrrev_b32_e32 v1, s31, v1
	v_mul_lo_u32 v8, v1, s29
	v_mul_lo_u32 v10, v9, s4
	;; [unrolled: 1-line block ×3, first 2 shown]
	v_add3_u32 v0, v5, v0, v7
	v_sub_u32_e32 v4, v4, v8
	v_mul_lo_u32 v8, v4, s6
	v_mul_lo_u32 v4, v4, s7
	v_add3_u32 v2, v6, v2, v3
	v_add3_u32 v0, v10, v0, v8
	;; [unrolled: 1-line block ×3, first 2 shown]
	s_cbranch_scc0 .LBB133_98
	s_branch .LBB133_103
.LBB133_99:
	v_cmp_gt_f32_e32 vcc, s41, v1
	s_andn2_b64 s[2:3], s[2:3], exec
	s_and_b64 s[4:5], vcc, exec
	s_or_b64 s[2:3], s[2:3], s[4:5]
	s_cbranch_execz .LBB133_92
	s_branch .LBB133_93
.LBB133_100:
                                        ; implicit-def: $vgpr0
                                        ; implicit-def: $vgpr2
	s_branch .LBB133_107
.LBB133_101:
	v_mov_b32_e32 v0, 0
	v_mov_b32_e32 v2, 0
	s_branch .LBB133_106
.LBB133_102:
	s_mov_b32 s59, 0
	v_mov_b32_e32 v0, 0
	v_mov_b32_e32 v2, 0
	;; [unrolled: 1-line block ×3, first 2 shown]
.LBB133_103:
	s_and_b32 s4, s60, 3
	s_cmp_eq_u32 s4, 0
	s_cbranch_scc1 .LBB133_106
; %bb.104:
	s_lshl_b32 s0, s59, 3
	s_add_u32 s0, s34, s0
	s_addc_u32 s1, s35, 0
	s_add_u32 s0, s0, 0xc4
	s_addc_u32 s1, s1, 0
	s_mul_i32 s2, s59, 12
	s_add_u32 s2, s34, s2
	s_addc_u32 s3, s35, 0
.LBB133_105:                            ; =>This Inner Loop Header: Depth=1
	s_load_dwordx2 s[6:7], s[2:3], 0x4
	s_load_dword s5, s[2:3], 0xc
	s_load_dwordx2 s[8:9], s[0:1], 0x0
	s_add_u32 s2, s2, 12
	s_addc_u32 s3, s3, 0
	s_waitcnt lgkmcnt(0)
	v_mul_hi_u32 v3, s7, v1
	s_add_u32 s0, s0, 8
	s_addc_u32 s1, s1, 0
	s_add_i32 s4, s4, -1
	v_add_u32_e32 v3, v1, v3
	v_lshrrev_b32_e32 v4, s5, v3
	v_mul_lo_u32 v3, v4, s6
	s_cmp_lg_u32 s4, 0
	v_sub_u32_e32 v3, v1, v3
	v_mad_u64_u32 v[0:1], s[6:7], v3, s8, v[0:1]
	v_mad_u64_u32 v[2:3], s[6:7], v3, s9, v[2:3]
	v_mov_b32_e32 v1, v4
	s_cbranch_scc1 .LBB133_105
.LBB133_106:
	s_cbranch_execnz .LBB133_109
.LBB133_107:
	v_mul_hi_u32 v0, s21, v15
	s_andn2_b64 vcc, exec, s[44:45]
	v_add_u32_e32 v0, v15, v0
	v_lshrrev_b32_e32 v1, s22, v0
	v_mul_lo_u32 v0, v1, s20
	v_sub_u32_e32 v2, v15, v0
	v_mul_lo_u32 v0, v2, s24
	v_mul_lo_u32 v2, v2, s25
	s_cbranch_vccnz .LBB133_109
; %bb.108:
	v_mul_hi_u32 v3, s42, v1
	v_add_u32_e32 v3, v1, v3
	v_lshrrev_b32_e32 v3, s43, v3
	v_mul_lo_u32 v3, v3, s23
	v_sub_u32_e32 v3, v1, v3
	v_mad_u64_u32 v[0:1], s[0:1], v3, s26, v[0:1]
	v_mad_u64_u32 v[2:3], s[0:1], v3, s27, v[2:3]
.LBB133_109:
	global_load_ushort v1, v2, s[18:19]
	s_cmp_lt_i32 s40, 1
	s_mov_b64 s[0:1], 0
	s_waitcnt vmcnt(0)
	v_lshlrev_b32_e32 v1, 16, v1
	s_cbranch_scc1 .LBB133_113
; %bb.110:
	s_cmp_gt_i32 s40, 1
	s_cbranch_scc0 .LBB133_114
; %bb.111:
	s_cmp_eq_u32 s40, 2
	s_cbranch_scc0 .LBB133_473
; %bb.112:
	v_cmp_ge_f32_e64 s[2:3], s41, v1
	s_mov_b64 s[4:5], 0
	s_branch .LBB133_116
.LBB133_113:
                                        ; implicit-def: $sgpr2_sgpr3
	s_mov_b64 s[4:5], 0
	s_cbranch_execnz .LBB133_117
	s_branch .LBB133_118
.LBB133_114:
	s_mov_b64 s[4:5], 0
                                        ; implicit-def: $sgpr2_sgpr3
	s_cbranch_execz .LBB133_116
; %bb.115:
	v_cmp_lt_f32_e32 vcc, s41, v1
	s_andn2_b64 s[2:3], s[2:3], exec
	s_and_b64 s[6:7], vcc, exec
	s_or_b64 s[2:3], s[2:3], s[6:7]
.LBB133_116:
	s_branch .LBB133_118
.LBB133_117:
	s_cmp_lg_u32 s40, 0
	s_mov_b64 s[0:1], -1
	s_cselect_b64 s[4:5], -1, 0
.LBB133_118:
	s_andn2_b64 vcc, exec, s[4:5]
	s_cbranch_vccz .LBB133_127
; %bb.119:
	s_andn2_b64 vcc, exec, s[0:1]
	s_cbranch_vccnz .LBB133_121
.LBB133_120:
	v_cmp_le_f32_e32 vcc, s41, v1
	s_andn2_b64 s[0:1], s[2:3], exec
	s_and_b64 s[2:3], vcc, exec
	s_or_b64 s[2:3], s[0:1], s[2:3]
.LBB133_121:
	v_cndmask_b32_e64 v1, 0, 1, s[2:3]
	v_add_u32_e32 v15, 0x80, v15
	global_store_byte v0, v1, s[16:17]
	s_or_b64 exec, exec, s[50:51]
	v_cmp_gt_i32_e32 vcc, s57, v15
	s_and_saveexec_b64 s[50:51], vcc
	s_cbranch_execz .LBB133_6
.LBB133_122:
	s_andn2_b64 vcc, exec, s[36:37]
	s_cbranch_vccnz .LBB133_128
; %bb.123:
	s_andn2_b64 vcc, exec, s[48:49]
	s_cbranch_vccnz .LBB133_129
; %bb.124:
	s_add_i32 s60, s58, 1
	s_cmp_eq_u32 s56, 2
	s_cbranch_scc1 .LBB133_130
; %bb.125:
	s_and_b32 s59, s60, 28
	v_mov_b32_e32 v2, 0
	s_mov_b32 s61, 0
	s_mov_b64 s[52:53], s[34:35]
	s_mov_b64 s[54:55], s[46:47]
	v_mov_b32_e32 v0, 0
	v_mov_b32_e32 v1, v15
.LBB133_126:                            ; =>This Inner Loop Header: Depth=1
	s_load_dwordx8 s[8:15], s[52:53], 0x4
	s_load_dwordx4 s[28:31], s[52:53], 0x24
	s_load_dwordx8 s[0:7], s[54:55], 0x0
	s_add_u32 s52, s52, 48
	s_addc_u32 s53, s53, 0
	s_waitcnt lgkmcnt(0)
	v_mul_hi_u32 v3, s9, v1
	s_add_i32 s61, s61, 4
	s_add_u32 s54, s54, 32
	s_addc_u32 s55, s55, 0
	v_add_u32_e32 v3, v1, v3
	v_lshrrev_b32_e32 v3, s10, v3
	v_mul_lo_u32 v4, v3, s8
	v_mul_hi_u32 v5, s12, v3
	s_cmp_eq_u32 s59, s61
	v_sub_u32_e32 v1, v1, v4
	v_add_u32_e32 v4, v3, v5
	v_mul_lo_u32 v5, v1, s0
	v_mul_lo_u32 v6, v1, s1
	v_lshrrev_b32_e32 v1, s13, v4
	v_mul_lo_u32 v4, v1, s11
	v_mul_hi_u32 v7, s15, v1
	v_sub_u32_e32 v3, v3, v4
	v_add_u32_e32 v4, v1, v7
	v_lshrrev_b32_e32 v4, s28, v4
	v_mul_hi_u32 v8, s30, v4
	v_mul_lo_u32 v9, v4, s14
	v_mul_lo_u32 v7, v3, s2
	v_mul_lo_u32 v3, v3, s3
	v_sub_u32_e32 v9, v1, v9
	v_add_u32_e32 v1, v4, v8
	v_lshrrev_b32_e32 v1, s31, v1
	v_mul_lo_u32 v8, v1, s29
	v_mul_lo_u32 v10, v9, s4
	v_mul_lo_u32 v9, v9, s5
	v_add3_u32 v0, v5, v0, v7
	v_sub_u32_e32 v4, v4, v8
	v_mul_lo_u32 v8, v4, s6
	v_mul_lo_u32 v4, v4, s7
	v_add3_u32 v2, v6, v2, v3
	v_add3_u32 v0, v10, v0, v8
	;; [unrolled: 1-line block ×3, first 2 shown]
	s_cbranch_scc0 .LBB133_126
	s_branch .LBB133_131
.LBB133_127:
	v_cmp_gt_f32_e32 vcc, s41, v1
	s_andn2_b64 s[2:3], s[2:3], exec
	s_and_b64 s[4:5], vcc, exec
	s_or_b64 s[2:3], s[2:3], s[4:5]
	s_cbranch_execz .LBB133_120
	s_branch .LBB133_121
.LBB133_128:
                                        ; implicit-def: $vgpr0
                                        ; implicit-def: $vgpr2
	s_branch .LBB133_135
.LBB133_129:
	v_mov_b32_e32 v0, 0
	v_mov_b32_e32 v2, 0
	s_branch .LBB133_134
.LBB133_130:
	s_mov_b32 s59, 0
	v_mov_b32_e32 v0, 0
	v_mov_b32_e32 v2, 0
	;; [unrolled: 1-line block ×3, first 2 shown]
.LBB133_131:
	s_and_b32 s4, s60, 3
	s_cmp_eq_u32 s4, 0
	s_cbranch_scc1 .LBB133_134
; %bb.132:
	s_lshl_b32 s0, s59, 3
	s_add_u32 s0, s34, s0
	s_addc_u32 s1, s35, 0
	s_add_u32 s0, s0, 0xc4
	s_addc_u32 s1, s1, 0
	s_mul_i32 s2, s59, 12
	s_add_u32 s2, s34, s2
	s_addc_u32 s3, s35, 0
.LBB133_133:                            ; =>This Inner Loop Header: Depth=1
	s_load_dwordx2 s[6:7], s[2:3], 0x4
	s_load_dword s5, s[2:3], 0xc
	s_load_dwordx2 s[8:9], s[0:1], 0x0
	s_add_u32 s2, s2, 12
	s_addc_u32 s3, s3, 0
	s_waitcnt lgkmcnt(0)
	v_mul_hi_u32 v3, s7, v1
	s_add_u32 s0, s0, 8
	s_addc_u32 s1, s1, 0
	s_add_i32 s4, s4, -1
	v_add_u32_e32 v3, v1, v3
	v_lshrrev_b32_e32 v4, s5, v3
	v_mul_lo_u32 v3, v4, s6
	s_cmp_lg_u32 s4, 0
	v_sub_u32_e32 v3, v1, v3
	v_mad_u64_u32 v[0:1], s[6:7], v3, s8, v[0:1]
	v_mad_u64_u32 v[2:3], s[6:7], v3, s9, v[2:3]
	v_mov_b32_e32 v1, v4
	s_cbranch_scc1 .LBB133_133
.LBB133_134:
	s_cbranch_execnz .LBB133_137
.LBB133_135:
	v_mul_hi_u32 v0, s21, v15
	s_andn2_b64 vcc, exec, s[44:45]
	v_add_u32_e32 v0, v15, v0
	v_lshrrev_b32_e32 v1, s22, v0
	v_mul_lo_u32 v0, v1, s20
	v_sub_u32_e32 v2, v15, v0
	v_mul_lo_u32 v0, v2, s24
	v_mul_lo_u32 v2, v2, s25
	s_cbranch_vccnz .LBB133_137
; %bb.136:
	v_mul_hi_u32 v3, s42, v1
	v_add_u32_e32 v3, v1, v3
	v_lshrrev_b32_e32 v3, s43, v3
	v_mul_lo_u32 v3, v3, s23
	v_sub_u32_e32 v3, v1, v3
	v_mad_u64_u32 v[0:1], s[0:1], v3, s26, v[0:1]
	v_mad_u64_u32 v[2:3], s[0:1], v3, s27, v[2:3]
.LBB133_137:
	global_load_ushort v1, v2, s[18:19]
	s_cmp_lt_i32 s40, 1
	s_mov_b64 s[0:1], 0
	s_waitcnt vmcnt(0)
	v_lshlrev_b32_e32 v1, 16, v1
	s_cbranch_scc1 .LBB133_141
; %bb.138:
	s_cmp_gt_i32 s40, 1
	s_cbranch_scc0 .LBB133_142
; %bb.139:
	s_cmp_eq_u32 s40, 2
	s_cbranch_scc0 .LBB133_474
; %bb.140:
	v_cmp_ge_f32_e64 s[2:3], s41, v1
	s_mov_b64 s[4:5], 0
	s_branch .LBB133_144
.LBB133_141:
                                        ; implicit-def: $sgpr2_sgpr3
	s_mov_b64 s[4:5], 0
	s_cbranch_execnz .LBB133_145
	s_branch .LBB133_146
.LBB133_142:
	s_mov_b64 s[4:5], 0
                                        ; implicit-def: $sgpr2_sgpr3
	s_cbranch_execz .LBB133_144
; %bb.143:
	v_cmp_lt_f32_e32 vcc, s41, v1
	s_andn2_b64 s[2:3], s[2:3], exec
	s_and_b64 s[6:7], vcc, exec
	s_or_b64 s[2:3], s[2:3], s[6:7]
.LBB133_144:
	s_branch .LBB133_146
.LBB133_145:
	s_cmp_lg_u32 s40, 0
	s_mov_b64 s[0:1], -1
	s_cselect_b64 s[4:5], -1, 0
.LBB133_146:
	s_andn2_b64 vcc, exec, s[4:5]
	s_cbranch_vccz .LBB133_155
; %bb.147:
	s_andn2_b64 vcc, exec, s[0:1]
	s_cbranch_vccnz .LBB133_149
.LBB133_148:
	v_cmp_le_f32_e32 vcc, s41, v1
	s_andn2_b64 s[0:1], s[2:3], exec
	s_and_b64 s[2:3], vcc, exec
	s_or_b64 s[2:3], s[0:1], s[2:3]
.LBB133_149:
	v_cndmask_b32_e64 v1, 0, 1, s[2:3]
	v_add_u32_e32 v15, 0x80, v15
	global_store_byte v0, v1, s[16:17]
	s_or_b64 exec, exec, s[50:51]
	v_cmp_gt_i32_e32 vcc, s57, v15
	s_and_saveexec_b64 s[50:51], vcc
	s_cbranch_execz .LBB133_7
.LBB133_150:
	s_andn2_b64 vcc, exec, s[36:37]
	s_cbranch_vccnz .LBB133_156
; %bb.151:
	s_andn2_b64 vcc, exec, s[48:49]
	s_cbranch_vccnz .LBB133_157
; %bb.152:
	s_add_i32 s60, s58, 1
	s_cmp_eq_u32 s56, 2
	s_cbranch_scc1 .LBB133_158
; %bb.153:
	s_and_b32 s59, s60, 28
	v_mov_b32_e32 v2, 0
	s_mov_b32 s61, 0
	s_mov_b64 s[52:53], s[34:35]
	s_mov_b64 s[54:55], s[46:47]
	v_mov_b32_e32 v0, 0
	v_mov_b32_e32 v1, v15
.LBB133_154:                            ; =>This Inner Loop Header: Depth=1
	s_load_dwordx8 s[8:15], s[52:53], 0x4
	s_load_dwordx4 s[28:31], s[52:53], 0x24
	s_load_dwordx8 s[0:7], s[54:55], 0x0
	s_add_u32 s52, s52, 48
	s_addc_u32 s53, s53, 0
	s_waitcnt lgkmcnt(0)
	v_mul_hi_u32 v3, s9, v1
	s_add_i32 s61, s61, 4
	s_add_u32 s54, s54, 32
	s_addc_u32 s55, s55, 0
	v_add_u32_e32 v3, v1, v3
	v_lshrrev_b32_e32 v3, s10, v3
	v_mul_lo_u32 v4, v3, s8
	v_mul_hi_u32 v5, s12, v3
	s_cmp_eq_u32 s59, s61
	v_sub_u32_e32 v1, v1, v4
	v_add_u32_e32 v4, v3, v5
	v_mul_lo_u32 v5, v1, s0
	v_mul_lo_u32 v6, v1, s1
	v_lshrrev_b32_e32 v1, s13, v4
	v_mul_lo_u32 v4, v1, s11
	v_mul_hi_u32 v7, s15, v1
	v_sub_u32_e32 v3, v3, v4
	v_add_u32_e32 v4, v1, v7
	v_lshrrev_b32_e32 v4, s28, v4
	v_mul_hi_u32 v8, s30, v4
	v_mul_lo_u32 v9, v4, s14
	v_mul_lo_u32 v7, v3, s2
	;; [unrolled: 1-line block ×3, first 2 shown]
	v_sub_u32_e32 v9, v1, v9
	v_add_u32_e32 v1, v4, v8
	v_lshrrev_b32_e32 v1, s31, v1
	v_mul_lo_u32 v8, v1, s29
	v_mul_lo_u32 v10, v9, s4
	;; [unrolled: 1-line block ×3, first 2 shown]
	v_add3_u32 v0, v5, v0, v7
	v_sub_u32_e32 v4, v4, v8
	v_mul_lo_u32 v8, v4, s6
	v_mul_lo_u32 v4, v4, s7
	v_add3_u32 v2, v6, v2, v3
	v_add3_u32 v0, v10, v0, v8
	;; [unrolled: 1-line block ×3, first 2 shown]
	s_cbranch_scc0 .LBB133_154
	s_branch .LBB133_159
.LBB133_155:
	v_cmp_gt_f32_e32 vcc, s41, v1
	s_andn2_b64 s[2:3], s[2:3], exec
	s_and_b64 s[4:5], vcc, exec
	s_or_b64 s[2:3], s[2:3], s[4:5]
	s_cbranch_execz .LBB133_148
	s_branch .LBB133_149
.LBB133_156:
                                        ; implicit-def: $vgpr0
                                        ; implicit-def: $vgpr2
	s_branch .LBB133_163
.LBB133_157:
	v_mov_b32_e32 v0, 0
	v_mov_b32_e32 v2, 0
	s_branch .LBB133_162
.LBB133_158:
	s_mov_b32 s59, 0
	v_mov_b32_e32 v0, 0
	v_mov_b32_e32 v2, 0
	;; [unrolled: 1-line block ×3, first 2 shown]
.LBB133_159:
	s_and_b32 s4, s60, 3
	s_cmp_eq_u32 s4, 0
	s_cbranch_scc1 .LBB133_162
; %bb.160:
	s_lshl_b32 s0, s59, 3
	s_add_u32 s0, s34, s0
	s_addc_u32 s1, s35, 0
	s_add_u32 s0, s0, 0xc4
	s_addc_u32 s1, s1, 0
	s_mul_i32 s2, s59, 12
	s_add_u32 s2, s34, s2
	s_addc_u32 s3, s35, 0
.LBB133_161:                            ; =>This Inner Loop Header: Depth=1
	s_load_dwordx2 s[6:7], s[2:3], 0x4
	s_load_dword s5, s[2:3], 0xc
	s_load_dwordx2 s[8:9], s[0:1], 0x0
	s_add_u32 s2, s2, 12
	s_addc_u32 s3, s3, 0
	s_waitcnt lgkmcnt(0)
	v_mul_hi_u32 v3, s7, v1
	s_add_u32 s0, s0, 8
	s_addc_u32 s1, s1, 0
	s_add_i32 s4, s4, -1
	v_add_u32_e32 v3, v1, v3
	v_lshrrev_b32_e32 v4, s5, v3
	v_mul_lo_u32 v3, v4, s6
	s_cmp_lg_u32 s4, 0
	v_sub_u32_e32 v3, v1, v3
	v_mad_u64_u32 v[0:1], s[6:7], v3, s8, v[0:1]
	v_mad_u64_u32 v[2:3], s[6:7], v3, s9, v[2:3]
	v_mov_b32_e32 v1, v4
	s_cbranch_scc1 .LBB133_161
.LBB133_162:
	s_cbranch_execnz .LBB133_165
.LBB133_163:
	v_mul_hi_u32 v0, s21, v15
	s_andn2_b64 vcc, exec, s[44:45]
	v_add_u32_e32 v0, v15, v0
	v_lshrrev_b32_e32 v1, s22, v0
	v_mul_lo_u32 v0, v1, s20
	v_sub_u32_e32 v2, v15, v0
	v_mul_lo_u32 v0, v2, s24
	v_mul_lo_u32 v2, v2, s25
	s_cbranch_vccnz .LBB133_165
; %bb.164:
	v_mul_hi_u32 v3, s42, v1
	v_add_u32_e32 v3, v1, v3
	v_lshrrev_b32_e32 v3, s43, v3
	v_mul_lo_u32 v3, v3, s23
	v_sub_u32_e32 v3, v1, v3
	v_mad_u64_u32 v[0:1], s[0:1], v3, s26, v[0:1]
	v_mad_u64_u32 v[2:3], s[0:1], v3, s27, v[2:3]
.LBB133_165:
	global_load_ushort v1, v2, s[18:19]
	s_cmp_lt_i32 s40, 1
	s_mov_b64 s[0:1], 0
	s_waitcnt vmcnt(0)
	v_lshlrev_b32_e32 v1, 16, v1
	s_cbranch_scc1 .LBB133_169
; %bb.166:
	s_cmp_gt_i32 s40, 1
	s_cbranch_scc0 .LBB133_170
; %bb.167:
	s_cmp_eq_u32 s40, 2
	s_cbranch_scc0 .LBB133_475
; %bb.168:
	v_cmp_ge_f32_e64 s[2:3], s41, v1
	s_mov_b64 s[4:5], 0
	s_branch .LBB133_172
.LBB133_169:
                                        ; implicit-def: $sgpr2_sgpr3
	s_mov_b64 s[4:5], 0
	s_cbranch_execnz .LBB133_173
	s_branch .LBB133_174
.LBB133_170:
	s_mov_b64 s[4:5], 0
                                        ; implicit-def: $sgpr2_sgpr3
	s_cbranch_execz .LBB133_172
; %bb.171:
	v_cmp_lt_f32_e32 vcc, s41, v1
	s_andn2_b64 s[2:3], s[2:3], exec
	s_and_b64 s[6:7], vcc, exec
	s_or_b64 s[2:3], s[2:3], s[6:7]
.LBB133_172:
	s_branch .LBB133_174
.LBB133_173:
	s_cmp_lg_u32 s40, 0
	s_mov_b64 s[0:1], -1
	s_cselect_b64 s[4:5], -1, 0
.LBB133_174:
	s_andn2_b64 vcc, exec, s[4:5]
	s_cbranch_vccz .LBB133_183
; %bb.175:
	s_andn2_b64 vcc, exec, s[0:1]
	s_cbranch_vccnz .LBB133_177
.LBB133_176:
	v_cmp_le_f32_e32 vcc, s41, v1
	s_andn2_b64 s[0:1], s[2:3], exec
	s_and_b64 s[2:3], vcc, exec
	s_or_b64 s[2:3], s[0:1], s[2:3]
.LBB133_177:
	v_cndmask_b32_e64 v1, 0, 1, s[2:3]
	v_add_u32_e32 v15, 0x80, v15
	global_store_byte v0, v1, s[16:17]
	s_or_b64 exec, exec, s[50:51]
	v_cmp_gt_i32_e32 vcc, s57, v15
	s_and_saveexec_b64 s[50:51], vcc
	s_cbranch_execz .LBB133_8
.LBB133_178:
	s_andn2_b64 vcc, exec, s[36:37]
	s_cbranch_vccnz .LBB133_184
; %bb.179:
	s_andn2_b64 vcc, exec, s[48:49]
	s_cbranch_vccnz .LBB133_185
; %bb.180:
	s_add_i32 s60, s58, 1
	s_cmp_eq_u32 s56, 2
	s_cbranch_scc1 .LBB133_186
; %bb.181:
	s_and_b32 s59, s60, 28
	v_mov_b32_e32 v2, 0
	s_mov_b32 s61, 0
	s_mov_b64 s[52:53], s[34:35]
	s_mov_b64 s[54:55], s[46:47]
	v_mov_b32_e32 v0, 0
	v_mov_b32_e32 v1, v15
.LBB133_182:                            ; =>This Inner Loop Header: Depth=1
	s_load_dwordx8 s[8:15], s[52:53], 0x4
	s_load_dwordx4 s[28:31], s[52:53], 0x24
	s_load_dwordx8 s[0:7], s[54:55], 0x0
	s_add_u32 s52, s52, 48
	s_addc_u32 s53, s53, 0
	s_waitcnt lgkmcnt(0)
	v_mul_hi_u32 v3, s9, v1
	s_add_i32 s61, s61, 4
	s_add_u32 s54, s54, 32
	s_addc_u32 s55, s55, 0
	v_add_u32_e32 v3, v1, v3
	v_lshrrev_b32_e32 v3, s10, v3
	v_mul_lo_u32 v4, v3, s8
	v_mul_hi_u32 v5, s12, v3
	s_cmp_eq_u32 s59, s61
	v_sub_u32_e32 v1, v1, v4
	v_add_u32_e32 v4, v3, v5
	v_mul_lo_u32 v5, v1, s0
	v_mul_lo_u32 v6, v1, s1
	v_lshrrev_b32_e32 v1, s13, v4
	v_mul_lo_u32 v4, v1, s11
	v_mul_hi_u32 v7, s15, v1
	v_sub_u32_e32 v3, v3, v4
	v_add_u32_e32 v4, v1, v7
	v_lshrrev_b32_e32 v4, s28, v4
	v_mul_hi_u32 v8, s30, v4
	v_mul_lo_u32 v9, v4, s14
	v_mul_lo_u32 v7, v3, s2
	;; [unrolled: 1-line block ×3, first 2 shown]
	v_sub_u32_e32 v9, v1, v9
	v_add_u32_e32 v1, v4, v8
	v_lshrrev_b32_e32 v1, s31, v1
	v_mul_lo_u32 v8, v1, s29
	v_mul_lo_u32 v10, v9, s4
	;; [unrolled: 1-line block ×3, first 2 shown]
	v_add3_u32 v0, v5, v0, v7
	v_sub_u32_e32 v4, v4, v8
	v_mul_lo_u32 v8, v4, s6
	v_mul_lo_u32 v4, v4, s7
	v_add3_u32 v2, v6, v2, v3
	v_add3_u32 v0, v10, v0, v8
	;; [unrolled: 1-line block ×3, first 2 shown]
	s_cbranch_scc0 .LBB133_182
	s_branch .LBB133_187
.LBB133_183:
	v_cmp_gt_f32_e32 vcc, s41, v1
	s_andn2_b64 s[2:3], s[2:3], exec
	s_and_b64 s[4:5], vcc, exec
	s_or_b64 s[2:3], s[2:3], s[4:5]
	s_cbranch_execz .LBB133_176
	s_branch .LBB133_177
.LBB133_184:
                                        ; implicit-def: $vgpr0
                                        ; implicit-def: $vgpr2
	s_branch .LBB133_191
.LBB133_185:
	v_mov_b32_e32 v0, 0
	v_mov_b32_e32 v2, 0
	s_branch .LBB133_190
.LBB133_186:
	s_mov_b32 s59, 0
	v_mov_b32_e32 v0, 0
	v_mov_b32_e32 v2, 0
	;; [unrolled: 1-line block ×3, first 2 shown]
.LBB133_187:
	s_and_b32 s4, s60, 3
	s_cmp_eq_u32 s4, 0
	s_cbranch_scc1 .LBB133_190
; %bb.188:
	s_lshl_b32 s0, s59, 3
	s_add_u32 s0, s34, s0
	s_addc_u32 s1, s35, 0
	s_add_u32 s0, s0, 0xc4
	s_addc_u32 s1, s1, 0
	s_mul_i32 s2, s59, 12
	s_add_u32 s2, s34, s2
	s_addc_u32 s3, s35, 0
.LBB133_189:                            ; =>This Inner Loop Header: Depth=1
	s_load_dwordx2 s[6:7], s[2:3], 0x4
	s_load_dword s5, s[2:3], 0xc
	s_load_dwordx2 s[8:9], s[0:1], 0x0
	s_add_u32 s2, s2, 12
	s_addc_u32 s3, s3, 0
	s_waitcnt lgkmcnt(0)
	v_mul_hi_u32 v3, s7, v1
	s_add_u32 s0, s0, 8
	s_addc_u32 s1, s1, 0
	s_add_i32 s4, s4, -1
	v_add_u32_e32 v3, v1, v3
	v_lshrrev_b32_e32 v4, s5, v3
	v_mul_lo_u32 v3, v4, s6
	s_cmp_lg_u32 s4, 0
	v_sub_u32_e32 v3, v1, v3
	v_mad_u64_u32 v[0:1], s[6:7], v3, s8, v[0:1]
	v_mad_u64_u32 v[2:3], s[6:7], v3, s9, v[2:3]
	v_mov_b32_e32 v1, v4
	s_cbranch_scc1 .LBB133_189
.LBB133_190:
	s_cbranch_execnz .LBB133_193
.LBB133_191:
	v_mul_hi_u32 v0, s21, v15
	s_andn2_b64 vcc, exec, s[44:45]
	v_add_u32_e32 v0, v15, v0
	v_lshrrev_b32_e32 v1, s22, v0
	v_mul_lo_u32 v0, v1, s20
	v_sub_u32_e32 v2, v15, v0
	v_mul_lo_u32 v0, v2, s24
	v_mul_lo_u32 v2, v2, s25
	s_cbranch_vccnz .LBB133_193
; %bb.192:
	v_mul_hi_u32 v3, s42, v1
	v_add_u32_e32 v3, v1, v3
	v_lshrrev_b32_e32 v3, s43, v3
	v_mul_lo_u32 v3, v3, s23
	v_sub_u32_e32 v3, v1, v3
	v_mad_u64_u32 v[0:1], s[0:1], v3, s26, v[0:1]
	v_mad_u64_u32 v[2:3], s[0:1], v3, s27, v[2:3]
.LBB133_193:
	global_load_ushort v1, v2, s[18:19]
	s_cmp_lt_i32 s40, 1
	s_mov_b64 s[0:1], 0
	s_waitcnt vmcnt(0)
	v_lshlrev_b32_e32 v1, 16, v1
	s_cbranch_scc1 .LBB133_197
; %bb.194:
	s_cmp_gt_i32 s40, 1
	s_cbranch_scc0 .LBB133_198
; %bb.195:
	s_cmp_eq_u32 s40, 2
	s_cbranch_scc0 .LBB133_476
; %bb.196:
	v_cmp_ge_f32_e64 s[2:3], s41, v1
	s_mov_b64 s[4:5], 0
	s_branch .LBB133_200
.LBB133_197:
                                        ; implicit-def: $sgpr2_sgpr3
	s_mov_b64 s[4:5], 0
	s_cbranch_execnz .LBB133_201
	s_branch .LBB133_202
.LBB133_198:
	s_mov_b64 s[4:5], 0
                                        ; implicit-def: $sgpr2_sgpr3
	s_cbranch_execz .LBB133_200
; %bb.199:
	v_cmp_lt_f32_e32 vcc, s41, v1
	s_andn2_b64 s[2:3], s[2:3], exec
	s_and_b64 s[6:7], vcc, exec
	s_or_b64 s[2:3], s[2:3], s[6:7]
.LBB133_200:
	s_branch .LBB133_202
.LBB133_201:
	s_cmp_lg_u32 s40, 0
	s_mov_b64 s[0:1], -1
	s_cselect_b64 s[4:5], -1, 0
.LBB133_202:
	s_andn2_b64 vcc, exec, s[4:5]
	s_cbranch_vccz .LBB133_211
; %bb.203:
	s_andn2_b64 vcc, exec, s[0:1]
	s_cbranch_vccnz .LBB133_205
.LBB133_204:
	v_cmp_le_f32_e32 vcc, s41, v1
	s_andn2_b64 s[0:1], s[2:3], exec
	s_and_b64 s[2:3], vcc, exec
	s_or_b64 s[2:3], s[0:1], s[2:3]
.LBB133_205:
	v_cndmask_b32_e64 v1, 0, 1, s[2:3]
	v_add_u32_e32 v15, 0x80, v15
	global_store_byte v0, v1, s[16:17]
	s_or_b64 exec, exec, s[50:51]
	v_cmp_gt_i32_e32 vcc, s57, v15
	s_and_saveexec_b64 s[50:51], vcc
	s_cbranch_execz .LBB133_234
.LBB133_206:
	s_andn2_b64 vcc, exec, s[36:37]
	s_cbranch_vccnz .LBB133_212
; %bb.207:
	s_andn2_b64 vcc, exec, s[48:49]
	s_cbranch_vccnz .LBB133_213
; %bb.208:
	s_add_i32 s58, s58, 1
	s_cmp_eq_u32 s56, 2
	s_cbranch_scc1 .LBB133_214
; %bb.209:
	s_and_b32 s52, s58, 28
	v_mov_b32_e32 v2, 0
	s_mov_b32 s53, 0
	s_mov_b64 s[48:49], s[34:35]
	v_mov_b32_e32 v0, 0
	v_mov_b32_e32 v1, v15
.LBB133_210:                            ; =>This Inner Loop Header: Depth=1
	s_load_dwordx8 s[8:15], s[48:49], 0x4
	s_load_dwordx4 s[28:31], s[48:49], 0x24
	s_load_dwordx8 s[0:7], s[46:47], 0x0
	s_add_u32 s48, s48, 48
	s_addc_u32 s49, s49, 0
	s_waitcnt lgkmcnt(0)
	v_mul_hi_u32 v3, s9, v1
	s_add_i32 s53, s53, 4
	s_add_u32 s46, s46, 32
	s_addc_u32 s47, s47, 0
	v_add_u32_e32 v3, v1, v3
	v_lshrrev_b32_e32 v3, s10, v3
	v_mul_lo_u32 v4, v3, s8
	v_mul_hi_u32 v5, s12, v3
	s_cmp_eq_u32 s52, s53
	v_sub_u32_e32 v1, v1, v4
	v_add_u32_e32 v4, v3, v5
	v_mul_lo_u32 v5, v1, s0
	v_mul_lo_u32 v6, v1, s1
	v_lshrrev_b32_e32 v1, s13, v4
	v_mul_lo_u32 v4, v1, s11
	v_mul_hi_u32 v7, s15, v1
	v_sub_u32_e32 v3, v3, v4
	v_add_u32_e32 v4, v1, v7
	v_lshrrev_b32_e32 v4, s28, v4
	v_mul_hi_u32 v8, s30, v4
	v_mul_lo_u32 v9, v4, s14
	v_mul_lo_u32 v7, v3, s2
	;; [unrolled: 1-line block ×3, first 2 shown]
	v_sub_u32_e32 v9, v1, v9
	v_add_u32_e32 v1, v4, v8
	v_lshrrev_b32_e32 v1, s31, v1
	v_mul_lo_u32 v8, v1, s29
	v_mul_lo_u32 v10, v9, s4
	;; [unrolled: 1-line block ×3, first 2 shown]
	v_add3_u32 v0, v5, v0, v7
	v_sub_u32_e32 v4, v4, v8
	v_mul_lo_u32 v8, v4, s6
	v_mul_lo_u32 v4, v4, s7
	v_add3_u32 v2, v6, v2, v3
	v_add3_u32 v0, v10, v0, v8
	;; [unrolled: 1-line block ×3, first 2 shown]
	s_cbranch_scc0 .LBB133_210
	s_branch .LBB133_215
.LBB133_211:
	v_cmp_gt_f32_e32 vcc, s41, v1
	s_andn2_b64 s[2:3], s[2:3], exec
	s_and_b64 s[4:5], vcc, exec
	s_or_b64 s[2:3], s[2:3], s[4:5]
	s_cbranch_execz .LBB133_204
	s_branch .LBB133_205
.LBB133_212:
                                        ; implicit-def: $vgpr0
                                        ; implicit-def: $vgpr2
	s_branch .LBB133_219
.LBB133_213:
	v_mov_b32_e32 v0, 0
	v_mov_b32_e32 v2, 0
	s_branch .LBB133_218
.LBB133_214:
	s_mov_b32 s52, 0
	v_mov_b32_e32 v0, 0
	v_mov_b32_e32 v2, 0
	;; [unrolled: 1-line block ×3, first 2 shown]
.LBB133_215:
	s_and_b32 s4, s58, 3
	s_cmp_eq_u32 s4, 0
	s_cbranch_scc1 .LBB133_218
; %bb.216:
	s_lshl_b32 s0, s52, 3
	s_add_u32 s0, s34, s0
	s_addc_u32 s1, s35, 0
	s_add_u32 s0, s0, 0xc4
	s_addc_u32 s1, s1, 0
	s_mul_i32 s2, s52, 12
	s_add_u32 s2, s34, s2
	s_addc_u32 s3, s35, 0
.LBB133_217:                            ; =>This Inner Loop Header: Depth=1
	s_load_dwordx2 s[6:7], s[2:3], 0x4
	s_load_dword s5, s[2:3], 0xc
	s_load_dwordx2 s[8:9], s[0:1], 0x0
	s_add_u32 s2, s2, 12
	s_addc_u32 s3, s3, 0
	s_waitcnt lgkmcnt(0)
	v_mul_hi_u32 v3, s7, v1
	s_add_u32 s0, s0, 8
	s_addc_u32 s1, s1, 0
	s_add_i32 s4, s4, -1
	v_add_u32_e32 v3, v1, v3
	v_lshrrev_b32_e32 v4, s5, v3
	v_mul_lo_u32 v3, v4, s6
	s_cmp_lg_u32 s4, 0
	v_sub_u32_e32 v3, v1, v3
	v_mad_u64_u32 v[0:1], s[6:7], v3, s8, v[0:1]
	v_mad_u64_u32 v[2:3], s[6:7], v3, s9, v[2:3]
	v_mov_b32_e32 v1, v4
	s_cbranch_scc1 .LBB133_217
.LBB133_218:
	s_cbranch_execnz .LBB133_221
.LBB133_219:
	v_mul_hi_u32 v0, s21, v15
	s_andn2_b64 vcc, exec, s[44:45]
	v_add_u32_e32 v0, v15, v0
	v_lshrrev_b32_e32 v1, s22, v0
	v_mul_lo_u32 v0, v1, s20
	v_sub_u32_e32 v2, v15, v0
	v_mul_lo_u32 v0, v2, s24
	v_mul_lo_u32 v2, v2, s25
	s_cbranch_vccnz .LBB133_221
; %bb.220:
	v_mul_hi_u32 v3, s42, v1
	v_add_u32_e32 v3, v1, v3
	v_lshrrev_b32_e32 v3, s43, v3
	v_mul_lo_u32 v3, v3, s23
	v_sub_u32_e32 v3, v1, v3
	v_mad_u64_u32 v[0:1], s[0:1], v3, s26, v[0:1]
	v_mad_u64_u32 v[2:3], s[0:1], v3, s27, v[2:3]
.LBB133_221:
	global_load_ushort v1, v2, s[18:19]
	s_cmp_lt_i32 s40, 1
	s_mov_b64 s[0:1], 0
	s_waitcnt vmcnt(0)
	v_lshlrev_b32_e32 v1, 16, v1
	s_cbranch_scc1 .LBB133_225
; %bb.222:
	s_cmp_gt_i32 s40, 1
	s_cbranch_scc0 .LBB133_226
; %bb.223:
	s_cmp_eq_u32 s40, 2
	s_cbranch_scc0 .LBB133_477
; %bb.224:
	v_cmp_ge_f32_e64 s[2:3], s41, v1
	s_mov_b64 s[4:5], 0
	s_branch .LBB133_228
.LBB133_225:
                                        ; implicit-def: $sgpr2_sgpr3
	s_mov_b64 s[4:5], 0
	s_cbranch_execnz .LBB133_229
	s_branch .LBB133_230
.LBB133_226:
	s_mov_b64 s[4:5], 0
                                        ; implicit-def: $sgpr2_sgpr3
	s_cbranch_execz .LBB133_228
; %bb.227:
	v_cmp_lt_f32_e32 vcc, s41, v1
	s_andn2_b64 s[2:3], s[2:3], exec
	s_and_b64 s[6:7], vcc, exec
	s_or_b64 s[2:3], s[2:3], s[6:7]
.LBB133_228:
	s_branch .LBB133_230
.LBB133_229:
	s_cmp_lg_u32 s40, 0
	s_mov_b64 s[0:1], -1
	s_cselect_b64 s[4:5], -1, 0
.LBB133_230:
	s_andn2_b64 vcc, exec, s[4:5]
	s_cbranch_vccz .LBB133_244
; %bb.231:
	s_andn2_b64 vcc, exec, s[0:1]
	s_cbranch_vccnz .LBB133_233
.LBB133_232:
	v_cmp_le_f32_e32 vcc, s41, v1
	s_andn2_b64 s[0:1], s[2:3], exec
	s_and_b64 s[2:3], vcc, exec
	s_or_b64 s[2:3], s[0:1], s[2:3]
.LBB133_233:
	v_cndmask_b32_e64 v1, 0, 1, s[2:3]
	global_store_byte v0, v1, s[16:17]
.LBB133_234:
	s_or_b64 exec, exec, s[50:51]
                                        ; implicit-def: $vgpr22
                                        ; implicit-def: $vgpr15
.LBB133_235:
	s_andn2_saveexec_b64 s[0:1], s[38:39]
	s_cbranch_execz .LBB133_242
; %bb.236:
	v_cndmask_b32_e64 v0, 0, 1, s[36:37]
	v_cmp_ne_u32_e64 s[0:1], 1, v0
	s_andn2_b64 vcc, exec, s[36:37]
	s_cbranch_vccnz .LBB133_243
; %bb.237:
	s_cmp_lg_u32 s33, 0
	s_mov_b32 s26, 0
	s_cbranch_scc0 .LBB133_245
; %bb.238:
	s_min_u32 s27, s56, 15
	s_add_i32 s27, s27, 1
	s_cmp_eq_u32 s56, 2
	s_cbranch_scc1 .LBB133_246
; %bb.239:
	s_and_b32 s26, s27, 28
	s_add_u32 s2, s34, 0xc4
	s_addc_u32 s3, s35, 0
	v_mov_b32_e32 v5, 0
	s_mov_b32 s28, 0
	s_mov_b64 s[24:25], s[34:35]
	v_mov_b32_e32 v0, 0
	v_mov_b32_e32 v1, v15
.LBB133_240:                            ; =>This Inner Loop Header: Depth=1
	s_load_dwordx8 s[12:19], s[24:25], 0x4
	s_load_dwordx4 s[20:23], s[24:25], 0x24
	s_load_dwordx8 s[4:11], s[2:3], 0x0
	s_add_u32 s24, s24, 48
	s_addc_u32 s25, s25, 0
	s_waitcnt lgkmcnt(0)
	v_mul_hi_u32 v2, s13, v1
	s_add_i32 s28, s28, 4
	s_add_u32 s2, s2, 32
	s_addc_u32 s3, s3, 0
	v_add_u32_e32 v2, v1, v2
	v_lshrrev_b32_e32 v2, s14, v2
	v_mul_lo_u32 v3, v2, s12
	v_mul_hi_u32 v4, s16, v2
	s_cmp_lg_u32 s26, s28
	v_sub_u32_e32 v1, v1, v3
	v_add_u32_e32 v3, v2, v4
	v_mul_lo_u32 v4, v1, s4
	v_mul_lo_u32 v6, v1, s5
	v_lshrrev_b32_e32 v1, s17, v3
	v_mul_lo_u32 v3, v1, s15
	v_mul_hi_u32 v7, s19, v1
	v_sub_u32_e32 v2, v2, v3
	v_add_u32_e32 v3, v1, v7
	v_lshrrev_b32_e32 v3, s20, v3
	v_mul_hi_u32 v8, s22, v3
	v_mul_lo_u32 v9, v3, s18
	v_mul_lo_u32 v7, v2, s6
	;; [unrolled: 1-line block ×3, first 2 shown]
	v_sub_u32_e32 v9, v1, v9
	v_add_u32_e32 v1, v3, v8
	v_lshrrev_b32_e32 v1, s23, v1
	v_mul_lo_u32 v8, v1, s21
	v_mul_lo_u32 v10, v9, s8
	;; [unrolled: 1-line block ×3, first 2 shown]
	v_add3_u32 v0, v4, v0, v7
	v_sub_u32_e32 v3, v3, v8
	v_mul_lo_u32 v8, v3, s10
	v_mul_lo_u32 v3, v3, s11
	v_add3_u32 v2, v6, v5, v2
	v_add3_u32 v0, v10, v0, v8
	;; [unrolled: 1-line block ×3, first 2 shown]
	s_cbranch_scc1 .LBB133_240
; %bb.241:
	s_and_b32 s6, s27, 3
	s_cmp_eq_u32 s6, 0
	s_cbranch_scc0 .LBB133_247
	s_branch .LBB133_249
.LBB133_242:
	s_endpgm
.LBB133_243:
                                        ; implicit-def: $vgpr0
                                        ; implicit-def: $vgpr5
	s_branch .LBB133_250
.LBB133_244:
	v_cmp_gt_f32_e32 vcc, s41, v1
	s_andn2_b64 s[2:3], s[2:3], exec
	s_and_b64 s[4:5], vcc, exec
	s_or_b64 s[2:3], s[2:3], s[4:5]
	s_cbranch_execz .LBB133_232
	s_branch .LBB133_233
.LBB133_245:
	v_mov_b32_e32 v0, 0
	v_mov_b32_e32 v5, 0
	s_branch .LBB133_249
.LBB133_246:
	v_mov_b32_e32 v0, 0
	v_mov_b32_e32 v5, 0
	;; [unrolled: 1-line block ×3, first 2 shown]
	s_and_b32 s6, s27, 3
	s_cmp_eq_u32 s6, 0
	s_cbranch_scc1 .LBB133_249
.LBB133_247:
	s_lshl_b32 s2, s26, 3
	s_add_u32 s2, s34, s2
	s_addc_u32 s3, s35, 0
	s_add_u32 s2, s2, 0xc4
	s_addc_u32 s3, s3, 0
	s_mul_i32 s4, s26, 12
	s_add_u32 s4, s34, s4
	s_addc_u32 s5, s35, 0
.LBB133_248:                            ; =>This Inner Loop Header: Depth=1
	s_load_dwordx2 s[8:9], s[4:5], 0x4
	s_load_dword s7, s[4:5], 0xc
	s_load_dwordx2 s[10:11], s[2:3], 0x0
	s_add_u32 s4, s4, 12
	s_addc_u32 s5, s5, 0
	s_waitcnt lgkmcnt(0)
	v_mul_hi_u32 v2, s9, v1
	s_add_u32 s2, s2, 8
	s_addc_u32 s3, s3, 0
	s_add_i32 s6, s6, -1
	v_add_u32_e32 v2, v1, v2
	v_lshrrev_b32_e32 v2, s7, v2
	v_mul_lo_u32 v3, v2, s8
	s_cmp_lg_u32 s6, 0
	v_sub_u32_e32 v3, v1, v3
	v_mad_u64_u32 v[0:1], s[8:9], v3, s10, v[0:1]
	v_mad_u64_u32 v[5:6], s[8:9], v3, s11, v[5:6]
	v_mov_b32_e32 v1, v2
	s_cbranch_scc1 .LBB133_248
.LBB133_249:
	s_cbranch_execnz .LBB133_252
.LBB133_250:
	s_load_dwordx4 s[4:7], s[34:35], 0x4
	s_load_dwordx2 s[2:3], s[34:35], 0xc4
	s_cmp_lt_u32 s33, 2
	s_waitcnt lgkmcnt(0)
	v_mul_hi_u32 v0, s5, v15
	v_add_u32_e32 v0, v15, v0
	v_lshrrev_b32_e32 v1, s6, v0
	v_mul_lo_u32 v0, v1, s4
	v_sub_u32_e32 v2, v15, v0
	v_mul_lo_u32 v0, v2, s2
	v_mul_lo_u32 v5, v2, s3
	s_cbranch_scc1 .LBB133_252
; %bb.251:
	s_load_dwordx4 s[4:7], s[34:35], 0x10
	s_load_dwordx2 s[2:3], s[34:35], 0xcc
	s_waitcnt lgkmcnt(0)
	v_mul_hi_u32 v2, s5, v1
	v_add_u32_e32 v2, v1, v2
	v_lshrrev_b32_e32 v2, s6, v2
	v_mul_lo_u32 v2, v2, s4
	v_sub_u32_e32 v2, v1, v2
	v_mad_u64_u32 v[0:1], s[4:5], v2, s2, v[0:1]
	v_mad_u64_u32 v[5:6], s[2:3], v2, s3, v[5:6]
.LBB133_252:
	s_and_b64 vcc, exec, s[0:1]
	v_add_u32_e32 v3, 0x80, v15
	s_cbranch_vccnz .LBB133_258
; %bb.253:
	s_cmp_lg_u32 s33, 0
	s_mov_b32 s26, 0
	s_cbranch_scc0 .LBB133_259
; %bb.254:
	s_min_u32 s27, s56, 15
	s_add_i32 s27, s27, 1
	s_cmp_eq_u32 s56, 2
	s_cbranch_scc1 .LBB133_260
; %bb.255:
	s_and_b32 s26, s27, 28
	s_add_u32 s2, s34, 0xc4
	s_addc_u32 s3, s35, 0
	v_mov_b32_e32 v6, 0
	s_mov_b32 s28, 0
	s_mov_b64 s[24:25], s[34:35]
	v_mov_b32_e32 v1, 0
	v_mov_b32_e32 v2, v3
.LBB133_256:                            ; =>This Inner Loop Header: Depth=1
	s_load_dwordx8 s[12:19], s[24:25], 0x4
	s_load_dwordx4 s[20:23], s[24:25], 0x24
	s_load_dwordx8 s[4:11], s[2:3], 0x0
	s_add_u32 s24, s24, 48
	s_addc_u32 s25, s25, 0
	s_waitcnt lgkmcnt(0)
	v_mul_hi_u32 v4, s13, v2
	s_add_i32 s28, s28, 4
	s_add_u32 s2, s2, 32
	s_addc_u32 s3, s3, 0
	v_add_u32_e32 v4, v2, v4
	v_lshrrev_b32_e32 v4, s14, v4
	v_mul_lo_u32 v7, v4, s12
	v_mul_hi_u32 v8, s16, v4
	s_cmp_lg_u32 s26, s28
	v_sub_u32_e32 v2, v2, v7
	v_add_u32_e32 v7, v4, v8
	v_mul_lo_u32 v8, v2, s4
	v_mul_lo_u32 v9, v2, s5
	v_lshrrev_b32_e32 v2, s17, v7
	v_mul_lo_u32 v7, v2, s15
	v_mul_hi_u32 v10, s19, v2
	v_sub_u32_e32 v4, v4, v7
	v_add_u32_e32 v7, v2, v10
	v_lshrrev_b32_e32 v7, s20, v7
	v_mul_hi_u32 v11, s22, v7
	v_mul_lo_u32 v12, v7, s18
	v_mul_lo_u32 v10, v4, s6
	;; [unrolled: 1-line block ×3, first 2 shown]
	v_sub_u32_e32 v12, v2, v12
	v_add_u32_e32 v2, v7, v11
	v_lshrrev_b32_e32 v2, s23, v2
	v_mul_lo_u32 v11, v2, s21
	v_mul_lo_u32 v13, v12, s8
	;; [unrolled: 1-line block ×3, first 2 shown]
	v_add3_u32 v1, v8, v1, v10
	v_sub_u32_e32 v7, v7, v11
	v_mul_lo_u32 v11, v7, s10
	v_mul_lo_u32 v7, v7, s11
	v_add3_u32 v4, v9, v6, v4
	v_add3_u32 v1, v13, v1, v11
	;; [unrolled: 1-line block ×3, first 2 shown]
	s_cbranch_scc1 .LBB133_256
; %bb.257:
	s_and_b32 s6, s27, 3
	s_cmp_eq_u32 s6, 0
	s_cbranch_scc0 .LBB133_261
	s_branch .LBB133_263
.LBB133_258:
                                        ; implicit-def: $vgpr1
                                        ; implicit-def: $vgpr6
	s_branch .LBB133_264
.LBB133_259:
	v_mov_b32_e32 v1, 0
	v_mov_b32_e32 v6, 0
	s_branch .LBB133_263
.LBB133_260:
	v_mov_b32_e32 v1, 0
	v_mov_b32_e32 v6, 0
	;; [unrolled: 1-line block ×3, first 2 shown]
	s_and_b32 s6, s27, 3
	s_cmp_eq_u32 s6, 0
	s_cbranch_scc1 .LBB133_263
.LBB133_261:
	s_lshl_b32 s2, s26, 3
	s_add_u32 s2, s34, s2
	s_addc_u32 s3, s35, 0
	s_add_u32 s2, s2, 0xc4
	s_addc_u32 s3, s3, 0
	s_mul_i32 s4, s26, 12
	s_add_u32 s4, s34, s4
	s_addc_u32 s5, s35, 0
.LBB133_262:                            ; =>This Inner Loop Header: Depth=1
	s_load_dwordx2 s[8:9], s[4:5], 0x4
	s_load_dword s7, s[4:5], 0xc
	s_load_dwordx2 s[10:11], s[2:3], 0x0
	s_add_u32 s4, s4, 12
	s_addc_u32 s5, s5, 0
	s_waitcnt lgkmcnt(0)
	v_mul_hi_u32 v4, s9, v2
	s_add_u32 s2, s2, 8
	s_addc_u32 s3, s3, 0
	s_add_i32 s6, s6, -1
	v_add_u32_e32 v4, v2, v4
	v_lshrrev_b32_e32 v4, s7, v4
	v_mul_lo_u32 v7, v4, s8
	s_cmp_lg_u32 s6, 0
	v_sub_u32_e32 v7, v2, v7
	v_mad_u64_u32 v[1:2], s[8:9], v7, s10, v[1:2]
	v_mad_u64_u32 v[6:7], s[8:9], v7, s11, v[6:7]
	v_mov_b32_e32 v2, v4
	s_cbranch_scc1 .LBB133_262
.LBB133_263:
	s_cbranch_execnz .LBB133_266
.LBB133_264:
	s_load_dwordx4 s[4:7], s[34:35], 0x4
	s_load_dwordx2 s[2:3], s[34:35], 0xc4
	s_cmp_lt_u32 s33, 2
	s_waitcnt lgkmcnt(0)
	v_mul_hi_u32 v1, s5, v3
	v_add_u32_e32 v1, v3, v1
	v_lshrrev_b32_e32 v2, s6, v1
	v_mul_lo_u32 v1, v2, s4
	v_sub_u32_e32 v3, v3, v1
	v_mul_lo_u32 v1, v3, s2
	v_mul_lo_u32 v6, v3, s3
	s_cbranch_scc1 .LBB133_266
; %bb.265:
	s_load_dwordx4 s[4:7], s[34:35], 0x10
	s_load_dwordx2 s[2:3], s[34:35], 0xcc
	s_waitcnt lgkmcnt(0)
	v_mul_hi_u32 v3, s5, v2
	v_add_u32_e32 v3, v2, v3
	v_lshrrev_b32_e32 v3, s6, v3
	v_mul_lo_u32 v3, v3, s4
	v_sub_u32_e32 v3, v2, v3
	v_mad_u64_u32 v[1:2], s[4:5], v3, s2, v[1:2]
	v_mad_u64_u32 v[6:7], s[2:3], v3, s3, v[6:7]
.LBB133_266:
	s_and_b64 vcc, exec, s[0:1]
	v_add_u32_e32 v4, 0x100, v15
	s_cbranch_vccnz .LBB133_272
; %bb.267:
	s_cmp_lg_u32 s33, 0
	s_mov_b32 s26, 0
	s_cbranch_scc0 .LBB133_273
; %bb.268:
	s_min_u32 s27, s56, 15
	s_add_i32 s27, s27, 1
	s_cmp_eq_u32 s56, 2
	s_cbranch_scc1 .LBB133_274
; %bb.269:
	s_and_b32 s26, s27, 28
	s_add_u32 s2, s34, 0xc4
	s_addc_u32 s3, s35, 0
	v_mov_b32_e32 v9, 0
	s_mov_b32 s28, 0
	s_mov_b64 s[24:25], s[34:35]
	v_mov_b32_e32 v2, 0
	v_mov_b32_e32 v3, v4
.LBB133_270:                            ; =>This Inner Loop Header: Depth=1
	s_load_dwordx8 s[12:19], s[24:25], 0x4
	s_load_dwordx4 s[20:23], s[24:25], 0x24
	s_load_dwordx8 s[4:11], s[2:3], 0x0
	s_add_u32 s24, s24, 48
	s_addc_u32 s25, s25, 0
	s_waitcnt lgkmcnt(0)
	v_mul_hi_u32 v7, s13, v3
	s_add_i32 s28, s28, 4
	s_add_u32 s2, s2, 32
	s_addc_u32 s3, s3, 0
	v_add_u32_e32 v7, v3, v7
	v_lshrrev_b32_e32 v7, s14, v7
	v_mul_lo_u32 v8, v7, s12
	v_mul_hi_u32 v10, s16, v7
	s_cmp_lg_u32 s26, s28
	v_sub_u32_e32 v3, v3, v8
	v_add_u32_e32 v8, v7, v10
	v_mul_lo_u32 v10, v3, s4
	v_mul_lo_u32 v11, v3, s5
	v_lshrrev_b32_e32 v3, s17, v8
	v_mul_lo_u32 v8, v3, s15
	v_mul_hi_u32 v12, s19, v3
	v_sub_u32_e32 v7, v7, v8
	v_add_u32_e32 v8, v3, v12
	v_lshrrev_b32_e32 v8, s20, v8
	v_mul_hi_u32 v13, s22, v8
	v_mul_lo_u32 v14, v8, s18
	v_mul_lo_u32 v12, v7, s6
	;; [unrolled: 1-line block ×3, first 2 shown]
	v_sub_u32_e32 v14, v3, v14
	v_add_u32_e32 v3, v8, v13
	v_lshrrev_b32_e32 v3, s23, v3
	v_mul_lo_u32 v13, v3, s21
	v_mul_lo_u32 v16, v14, s8
	;; [unrolled: 1-line block ×3, first 2 shown]
	v_add3_u32 v2, v10, v2, v12
	v_sub_u32_e32 v8, v8, v13
	v_mul_lo_u32 v13, v8, s10
	v_mul_lo_u32 v8, v8, s11
	v_add3_u32 v7, v11, v9, v7
	v_add3_u32 v2, v16, v2, v13
	;; [unrolled: 1-line block ×3, first 2 shown]
	s_cbranch_scc1 .LBB133_270
; %bb.271:
	s_and_b32 s6, s27, 3
	s_cmp_eq_u32 s6, 0
	s_cbranch_scc0 .LBB133_275
	s_branch .LBB133_277
.LBB133_272:
                                        ; implicit-def: $vgpr2
                                        ; implicit-def: $vgpr9
	s_branch .LBB133_278
.LBB133_273:
	v_mov_b32_e32 v2, 0
	v_mov_b32_e32 v9, 0
	s_branch .LBB133_277
.LBB133_274:
	v_mov_b32_e32 v2, 0
	v_mov_b32_e32 v9, 0
	;; [unrolled: 1-line block ×3, first 2 shown]
	s_and_b32 s6, s27, 3
	s_cmp_eq_u32 s6, 0
	s_cbranch_scc1 .LBB133_277
.LBB133_275:
	s_lshl_b32 s2, s26, 3
	s_add_u32 s2, s34, s2
	s_addc_u32 s3, s35, 0
	s_add_u32 s2, s2, 0xc4
	s_addc_u32 s3, s3, 0
	s_mul_i32 s4, s26, 12
	s_add_u32 s4, s34, s4
	s_addc_u32 s5, s35, 0
.LBB133_276:                            ; =>This Inner Loop Header: Depth=1
	s_load_dwordx2 s[8:9], s[4:5], 0x4
	s_load_dword s7, s[4:5], 0xc
	s_load_dwordx2 s[10:11], s[2:3], 0x0
	s_add_u32 s4, s4, 12
	s_addc_u32 s5, s5, 0
	s_waitcnt lgkmcnt(0)
	v_mul_hi_u32 v7, s9, v3
	s_add_u32 s2, s2, 8
	s_addc_u32 s3, s3, 0
	s_add_i32 s6, s6, -1
	v_add_u32_e32 v7, v3, v7
	v_lshrrev_b32_e32 v7, s7, v7
	v_mul_lo_u32 v8, v7, s8
	s_cmp_lg_u32 s6, 0
	v_sub_u32_e32 v8, v3, v8
	v_mad_u64_u32 v[2:3], s[8:9], v8, s10, v[2:3]
	v_mad_u64_u32 v[9:10], s[8:9], v8, s11, v[9:10]
	v_mov_b32_e32 v3, v7
	s_cbranch_scc1 .LBB133_276
.LBB133_277:
	s_cbranch_execnz .LBB133_280
.LBB133_278:
	s_load_dwordx4 s[4:7], s[34:35], 0x4
	s_load_dwordx2 s[2:3], s[34:35], 0xc4
	s_cmp_lt_u32 s33, 2
	s_waitcnt lgkmcnt(0)
	v_mul_hi_u32 v2, s5, v4
	v_add_u32_e32 v2, v4, v2
	v_lshrrev_b32_e32 v3, s6, v2
	v_mul_lo_u32 v2, v3, s4
	v_sub_u32_e32 v4, v4, v2
	v_mul_lo_u32 v2, v4, s2
	v_mul_lo_u32 v9, v4, s3
	s_cbranch_scc1 .LBB133_280
; %bb.279:
	s_load_dwordx4 s[4:7], s[34:35], 0x10
	s_load_dwordx2 s[2:3], s[34:35], 0xcc
	s_waitcnt lgkmcnt(0)
	v_mul_hi_u32 v4, s5, v3
	v_add_u32_e32 v4, v3, v4
	v_lshrrev_b32_e32 v4, s6, v4
	v_mul_lo_u32 v4, v4, s4
	v_sub_u32_e32 v4, v3, v4
	v_mad_u64_u32 v[2:3], s[4:5], v4, s2, v[2:3]
	v_mad_u64_u32 v[9:10], s[2:3], v4, s3, v[9:10]
.LBB133_280:
	s_and_b64 vcc, exec, s[0:1]
	v_add_u32_e32 v7, 0x180, v15
	s_cbranch_vccnz .LBB133_286
; %bb.281:
	s_cmp_lg_u32 s33, 0
	s_mov_b32 s26, 0
	s_cbranch_scc0 .LBB133_287
; %bb.282:
	s_min_u32 s27, s56, 15
	s_add_i32 s27, s27, 1
	s_cmp_eq_u32 s56, 2
	s_cbranch_scc1 .LBB133_288
; %bb.283:
	s_and_b32 s26, s27, 28
	s_add_u32 s2, s34, 0xc4
	s_addc_u32 s3, s35, 0
	v_mov_b32_e32 v12, 0
	s_mov_b32 s28, 0
	s_mov_b64 s[24:25], s[34:35]
	v_mov_b32_e32 v3, 0
	v_mov_b32_e32 v4, v7
.LBB133_284:                            ; =>This Inner Loop Header: Depth=1
	s_load_dwordx8 s[12:19], s[24:25], 0x4
	s_load_dwordx4 s[20:23], s[24:25], 0x24
	s_load_dwordx8 s[4:11], s[2:3], 0x0
	s_add_u32 s24, s24, 48
	s_addc_u32 s25, s25, 0
	s_waitcnt lgkmcnt(0)
	v_mul_hi_u32 v8, s13, v4
	s_add_i32 s28, s28, 4
	s_add_u32 s2, s2, 32
	s_addc_u32 s3, s3, 0
	v_add_u32_e32 v8, v4, v8
	v_lshrrev_b32_e32 v8, s14, v8
	v_mul_lo_u32 v10, v8, s12
	v_mul_hi_u32 v11, s16, v8
	s_cmp_lg_u32 s26, s28
	v_sub_u32_e32 v4, v4, v10
	v_add_u32_e32 v10, v8, v11
	v_mul_lo_u32 v11, v4, s4
	v_mul_lo_u32 v13, v4, s5
	v_lshrrev_b32_e32 v4, s17, v10
	v_mul_lo_u32 v10, v4, s15
	v_mul_hi_u32 v14, s19, v4
	v_sub_u32_e32 v8, v8, v10
	v_add_u32_e32 v10, v4, v14
	v_lshrrev_b32_e32 v10, s20, v10
	v_mul_hi_u32 v16, s22, v10
	v_mul_lo_u32 v17, v10, s18
	v_mul_lo_u32 v14, v8, s6
	;; [unrolled: 1-line block ×3, first 2 shown]
	v_sub_u32_e32 v17, v4, v17
	v_add_u32_e32 v4, v10, v16
	v_lshrrev_b32_e32 v4, s23, v4
	v_mul_lo_u32 v16, v4, s21
	v_mul_lo_u32 v18, v17, s8
	;; [unrolled: 1-line block ×3, first 2 shown]
	v_add3_u32 v3, v11, v3, v14
	v_sub_u32_e32 v10, v10, v16
	v_mul_lo_u32 v16, v10, s10
	v_mul_lo_u32 v10, v10, s11
	v_add3_u32 v8, v13, v12, v8
	v_add3_u32 v3, v18, v3, v16
	;; [unrolled: 1-line block ×3, first 2 shown]
	s_cbranch_scc1 .LBB133_284
; %bb.285:
	s_and_b32 s6, s27, 3
	s_cmp_eq_u32 s6, 0
	s_cbranch_scc0 .LBB133_289
	s_branch .LBB133_291
.LBB133_286:
                                        ; implicit-def: $vgpr3
                                        ; implicit-def: $vgpr12
	s_branch .LBB133_292
.LBB133_287:
	v_mov_b32_e32 v3, 0
	v_mov_b32_e32 v12, 0
	s_branch .LBB133_291
.LBB133_288:
	v_mov_b32_e32 v3, 0
	v_mov_b32_e32 v12, 0
	;; [unrolled: 1-line block ×3, first 2 shown]
	s_and_b32 s6, s27, 3
	s_cmp_eq_u32 s6, 0
	s_cbranch_scc1 .LBB133_291
.LBB133_289:
	s_lshl_b32 s2, s26, 3
	s_add_u32 s2, s34, s2
	s_addc_u32 s3, s35, 0
	s_add_u32 s2, s2, 0xc4
	s_addc_u32 s3, s3, 0
	s_mul_i32 s4, s26, 12
	s_add_u32 s4, s34, s4
	s_addc_u32 s5, s35, 0
.LBB133_290:                            ; =>This Inner Loop Header: Depth=1
	s_load_dwordx2 s[8:9], s[4:5], 0x4
	s_load_dword s7, s[4:5], 0xc
	s_load_dwordx2 s[10:11], s[2:3], 0x0
	s_add_u32 s4, s4, 12
	s_addc_u32 s5, s5, 0
	s_waitcnt lgkmcnt(0)
	v_mul_hi_u32 v8, s9, v4
	s_add_u32 s2, s2, 8
	s_addc_u32 s3, s3, 0
	s_add_i32 s6, s6, -1
	v_add_u32_e32 v8, v4, v8
	v_lshrrev_b32_e32 v8, s7, v8
	v_mul_lo_u32 v10, v8, s8
	s_cmp_lg_u32 s6, 0
	v_sub_u32_e32 v10, v4, v10
	v_mad_u64_u32 v[3:4], s[8:9], v10, s10, v[3:4]
	v_mad_u64_u32 v[12:13], s[8:9], v10, s11, v[12:13]
	v_mov_b32_e32 v4, v8
	s_cbranch_scc1 .LBB133_290
.LBB133_291:
	s_cbranch_execnz .LBB133_294
.LBB133_292:
	s_load_dwordx4 s[4:7], s[34:35], 0x4
	s_load_dwordx2 s[2:3], s[34:35], 0xc4
	s_cmp_lt_u32 s33, 2
	s_waitcnt lgkmcnt(0)
	v_mul_hi_u32 v3, s5, v7
	v_add_u32_e32 v3, v7, v3
	v_lshrrev_b32_e32 v4, s6, v3
	v_mul_lo_u32 v3, v4, s4
	v_sub_u32_e32 v7, v7, v3
	v_mul_lo_u32 v3, v7, s2
	v_mul_lo_u32 v12, v7, s3
	s_cbranch_scc1 .LBB133_294
; %bb.293:
	s_load_dwordx4 s[4:7], s[34:35], 0x10
	s_load_dwordx2 s[2:3], s[34:35], 0xcc
	s_waitcnt lgkmcnt(0)
	v_mul_hi_u32 v7, s5, v4
	v_add_u32_e32 v7, v4, v7
	v_lshrrev_b32_e32 v7, s6, v7
	v_mul_lo_u32 v7, v7, s4
	v_sub_u32_e32 v7, v4, v7
	v_mad_u64_u32 v[3:4], s[4:5], v7, s2, v[3:4]
	v_mad_u64_u32 v[12:13], s[2:3], v7, s3, v[12:13]
.LBB133_294:
	s_and_b64 vcc, exec, s[0:1]
	v_add_u32_e32 v4, 0x200, v15
	s_cbranch_vccnz .LBB133_300
; %bb.295:
	s_cmp_lg_u32 s33, 0
	s_mov_b32 s26, 0
	s_cbranch_scc0 .LBB133_301
; %bb.296:
	s_min_u32 s27, s56, 15
	s_add_i32 s27, s27, 1
	s_cmp_eq_u32 s56, 2
	s_cbranch_scc1 .LBB133_302
; %bb.297:
	s_and_b32 s26, s27, 28
	s_add_u32 s2, s34, 0xc4
	s_addc_u32 s3, s35, 0
	v_mov_b32_e32 v13, 0
	s_mov_b32 s28, 0
	s_mov_b64 s[24:25], s[34:35]
	v_mov_b32_e32 v7, 0
	v_mov_b32_e32 v8, v4
.LBB133_298:                            ; =>This Inner Loop Header: Depth=1
	s_load_dwordx8 s[12:19], s[24:25], 0x4
	s_load_dwordx4 s[20:23], s[24:25], 0x24
	s_load_dwordx8 s[4:11], s[2:3], 0x0
	s_add_u32 s24, s24, 48
	s_addc_u32 s25, s25, 0
	s_waitcnt lgkmcnt(0)
	v_mul_hi_u32 v10, s13, v8
	s_add_i32 s28, s28, 4
	s_add_u32 s2, s2, 32
	s_addc_u32 s3, s3, 0
	v_add_u32_e32 v10, v8, v10
	v_lshrrev_b32_e32 v10, s14, v10
	v_mul_lo_u32 v11, v10, s12
	v_mul_hi_u32 v14, s16, v10
	s_cmp_lg_u32 s26, s28
	v_sub_u32_e32 v8, v8, v11
	v_add_u32_e32 v11, v10, v14
	v_mul_lo_u32 v14, v8, s4
	v_mul_lo_u32 v16, v8, s5
	v_lshrrev_b32_e32 v8, s17, v11
	v_mul_lo_u32 v11, v8, s15
	v_mul_hi_u32 v17, s19, v8
	v_sub_u32_e32 v10, v10, v11
	v_add_u32_e32 v11, v8, v17
	v_lshrrev_b32_e32 v11, s20, v11
	v_mul_hi_u32 v18, s22, v11
	v_mul_lo_u32 v19, v11, s18
	v_mul_lo_u32 v17, v10, s6
	;; [unrolled: 1-line block ×3, first 2 shown]
	v_sub_u32_e32 v19, v8, v19
	v_add_u32_e32 v8, v11, v18
	v_lshrrev_b32_e32 v8, s23, v8
	v_mul_lo_u32 v18, v8, s21
	v_mul_lo_u32 v20, v19, s8
	;; [unrolled: 1-line block ×3, first 2 shown]
	v_add3_u32 v7, v14, v7, v17
	v_sub_u32_e32 v11, v11, v18
	v_mul_lo_u32 v18, v11, s10
	v_mul_lo_u32 v11, v11, s11
	v_add3_u32 v10, v16, v13, v10
	v_add3_u32 v7, v20, v7, v18
	;; [unrolled: 1-line block ×3, first 2 shown]
	s_cbranch_scc1 .LBB133_298
; %bb.299:
	s_and_b32 s6, s27, 3
	s_cmp_eq_u32 s6, 0
	s_cbranch_scc0 .LBB133_303
	s_branch .LBB133_305
.LBB133_300:
                                        ; implicit-def: $vgpr7
                                        ; implicit-def: $vgpr13
	s_branch .LBB133_306
.LBB133_301:
	v_mov_b32_e32 v7, 0
	v_mov_b32_e32 v13, 0
	s_branch .LBB133_305
.LBB133_302:
	v_mov_b32_e32 v7, 0
	v_mov_b32_e32 v13, 0
	;; [unrolled: 1-line block ×3, first 2 shown]
	s_and_b32 s6, s27, 3
	s_cmp_eq_u32 s6, 0
	s_cbranch_scc1 .LBB133_305
.LBB133_303:
	s_lshl_b32 s2, s26, 3
	s_add_u32 s2, s34, s2
	s_addc_u32 s3, s35, 0
	s_add_u32 s2, s2, 0xc4
	s_addc_u32 s3, s3, 0
	s_mul_i32 s4, s26, 12
	s_add_u32 s4, s34, s4
	s_addc_u32 s5, s35, 0
.LBB133_304:                            ; =>This Inner Loop Header: Depth=1
	s_load_dwordx2 s[8:9], s[4:5], 0x4
	s_load_dword s7, s[4:5], 0xc
	s_load_dwordx2 s[10:11], s[2:3], 0x0
	s_add_u32 s4, s4, 12
	s_addc_u32 s5, s5, 0
	s_waitcnt lgkmcnt(0)
	v_mul_hi_u32 v10, s9, v8
	s_add_u32 s2, s2, 8
	s_addc_u32 s3, s3, 0
	s_add_i32 s6, s6, -1
	v_add_u32_e32 v10, v8, v10
	v_lshrrev_b32_e32 v10, s7, v10
	v_mul_lo_u32 v11, v10, s8
	s_cmp_lg_u32 s6, 0
	v_sub_u32_e32 v11, v8, v11
	v_mad_u64_u32 v[7:8], s[8:9], v11, s10, v[7:8]
	v_mad_u64_u32 v[13:14], s[8:9], v11, s11, v[13:14]
	v_mov_b32_e32 v8, v10
	s_cbranch_scc1 .LBB133_304
.LBB133_305:
	s_cbranch_execnz .LBB133_308
.LBB133_306:
	s_load_dwordx4 s[4:7], s[34:35], 0x4
	s_load_dwordx2 s[2:3], s[34:35], 0xc4
	s_cmp_lt_u32 s33, 2
	s_waitcnt lgkmcnt(0)
	v_mul_hi_u32 v7, s5, v4
	v_add_u32_e32 v7, v4, v7
	v_lshrrev_b32_e32 v8, s6, v7
	v_mul_lo_u32 v7, v8, s4
	v_sub_u32_e32 v4, v4, v7
	v_mul_lo_u32 v7, v4, s2
	v_mul_lo_u32 v13, v4, s3
	s_cbranch_scc1 .LBB133_308
; %bb.307:
	s_load_dwordx4 s[4:7], s[34:35], 0x10
	s_load_dwordx2 s[2:3], s[34:35], 0xcc
	s_waitcnt lgkmcnt(0)
	v_mul_hi_u32 v4, s5, v8
	v_add_u32_e32 v4, v8, v4
	v_lshrrev_b32_e32 v4, s6, v4
	v_mul_lo_u32 v4, v4, s4
	v_sub_u32_e32 v4, v8, v4
	v_mad_u64_u32 v[7:8], s[4:5], v4, s2, v[7:8]
	v_mad_u64_u32 v[13:14], s[2:3], v4, s3, v[13:14]
.LBB133_308:
	s_and_b64 vcc, exec, s[0:1]
	v_add_u32_e32 v4, 0x280, v15
	s_cbranch_vccnz .LBB133_314
; %bb.309:
	s_cmp_lg_u32 s33, 0
	s_mov_b32 s26, 0
	s_cbranch_scc0 .LBB133_315
; %bb.310:
	s_min_u32 s27, s56, 15
	s_add_i32 s27, s27, 1
	s_cmp_eq_u32 s56, 2
	s_cbranch_scc1 .LBB133_316
; %bb.311:
	s_and_b32 s26, s27, 28
	s_add_u32 s2, s34, 0xc4
	s_addc_u32 s3, s35, 0
	v_mov_b32_e32 v16, 0
	s_mov_b32 s28, 0
	s_mov_b64 s[24:25], s[34:35]
	v_mov_b32_e32 v10, 0
	v_mov_b32_e32 v8, v4
.LBB133_312:                            ; =>This Inner Loop Header: Depth=1
	s_load_dwordx8 s[12:19], s[24:25], 0x4
	s_load_dwordx4 s[20:23], s[24:25], 0x24
	s_load_dwordx8 s[4:11], s[2:3], 0x0
	s_add_u32 s24, s24, 48
	s_addc_u32 s25, s25, 0
	s_waitcnt lgkmcnt(0)
	v_mul_hi_u32 v11, s13, v8
	s_add_i32 s28, s28, 4
	s_add_u32 s2, s2, 32
	s_addc_u32 s3, s3, 0
	v_add_u32_e32 v11, v8, v11
	v_lshrrev_b32_e32 v11, s14, v11
	v_mul_lo_u32 v14, v11, s12
	v_mul_hi_u32 v17, s16, v11
	s_cmp_lg_u32 s26, s28
	v_sub_u32_e32 v8, v8, v14
	v_add_u32_e32 v14, v11, v17
	v_mul_lo_u32 v17, v8, s4
	v_mul_lo_u32 v18, v8, s5
	v_lshrrev_b32_e32 v8, s17, v14
	v_mul_lo_u32 v14, v8, s15
	v_mul_hi_u32 v19, s19, v8
	v_sub_u32_e32 v11, v11, v14
	v_add_u32_e32 v14, v8, v19
	v_lshrrev_b32_e32 v14, s20, v14
	v_mul_hi_u32 v20, s22, v14
	v_mul_lo_u32 v21, v14, s18
	v_mul_lo_u32 v19, v11, s6
	;; [unrolled: 1-line block ×3, first 2 shown]
	v_sub_u32_e32 v21, v8, v21
	v_add_u32_e32 v8, v14, v20
	v_lshrrev_b32_e32 v8, s23, v8
	v_mul_lo_u32 v20, v8, s21
	v_mul_lo_u32 v23, v21, s8
	;; [unrolled: 1-line block ×3, first 2 shown]
	v_add3_u32 v10, v17, v10, v19
	v_sub_u32_e32 v14, v14, v20
	v_mul_lo_u32 v20, v14, s10
	v_mul_lo_u32 v14, v14, s11
	v_add3_u32 v11, v18, v16, v11
	v_add3_u32 v10, v23, v10, v20
	;; [unrolled: 1-line block ×3, first 2 shown]
	s_cbranch_scc1 .LBB133_312
; %bb.313:
	s_and_b32 s6, s27, 3
	s_cmp_eq_u32 s6, 0
	s_cbranch_scc0 .LBB133_317
	s_branch .LBB133_319
.LBB133_314:
                                        ; implicit-def: $vgpr10
                                        ; implicit-def: $vgpr16
	s_branch .LBB133_320
.LBB133_315:
	v_mov_b32_e32 v10, 0
	v_mov_b32_e32 v16, 0
	s_branch .LBB133_319
.LBB133_316:
	v_mov_b32_e32 v10, 0
	v_mov_b32_e32 v16, 0
	;; [unrolled: 1-line block ×3, first 2 shown]
	s_and_b32 s6, s27, 3
	s_cmp_eq_u32 s6, 0
	s_cbranch_scc1 .LBB133_319
.LBB133_317:
	s_lshl_b32 s2, s26, 3
	s_add_u32 s2, s34, s2
	s_addc_u32 s3, s35, 0
	s_add_u32 s2, s2, 0xc4
	s_addc_u32 s3, s3, 0
	s_mul_i32 s4, s26, 12
	s_add_u32 s4, s34, s4
	s_addc_u32 s5, s35, 0
.LBB133_318:                            ; =>This Inner Loop Header: Depth=1
	s_load_dwordx2 s[8:9], s[4:5], 0x4
	s_load_dword s7, s[4:5], 0xc
	s_load_dwordx2 s[10:11], s[2:3], 0x0
	s_add_u32 s4, s4, 12
	s_addc_u32 s5, s5, 0
	s_waitcnt lgkmcnt(0)
	v_mul_hi_u32 v11, s9, v8
	s_add_u32 s2, s2, 8
	s_addc_u32 s3, s3, 0
	s_add_i32 s6, s6, -1
	v_add_u32_e32 v11, v8, v11
	v_lshrrev_b32_e32 v14, s7, v11
	v_mul_lo_u32 v11, v14, s8
	s_cmp_lg_u32 s6, 0
	v_sub_u32_e32 v8, v8, v11
	v_mad_u64_u32 v[10:11], s[8:9], v8, s10, v[10:11]
	v_mad_u64_u32 v[16:17], s[8:9], v8, s11, v[16:17]
	v_mov_b32_e32 v8, v14
	s_cbranch_scc1 .LBB133_318
.LBB133_319:
	s_cbranch_execnz .LBB133_322
.LBB133_320:
	s_load_dwordx4 s[4:7], s[34:35], 0x4
	s_load_dwordx2 s[2:3], s[34:35], 0xc4
	s_cmp_lt_u32 s33, 2
	s_waitcnt lgkmcnt(0)
	v_mul_hi_u32 v8, s5, v4
	v_add_u32_e32 v8, v4, v8
	v_lshrrev_b32_e32 v8, s6, v8
	v_mul_lo_u32 v10, v8, s4
	v_sub_u32_e32 v4, v4, v10
	v_mul_lo_u32 v10, v4, s2
	v_mul_lo_u32 v16, v4, s3
	s_cbranch_scc1 .LBB133_322
; %bb.321:
	s_load_dwordx4 s[4:7], s[34:35], 0x10
	s_load_dwordx2 s[2:3], s[34:35], 0xcc
	s_waitcnt lgkmcnt(0)
	v_mul_hi_u32 v4, s5, v8
	v_add_u32_e32 v4, v8, v4
	v_lshrrev_b32_e32 v4, s6, v4
	v_mul_lo_u32 v4, v4, s4
	v_sub_u32_e32 v4, v8, v4
	v_mad_u64_u32 v[10:11], s[4:5], v4, s2, v[10:11]
	v_mad_u64_u32 v[16:17], s[2:3], v4, s3, v[16:17]
.LBB133_322:
	s_and_b64 vcc, exec, s[0:1]
	v_add_u32_e32 v4, 0x300, v15
	s_cbranch_vccnz .LBB133_328
; %bb.323:
	s_cmp_lg_u32 s33, 0
	s_mov_b32 s26, 0
	s_cbranch_scc0 .LBB133_329
; %bb.324:
	s_min_u32 s27, s56, 15
	s_add_i32 s27, s27, 1
	s_cmp_eq_u32 s56, 2
	s_cbranch_scc1 .LBB133_330
; %bb.325:
	s_and_b32 s26, s27, 28
	s_add_u32 s2, s34, 0xc4
	s_addc_u32 s3, s35, 0
	v_mov_b32_e32 v17, 0
	s_mov_b32 s28, 0
	s_mov_b64 s[24:25], s[34:35]
	v_mov_b32_e32 v14, 0
	v_mov_b32_e32 v8, v4
.LBB133_326:                            ; =>This Inner Loop Header: Depth=1
	s_load_dwordx8 s[12:19], s[24:25], 0x4
	s_load_dwordx4 s[20:23], s[24:25], 0x24
	s_load_dwordx8 s[4:11], s[2:3], 0x0
	s_add_u32 s24, s24, 48
	s_addc_u32 s25, s25, 0
	s_waitcnt lgkmcnt(0)
	v_mul_hi_u32 v11, s13, v8
	s_add_i32 s28, s28, 4
	s_add_u32 s2, s2, 32
	s_addc_u32 s3, s3, 0
	v_add_u32_e32 v11, v8, v11
	v_lshrrev_b32_e32 v11, s14, v11
	v_mul_lo_u32 v15, v11, s12
	v_mul_hi_u32 v18, s16, v11
	s_cmp_lg_u32 s26, s28
	v_sub_u32_e32 v8, v8, v15
	v_add_u32_e32 v15, v11, v18
	v_mul_lo_u32 v18, v8, s4
	v_mul_lo_u32 v19, v8, s5
	v_lshrrev_b32_e32 v8, s17, v15
	v_mul_lo_u32 v15, v8, s15
	v_mul_hi_u32 v20, s19, v8
	v_sub_u32_e32 v11, v11, v15
	v_add_u32_e32 v15, v8, v20
	v_lshrrev_b32_e32 v15, s20, v15
	v_mul_hi_u32 v21, s22, v15
	v_mul_lo_u32 v23, v15, s18
	v_mul_lo_u32 v20, v11, s6
	v_mul_lo_u32 v11, v11, s7
	v_sub_u32_e32 v23, v8, v23
	v_add_u32_e32 v8, v15, v21
	v_lshrrev_b32_e32 v8, s23, v8
	v_mul_lo_u32 v21, v8, s21
	v_mul_lo_u32 v24, v23, s8
	;; [unrolled: 1-line block ×3, first 2 shown]
	v_add3_u32 v14, v18, v14, v20
	v_sub_u32_e32 v15, v15, v21
	v_mul_lo_u32 v21, v15, s10
	v_mul_lo_u32 v15, v15, s11
	v_add3_u32 v11, v19, v17, v11
	v_add3_u32 v14, v24, v14, v21
	v_add3_u32 v17, v23, v11, v15
	s_cbranch_scc1 .LBB133_326
; %bb.327:
	s_and_b32 s6, s27, 3
	s_cmp_eq_u32 s6, 0
	s_cbranch_scc0 .LBB133_331
	s_branch .LBB133_333
.LBB133_328:
                                        ; implicit-def: $vgpr14
                                        ; implicit-def: $vgpr17
	s_branch .LBB133_334
.LBB133_329:
	v_mov_b32_e32 v14, 0
	v_mov_b32_e32 v17, 0
	s_branch .LBB133_333
.LBB133_330:
	v_mov_b32_e32 v14, 0
	v_mov_b32_e32 v17, 0
	v_mov_b32_e32 v8, v4
	s_and_b32 s6, s27, 3
	s_cmp_eq_u32 s6, 0
	s_cbranch_scc1 .LBB133_333
.LBB133_331:
	s_lshl_b32 s2, s26, 3
	s_add_u32 s2, s34, s2
	s_addc_u32 s3, s35, 0
	s_add_u32 s2, s2, 0xc4
	s_addc_u32 s3, s3, 0
	s_mul_i32 s4, s26, 12
	s_add_u32 s4, s34, s4
	s_addc_u32 s5, s35, 0
.LBB133_332:                            ; =>This Inner Loop Header: Depth=1
	s_load_dwordx2 s[8:9], s[4:5], 0x4
	s_load_dword s7, s[4:5], 0xc
	s_load_dwordx2 s[10:11], s[2:3], 0x0
	s_add_u32 s4, s4, 12
	s_addc_u32 s5, s5, 0
	s_waitcnt lgkmcnt(0)
	v_mul_hi_u32 v11, s9, v8
	s_add_u32 s2, s2, 8
	s_addc_u32 s3, s3, 0
	s_add_i32 s6, s6, -1
	v_add_u32_e32 v11, v8, v11
	v_lshrrev_b32_e32 v11, s7, v11
	v_mul_lo_u32 v15, v11, s8
	s_cmp_lg_u32 s6, 0
	v_sub_u32_e32 v8, v8, v15
	v_mad_u64_u32 v[14:15], s[8:9], v8, s10, v[14:15]
	v_mad_u64_u32 v[17:18], s[8:9], v8, s11, v[17:18]
	v_mov_b32_e32 v8, v11
	s_cbranch_scc1 .LBB133_332
.LBB133_333:
	s_cbranch_execnz .LBB133_336
.LBB133_334:
	s_load_dwordx4 s[4:7], s[34:35], 0x4
	s_load_dwordx2 s[2:3], s[34:35], 0xc4
	s_cmp_lt_u32 s33, 2
	s_waitcnt lgkmcnt(0)
	v_mul_hi_u32 v8, s5, v4
	v_add_u32_e32 v8, v4, v8
	v_lshrrev_b32_e32 v8, s6, v8
	v_mul_lo_u32 v11, v8, s4
	v_sub_u32_e32 v4, v4, v11
	v_mul_lo_u32 v14, v4, s2
	v_mul_lo_u32 v17, v4, s3
	s_cbranch_scc1 .LBB133_336
; %bb.335:
	s_load_dwordx4 s[4:7], s[34:35], 0x10
	s_load_dwordx2 s[2:3], s[34:35], 0xcc
	s_waitcnt lgkmcnt(0)
	v_mul_hi_u32 v4, s5, v8
	v_add_u32_e32 v4, v8, v4
	v_lshrrev_b32_e32 v4, s6, v4
	v_mul_lo_u32 v4, v4, s4
	v_sub_u32_e32 v4, v8, v4
	v_mad_u64_u32 v[14:15], s[4:5], v4, s2, v[14:15]
	v_mad_u64_u32 v[17:18], s[2:3], v4, s3, v[17:18]
.LBB133_336:
	s_and_b64 vcc, exec, s[0:1]
	s_cbranch_vccnz .LBB133_342
; %bb.337:
	s_cmp_lg_u32 s33, 0
	s_mov_b32 s24, 0
	s_cbranch_scc0 .LBB133_343
; %bb.338:
	s_min_u32 s25, s56, 15
	s_add_i32 s25, s25, 1
	s_cmp_eq_u32 s56, 2
	s_cbranch_scc1 .LBB133_344
; %bb.339:
	s_and_b32 s24, s25, 28
	s_add_u32 s20, s34, 0xc4
	s_addc_u32 s21, s35, 0
	v_mov_b32_e32 v20, 0
	s_mov_b32 s26, 0
	s_mov_b64 s[22:23], s[34:35]
	v_mov_b32_e32 v18, 0
	v_mov_b32_e32 v4, v22
.LBB133_340:                            ; =>This Inner Loop Header: Depth=1
	s_load_dwordx8 s[8:15], s[22:23], 0x4
	s_load_dwordx4 s[16:19], s[22:23], 0x24
	s_load_dwordx8 s[0:7], s[20:21], 0x0
	s_add_u32 s22, s22, 48
	s_addc_u32 s23, s23, 0
	s_waitcnt lgkmcnt(0)
	v_mul_hi_u32 v8, s9, v4
	s_add_i32 s26, s26, 4
	s_add_u32 s20, s20, 32
	s_addc_u32 s21, s21, 0
	v_add_u32_e32 v8, v4, v8
	v_lshrrev_b32_e32 v8, s10, v8
	v_mul_lo_u32 v11, v8, s8
	v_mul_hi_u32 v15, s12, v8
	s_cmp_lg_u32 s24, s26
	v_sub_u32_e32 v4, v4, v11
	v_add_u32_e32 v11, v8, v15
	v_mul_lo_u32 v15, v4, s0
	v_mul_lo_u32 v19, v4, s1
	v_lshrrev_b32_e32 v4, s13, v11
	v_mul_lo_u32 v11, v4, s11
	v_mul_hi_u32 v21, s15, v4
	v_sub_u32_e32 v8, v8, v11
	v_add_u32_e32 v11, v4, v21
	v_lshrrev_b32_e32 v11, s16, v11
	v_mul_hi_u32 v23, s18, v11
	v_mul_lo_u32 v24, v11, s14
	v_mul_lo_u32 v21, v8, s2
	;; [unrolled: 1-line block ×3, first 2 shown]
	v_sub_u32_e32 v24, v4, v24
	v_add_u32_e32 v4, v11, v23
	v_lshrrev_b32_e32 v4, s19, v4
	v_mul_lo_u32 v23, v4, s17
	v_mul_lo_u32 v25, v24, s4
	;; [unrolled: 1-line block ×3, first 2 shown]
	v_add3_u32 v15, v15, v18, v21
	v_sub_u32_e32 v11, v11, v23
	v_mul_lo_u32 v23, v11, s6
	v_mul_lo_u32 v11, v11, s7
	v_add3_u32 v8, v19, v20, v8
	v_add3_u32 v18, v25, v15, v23
	;; [unrolled: 1-line block ×3, first 2 shown]
	s_cbranch_scc1 .LBB133_340
; %bb.341:
	s_and_b32 s4, s25, 3
	s_cmp_eq_u32 s4, 0
	s_cbranch_scc0 .LBB133_345
	s_branch .LBB133_347
.LBB133_342:
                                        ; implicit-def: $vgpr18
                                        ; implicit-def: $vgpr20
	s_branch .LBB133_348
.LBB133_343:
	v_mov_b32_e32 v18, 0
	v_mov_b32_e32 v20, 0
	s_branch .LBB133_347
.LBB133_344:
	v_mov_b32_e32 v18, 0
	v_mov_b32_e32 v20, 0
	;; [unrolled: 1-line block ×3, first 2 shown]
	s_and_b32 s4, s25, 3
	s_cmp_eq_u32 s4, 0
	s_cbranch_scc1 .LBB133_347
.LBB133_345:
	s_lshl_b32 s0, s24, 3
	s_add_u32 s0, s34, s0
	s_addc_u32 s1, s35, 0
	s_add_u32 s0, s0, 0xc4
	s_addc_u32 s1, s1, 0
	s_mul_i32 s2, s24, 12
	s_add_u32 s2, s34, s2
	s_addc_u32 s3, s35, 0
.LBB133_346:                            ; =>This Inner Loop Header: Depth=1
	s_load_dwordx2 s[6:7], s[2:3], 0x4
	s_load_dword s5, s[2:3], 0xc
	s_load_dwordx2 s[8:9], s[0:1], 0x0
	s_add_u32 s2, s2, 12
	s_addc_u32 s3, s3, 0
	s_waitcnt lgkmcnt(0)
	v_mul_hi_u32 v8, s7, v4
	s_add_u32 s0, s0, 8
	s_addc_u32 s1, s1, 0
	s_add_i32 s4, s4, -1
	v_add_u32_e32 v8, v4, v8
	v_lshrrev_b32_e32 v8, s5, v8
	v_mul_lo_u32 v11, v8, s6
	s_cmp_lg_u32 s4, 0
	v_sub_u32_e32 v4, v4, v11
	v_mad_u64_u32 v[18:19], s[6:7], v4, s8, v[18:19]
	v_mad_u64_u32 v[20:21], s[6:7], v4, s9, v[20:21]
	v_mov_b32_e32 v4, v8
	s_cbranch_scc1 .LBB133_346
.LBB133_347:
	s_cbranch_execnz .LBB133_350
.LBB133_348:
	s_load_dwordx4 s[0:3], s[34:35], 0x4
	s_load_dwordx2 s[4:5], s[34:35], 0xc4
	s_cmp_lt_u32 s33, 2
	s_waitcnt lgkmcnt(0)
	v_mul_hi_u32 v4, s1, v22
	v_add_u32_e32 v4, v22, v4
	v_lshrrev_b32_e32 v4, s2, v4
	v_mul_lo_u32 v8, v4, s0
	v_sub_u32_e32 v8, v22, v8
	v_mul_lo_u32 v18, v8, s4
	v_mul_lo_u32 v20, v8, s5
	s_cbranch_scc1 .LBB133_350
; %bb.349:
	s_load_dwordx4 s[0:3], s[34:35], 0x10
	s_load_dwordx2 s[4:5], s[34:35], 0xcc
	s_waitcnt lgkmcnt(0)
	v_mul_hi_u32 v8, s1, v4
	v_add_u32_e32 v8, v4, v8
	v_lshrrev_b32_e32 v8, s2, v8
	v_mul_lo_u32 v8, v8, s0
	v_sub_u32_e32 v4, v4, v8
	v_mad_u64_u32 v[18:19], s[0:1], v4, s4, v[18:19]
	v_mad_u64_u32 v[20:21], s[0:1], v4, s5, v[20:21]
.LBB133_350:
	s_load_dwordx4 s[0:3], s[34:35], 0x148
	s_load_dwordx2 s[6:7], s[34:35], 0x158
	s_mov_b64 s[8:9], 0
	s_waitcnt lgkmcnt(0)
	global_load_ushort v4, v5, s[2:3]
	s_lshl_b32 s7, s7, 16
	s_cmp_lt_i32 s6, 1
	s_waitcnt vmcnt(0)
	v_lshlrev_b32_e32 v4, 16, v4
	s_cbranch_scc1 .LBB133_354
; %bb.351:
	s_cmp_gt_i32 s6, 1
	s_cbranch_scc0 .LBB133_355
; %bb.352:
	s_cmp_eq_u32 s6, 2
	s_cbranch_scc0 .LBB133_356
; %bb.353:
	v_cmp_ge_f32_e64 s[4:5], s7, v4
	s_mov_b64 s[10:11], 0
	s_branch .LBB133_357
.LBB133_354:
                                        ; implicit-def: $sgpr4_sgpr5
	s_mov_b64 s[10:11], 0
	s_cbranch_execnz .LBB133_360
	s_branch .LBB133_361
.LBB133_355:
	s_mov_b64 s[10:11], 0
                                        ; implicit-def: $sgpr4_sgpr5
	s_cbranch_execnz .LBB133_358
	s_branch .LBB133_359
.LBB133_356:
	s_mov_b64 s[10:11], -1
                                        ; implicit-def: $sgpr4_sgpr5
.LBB133_357:
	s_branch .LBB133_359
.LBB133_358:
	v_cmp_lt_f32_e32 vcc, s7, v4
	s_andn2_b64 s[4:5], s[4:5], exec
	s_and_b64 s[12:13], vcc, exec
	s_or_b64 s[4:5], s[4:5], s[12:13]
.LBB133_359:
	s_branch .LBB133_361
.LBB133_360:
	s_cmp_lg_u32 s6, 0
	s_mov_b64 s[8:9], -1
	s_cselect_b64 s[10:11], -1, 0
.LBB133_361:
	s_andn2_b64 vcc, exec, s[10:11]
	s_cbranch_vccz .LBB133_368
; %bb.362:
	s_andn2_b64 vcc, exec, s[8:9]
	s_cbranch_vccnz .LBB133_364
.LBB133_363:
	v_cmp_le_f32_e32 vcc, s7, v4
	s_andn2_b64 s[4:5], s[4:5], exec
	s_and_b64 s[8:9], vcc, exec
	s_or_b64 s[4:5], s[4:5], s[8:9]
.LBB133_364:
	global_load_ushort v4, v6, s[2:3]
	s_cmp_lt_i32 s6, 1
	s_mov_b64 s[10:11], 0
	s_waitcnt vmcnt(0)
	v_lshlrev_b32_e32 v4, 16, v4
	s_cbranch_scc1 .LBB133_369
; %bb.365:
	s_cmp_gt_i32 s6, 1
	s_cbranch_scc0 .LBB133_370
; %bb.366:
	s_cmp_eq_u32 s6, 2
	s_cbranch_scc0 .LBB133_371
; %bb.367:
	v_cmp_ge_f32_e64 s[8:9], s7, v4
	s_mov_b64 s[12:13], 0
	s_branch .LBB133_372
.LBB133_368:
	v_cmp_gt_f32_e32 vcc, s7, v4
	s_andn2_b64 s[4:5], s[4:5], exec
	s_and_b64 s[10:11], vcc, exec
	s_or_b64 s[4:5], s[4:5], s[10:11]
	s_cbranch_execz .LBB133_363
	s_branch .LBB133_364
.LBB133_369:
                                        ; implicit-def: $sgpr8_sgpr9
	s_mov_b64 s[12:13], 0
	s_cbranch_execnz .LBB133_375
	s_branch .LBB133_376
.LBB133_370:
	s_mov_b64 s[12:13], 0
                                        ; implicit-def: $sgpr8_sgpr9
	s_cbranch_execnz .LBB133_373
	s_branch .LBB133_374
.LBB133_371:
	s_mov_b64 s[12:13], -1
                                        ; implicit-def: $sgpr8_sgpr9
.LBB133_372:
	s_branch .LBB133_374
.LBB133_373:
	v_cmp_lt_f32_e32 vcc, s7, v4
	s_andn2_b64 s[8:9], s[8:9], exec
	s_and_b64 s[14:15], vcc, exec
	s_or_b64 s[8:9], s[8:9], s[14:15]
.LBB133_374:
	s_branch .LBB133_376
.LBB133_375:
	s_cmp_lg_u32 s6, 0
	s_mov_b64 s[10:11], -1
	s_cselect_b64 s[12:13], -1, 0
.LBB133_376:
	s_andn2_b64 vcc, exec, s[12:13]
	s_cbranch_vccz .LBB133_383
; %bb.377:
	s_andn2_b64 vcc, exec, s[10:11]
	s_cbranch_vccnz .LBB133_379
.LBB133_378:
	v_cmp_le_f32_e32 vcc, s7, v4
	s_andn2_b64 s[8:9], s[8:9], exec
	s_and_b64 s[10:11], vcc, exec
	s_or_b64 s[8:9], s[8:9], s[10:11]
.LBB133_379:
	global_load_ushort v4, v9, s[2:3]
	s_cmp_lt_i32 s6, 1
	s_mov_b64 s[12:13], 0
	s_waitcnt vmcnt(0)
	v_lshlrev_b32_e32 v4, 16, v4
	s_cbranch_scc1 .LBB133_384
; %bb.380:
	s_cmp_gt_i32 s6, 1
	s_cbranch_scc0 .LBB133_385
; %bb.381:
	s_cmp_eq_u32 s6, 2
	s_cbranch_scc0 .LBB133_386
; %bb.382:
	v_cmp_ge_f32_e64 s[10:11], s7, v4
	s_mov_b64 s[14:15], 0
	s_branch .LBB133_387
.LBB133_383:
	v_cmp_gt_f32_e32 vcc, s7, v4
	s_andn2_b64 s[8:9], s[8:9], exec
	s_and_b64 s[12:13], vcc, exec
	s_or_b64 s[8:9], s[8:9], s[12:13]
	s_cbranch_execz .LBB133_378
	s_branch .LBB133_379
.LBB133_384:
                                        ; implicit-def: $sgpr10_sgpr11
	s_mov_b64 s[14:15], 0
	s_cbranch_execnz .LBB133_390
	s_branch .LBB133_391
.LBB133_385:
	s_mov_b64 s[14:15], 0
                                        ; implicit-def: $sgpr10_sgpr11
	s_cbranch_execnz .LBB133_388
	s_branch .LBB133_389
.LBB133_386:
	s_mov_b64 s[14:15], -1
                                        ; implicit-def: $sgpr10_sgpr11
.LBB133_387:
	s_branch .LBB133_389
.LBB133_388:
	v_cmp_lt_f32_e32 vcc, s7, v4
	s_andn2_b64 s[10:11], s[10:11], exec
	s_and_b64 s[16:17], vcc, exec
	s_or_b64 s[10:11], s[10:11], s[16:17]
.LBB133_389:
	s_branch .LBB133_391
.LBB133_390:
	s_cmp_lg_u32 s6, 0
	s_mov_b64 s[12:13], -1
	s_cselect_b64 s[14:15], -1, 0
.LBB133_391:
	s_andn2_b64 vcc, exec, s[14:15]
	s_cbranch_vccz .LBB133_398
; %bb.392:
	s_andn2_b64 vcc, exec, s[12:13]
	s_cbranch_vccnz .LBB133_394
.LBB133_393:
	v_cmp_le_f32_e32 vcc, s7, v4
	s_andn2_b64 s[10:11], s[10:11], exec
	s_and_b64 s[12:13], vcc, exec
	s_or_b64 s[10:11], s[10:11], s[12:13]
.LBB133_394:
	global_load_ushort v4, v12, s[2:3]
	s_cmp_lt_i32 s6, 1
	s_mov_b64 s[14:15], 0
	s_waitcnt vmcnt(0)
	v_lshlrev_b32_e32 v4, 16, v4
	s_cbranch_scc1 .LBB133_399
; %bb.395:
	s_cmp_gt_i32 s6, 1
	s_cbranch_scc0 .LBB133_400
; %bb.396:
	s_cmp_eq_u32 s6, 2
	s_cbranch_scc0 .LBB133_401
; %bb.397:
	v_cmp_ge_f32_e64 s[12:13], s7, v4
	s_mov_b64 s[16:17], 0
	s_branch .LBB133_402
.LBB133_398:
	v_cmp_gt_f32_e32 vcc, s7, v4
	s_andn2_b64 s[10:11], s[10:11], exec
	s_and_b64 s[14:15], vcc, exec
	s_or_b64 s[10:11], s[10:11], s[14:15]
	s_cbranch_execz .LBB133_393
	s_branch .LBB133_394
.LBB133_399:
                                        ; implicit-def: $sgpr12_sgpr13
	s_mov_b64 s[16:17], 0
	s_cbranch_execnz .LBB133_405
	s_branch .LBB133_406
.LBB133_400:
	s_mov_b64 s[16:17], 0
                                        ; implicit-def: $sgpr12_sgpr13
	s_cbranch_execnz .LBB133_403
	s_branch .LBB133_404
.LBB133_401:
	s_mov_b64 s[16:17], -1
                                        ; implicit-def: $sgpr12_sgpr13
.LBB133_402:
	s_branch .LBB133_404
.LBB133_403:
	v_cmp_lt_f32_e32 vcc, s7, v4
	s_andn2_b64 s[12:13], s[12:13], exec
	s_and_b64 s[18:19], vcc, exec
	s_or_b64 s[12:13], s[12:13], s[18:19]
.LBB133_404:
	s_branch .LBB133_406
.LBB133_405:
	s_cmp_lg_u32 s6, 0
	s_mov_b64 s[14:15], -1
	s_cselect_b64 s[16:17], -1, 0
.LBB133_406:
	s_andn2_b64 vcc, exec, s[16:17]
	s_cbranch_vccz .LBB133_413
; %bb.407:
	s_andn2_b64 vcc, exec, s[14:15]
	s_cbranch_vccnz .LBB133_409
.LBB133_408:
	v_cmp_le_f32_e32 vcc, s7, v4
	s_andn2_b64 s[12:13], s[12:13], exec
	s_and_b64 s[14:15], vcc, exec
	s_or_b64 s[12:13], s[12:13], s[14:15]
.LBB133_409:
	global_load_ushort v4, v13, s[2:3]
	s_cmp_lt_i32 s6, 1
	s_mov_b64 s[16:17], 0
	s_waitcnt vmcnt(0)
	v_lshlrev_b32_e32 v4, 16, v4
	s_cbranch_scc1 .LBB133_414
; %bb.410:
	s_cmp_gt_i32 s6, 1
	s_cbranch_scc0 .LBB133_415
; %bb.411:
	s_cmp_eq_u32 s6, 2
	s_cbranch_scc0 .LBB133_416
; %bb.412:
	v_cmp_ge_f32_e64 s[14:15], s7, v4
	s_mov_b64 s[18:19], 0
	s_branch .LBB133_417
.LBB133_413:
	v_cmp_gt_f32_e32 vcc, s7, v4
	s_andn2_b64 s[12:13], s[12:13], exec
	s_and_b64 s[16:17], vcc, exec
	s_or_b64 s[12:13], s[12:13], s[16:17]
	s_cbranch_execz .LBB133_408
	s_branch .LBB133_409
.LBB133_414:
                                        ; implicit-def: $sgpr14_sgpr15
	s_mov_b64 s[18:19], 0
	s_cbranch_execnz .LBB133_420
	s_branch .LBB133_421
.LBB133_415:
	s_mov_b64 s[18:19], 0
                                        ; implicit-def: $sgpr14_sgpr15
	s_cbranch_execnz .LBB133_418
	s_branch .LBB133_419
.LBB133_416:
	s_mov_b64 s[18:19], -1
                                        ; implicit-def: $sgpr14_sgpr15
.LBB133_417:
	s_branch .LBB133_419
.LBB133_418:
	v_cmp_lt_f32_e32 vcc, s7, v4
	s_andn2_b64 s[14:15], s[14:15], exec
	s_and_b64 s[20:21], vcc, exec
	s_or_b64 s[14:15], s[14:15], s[20:21]
.LBB133_419:
	s_branch .LBB133_421
.LBB133_420:
	s_cmp_lg_u32 s6, 0
	s_mov_b64 s[16:17], -1
	s_cselect_b64 s[18:19], -1, 0
.LBB133_421:
	s_andn2_b64 vcc, exec, s[18:19]
	s_cbranch_vccz .LBB133_428
; %bb.422:
	s_andn2_b64 vcc, exec, s[16:17]
	s_cbranch_vccnz .LBB133_424
.LBB133_423:
	v_cmp_le_f32_e32 vcc, s7, v4
	s_andn2_b64 s[14:15], s[14:15], exec
	s_and_b64 s[16:17], vcc, exec
	s_or_b64 s[14:15], s[14:15], s[16:17]
.LBB133_424:
	global_load_ushort v4, v16, s[2:3]
	s_cmp_lt_i32 s6, 1
	s_mov_b64 s[18:19], 0
	s_waitcnt vmcnt(0)
	v_lshlrev_b32_e32 v4, 16, v4
	s_cbranch_scc1 .LBB133_429
; %bb.425:
	s_cmp_gt_i32 s6, 1
	s_cbranch_scc0 .LBB133_430
; %bb.426:
	s_cmp_eq_u32 s6, 2
	s_cbranch_scc0 .LBB133_431
; %bb.427:
	v_cmp_ge_f32_e64 s[16:17], s7, v4
	s_mov_b64 s[20:21], 0
	s_branch .LBB133_432
.LBB133_428:
	v_cmp_gt_f32_e32 vcc, s7, v4
	s_andn2_b64 s[14:15], s[14:15], exec
	s_and_b64 s[18:19], vcc, exec
	s_or_b64 s[14:15], s[14:15], s[18:19]
	s_cbranch_execz .LBB133_423
	s_branch .LBB133_424
.LBB133_429:
                                        ; implicit-def: $sgpr16_sgpr17
	s_mov_b64 s[20:21], 0
	s_cbranch_execnz .LBB133_435
	s_branch .LBB133_436
.LBB133_430:
	s_mov_b64 s[20:21], 0
                                        ; implicit-def: $sgpr16_sgpr17
	s_cbranch_execnz .LBB133_433
	s_branch .LBB133_434
.LBB133_431:
	s_mov_b64 s[20:21], -1
                                        ; implicit-def: $sgpr16_sgpr17
.LBB133_432:
	s_branch .LBB133_434
.LBB133_433:
	v_cmp_lt_f32_e32 vcc, s7, v4
	s_andn2_b64 s[16:17], s[16:17], exec
	s_and_b64 s[22:23], vcc, exec
	s_or_b64 s[16:17], s[16:17], s[22:23]
.LBB133_434:
	s_branch .LBB133_436
.LBB133_435:
	s_cmp_lg_u32 s6, 0
	s_mov_b64 s[18:19], -1
	s_cselect_b64 s[20:21], -1, 0
.LBB133_436:
	s_andn2_b64 vcc, exec, s[20:21]
	s_cbranch_vccz .LBB133_443
; %bb.437:
	s_andn2_b64 vcc, exec, s[18:19]
	s_cbranch_vccnz .LBB133_439
.LBB133_438:
	v_cmp_le_f32_e32 vcc, s7, v4
	s_andn2_b64 s[16:17], s[16:17], exec
	s_and_b64 s[18:19], vcc, exec
	s_or_b64 s[16:17], s[16:17], s[18:19]
.LBB133_439:
	global_load_ushort v4, v17, s[2:3]
	s_cmp_lt_i32 s6, 1
	s_mov_b64 s[20:21], 0
	s_waitcnt vmcnt(0)
	v_lshlrev_b32_e32 v4, 16, v4
	s_cbranch_scc1 .LBB133_444
; %bb.440:
	s_cmp_gt_i32 s6, 1
	s_cbranch_scc0 .LBB133_445
; %bb.441:
	s_cmp_eq_u32 s6, 2
	s_cbranch_scc0 .LBB133_446
; %bb.442:
	v_cmp_ge_f32_e64 s[18:19], s7, v4
	s_mov_b64 s[22:23], 0
	s_branch .LBB133_447
.LBB133_443:
	v_cmp_gt_f32_e32 vcc, s7, v4
	s_andn2_b64 s[16:17], s[16:17], exec
	s_and_b64 s[20:21], vcc, exec
	s_or_b64 s[16:17], s[16:17], s[20:21]
	s_cbranch_execz .LBB133_438
	s_branch .LBB133_439
.LBB133_444:
                                        ; implicit-def: $sgpr18_sgpr19
	s_mov_b64 s[22:23], 0
	s_cbranch_execnz .LBB133_450
	s_branch .LBB133_451
.LBB133_445:
	s_mov_b64 s[22:23], 0
                                        ; implicit-def: $sgpr18_sgpr19
	s_cbranch_execnz .LBB133_448
	s_branch .LBB133_449
.LBB133_446:
	s_mov_b64 s[22:23], -1
                                        ; implicit-def: $sgpr18_sgpr19
.LBB133_447:
	s_branch .LBB133_449
.LBB133_448:
	v_cmp_lt_f32_e32 vcc, s7, v4
	s_andn2_b64 s[18:19], s[18:19], exec
	s_and_b64 s[24:25], vcc, exec
	s_or_b64 s[18:19], s[18:19], s[24:25]
.LBB133_449:
	s_branch .LBB133_451
.LBB133_450:
	s_cmp_lg_u32 s6, 0
	s_mov_b64 s[20:21], -1
	s_cselect_b64 s[22:23], -1, 0
.LBB133_451:
	s_andn2_b64 vcc, exec, s[22:23]
	s_cbranch_vccz .LBB133_458
; %bb.452:
	s_andn2_b64 vcc, exec, s[20:21]
	s_cbranch_vccnz .LBB133_454
.LBB133_453:
	v_cmp_le_f32_e32 vcc, s7, v4
	s_andn2_b64 s[18:19], s[18:19], exec
	s_and_b64 s[20:21], vcc, exec
	s_or_b64 s[18:19], s[18:19], s[20:21]
.LBB133_454:
	global_load_ushort v4, v20, s[2:3]
	s_cmp_lt_i32 s6, 1
	s_mov_b64 s[20:21], 0
	s_waitcnt vmcnt(0)
	v_lshlrev_b32_e32 v4, 16, v4
	s_cbranch_scc1 .LBB133_459
; %bb.455:
	s_cmp_gt_i32 s6, 1
	s_cbranch_scc0 .LBB133_460
; %bb.456:
	s_cmp_eq_u32 s6, 2
	s_cbranch_scc0 .LBB133_461
; %bb.457:
	v_cmp_ge_f32_e64 s[2:3], s7, v4
	s_mov_b64 s[22:23], 0
	s_branch .LBB133_462
.LBB133_458:
	v_cmp_gt_f32_e32 vcc, s7, v4
	s_andn2_b64 s[18:19], s[18:19], exec
	s_and_b64 s[22:23], vcc, exec
	s_or_b64 s[18:19], s[18:19], s[22:23]
	s_cbranch_execz .LBB133_453
	s_branch .LBB133_454
.LBB133_459:
                                        ; implicit-def: $sgpr2_sgpr3
	s_mov_b64 s[22:23], 0
	s_cbranch_execnz .LBB133_465
	s_branch .LBB133_466
.LBB133_460:
	s_mov_b64 s[22:23], 0
                                        ; implicit-def: $sgpr2_sgpr3
	s_cbranch_execnz .LBB133_463
	s_branch .LBB133_464
.LBB133_461:
	s_mov_b64 s[22:23], -1
                                        ; implicit-def: $sgpr2_sgpr3
.LBB133_462:
	s_branch .LBB133_464
.LBB133_463:
	v_cmp_lt_f32_e32 vcc, s7, v4
	s_andn2_b64 s[2:3], s[2:3], exec
	s_and_b64 s[24:25], vcc, exec
	s_or_b64 s[2:3], s[2:3], s[24:25]
.LBB133_464:
	s_branch .LBB133_466
.LBB133_465:
	s_cmp_lg_u32 s6, 0
	s_mov_b64 s[20:21], -1
	s_cselect_b64 s[22:23], -1, 0
.LBB133_466:
	s_andn2_b64 vcc, exec, s[22:23]
	s_cbranch_vccz .LBB133_470
; %bb.467:
	s_andn2_b64 vcc, exec, s[20:21]
	s_cbranch_vccnz .LBB133_469
.LBB133_468:
	v_cmp_le_f32_e32 vcc, s7, v4
	s_andn2_b64 s[2:3], s[2:3], exec
	s_and_b64 s[6:7], vcc, exec
	s_or_b64 s[2:3], s[2:3], s[6:7]
.LBB133_469:
	v_cndmask_b32_e64 v12, 0, 1, s[4:5]
	v_cndmask_b32_e64 v4, 0, 1, s[18:19]
	;; [unrolled: 1-line block ×8, first 2 shown]
	global_store_byte v0, v12, s[0:1]
	global_store_byte v1, v11, s[0:1]
	;; [unrolled: 1-line block ×8, first 2 shown]
	s_endpgm
.LBB133_470:
	v_cmp_gt_f32_e32 vcc, s7, v4
	s_andn2_b64 s[2:3], s[2:3], exec
	s_and_b64 s[22:23], vcc, exec
	s_or_b64 s[2:3], s[2:3], s[22:23]
	s_cbranch_execz .LBB133_468
	s_branch .LBB133_469
.LBB133_471:
	s_mov_b64 s[4:5], -1
                                        ; implicit-def: $sgpr2_sgpr3
	s_branch .LBB133_60
.LBB133_472:
	s_mov_b64 s[4:5], -1
                                        ; implicit-def: $sgpr2_sgpr3
	s_branch .LBB133_88
.LBB133_473:
	s_mov_b64 s[4:5], -1
                                        ; implicit-def: $sgpr2_sgpr3
	s_branch .LBB133_116
.LBB133_474:
	s_mov_b64 s[4:5], -1
                                        ; implicit-def: $sgpr2_sgpr3
	s_branch .LBB133_144
.LBB133_475:
	s_mov_b64 s[4:5], -1
                                        ; implicit-def: $sgpr2_sgpr3
	s_branch .LBB133_172
.LBB133_476:
	s_mov_b64 s[4:5], -1
                                        ; implicit-def: $sgpr2_sgpr3
	s_branch .LBB133_200
.LBB133_477:
	s_mov_b64 s[4:5], -1
                                        ; implicit-def: $sgpr2_sgpr3
	s_branch .LBB133_228
	.section	.rodata,"a",@progbits
	.p2align	6, 0x0
	.amdhsa_kernel _ZN2at6native32elementwise_kernel_manual_unrollILi128ELi8EZNS0_22gpu_kernel_impl_nocastIZNS0_21compare_scalar_kernelIN3c108BFloat16EEEvRNS_18TensorIteratorBaseENS0_12_GLOBAL__N_16OpTypeET_EUlS5_E_EEvS7_RKSA_EUlibE_EEviT1_
		.amdhsa_group_segment_fixed_size 0
		.amdhsa_private_segment_fixed_size 0
		.amdhsa_kernarg_size 360
		.amdhsa_user_sgpr_count 6
		.amdhsa_user_sgpr_private_segment_buffer 1
		.amdhsa_user_sgpr_dispatch_ptr 0
		.amdhsa_user_sgpr_queue_ptr 0
		.amdhsa_user_sgpr_kernarg_segment_ptr 1
		.amdhsa_user_sgpr_dispatch_id 0
		.amdhsa_user_sgpr_flat_scratch_init 0
		.amdhsa_user_sgpr_private_segment_size 0
		.amdhsa_uses_dynamic_stack 0
		.amdhsa_system_sgpr_private_segment_wavefront_offset 0
		.amdhsa_system_sgpr_workgroup_id_x 1
		.amdhsa_system_sgpr_workgroup_id_y 0
		.amdhsa_system_sgpr_workgroup_id_z 0
		.amdhsa_system_sgpr_workgroup_info 0
		.amdhsa_system_vgpr_workitem_id 0
		.amdhsa_next_free_vgpr 26
		.amdhsa_next_free_sgpr 62
		.amdhsa_reserve_vcc 1
		.amdhsa_reserve_flat_scratch 0
		.amdhsa_float_round_mode_32 0
		.amdhsa_float_round_mode_16_64 0
		.amdhsa_float_denorm_mode_32 3
		.amdhsa_float_denorm_mode_16_64 3
		.amdhsa_dx10_clamp 1
		.amdhsa_ieee_mode 1
		.amdhsa_fp16_overflow 0
		.amdhsa_exception_fp_ieee_invalid_op 0
		.amdhsa_exception_fp_denorm_src 0
		.amdhsa_exception_fp_ieee_div_zero 0
		.amdhsa_exception_fp_ieee_overflow 0
		.amdhsa_exception_fp_ieee_underflow 0
		.amdhsa_exception_fp_ieee_inexact 0
		.amdhsa_exception_int_div_zero 0
	.end_amdhsa_kernel
	.section	.text._ZN2at6native32elementwise_kernel_manual_unrollILi128ELi8EZNS0_22gpu_kernel_impl_nocastIZNS0_21compare_scalar_kernelIN3c108BFloat16EEEvRNS_18TensorIteratorBaseENS0_12_GLOBAL__N_16OpTypeET_EUlS5_E_EEvS7_RKSA_EUlibE_EEviT1_,"axG",@progbits,_ZN2at6native32elementwise_kernel_manual_unrollILi128ELi8EZNS0_22gpu_kernel_impl_nocastIZNS0_21compare_scalar_kernelIN3c108BFloat16EEEvRNS_18TensorIteratorBaseENS0_12_GLOBAL__N_16OpTypeET_EUlS5_E_EEvS7_RKSA_EUlibE_EEviT1_,comdat
.Lfunc_end133:
	.size	_ZN2at6native32elementwise_kernel_manual_unrollILi128ELi8EZNS0_22gpu_kernel_impl_nocastIZNS0_21compare_scalar_kernelIN3c108BFloat16EEEvRNS_18TensorIteratorBaseENS0_12_GLOBAL__N_16OpTypeET_EUlS5_E_EEvS7_RKSA_EUlibE_EEviT1_, .Lfunc_end133-_ZN2at6native32elementwise_kernel_manual_unrollILi128ELi8EZNS0_22gpu_kernel_impl_nocastIZNS0_21compare_scalar_kernelIN3c108BFloat16EEEvRNS_18TensorIteratorBaseENS0_12_GLOBAL__N_16OpTypeET_EUlS5_E_EEvS7_RKSA_EUlibE_EEviT1_
                                        ; -- End function
	.set _ZN2at6native32elementwise_kernel_manual_unrollILi128ELi8EZNS0_22gpu_kernel_impl_nocastIZNS0_21compare_scalar_kernelIN3c108BFloat16EEEvRNS_18TensorIteratorBaseENS0_12_GLOBAL__N_16OpTypeET_EUlS5_E_EEvS7_RKSA_EUlibE_EEviT1_.num_vgpr, 26
	.set _ZN2at6native32elementwise_kernel_manual_unrollILi128ELi8EZNS0_22gpu_kernel_impl_nocastIZNS0_21compare_scalar_kernelIN3c108BFloat16EEEvRNS_18TensorIteratorBaseENS0_12_GLOBAL__N_16OpTypeET_EUlS5_E_EEvS7_RKSA_EUlibE_EEviT1_.num_agpr, 0
	.set _ZN2at6native32elementwise_kernel_manual_unrollILi128ELi8EZNS0_22gpu_kernel_impl_nocastIZNS0_21compare_scalar_kernelIN3c108BFloat16EEEvRNS_18TensorIteratorBaseENS0_12_GLOBAL__N_16OpTypeET_EUlS5_E_EEvS7_RKSA_EUlibE_EEviT1_.numbered_sgpr, 62
	.set _ZN2at6native32elementwise_kernel_manual_unrollILi128ELi8EZNS0_22gpu_kernel_impl_nocastIZNS0_21compare_scalar_kernelIN3c108BFloat16EEEvRNS_18TensorIteratorBaseENS0_12_GLOBAL__N_16OpTypeET_EUlS5_E_EEvS7_RKSA_EUlibE_EEviT1_.num_named_barrier, 0
	.set _ZN2at6native32elementwise_kernel_manual_unrollILi128ELi8EZNS0_22gpu_kernel_impl_nocastIZNS0_21compare_scalar_kernelIN3c108BFloat16EEEvRNS_18TensorIteratorBaseENS0_12_GLOBAL__N_16OpTypeET_EUlS5_E_EEvS7_RKSA_EUlibE_EEviT1_.private_seg_size, 0
	.set _ZN2at6native32elementwise_kernel_manual_unrollILi128ELi8EZNS0_22gpu_kernel_impl_nocastIZNS0_21compare_scalar_kernelIN3c108BFloat16EEEvRNS_18TensorIteratorBaseENS0_12_GLOBAL__N_16OpTypeET_EUlS5_E_EEvS7_RKSA_EUlibE_EEviT1_.uses_vcc, 1
	.set _ZN2at6native32elementwise_kernel_manual_unrollILi128ELi8EZNS0_22gpu_kernel_impl_nocastIZNS0_21compare_scalar_kernelIN3c108BFloat16EEEvRNS_18TensorIteratorBaseENS0_12_GLOBAL__N_16OpTypeET_EUlS5_E_EEvS7_RKSA_EUlibE_EEviT1_.uses_flat_scratch, 0
	.set _ZN2at6native32elementwise_kernel_manual_unrollILi128ELi8EZNS0_22gpu_kernel_impl_nocastIZNS0_21compare_scalar_kernelIN3c108BFloat16EEEvRNS_18TensorIteratorBaseENS0_12_GLOBAL__N_16OpTypeET_EUlS5_E_EEvS7_RKSA_EUlibE_EEviT1_.has_dyn_sized_stack, 0
	.set _ZN2at6native32elementwise_kernel_manual_unrollILi128ELi8EZNS0_22gpu_kernel_impl_nocastIZNS0_21compare_scalar_kernelIN3c108BFloat16EEEvRNS_18TensorIteratorBaseENS0_12_GLOBAL__N_16OpTypeET_EUlS5_E_EEvS7_RKSA_EUlibE_EEviT1_.has_recursion, 0
	.set _ZN2at6native32elementwise_kernel_manual_unrollILi128ELi8EZNS0_22gpu_kernel_impl_nocastIZNS0_21compare_scalar_kernelIN3c108BFloat16EEEvRNS_18TensorIteratorBaseENS0_12_GLOBAL__N_16OpTypeET_EUlS5_E_EEvS7_RKSA_EUlibE_EEviT1_.has_indirect_call, 0
	.section	.AMDGPU.csdata,"",@progbits
; Kernel info:
; codeLenInByte = 13900
; TotalNumSgprs: 66
; NumVgprs: 26
; ScratchSize: 0
; MemoryBound: 0
; FloatMode: 240
; IeeeMode: 1
; LDSByteSize: 0 bytes/workgroup (compile time only)
; SGPRBlocks: 8
; VGPRBlocks: 6
; NumSGPRsForWavesPerEU: 66
; NumVGPRsForWavesPerEU: 26
; Occupancy: 9
; WaveLimiterHint : 1
; COMPUTE_PGM_RSRC2:SCRATCH_EN: 0
; COMPUTE_PGM_RSRC2:USER_SGPR: 6
; COMPUTE_PGM_RSRC2:TRAP_HANDLER: 0
; COMPUTE_PGM_RSRC2:TGID_X_EN: 1
; COMPUTE_PGM_RSRC2:TGID_Y_EN: 0
; COMPUTE_PGM_RSRC2:TGID_Z_EN: 0
; COMPUTE_PGM_RSRC2:TIDIG_COMP_CNT: 0
	.section	.text._ZN2at6native32elementwise_kernel_manual_unrollILi128ELi4EZNS0_15gpu_kernel_implIZNS0_21compare_scalar_kernelIN3c108BFloat16EEEvRNS_18TensorIteratorBaseENS0_12_GLOBAL__N_16OpTypeET_EUlS5_E_EEvS7_RKSA_EUlibE_EEviT1_,"axG",@progbits,_ZN2at6native32elementwise_kernel_manual_unrollILi128ELi4EZNS0_15gpu_kernel_implIZNS0_21compare_scalar_kernelIN3c108BFloat16EEEvRNS_18TensorIteratorBaseENS0_12_GLOBAL__N_16OpTypeET_EUlS5_E_EEvS7_RKSA_EUlibE_EEviT1_,comdat
	.globl	_ZN2at6native32elementwise_kernel_manual_unrollILi128ELi4EZNS0_15gpu_kernel_implIZNS0_21compare_scalar_kernelIN3c108BFloat16EEEvRNS_18TensorIteratorBaseENS0_12_GLOBAL__N_16OpTypeET_EUlS5_E_EEvS7_RKSA_EUlibE_EEviT1_ ; -- Begin function _ZN2at6native32elementwise_kernel_manual_unrollILi128ELi4EZNS0_15gpu_kernel_implIZNS0_21compare_scalar_kernelIN3c108BFloat16EEEvRNS_18TensorIteratorBaseENS0_12_GLOBAL__N_16OpTypeET_EUlS5_E_EEvS7_RKSA_EUlibE_EEviT1_
	.p2align	8
	.type	_ZN2at6native32elementwise_kernel_manual_unrollILi128ELi4EZNS0_15gpu_kernel_implIZNS0_21compare_scalar_kernelIN3c108BFloat16EEEvRNS_18TensorIteratorBaseENS0_12_GLOBAL__N_16OpTypeET_EUlS5_E_EEvS7_RKSA_EUlibE_EEviT1_,@function
_ZN2at6native32elementwise_kernel_manual_unrollILi128ELi4EZNS0_15gpu_kernel_implIZNS0_21compare_scalar_kernelIN3c108BFloat16EEEvRNS_18TensorIteratorBaseENS0_12_GLOBAL__N_16OpTypeET_EUlS5_E_EEvS7_RKSA_EUlibE_EEviT1_: ; @_ZN2at6native32elementwise_kernel_manual_unrollILi128ELi4EZNS0_15gpu_kernel_implIZNS0_21compare_scalar_kernelIN3c108BFloat16EEEvRNS_18TensorIteratorBaseENS0_12_GLOBAL__N_16OpTypeET_EUlS5_E_EEvS7_RKSA_EUlibE_EEviT1_
; %bb.0:
	s_load_dwordx2 s[2:3], s[4:5], 0x24
	s_load_dword s42, s[4:5], 0x0
	s_load_dwordx8 s[8:15], s[4:5], 0x8
	v_lshl_or_b32 v2, s6, 9, v0
	v_or_b32_e32 v0, 0x180, v2
	s_waitcnt lgkmcnt(0)
	s_and_b32 s2, s2, 0xffff
	s_bfe_u32 s15, s3, 0x80008
	v_cmp_le_i32_e32 vcc, s42, v0
	s_mov_b64 s[4:5], 0
	s_mov_b64 s[16:17], 0
	s_and_saveexec_b64 s[0:1], vcc
	s_xor_b64 s[6:7], exec, s[0:1]
	s_cbranch_execz .LBB134_1094
; %bb.1:
	s_lshl_b32 s33, s2, 16
	v_cmp_gt_i32_e32 vcc, s42, v2
	s_mov_b64 s[22:23], -1
	s_mov_b64 s[24:25], 0
	s_mov_b64 s[18:19], 0
	s_and_saveexec_b64 s[20:21], vcc
	s_cbranch_execz .LBB134_268
; %bb.2:
	v_mul_lo_u32 v0, v2, s13
	v_mov_b32_e32 v1, s11
	s_and_b32 s26, 0xffff, s15
	s_cmp_lt_i32 s26, 11
	v_ashrrev_i32_e32 v3, 31, v0
	v_add_co_u32_e32 v0, vcc, s10, v0
	v_addc_co_u32_e32 v1, vcc, v1, v3, vcc
	s_cbranch_scc1 .LBB134_9
; %bb.3:
	s_cmp_gt_i32 s26, 25
	s_cbranch_scc0 .LBB134_15
; %bb.4:
	s_cmp_gt_i32 s26, 28
	s_cbranch_scc0 .LBB134_17
	;; [unrolled: 3-line block ×4, first 2 shown]
; %bb.7:
	s_cmp_eq_u32 s26, 46
	s_cbranch_scc0 .LBB134_44
; %bb.8:
	global_load_dword v3, v[0:1], off
	s_mov_b64 s[0:1], -1
	s_branch .LBB134_46
.LBB134_9:
                                        ; implicit-def: $vgpr3
	s_mov_b64 s[0:1], 0
	s_cbranch_execnz .LBB134_219
.LBB134_10:
	s_andn2_b64 vcc, exec, s[0:1]
	s_cbranch_vccnz .LBB134_266
.LBB134_11:
	s_waitcnt vmcnt(0)
	v_lshlrev_b32_e32 v0, 16, v3
	s_cmp_lt_i32 s14, 1
	s_mov_b64 s[0:1], 0
	s_cbranch_scc1 .LBB134_16
; %bb.12:
	s_cmp_gt_i32 s14, 1
	s_cbranch_scc0 .LBB134_18
; %bb.13:
	s_cmp_eq_u32 s14, 2
	s_cbranch_scc0 .LBB134_20
; %bb.14:
	v_cmp_ge_f32_e64 s[16:17], s33, v0
	s_mov_b64 s[22:23], 0
	s_branch .LBB134_21
.LBB134_15:
	s_mov_b64 s[0:1], 0
                                        ; implicit-def: $vgpr3
	s_cbranch_execnz .LBB134_184
	s_branch .LBB134_218
.LBB134_16:
                                        ; implicit-def: $sgpr16_sgpr17
	s_mov_b64 s[22:23], 0
	s_cbranch_execnz .LBB134_25
	s_branch .LBB134_26
.LBB134_17:
	s_mov_b64 s[16:17], -1
	s_mov_b64 s[0:1], 0
                                        ; implicit-def: $vgpr3
	s_branch .LBB134_165
.LBB134_18:
	s_mov_b64 s[26:27], -1
	s_mov_b64 s[22:23], 0
                                        ; implicit-def: $sgpr16_sgpr17
	s_branch .LBB134_22
.LBB134_19:
	s_mov_b64 s[16:17], -1
	s_mov_b64 s[0:1], 0
                                        ; implicit-def: $vgpr3
	s_branch .LBB134_160
.LBB134_20:
	s_mov_b64 s[22:23], -1
                                        ; implicit-def: $sgpr16_sgpr17
.LBB134_21:
	s_mov_b64 s[26:27], 0
.LBB134_22:
	s_and_b64 vcc, exec, s[26:27]
	s_cbranch_vccz .LBB134_24
; %bb.23:
	v_cmp_lt_f32_e32 vcc, s33, v0
	s_andn2_b64 s[16:17], s[16:17], exec
	s_and_b64 s[26:27], vcc, exec
	s_or_b64 s[16:17], s[16:17], s[26:27]
.LBB134_24:
	s_branch .LBB134_26
.LBB134_25:
	s_cmp_lg_u32 s14, 0
	s_mov_b64 s[0:1], -1
	s_cselect_b64 s[22:23], -1, 0
.LBB134_26:
	s_andn2_b64 vcc, exec, s[22:23]
	s_cbranch_vccnz .LBB134_28
; %bb.27:
	v_cmp_gt_f32_e32 vcc, s33, v0
	s_andn2_b64 s[16:17], s[16:17], exec
	s_and_b64 s[22:23], vcc, exec
	s_or_b64 s[16:17], s[16:17], s[22:23]
	s_cbranch_execz .LBB134_29
	s_branch .LBB134_30
.LBB134_28:
	s_andn2_b64 vcc, exec, s[0:1]
	s_cbranch_vccnz .LBB134_30
.LBB134_29:
	v_cmp_le_f32_e32 vcc, s33, v0
	s_andn2_b64 s[0:1], s[16:17], exec
	s_and_b64 s[16:17], vcc, exec
	s_or_b64 s[16:17], s[0:1], s[16:17]
.LBB134_30:
	v_mul_lo_u32 v0, v2, s12
	v_mov_b32_e32 v1, s9
	s_and_b32 s30, s3, 0xff
	s_cmp_lt_i32 s30, 11
	v_ashrrev_i32_e32 v3, 31, v0
	v_add_co_u32_e32 v0, vcc, s8, v0
	v_addc_co_u32_e32 v1, vcc, v1, v3, vcc
	s_cbranch_scc1 .LBB134_37
; %bb.31:
	s_and_b32 s31, 0xffff, s30
	s_cmp_gt_i32 s31, 25
	s_cbranch_scc0 .LBB134_40
; %bb.32:
	s_cmp_gt_i32 s31, 28
	s_cbranch_scc0 .LBB134_41
; %bb.33:
	;; [unrolled: 3-line block ×4, first 2 shown]
	s_mov_b64 s[26:27], 0
	s_mov_b64 s[0:1], -1
	s_cmp_eq_u32 s31, 46
	s_mov_b64 s[22:23], 0
	s_cbranch_scc0 .LBB134_50
; %bb.36:
	v_cndmask_b32_e64 v3, 0, 1.0, s[16:17]
	v_bfe_u32 v4, v3, 16, 1
	s_movk_i32 s0, 0x7fff
	v_add3_u32 v3, v3, v4, s0
	v_lshrrev_b32_e32 v3, 16, v3
	global_store_dword v[0:1], v3, off
	s_mov_b64 s[22:23], -1
	s_mov_b64 s[0:1], 0
	s_branch .LBB134_50
.LBB134_37:
	s_mov_b64 s[0:1], 0
	s_mov_b64 s[22:23], 0
	s_cbranch_execnz .LBB134_119
.LBB134_38:
	s_andn2_b64 vcc, exec, s[22:23]
	s_cbranch_vccnz .LBB134_157
.LBB134_39:
	v_add_u32_e32 v2, 0x80, v2
	s_mov_b64 s[22:23], -1
	s_branch .LBB134_267
.LBB134_40:
	s_mov_b64 s[26:27], -1
	s_mov_b64 s[0:1], 0
	s_mov_b64 s[22:23], 0
	s_branch .LBB134_77
.LBB134_41:
	s_mov_b64 s[26:27], -1
	s_mov_b64 s[0:1], 0
	s_mov_b64 s[22:23], 0
	s_branch .LBB134_60
.LBB134_42:
	s_mov_b64 s[16:17], -1
	s_branch .LBB134_45
.LBB134_43:
	s_mov_b64 s[26:27], -1
	s_mov_b64 s[0:1], 0
	s_mov_b64 s[22:23], 0
	s_branch .LBB134_56
.LBB134_44:
	s_mov_b64 s[18:19], -1
.LBB134_45:
	s_mov_b64 s[0:1], 0
                                        ; implicit-def: $vgpr3
.LBB134_46:
	s_and_b64 vcc, exec, s[16:17]
	s_cbranch_vccz .LBB134_159
; %bb.47:
	s_cmp_eq_u32 s26, 44
	s_cbranch_scc0 .LBB134_158
; %bb.48:
	global_load_ubyte v3, v[0:1], off
	s_movk_i32 s16, 0xff
	v_mov_b32_e32 v4, 0x7f800001
	v_mov_b32_e32 v5, 0x400000
	;; [unrolled: 1-line block ×3, first 2 shown]
	s_mov_b64 s[0:1], -1
	s_mov_b64 s[18:19], 0
	s_waitcnt vmcnt(0)
	v_lshlrev_b32_e32 v7, 23, v3
	v_cmp_ne_u32_e32 vcc, s16, v3
	v_cndmask_b32_e32 v4, v4, v7, vcc
	v_cmp_ne_u32_e32 vcc, 0, v3
	v_cndmask_b32_e32 v3, v5, v4, vcc
	v_add_u32_e32 v4, 0x7fff, v3
	v_cmp_o_f32_e32 vcc, v3, v3
	v_cndmask_b32_sdwa v3, v6, v4, vcc dst_sel:DWORD dst_unused:UNUSED_PAD src0_sel:DWORD src1_sel:WORD_1
	s_branch .LBB134_159
.LBB134_49:
	s_mov_b64 s[26:27], -1
	s_mov_b64 s[0:1], 0
	s_mov_b64 s[22:23], 0
.LBB134_50:
	s_and_b64 vcc, exec, s[26:27]
	s_cbranch_vccz .LBB134_55
; %bb.51:
	s_cmp_eq_u32 s31, 44
	s_mov_b64 s[0:1], -1
	s_cbranch_scc0 .LBB134_55
; %bb.52:
	v_cndmask_b32_e64 v4, 0, 1.0, s[16:17]
	v_lshrrev_b32_e32 v3, 23, v4
	s_movk_i32 s0, 0xff
	v_cmp_ne_u32_e32 vcc, s0, v3
	v_mov_b32_e32 v5, 0xff
	s_and_saveexec_b64 s[22:23], vcc
; %bb.53:
	s_mov_b32 s0, 0x3fffff
	v_and_b32_e32 v5, 0x400000, v4
	v_and_or_b32 v4, v4, s0, v3
	v_cmp_ne_u32_e32 vcc, 0, v5
	v_cmp_ne_u32_e64 s[0:1], 0, v4
	s_and_b64 s[0:1], vcc, s[0:1]
	v_cndmask_b32_e64 v4, 0, 1, s[0:1]
	v_add_u32_e32 v5, v3, v4
; %bb.54:
	s_or_b64 exec, exec, s[22:23]
	s_mov_b64 s[22:23], -1
	s_mov_b64 s[0:1], 0
	global_store_byte v[0:1], v5, off
.LBB134_55:
	s_mov_b64 s[26:27], 0
.LBB134_56:
	s_and_b64 vcc, exec, s[26:27]
	s_cbranch_vccz .LBB134_59
; %bb.57:
	s_cmp_eq_u32 s31, 29
	s_mov_b64 s[0:1], -1
	s_cbranch_scc0 .LBB134_59
; %bb.58:
	s_mov_b32 s0, 0
	v_cndmask_b32_e64 v3, 0, 1, s[16:17]
	v_mov_b32_e32 v4, s0
	global_store_dwordx2 v[0:1], v[3:4], off
	s_mov_b64 s[22:23], -1
	s_mov_b64 s[0:1], 0
.LBB134_59:
	s_mov_b64 s[26:27], 0
.LBB134_60:
	s_and_b64 vcc, exec, s[26:27]
	s_cbranch_vccz .LBB134_76
; %bb.61:
	s_cmp_lt_i32 s31, 27
	s_mov_b64 s[22:23], -1
	s_cbranch_scc1 .LBB134_67
; %bb.62:
	s_cmp_gt_i32 s31, 27
	s_cbranch_scc0 .LBB134_64
; %bb.63:
	v_cndmask_b32_e64 v3, 0, 1, s[16:17]
	s_mov_b64 s[22:23], 0
	global_store_dword v[0:1], v3, off
.LBB134_64:
	s_andn2_b64 vcc, exec, s[22:23]
	s_cbranch_vccnz .LBB134_66
; %bb.65:
	v_cndmask_b32_e64 v3, 0, 1, s[16:17]
	global_store_short v[0:1], v3, off
.LBB134_66:
	s_mov_b64 s[22:23], 0
.LBB134_67:
	s_andn2_b64 vcc, exec, s[22:23]
	s_cbranch_vccnz .LBB134_75
; %bb.68:
	v_cndmask_b32_e64 v4, 0, 1.0, s[16:17]
	s_mov_b32 s22, 0x43800000
	v_cmp_gt_u32_e32 vcc, s22, v4
	v_mov_b32_e32 v5, 0x80
	s_and_saveexec_b64 s[22:23], vcc
	s_cbranch_execz .LBB134_74
; %bb.69:
	s_mov_b32 s26, 0x3bffffff
	v_cmp_lt_u32_e32 vcc, s26, v4
	s_mov_b64 s[26:27], 0
                                        ; implicit-def: $vgpr3
	s_and_saveexec_b64 s[28:29], vcc
	s_xor_b64 s[28:29], exec, s[28:29]
	s_cbranch_execz .LBB134_311
; %bb.70:
	v_bfe_u32 v3, v4, 20, 1
	s_mov_b32 s34, 0x487ffff
	v_add3_u32 v3, v4, v3, s34
	s_mov_b64 s[26:27], exec
	v_lshrrev_b32_e32 v3, 20, v3
                                        ; implicit-def: $vgpr4
	s_andn2_saveexec_b64 s[28:29], s[28:29]
	s_cbranch_execnz .LBB134_312
.LBB134_71:
	s_or_b64 exec, exec, s[28:29]
	v_mov_b32_e32 v5, 0
	s_and_saveexec_b64 s[28:29], s[26:27]
.LBB134_72:
	v_mov_b32_e32 v5, v3
.LBB134_73:
	s_or_b64 exec, exec, s[28:29]
.LBB134_74:
	s_or_b64 exec, exec, s[22:23]
	global_store_byte v[0:1], v5, off
.LBB134_75:
	s_mov_b64 s[22:23], -1
.LBB134_76:
	s_mov_b64 s[26:27], 0
.LBB134_77:
	s_and_b64 vcc, exec, s[26:27]
	s_cbranch_vccz .LBB134_118
; %bb.78:
	s_cmp_gt_i32 s31, 22
	s_mov_b64 s[26:27], -1
	s_cbranch_scc0 .LBB134_110
; %bb.79:
	s_cmp_lt_i32 s31, 24
	s_mov_b64 s[22:23], -1
	s_cbranch_scc1 .LBB134_99
; %bb.80:
	s_cmp_gt_i32 s31, 24
	s_cbranch_scc0 .LBB134_88
; %bb.81:
	v_cndmask_b32_e64 v4, 0, 1.0, s[16:17]
	s_mov_b32 s22, 0x47800000
	v_cmp_gt_u32_e32 vcc, s22, v4
	v_mov_b32_e32 v5, 0x80
	s_and_saveexec_b64 s[22:23], vcc
	s_cbranch_execz .LBB134_87
; %bb.82:
	s_mov_b32 s26, 0x37ffffff
	v_cmp_lt_u32_e32 vcc, s26, v4
	s_mov_b64 s[26:27], 0
                                        ; implicit-def: $vgpr3
	s_and_saveexec_b64 s[28:29], vcc
	s_xor_b64 s[28:29], exec, s[28:29]
	s_cbranch_execz .LBB134_315
; %bb.83:
	v_bfe_u32 v3, v4, 21, 1
	s_mov_b32 s34, 0x88fffff
	v_add3_u32 v3, v4, v3, s34
	s_mov_b64 s[26:27], exec
	v_lshrrev_b32_e32 v3, 21, v3
                                        ; implicit-def: $vgpr4
	s_andn2_saveexec_b64 s[28:29], s[28:29]
	s_cbranch_execnz .LBB134_316
.LBB134_84:
	s_or_b64 exec, exec, s[28:29]
	v_mov_b32_e32 v5, 0
	s_and_saveexec_b64 s[28:29], s[26:27]
.LBB134_85:
	v_mov_b32_e32 v5, v3
.LBB134_86:
	s_or_b64 exec, exec, s[28:29]
.LBB134_87:
	s_or_b64 exec, exec, s[22:23]
	s_mov_b64 s[22:23], 0
	global_store_byte v[0:1], v5, off
.LBB134_88:
	s_and_b64 vcc, exec, s[22:23]
	s_cbranch_vccz .LBB134_98
; %bb.89:
	v_cndmask_b32_e64 v3, 0, 1.0, s[16:17]
	s_mov_b32 s22, 0x43f00000
	v_cmp_gt_u32_e32 vcc, s22, v3
                                        ; implicit-def: $vgpr4
	s_and_saveexec_b64 s[22:23], vcc
	s_xor_b64 s[22:23], exec, s[22:23]
	s_cbranch_execz .LBB134_95
; %bb.90:
	s_mov_b32 s26, 0x3c7fffff
	v_cmp_lt_u32_e32 vcc, s26, v3
                                        ; implicit-def: $vgpr4
	s_and_saveexec_b64 s[26:27], vcc
	s_xor_b64 s[26:27], exec, s[26:27]
; %bb.91:
	v_bfe_u32 v4, v3, 20, 1
	s_mov_b32 s28, 0x407ffff
	v_add3_u32 v3, v3, v4, s28
	v_lshrrev_b32_e32 v4, 20, v3
	v_and_b32_e32 v3, 0xff00000, v3
	s_mov_b32 s28, 0x7f00000
	v_mov_b32_e32 v5, 0x7e
	v_cmp_ne_u32_e32 vcc, s28, v3
	v_cndmask_b32_e32 v4, v5, v4, vcc
                                        ; implicit-def: $vgpr3
; %bb.92:
	s_andn2_saveexec_b64 s[26:27], s[26:27]
; %bb.93:
	v_add_f32_e32 v4, 0x46800000, v3
; %bb.94:
	s_or_b64 exec, exec, s[26:27]
                                        ; implicit-def: $vgpr3
.LBB134_95:
	s_andn2_saveexec_b64 s[22:23], s[22:23]
; %bb.96:
	s_mov_b32 s26, 0x7f800000
	v_mov_b32_e32 v4, 0x7e
	v_mov_b32_e32 v5, 0x7f
	v_cmp_lt_u32_e32 vcc, s26, v3
	v_cndmask_b32_e32 v4, v4, v5, vcc
; %bb.97:
	s_or_b64 exec, exec, s[22:23]
	global_store_byte v[0:1], v4, off
.LBB134_98:
	s_mov_b64 s[22:23], 0
.LBB134_99:
	s_andn2_b64 vcc, exec, s[22:23]
	s_cbranch_vccnz .LBB134_109
; %bb.100:
	v_cndmask_b32_e64 v3, 0, 1.0, s[16:17]
	s_mov_b32 s22, 0x47800000
	v_cmp_gt_u32_e32 vcc, s22, v3
                                        ; implicit-def: $vgpr4
	s_and_saveexec_b64 s[22:23], vcc
	s_xor_b64 s[22:23], exec, s[22:23]
	s_cbranch_execz .LBB134_106
; %bb.101:
	s_mov_b32 s26, 0x387fffff
	v_cmp_lt_u32_e32 vcc, s26, v3
                                        ; implicit-def: $vgpr4
	s_and_saveexec_b64 s[26:27], vcc
	s_xor_b64 s[26:27], exec, s[26:27]
; %bb.102:
	v_bfe_u32 v4, v3, 21, 1
	s_mov_b32 s28, 0x80fffff
	v_add3_u32 v3, v3, v4, s28
	v_lshrrev_b32_e32 v4, 21, v3
                                        ; implicit-def: $vgpr3
; %bb.103:
	s_andn2_saveexec_b64 s[26:27], s[26:27]
; %bb.104:
	v_add_f32_e32 v4, 0x43000000, v3
; %bb.105:
	s_or_b64 exec, exec, s[26:27]
                                        ; implicit-def: $vgpr3
.LBB134_106:
	s_andn2_saveexec_b64 s[22:23], s[22:23]
; %bb.107:
	s_mov_b32 s26, 0x7f800000
	v_mov_b32_e32 v4, 0x7c
	v_mov_b32_e32 v5, 0x7f
	v_cmp_lt_u32_e32 vcc, s26, v3
	v_cndmask_b32_e32 v4, v4, v5, vcc
; %bb.108:
	s_or_b64 exec, exec, s[22:23]
	global_store_byte v[0:1], v4, off
.LBB134_109:
	s_mov_b64 s[26:27], 0
	s_mov_b64 s[22:23], -1
.LBB134_110:
	s_andn2_b64 vcc, exec, s[26:27]
	s_cbranch_vccnz .LBB134_118
; %bb.111:
	s_cmp_gt_i32 s31, 14
	s_mov_b64 s[26:27], -1
	s_cbranch_scc0 .LBB134_115
; %bb.112:
	s_cmp_eq_u32 s31, 15
	s_mov_b64 s[0:1], -1
	s_cbranch_scc0 .LBB134_114
; %bb.113:
	v_cndmask_b32_e64 v3, 0, 1.0, s[16:17]
	v_bfe_u32 v4, v3, 16, 1
	s_movk_i32 s0, 0x7fff
	v_add3_u32 v3, v3, v4, s0
	global_store_short_d16_hi v[0:1], v3, off
	s_mov_b64 s[22:23], -1
	s_mov_b64 s[0:1], 0
.LBB134_114:
	s_mov_b64 s[26:27], 0
.LBB134_115:
	s_and_b64 vcc, exec, s[26:27]
	s_cbranch_vccz .LBB134_118
; %bb.116:
	s_cmp_eq_u32 s31, 11
	s_mov_b64 s[0:1], -1
	s_cbranch_scc0 .LBB134_118
; %bb.117:
	v_cndmask_b32_e64 v3, 0, 1, s[16:17]
	s_mov_b64 s[22:23], -1
	s_mov_b64 s[0:1], 0
	global_store_byte v[0:1], v3, off
.LBB134_118:
	s_branch .LBB134_38
.LBB134_119:
	s_and_b32 s26, 0xffff, s30
	s_cmp_lt_i32 s26, 5
	s_mov_b64 s[22:23], -1
	s_cbranch_scc1 .LBB134_140
; %bb.120:
	s_cmp_lt_i32 s26, 8
	s_cbranch_scc1 .LBB134_130
; %bb.121:
	s_cmp_lt_i32 s26, 9
	s_cbranch_scc1 .LBB134_127
; %bb.122:
	s_cmp_gt_i32 s26, 9
	s_cbranch_scc0 .LBB134_124
; %bb.123:
	v_cndmask_b32_e64 v3, 0, 1, s[16:17]
	v_cvt_f64_u32_e32 v[3:4], v3
	v_mov_b32_e32 v5, 0
	v_mov_b32_e32 v6, v5
	s_mov_b64 s[22:23], 0
	global_store_dwordx4 v[0:1], v[3:6], off
.LBB134_124:
	s_andn2_b64 vcc, exec, s[22:23]
	s_cbranch_vccnz .LBB134_126
; %bb.125:
	v_cndmask_b32_e64 v3, 0, 1.0, s[16:17]
	v_mov_b32_e32 v4, 0
	global_store_dwordx2 v[0:1], v[3:4], off
.LBB134_126:
	s_mov_b64 s[22:23], 0
.LBB134_127:
	s_andn2_b64 vcc, exec, s[22:23]
	s_cbranch_vccnz .LBB134_129
; %bb.128:
	v_cndmask_b32_e64 v3, 0, 1.0, s[16:17]
	v_cvt_f16_f32_e32 v3, v3
	global_store_dword v[0:1], v3, off
.LBB134_129:
	s_mov_b64 s[22:23], 0
.LBB134_130:
	s_andn2_b64 vcc, exec, s[22:23]
	s_cbranch_vccnz .LBB134_139
; %bb.131:
	s_cmp_lt_i32 s26, 6
	s_mov_b64 s[22:23], -1
	s_cbranch_scc1 .LBB134_137
; %bb.132:
	s_cmp_gt_i32 s26, 6
	s_cbranch_scc0 .LBB134_134
; %bb.133:
	v_cndmask_b32_e64 v3, 0, 1, s[16:17]
	v_cvt_f64_u32_e32 v[3:4], v3
	s_mov_b64 s[22:23], 0
	global_store_dwordx2 v[0:1], v[3:4], off
.LBB134_134:
	s_andn2_b64 vcc, exec, s[22:23]
	s_cbranch_vccnz .LBB134_136
; %bb.135:
	v_cndmask_b32_e64 v3, 0, 1.0, s[16:17]
	global_store_dword v[0:1], v3, off
.LBB134_136:
	s_mov_b64 s[22:23], 0
.LBB134_137:
	s_andn2_b64 vcc, exec, s[22:23]
	s_cbranch_vccnz .LBB134_139
; %bb.138:
	v_cndmask_b32_e64 v3, 0, 1.0, s[16:17]
	v_cvt_f16_f32_e32 v3, v3
	global_store_short v[0:1], v3, off
.LBB134_139:
	s_mov_b64 s[22:23], 0
.LBB134_140:
	s_andn2_b64 vcc, exec, s[22:23]
	s_cbranch_vccnz .LBB134_156
; %bb.141:
	s_cmp_lt_i32 s26, 2
	s_mov_b64 s[22:23], -1
	s_cbranch_scc1 .LBB134_151
; %bb.142:
	s_cmp_lt_i32 s26, 3
	s_cbranch_scc1 .LBB134_148
; %bb.143:
	s_cmp_gt_i32 s26, 3
	s_cbranch_scc0 .LBB134_145
; %bb.144:
	s_mov_b32 s22, 0
	v_cndmask_b32_e64 v3, 0, 1, s[16:17]
	v_mov_b32_e32 v4, s22
	global_store_dwordx2 v[0:1], v[3:4], off
	s_mov_b64 s[22:23], 0
.LBB134_145:
	s_andn2_b64 vcc, exec, s[22:23]
	s_cbranch_vccnz .LBB134_147
; %bb.146:
	v_cndmask_b32_e64 v3, 0, 1, s[16:17]
	global_store_dword v[0:1], v3, off
.LBB134_147:
	s_mov_b64 s[22:23], 0
.LBB134_148:
	s_andn2_b64 vcc, exec, s[22:23]
	s_cbranch_vccnz .LBB134_150
; %bb.149:
	v_cndmask_b32_e64 v3, 0, 1, s[16:17]
	global_store_short v[0:1], v3, off
.LBB134_150:
	s_mov_b64 s[22:23], 0
.LBB134_151:
	s_andn2_b64 vcc, exec, s[22:23]
	s_cbranch_vccnz .LBB134_156
; %bb.152:
	s_mov_b64 s[22:23], -1
	s_cmp_gt_i32 s26, 0
	v_cndmask_b32_e64 v3, 0, 1, s[16:17]
	s_cbranch_scc0 .LBB134_154
; %bb.153:
	global_store_byte v[0:1], v3, off
	s_mov_b64 s[22:23], 0
.LBB134_154:
	s_andn2_b64 vcc, exec, s[22:23]
	s_cbranch_vccnz .LBB134_156
; %bb.155:
	global_store_byte v[0:1], v3, off
.LBB134_156:
	s_branch .LBB134_39
.LBB134_157:
	s_mov_b64 s[22:23], 0
                                        ; implicit-def: $vgpr2
	s_branch .LBB134_267
.LBB134_158:
	s_mov_b64 s[18:19], -1
                                        ; implicit-def: $vgpr3
.LBB134_159:
	s_mov_b64 s[16:17], 0
.LBB134_160:
	s_and_b64 vcc, exec, s[16:17]
	s_cbranch_vccz .LBB134_164
; %bb.161:
	s_cmp_eq_u32 s26, 29
	s_cbranch_scc0 .LBB134_163
; %bb.162:
	global_load_dwordx2 v[3:4], v[0:1], off
	s_movk_i32 s16, 0x7fff
	s_mov_b64 s[0:1], -1
	s_mov_b64 s[18:19], 0
	s_waitcnt vmcnt(0)
	v_ffbh_u32_e32 v5, v4
	v_min_u32_e32 v5, 32, v5
	v_lshlrev_b64 v[3:4], v5, v[3:4]
	v_min_u32_e32 v3, 1, v3
	v_or_b32_e32 v3, v4, v3
	v_cvt_f32_u32_e32 v3, v3
	v_sub_u32_e32 v4, 32, v5
	v_ldexp_f32 v3, v3, v4
	v_bfe_u32 v4, v3, 16, 1
	v_add3_u32 v3, v3, v4, s16
	v_lshrrev_b32_e32 v3, 16, v3
	s_branch .LBB134_164
.LBB134_163:
	s_mov_b64 s[18:19], -1
                                        ; implicit-def: $vgpr3
.LBB134_164:
	s_mov_b64 s[16:17], 0
.LBB134_165:
	s_and_b64 vcc, exec, s[16:17]
	s_cbranch_vccz .LBB134_183
; %bb.166:
	s_cmp_lt_i32 s26, 27
	s_cbranch_scc1 .LBB134_169
; %bb.167:
	s_cmp_gt_i32 s26, 27
	s_cbranch_scc0 .LBB134_170
; %bb.168:
	global_load_dword v3, v[0:1], off
	s_movk_i32 s0, 0x7fff
	s_waitcnt vmcnt(0)
	v_cvt_f32_u32_e32 v3, v3
	v_bfe_u32 v4, v3, 16, 1
	v_add3_u32 v3, v3, v4, s0
	v_lshrrev_b32_e32 v3, 16, v3
	s_mov_b64 s[0:1], 0
	s_branch .LBB134_171
.LBB134_169:
	s_mov_b64 s[0:1], -1
                                        ; implicit-def: $vgpr3
	s_branch .LBB134_174
.LBB134_170:
	s_mov_b64 s[0:1], -1
                                        ; implicit-def: $vgpr3
.LBB134_171:
	s_andn2_b64 vcc, exec, s[0:1]
	s_cbranch_vccnz .LBB134_173
; %bb.172:
	global_load_ushort v3, v[0:1], off
	s_movk_i32 s0, 0x7fff
	s_waitcnt vmcnt(0)
	v_cvt_f32_u32_e32 v3, v3
	v_bfe_u32 v4, v3, 16, 1
	v_add3_u32 v3, v3, v4, s0
	v_lshrrev_b32_e32 v3, 16, v3
.LBB134_173:
	s_mov_b64 s[0:1], 0
.LBB134_174:
	s_andn2_b64 vcc, exec, s[0:1]
	s_cbranch_vccnz .LBB134_182
; %bb.175:
	global_load_ubyte v3, v[0:1], off
	s_movk_i32 s0, 0x7f
	s_waitcnt vmcnt(0)
	v_cmp_lt_i16_e32 vcc, s0, v3
	s_mov_b64 s[0:1], 0
	s_and_saveexec_b64 s[16:17], vcc
	s_xor_b64 s[16:17], exec, s[16:17]
	s_cbranch_execz .LBB134_195
; %bb.176:
	s_movk_i32 s0, 0x80
	v_cmp_eq_u16_e32 vcc, s0, v3
	s_mov_b64 s[0:1], -1
	s_and_saveexec_b64 s[22:23], vcc
; %bb.177:
	s_xor_b64 s[0:1], exec, -1
; %bb.178:
	s_or_b64 exec, exec, s[22:23]
	s_and_b64 s[0:1], s[0:1], exec
	s_or_saveexec_b64 s[16:17], s[16:17]
	v_mov_b32_e32 v4, 0x7f800001
	s_xor_b64 exec, exec, s[16:17]
	s_cbranch_execnz .LBB134_196
.LBB134_179:
	s_or_b64 exec, exec, s[16:17]
	s_and_saveexec_b64 s[16:17], s[0:1]
	s_cbranch_execz .LBB134_181
.LBB134_180:
	v_lshlrev_b32_e32 v4, 24, v3
	v_and_b32_e32 v3, 0xffff, v3
	v_and_b32_e32 v5, 7, v3
	v_ffbh_u32_e32 v7, v5
	v_min_u32_e32 v7, 32, v7
	v_subrev_u32_e32 v8, 28, v7
	v_bfe_u32 v6, v3, 3, 4
	v_lshlrev_b32_e32 v3, v8, v3
	v_sub_u32_e32 v7, 29, v7
	v_and_b32_e32 v3, 7, v3
	v_cmp_eq_u32_e32 vcc, 0, v6
	v_cndmask_b32_e32 v6, v6, v7, vcc
	v_cndmask_b32_e32 v3, v5, v3, vcc
	v_mov_b32_e32 v5, 0x3b800000
	v_lshlrev_b32_e32 v3, 20, v3
	v_and_b32_e32 v4, 0x80000000, v4
	v_lshl_add_u32 v5, v6, 23, v5
	v_or3_b32 v4, v4, v5, v3
.LBB134_181:
	s_or_b64 exec, exec, s[16:17]
	v_bfe_u32 v3, v4, 16, 1
	s_movk_i32 s0, 0x7fff
	v_add3_u32 v3, v4, v3, s0
	v_cmp_o_f32_e32 vcc, v4, v4
	v_mov_b32_e32 v4, 0x7fc0
	v_cndmask_b32_sdwa v3, v4, v3, vcc dst_sel:DWORD dst_unused:UNUSED_PAD src0_sel:DWORD src1_sel:WORD_1
.LBB134_182:
	s_mov_b64 s[0:1], -1
.LBB134_183:
	s_branch .LBB134_218
.LBB134_184:
	s_cmp_gt_i32 s26, 22
	s_cbranch_scc0 .LBB134_194
; %bb.185:
	s_cmp_lt_i32 s26, 24
	s_cbranch_scc1 .LBB134_197
; %bb.186:
	s_cmp_gt_i32 s26, 24
	s_cbranch_scc0 .LBB134_198
; %bb.187:
	global_load_ubyte v3, v[0:1], off
	s_movk_i32 s0, 0x7f
	s_waitcnt vmcnt(0)
	v_cmp_lt_i16_e32 vcc, s0, v3
	s_mov_b64 s[0:1], 0
	s_and_saveexec_b64 s[16:17], vcc
	s_xor_b64 s[16:17], exec, s[16:17]
	s_cbranch_execz .LBB134_210
; %bb.188:
	s_movk_i32 s0, 0x80
	v_cmp_eq_u16_e32 vcc, s0, v3
	s_mov_b64 s[0:1], -1
	s_and_saveexec_b64 s[22:23], vcc
; %bb.189:
	s_xor_b64 s[0:1], exec, -1
; %bb.190:
	s_or_b64 exec, exec, s[22:23]
	s_and_b64 s[0:1], s[0:1], exec
	s_or_saveexec_b64 s[16:17], s[16:17]
	v_mov_b32_e32 v4, 0x7f800001
	s_xor_b64 exec, exec, s[16:17]
	s_cbranch_execnz .LBB134_211
.LBB134_191:
	s_or_b64 exec, exec, s[16:17]
	s_and_saveexec_b64 s[16:17], s[0:1]
	s_cbranch_execz .LBB134_193
.LBB134_192:
	v_lshlrev_b32_e32 v4, 24, v3
	v_and_b32_e32 v3, 0xffff, v3
	v_and_b32_e32 v5, 3, v3
	v_ffbh_u32_e32 v7, v5
	v_min_u32_e32 v7, 32, v7
	v_subrev_u32_e32 v8, 29, v7
	v_bfe_u32 v6, v3, 2, 5
	v_lshlrev_b32_e32 v3, v8, v3
	v_sub_u32_e32 v7, 30, v7
	v_and_b32_e32 v3, 3, v3
	v_cmp_eq_u32_e32 vcc, 0, v6
	v_cndmask_b32_e32 v6, v6, v7, vcc
	v_cndmask_b32_e32 v3, v5, v3, vcc
	v_mov_b32_e32 v5, 0x37800000
	v_lshlrev_b32_e32 v3, 21, v3
	v_and_b32_e32 v4, 0x80000000, v4
	v_lshl_add_u32 v5, v6, 23, v5
	v_or3_b32 v4, v4, v5, v3
.LBB134_193:
	s_or_b64 exec, exec, s[16:17]
	v_bfe_u32 v3, v4, 16, 1
	s_movk_i32 s0, 0x7fff
	v_add3_u32 v3, v4, v3, s0
	v_cmp_o_f32_e32 vcc, v4, v4
	v_mov_b32_e32 v4, 0x7fc0
	v_cndmask_b32_sdwa v3, v4, v3, vcc dst_sel:DWORD dst_unused:UNUSED_PAD src0_sel:DWORD src1_sel:WORD_1
	s_mov_b64 s[0:1], 0
	s_branch .LBB134_199
.LBB134_194:
	s_mov_b64 s[16:17], -1
                                        ; implicit-def: $vgpr3
	s_branch .LBB134_205
.LBB134_195:
	s_or_saveexec_b64 s[16:17], s[16:17]
	v_mov_b32_e32 v4, 0x7f800001
	s_xor_b64 exec, exec, s[16:17]
	s_cbranch_execz .LBB134_179
.LBB134_196:
	v_cmp_ne_u16_e32 vcc, 0, v3
	s_andn2_b64 s[0:1], s[0:1], exec
	s_and_b64 s[22:23], vcc, exec
	v_mov_b32_e32 v4, 0
	s_or_b64 s[0:1], s[0:1], s[22:23]
	s_or_b64 exec, exec, s[16:17]
	s_and_saveexec_b64 s[16:17], s[0:1]
	s_cbranch_execnz .LBB134_180
	s_branch .LBB134_181
.LBB134_197:
	s_mov_b64 s[0:1], -1
                                        ; implicit-def: $vgpr3
	s_branch .LBB134_202
.LBB134_198:
	s_mov_b64 s[0:1], -1
                                        ; implicit-def: $vgpr3
.LBB134_199:
	s_and_b64 vcc, exec, s[0:1]
	s_cbranch_vccz .LBB134_201
; %bb.200:
	global_load_ubyte v3, v[0:1], off
	s_mov_b32 s0, 0x7f800000
	s_brev_b32 s1, 1
	s_movk_i32 s16, 0x7fff
	s_waitcnt vmcnt(0)
	v_lshlrev_b32_e32 v3, 24, v3
	v_and_b32_e32 v4, 0x7f000000, v3
	v_ffbh_u32_e32 v5, v4
	v_min_u32_e32 v5, 32, v5
	v_sub_u32_e64 v5, v5, 4 clamp
	v_lshlrev_b32_e32 v7, v5, v4
	v_lshlrev_b32_e32 v5, 23, v5
	v_lshrrev_b32_e32 v7, 4, v7
	v_add_u32_e32 v6, 0x1000000, v4
	v_sub_u32_e32 v5, v7, v5
	v_ashrrev_i32_e32 v6, 8, v6
	v_add_u32_e32 v5, 0x3c000000, v5
	v_and_or_b32 v5, v6, s0, v5
	v_cmp_ne_u32_e32 vcc, 0, v4
	v_cndmask_b32_e32 v4, 0, v5, vcc
	v_and_or_b32 v3, v3, s1, v4
	v_bfe_u32 v4, v4, 16, 1
	v_add3_u32 v4, v3, v4, s16
	v_cmp_o_f32_e32 vcc, v3, v3
	v_mov_b32_e32 v3, 0x7fc0
	v_cndmask_b32_sdwa v3, v3, v4, vcc dst_sel:DWORD dst_unused:UNUSED_PAD src0_sel:DWORD src1_sel:WORD_1
.LBB134_201:
	s_mov_b64 s[0:1], 0
.LBB134_202:
	s_andn2_b64 vcc, exec, s[0:1]
	s_cbranch_vccnz .LBB134_204
; %bb.203:
	global_load_ubyte v3, v[0:1], off
	s_movk_i32 s0, 0x7f00
	s_brev_b32 s1, 16
	s_brev_b32 s16, 1
	s_movk_i32 s17, 0x7fff
	s_waitcnt vmcnt(0)
	v_lshlrev_b16_e32 v4, 8, v3
	v_lshlrev_b32_e32 v3, 25, v3
	v_lshrrev_b32_e32 v5, 4, v3
	v_and_or_b32 v6, v4, s0, 0.5
	v_or_b32_e32 v5, 0x70000000, v5
	v_add_f32_e32 v6, -0.5, v6
	v_mul_f32_e32 v5, 0x7800000, v5
	v_cmp_gt_u32_e32 vcc, s1, v3
	v_bfe_i32 v4, v4, 0, 16
	v_cndmask_b32_e32 v3, v5, v6, vcc
	v_and_or_b32 v4, v4, s16, v3
	v_bfe_u32 v3, v3, 16, 1
	v_add3_u32 v3, v4, v3, s17
	v_cmp_o_f32_e32 vcc, v4, v4
	v_mov_b32_e32 v4, 0x7fc0
	v_cndmask_b32_sdwa v3, v4, v3, vcc dst_sel:DWORD dst_unused:UNUSED_PAD src0_sel:DWORD src1_sel:WORD_1
.LBB134_204:
	s_mov_b64 s[16:17], 0
	s_mov_b64 s[0:1], -1
.LBB134_205:
	s_andn2_b64 vcc, exec, s[16:17]
	s_cbranch_vccnz .LBB134_218
; %bb.206:
	s_cmp_gt_i32 s26, 14
	s_cbranch_scc0 .LBB134_209
; %bb.207:
	s_cmp_eq_u32 s26, 15
	s_cbranch_scc0 .LBB134_212
; %bb.208:
	global_load_ushort v3, v[0:1], off
	s_mov_b64 s[0:1], -1
	s_mov_b64 s[18:19], 0
	s_branch .LBB134_213
.LBB134_209:
	s_mov_b64 s[16:17], -1
                                        ; implicit-def: $vgpr3
	s_branch .LBB134_214
.LBB134_210:
	s_or_saveexec_b64 s[16:17], s[16:17]
	v_mov_b32_e32 v4, 0x7f800001
	s_xor_b64 exec, exec, s[16:17]
	s_cbranch_execz .LBB134_191
.LBB134_211:
	v_cmp_ne_u16_e32 vcc, 0, v3
	s_andn2_b64 s[0:1], s[0:1], exec
	s_and_b64 s[22:23], vcc, exec
	v_mov_b32_e32 v4, 0
	s_or_b64 s[0:1], s[0:1], s[22:23]
	s_or_b64 exec, exec, s[16:17]
	s_and_saveexec_b64 s[16:17], s[0:1]
	s_cbranch_execnz .LBB134_192
	s_branch .LBB134_193
.LBB134_212:
	s_mov_b64 s[18:19], -1
                                        ; implicit-def: $vgpr3
.LBB134_213:
	s_mov_b64 s[16:17], 0
.LBB134_214:
	s_and_b64 vcc, exec, s[16:17]
	s_cbranch_vccz .LBB134_218
; %bb.215:
	s_cmp_eq_u32 s26, 11
	s_cbranch_scc0 .LBB134_217
; %bb.216:
	global_load_ubyte v3, v[0:1], off
	s_mov_b64 s[0:1], -1
	s_mov_b64 s[18:19], 0
	s_waitcnt vmcnt(0)
	v_cmp_ne_u16_e32 vcc, 0, v3
	v_cndmask_b32_e64 v3, 0, 1.0, vcc
	v_lshrrev_b32_e32 v3, 16, v3
	s_branch .LBB134_218
.LBB134_217:
	s_mov_b64 s[18:19], -1
                                        ; implicit-def: $vgpr3
.LBB134_218:
	s_branch .LBB134_10
.LBB134_219:
	s_cmp_lt_i32 s26, 5
	s_cbranch_scc1 .LBB134_224
; %bb.220:
	s_cmp_lt_i32 s26, 8
	s_cbranch_scc1 .LBB134_225
; %bb.221:
	;; [unrolled: 3-line block ×3, first 2 shown]
	s_cmp_gt_i32 s26, 9
	s_cbranch_scc0 .LBB134_227
; %bb.223:
	global_load_dwordx2 v[3:4], v[0:1], off
	s_movk_i32 s0, 0x7fff
	s_waitcnt vmcnt(0)
	v_cvt_f32_f64_e32 v3, v[3:4]
	v_mov_b32_e32 v4, 0x7fc0
	v_bfe_u32 v5, v3, 16, 1
	v_cmp_o_f32_e32 vcc, v3, v3
	v_add3_u32 v3, v3, v5, s0
	v_cndmask_b32_sdwa v3, v4, v3, vcc dst_sel:DWORD dst_unused:UNUSED_PAD src0_sel:DWORD src1_sel:WORD_1
	s_mov_b64 s[0:1], 0
	s_branch .LBB134_228
.LBB134_224:
                                        ; implicit-def: $vgpr3
	s_branch .LBB134_246
.LBB134_225:
	s_mov_b64 s[0:1], -1
                                        ; implicit-def: $vgpr3
	s_branch .LBB134_234
.LBB134_226:
	s_mov_b64 s[0:1], -1
                                        ; implicit-def: $vgpr3
	s_branch .LBB134_231
.LBB134_227:
	s_mov_b64 s[0:1], -1
                                        ; implicit-def: $vgpr3
.LBB134_228:
	s_andn2_b64 vcc, exec, s[0:1]
	s_cbranch_vccnz .LBB134_230
; %bb.229:
	global_load_dword v3, v[0:1], off
	s_movk_i32 s0, 0x7fff
	v_mov_b32_e32 v4, 0x7fc0
	s_waitcnt vmcnt(0)
	v_bfe_u32 v5, v3, 16, 1
	v_cmp_o_f32_e32 vcc, v3, v3
	v_add3_u32 v3, v3, v5, s0
	v_cndmask_b32_sdwa v3, v4, v3, vcc dst_sel:DWORD dst_unused:UNUSED_PAD src0_sel:DWORD src1_sel:WORD_1
.LBB134_230:
	s_mov_b64 s[0:1], 0
.LBB134_231:
	s_andn2_b64 vcc, exec, s[0:1]
	s_cbranch_vccnz .LBB134_233
; %bb.232:
	global_load_dword v3, v[0:1], off
	s_movk_i32 s0, 0x7fff
	v_mov_b32_e32 v5, 0x7fc0
	s_waitcnt vmcnt(0)
	v_cvt_f32_f16_e32 v4, v3
	v_cmp_o_f16_e32 vcc, v3, v3
	v_bfe_u32 v3, v4, 16, 1
	v_add3_u32 v3, v4, v3, s0
	v_cndmask_b32_sdwa v3, v5, v3, vcc dst_sel:DWORD dst_unused:UNUSED_PAD src0_sel:DWORD src1_sel:WORD_1
.LBB134_233:
	s_mov_b64 s[0:1], 0
.LBB134_234:
	s_andn2_b64 vcc, exec, s[0:1]
	s_cbranch_vccnz .LBB134_245
; %bb.235:
	s_cmp_lt_i32 s26, 6
	s_cbranch_scc1 .LBB134_238
; %bb.236:
	s_cmp_gt_i32 s26, 6
	s_cbranch_scc0 .LBB134_239
; %bb.237:
	global_load_dwordx2 v[3:4], v[0:1], off
	s_movk_i32 s0, 0x7fff
	s_waitcnt vmcnt(0)
	v_cvt_f32_f64_e32 v3, v[3:4]
	v_mov_b32_e32 v4, 0x7fc0
	v_bfe_u32 v5, v3, 16, 1
	v_cmp_o_f32_e32 vcc, v3, v3
	v_add3_u32 v3, v3, v5, s0
	v_cndmask_b32_sdwa v3, v4, v3, vcc dst_sel:DWORD dst_unused:UNUSED_PAD src0_sel:DWORD src1_sel:WORD_1
	s_mov_b64 s[0:1], 0
	s_branch .LBB134_240
.LBB134_238:
	s_mov_b64 s[0:1], -1
                                        ; implicit-def: $vgpr3
	s_branch .LBB134_243
.LBB134_239:
	s_mov_b64 s[0:1], -1
                                        ; implicit-def: $vgpr3
.LBB134_240:
	s_andn2_b64 vcc, exec, s[0:1]
	s_cbranch_vccnz .LBB134_242
; %bb.241:
	global_load_dword v3, v[0:1], off
	s_movk_i32 s0, 0x7fff
	v_mov_b32_e32 v4, 0x7fc0
	s_waitcnt vmcnt(0)
	v_bfe_u32 v5, v3, 16, 1
	v_cmp_o_f32_e32 vcc, v3, v3
	v_add3_u32 v3, v3, v5, s0
	v_cndmask_b32_sdwa v3, v4, v3, vcc dst_sel:DWORD dst_unused:UNUSED_PAD src0_sel:DWORD src1_sel:WORD_1
.LBB134_242:
	s_mov_b64 s[0:1], 0
.LBB134_243:
	s_andn2_b64 vcc, exec, s[0:1]
	s_cbranch_vccnz .LBB134_245
; %bb.244:
	global_load_ushort v3, v[0:1], off
	s_movk_i32 s0, 0x7fff
	v_mov_b32_e32 v5, 0x7fc0
	s_waitcnt vmcnt(0)
	v_cvt_f32_f16_e32 v4, v3
	v_cmp_o_f16_e32 vcc, v3, v3
	v_bfe_u32 v3, v4, 16, 1
	v_add3_u32 v3, v4, v3, s0
	v_cndmask_b32_sdwa v3, v5, v3, vcc dst_sel:DWORD dst_unused:UNUSED_PAD src0_sel:DWORD src1_sel:WORD_1
.LBB134_245:
	s_cbranch_execnz .LBB134_265
.LBB134_246:
	s_cmp_lt_i32 s26, 2
	s_cbranch_scc1 .LBB134_250
; %bb.247:
	s_cmp_lt_i32 s26, 3
	s_cbranch_scc1 .LBB134_251
; %bb.248:
	s_cmp_gt_i32 s26, 3
	s_cbranch_scc0 .LBB134_252
; %bb.249:
	global_load_dwordx2 v[3:4], v[0:1], off
	s_movk_i32 s0, 0x7fff
	s_waitcnt vmcnt(0)
	v_xor_b32_e32 v6, v3, v4
	v_ffbh_i32_e32 v5, v4
	v_ashrrev_i32_e32 v6, 31, v6
	v_add_u32_e32 v5, -1, v5
	v_add_u32_e32 v6, 32, v6
	v_min_u32_e32 v5, v5, v6
	v_lshlrev_b64 v[3:4], v5, v[3:4]
	v_min_u32_e32 v3, 1, v3
	v_or_b32_e32 v3, v4, v3
	v_cvt_f32_i32_e32 v3, v3
	v_sub_u32_e32 v4, 32, v5
	v_ldexp_f32 v3, v3, v4
	v_bfe_u32 v4, v3, 16, 1
	v_add3_u32 v3, v3, v4, s0
	v_lshrrev_b32_e32 v3, 16, v3
	s_mov_b64 s[0:1], 0
	s_branch .LBB134_253
.LBB134_250:
	s_mov_b64 s[0:1], -1
                                        ; implicit-def: $vgpr3
	s_branch .LBB134_259
.LBB134_251:
	s_mov_b64 s[0:1], -1
                                        ; implicit-def: $vgpr3
	s_branch .LBB134_256
.LBB134_252:
	s_mov_b64 s[0:1], -1
                                        ; implicit-def: $vgpr3
.LBB134_253:
	s_andn2_b64 vcc, exec, s[0:1]
	s_cbranch_vccnz .LBB134_255
; %bb.254:
	global_load_dword v3, v[0:1], off
	s_movk_i32 s0, 0x7fff
	s_waitcnt vmcnt(0)
	v_cvt_f32_i32_e32 v3, v3
	v_bfe_u32 v4, v3, 16, 1
	v_add3_u32 v3, v3, v4, s0
	v_lshrrev_b32_e32 v3, 16, v3
.LBB134_255:
	s_mov_b64 s[0:1], 0
.LBB134_256:
	s_andn2_b64 vcc, exec, s[0:1]
	s_cbranch_vccnz .LBB134_258
; %bb.257:
	global_load_sshort v3, v[0:1], off
	s_movk_i32 s0, 0x7fff
	s_waitcnt vmcnt(0)
	v_cvt_f32_i32_e32 v3, v3
	v_bfe_u32 v4, v3, 16, 1
	v_add3_u32 v3, v3, v4, s0
	v_lshrrev_b32_e32 v3, 16, v3
.LBB134_258:
	s_mov_b64 s[0:1], 0
.LBB134_259:
	s_andn2_b64 vcc, exec, s[0:1]
	s_cbranch_vccnz .LBB134_265
; %bb.260:
	s_cmp_gt_i32 s26, 0
	s_cbranch_scc0 .LBB134_262
; %bb.261:
	global_load_sbyte v3, v[0:1], off
	s_movk_i32 s0, 0x7fff
	s_waitcnt vmcnt(0)
	v_cvt_f32_i32_e32 v3, v3
	v_bfe_u32 v4, v3, 16, 1
	v_add3_u32 v3, v3, v4, s0
	v_lshrrev_b32_e32 v3, 16, v3
	s_mov_b64 s[0:1], 0
	s_branch .LBB134_263
.LBB134_262:
	s_mov_b64 s[0:1], -1
                                        ; implicit-def: $vgpr3
.LBB134_263:
	s_andn2_b64 vcc, exec, s[0:1]
	s_cbranch_vccnz .LBB134_265
; %bb.264:
	global_load_ubyte v0, v[0:1], off
	s_movk_i32 s0, 0x7fff
	s_waitcnt vmcnt(0)
	v_cvt_f32_ubyte0_e32 v0, v0
	v_bfe_u32 v1, v0, 16, 1
	v_add3_u32 v0, v0, v1, s0
	v_lshrrev_b32_e32 v3, 16, v0
.LBB134_265:
	s_branch .LBB134_11
.LBB134_266:
	s_mov_b64 s[0:1], 0
                                        ; implicit-def: $vgpr2
	s_mov_b64 s[22:23], 0
.LBB134_267:
	s_and_b64 s[16:17], s[0:1], exec
	s_and_b64 s[18:19], s[18:19], exec
	s_orn2_b64 s[22:23], s[22:23], exec
.LBB134_268:
	s_or_b64 exec, exec, s[20:21]
	s_mov_b64 s[26:27], 0
	s_mov_b64 s[0:1], 0
                                        ; implicit-def: $vgpr0_vgpr1
                                        ; implicit-def: $vgpr3
	s_and_saveexec_b64 s[20:21], s[22:23]
	s_cbranch_execz .LBB134_277
; %bb.269:
	v_cmp_gt_i32_e32 vcc, s42, v2
	s_mov_b64 s[0:1], -1
	s_mov_b64 s[22:23], s[18:19]
	s_mov_b64 s[24:25], s[16:17]
	s_and_saveexec_b64 s[26:27], vcc
	s_cbranch_execz .LBB134_546
; %bb.270:
	v_mul_lo_u32 v0, v2, s13
	v_mov_b32_e32 v1, s11
	s_and_b32 s30, 0xffff, s15
	s_cmp_lt_i32 s30, 11
	s_waitcnt vmcnt(0)
	v_ashrrev_i32_e32 v3, 31, v0
	v_add_co_u32_e32 v0, vcc, s10, v0
	v_addc_co_u32_e32 v1, vcc, v1, v3, vcc
	s_cbranch_scc1 .LBB134_280
; %bb.271:
	s_cmp_gt_i32 s30, 25
	s_cbranch_scc0 .LBB134_286
; %bb.272:
	s_cmp_gt_i32 s30, 28
	s_cbranch_scc0 .LBB134_290
	;; [unrolled: 3-line block ×4, first 2 shown]
; %bb.275:
	s_cmp_eq_u32 s30, 46
	s_mov_b64 s[24:25], 0
	s_cbranch_scc0 .LBB134_317
; %bb.276:
	global_load_dword v3, v[0:1], off
	s_mov_b64 s[22:23], 0
	s_branch .LBB134_318
.LBB134_277:
	s_or_b64 exec, exec, s[20:21]
	s_mov_b64 s[20:21], 0
	s_and_saveexec_b64 s[22:23], s[18:19]
	s_cbranch_execnz .LBB134_910
.LBB134_278:
	s_or_b64 exec, exec, s[22:23]
	s_and_saveexec_b64 s[18:19], s[24:25]
	s_xor_b64 s[18:19], exec, s[18:19]
	s_cbranch_execz .LBB134_911
.LBB134_279:
	global_load_ubyte v3, v[0:1], off
	s_or_b64 s[0:1], s[0:1], exec
	s_waitcnt vmcnt(0)
	v_cmp_ne_u16_e32 vcc, 0, v3
	v_cndmask_b32_e64 v3, 0, 1.0, vcc
	v_lshrrev_b32_e32 v3, 16, v3
	s_or_b64 exec, exec, s[18:19]
	s_and_saveexec_b64 s[18:19], s[26:27]
	s_cbranch_execz .LBB134_957
	s_branch .LBB134_912
.LBB134_280:
	s_mov_b64 s[0:1], 0
                                        ; implicit-def: $vgpr3
	s_mov_b64 s[22:23], s[18:19]
	s_cbranch_execnz .LBB134_495
.LBB134_281:
	s_andn2_b64 vcc, exec, s[0:1]
	s_cbranch_vccnz .LBB134_543
.LBB134_282:
	s_waitcnt vmcnt(0)
	v_lshlrev_b32_e32 v0, 16, v3
	s_cmp_lt_i32 s14, 1
	s_mov_b64 s[0:1], 0
	s_cbranch_scc1 .LBB134_287
; %bb.283:
	s_cmp_gt_i32 s14, 1
	s_cbranch_scc0 .LBB134_291
; %bb.284:
	s_cmp_eq_u32 s14, 2
	s_cbranch_scc0 .LBB134_293
; %bb.285:
	v_cmp_ge_f32_e64 s[24:25], s33, v0
	s_mov_b64 s[28:29], 0
	s_branch .LBB134_294
.LBB134_286:
	s_mov_b64 s[24:25], -1
	s_mov_b64 s[0:1], 0
	s_mov_b64 s[22:23], s[18:19]
                                        ; implicit-def: $vgpr3
	s_branch .LBB134_459
.LBB134_287:
                                        ; implicit-def: $sgpr24_sgpr25
	s_mov_b64 s[28:29], 0
	s_cbranch_execnz .LBB134_298
.LBB134_288:
	s_andn2_b64 vcc, exec, s[28:29]
	s_cbranch_vccnz .LBB134_299
.LBB134_289:
	v_cmp_gt_f32_e32 vcc, s33, v0
	s_andn2_b64 s[24:25], s[24:25], exec
	s_and_b64 s[28:29], vcc, exec
	s_or_b64 s[24:25], s[24:25], s[28:29]
	s_cbranch_execz .LBB134_300
	s_branch .LBB134_301
.LBB134_290:
	s_mov_b64 s[24:25], -1
	s_mov_b64 s[0:1], 0
	s_mov_b64 s[22:23], s[18:19]
                                        ; implicit-def: $vgpr3
	s_branch .LBB134_440
.LBB134_291:
	s_mov_b64 s[30:31], -1
	s_mov_b64 s[28:29], 0
                                        ; implicit-def: $sgpr24_sgpr25
	s_branch .LBB134_295
.LBB134_292:
	s_mov_b64 s[24:25], -1
	s_mov_b64 s[0:1], 0
	s_mov_b64 s[22:23], s[18:19]
                                        ; implicit-def: $vgpr3
	s_branch .LBB134_435
.LBB134_293:
	s_mov_b64 s[28:29], -1
                                        ; implicit-def: $sgpr24_sgpr25
.LBB134_294:
	s_mov_b64 s[30:31], 0
.LBB134_295:
	s_and_b64 vcc, exec, s[30:31]
	s_cbranch_vccz .LBB134_297
; %bb.296:
	v_cmp_lt_f32_e32 vcc, s33, v0
	s_andn2_b64 s[24:25], s[24:25], exec
	s_and_b64 s[30:31], vcc, exec
	s_or_b64 s[24:25], s[24:25], s[30:31]
.LBB134_297:
	s_branch .LBB134_288
.LBB134_298:
	s_cmp_lg_u32 s14, 0
	s_mov_b64 s[0:1], -1
	s_cselect_b64 s[28:29], -1, 0
	s_andn2_b64 vcc, exec, s[28:29]
	s_cbranch_vccz .LBB134_289
.LBB134_299:
	s_andn2_b64 vcc, exec, s[0:1]
	s_cbranch_vccnz .LBB134_301
.LBB134_300:
	v_cmp_le_f32_e32 vcc, s33, v0
	s_andn2_b64 s[0:1], s[24:25], exec
	s_and_b64 s[24:25], vcc, exec
	s_or_b64 s[24:25], s[0:1], s[24:25]
.LBB134_301:
	v_mul_lo_u32 v0, v2, s12
	v_mov_b32_e32 v1, s9
	s_and_b32 s36, s3, 0xff
	s_cmp_lt_i32 s36, 11
	v_ashrrev_i32_e32 v3, 31, v0
	v_add_co_u32_e32 v0, vcc, s8, v0
	v_addc_co_u32_e32 v1, vcc, v1, v3, vcc
	s_cbranch_scc1 .LBB134_308
; %bb.302:
	s_and_b32 s37, 0xffff, s36
	s_cmp_gt_i32 s37, 25
	s_cbranch_scc0 .LBB134_309
; %bb.303:
	s_cmp_gt_i32 s37, 28
	s_cbranch_scc0 .LBB134_310
; %bb.304:
	;; [unrolled: 3-line block ×4, first 2 shown]
	s_mov_b64 s[30:31], 0
	s_mov_b64 s[0:1], -1
	s_cmp_eq_u32 s37, 46
	s_mov_b64 s[28:29], 0
	s_cbranch_scc0 .LBB134_322
; %bb.307:
	v_cndmask_b32_e64 v3, 0, 1.0, s[24:25]
	v_bfe_u32 v4, v3, 16, 1
	s_movk_i32 s0, 0x7fff
	v_add3_u32 v3, v3, v4, s0
	v_lshrrev_b32_e32 v3, 16, v3
	global_store_dword v[0:1], v3, off
	s_mov_b64 s[28:29], -1
	s_mov_b64 s[0:1], 0
	s_branch .LBB134_322
.LBB134_308:
	s_mov_b64 s[30:31], -1
	s_mov_b64 s[28:29], 0
	s_mov_b64 s[0:1], s[16:17]
	s_branch .LBB134_391
.LBB134_309:
	s_mov_b64 s[30:31], -1
	s_mov_b64 s[28:29], 0
	s_mov_b64 s[0:1], s[16:17]
	s_branch .LBB134_349
.LBB134_310:
	s_mov_b64 s[30:31], -1
	s_mov_b64 s[28:29], 0
	s_mov_b64 s[0:1], s[16:17]
	s_branch .LBB134_332
.LBB134_311:
	s_andn2_saveexec_b64 s[28:29], s[28:29]
	s_cbranch_execz .LBB134_71
.LBB134_312:
	v_add_f32_e32 v3, 0x46000000, v4
	v_and_b32_e32 v3, 0xff, v3
	v_cmp_ne_u32_e32 vcc, 0, v3
	s_andn2_b64 s[26:27], s[26:27], exec
	s_and_b64 s[34:35], vcc, exec
	s_or_b64 s[26:27], s[26:27], s[34:35]
	s_or_b64 exec, exec, s[28:29]
	v_mov_b32_e32 v5, 0
	s_and_saveexec_b64 s[28:29], s[26:27]
	s_cbranch_execnz .LBB134_72
	s_branch .LBB134_73
.LBB134_313:
	s_mov_b64 s[24:25], -1
	s_mov_b64 s[0:1], 0
	s_mov_b64 s[22:23], s[18:19]
                                        ; implicit-def: $vgpr3
	s_branch .LBB134_318
.LBB134_314:
	s_mov_b64 s[30:31], -1
	s_mov_b64 s[28:29], 0
	s_mov_b64 s[0:1], s[16:17]
	s_branch .LBB134_328
.LBB134_315:
	s_andn2_saveexec_b64 s[28:29], s[28:29]
	s_cbranch_execz .LBB134_84
.LBB134_316:
	v_add_f32_e32 v3, 0x42800000, v4
	v_and_b32_e32 v3, 0xff, v3
	v_cmp_ne_u32_e32 vcc, 0, v3
	s_andn2_b64 s[26:27], s[26:27], exec
	s_and_b64 s[34:35], vcc, exec
	s_or_b64 s[26:27], s[26:27], s[34:35]
	s_or_b64 exec, exec, s[28:29]
	v_mov_b32_e32 v5, 0
	s_and_saveexec_b64 s[28:29], s[26:27]
	s_cbranch_execnz .LBB134_85
	s_branch .LBB134_86
.LBB134_317:
	s_mov_b64 s[22:23], -1
                                        ; implicit-def: $vgpr3
	s_mov_b64 s[0:1], 0
.LBB134_318:
	s_and_b64 vcc, exec, s[24:25]
	s_cbranch_vccz .LBB134_434
; %bb.319:
	s_cmp_eq_u32 s30, 44
	s_cbranch_scc0 .LBB134_433
; %bb.320:
	global_load_ubyte v3, v[0:1], off
	s_movk_i32 s22, 0xff
	v_mov_b32_e32 v4, 0x7f800001
	v_mov_b32_e32 v5, 0x400000
	v_mov_b32_e32 v6, 0x7fc0
	s_mov_b64 s[0:1], -1
	s_waitcnt vmcnt(0)
	v_lshlrev_b32_e32 v7, 23, v3
	v_cmp_ne_u32_e32 vcc, s22, v3
	v_cndmask_b32_e32 v4, v4, v7, vcc
	v_cmp_ne_u32_e32 vcc, 0, v3
	v_cndmask_b32_e32 v3, v5, v4, vcc
	v_add_u32_e32 v4, 0x7fff, v3
	v_cmp_o_f32_e32 vcc, v3, v3
	v_cndmask_b32_sdwa v3, v6, v4, vcc dst_sel:DWORD dst_unused:UNUSED_PAD src0_sel:DWORD src1_sel:WORD_1
	s_mov_b64 s[22:23], 0
	s_branch .LBB134_434
.LBB134_321:
	s_mov_b64 s[30:31], -1
	s_mov_b64 s[28:29], 0
	s_mov_b64 s[0:1], s[16:17]
.LBB134_322:
	s_and_b64 vcc, exec, s[30:31]
	s_cbranch_vccz .LBB134_327
; %bb.323:
	s_cmp_eq_u32 s37, 44
	s_mov_b64 s[0:1], -1
	s_cbranch_scc0 .LBB134_327
; %bb.324:
	v_cndmask_b32_e64 v4, 0, 1.0, s[24:25]
	v_lshrrev_b32_e32 v3, 23, v4
	s_movk_i32 s0, 0xff
	v_cmp_ne_u32_e32 vcc, s0, v3
	v_mov_b32_e32 v5, 0xff
	s_and_saveexec_b64 s[28:29], vcc
; %bb.325:
	s_mov_b32 s0, 0x3fffff
	v_and_b32_e32 v5, 0x400000, v4
	v_and_or_b32 v4, v4, s0, v3
	v_cmp_ne_u32_e32 vcc, 0, v5
	v_cmp_ne_u32_e64 s[0:1], 0, v4
	s_and_b64 s[0:1], vcc, s[0:1]
	v_cndmask_b32_e64 v4, 0, 1, s[0:1]
	v_add_u32_e32 v5, v3, v4
; %bb.326:
	s_or_b64 exec, exec, s[28:29]
	s_mov_b64 s[28:29], -1
	s_mov_b64 s[0:1], 0
	global_store_byte v[0:1], v5, off
.LBB134_327:
	s_mov_b64 s[30:31], 0
.LBB134_328:
	s_and_b64 vcc, exec, s[30:31]
	s_cbranch_vccz .LBB134_331
; %bb.329:
	s_cmp_eq_u32 s37, 29
	s_mov_b64 s[0:1], -1
	s_cbranch_scc0 .LBB134_331
; %bb.330:
	s_mov_b32 s0, 0
	v_cndmask_b32_e64 v3, 0, 1, s[24:25]
	v_mov_b32_e32 v4, s0
	global_store_dwordx2 v[0:1], v[3:4], off
	s_mov_b64 s[28:29], -1
	s_mov_b64 s[0:1], 0
.LBB134_331:
	s_mov_b64 s[30:31], 0
.LBB134_332:
	s_and_b64 vcc, exec, s[30:31]
	s_cbranch_vccz .LBB134_348
; %bb.333:
	s_cmp_lt_i32 s37, 27
	s_mov_b64 s[28:29], -1
	s_cbranch_scc1 .LBB134_339
; %bb.334:
	s_cmp_gt_i32 s37, 27
	s_cbranch_scc0 .LBB134_336
; %bb.335:
	v_cndmask_b32_e64 v3, 0, 1, s[24:25]
	s_mov_b64 s[28:29], 0
	global_store_dword v[0:1], v3, off
.LBB134_336:
	s_andn2_b64 vcc, exec, s[28:29]
	s_cbranch_vccnz .LBB134_338
; %bb.337:
	v_cndmask_b32_e64 v3, 0, 1, s[24:25]
	global_store_short v[0:1], v3, off
.LBB134_338:
	s_mov_b64 s[28:29], 0
.LBB134_339:
	s_andn2_b64 vcc, exec, s[28:29]
	s_cbranch_vccnz .LBB134_347
; %bb.340:
	v_cndmask_b32_e64 v4, 0, 1.0, s[24:25]
	s_mov_b32 s28, 0x43800000
	v_cmp_gt_u32_e32 vcc, s28, v4
	v_mov_b32_e32 v5, 0x80
	s_and_saveexec_b64 s[28:29], vcc
	s_cbranch_execz .LBB134_346
; %bb.341:
	s_mov_b32 s30, 0x3bffffff
	v_cmp_lt_u32_e32 vcc, s30, v4
	s_mov_b64 s[30:31], 0
                                        ; implicit-def: $vgpr3
	s_and_saveexec_b64 s[34:35], vcc
	s_xor_b64 s[34:35], exec, s[34:35]
	s_cbranch_execz .LBB134_559
; %bb.342:
	v_bfe_u32 v3, v4, 20, 1
	s_mov_b32 s38, 0x487ffff
	v_add3_u32 v3, v4, v3, s38
	s_mov_b64 s[30:31], exec
	v_lshrrev_b32_e32 v3, 20, v3
                                        ; implicit-def: $vgpr4
	s_andn2_saveexec_b64 s[34:35], s[34:35]
	s_cbranch_execnz .LBB134_560
.LBB134_343:
	s_or_b64 exec, exec, s[34:35]
	v_mov_b32_e32 v5, 0
	s_and_saveexec_b64 s[34:35], s[30:31]
.LBB134_344:
	v_mov_b32_e32 v5, v3
.LBB134_345:
	s_or_b64 exec, exec, s[34:35]
.LBB134_346:
	s_or_b64 exec, exec, s[28:29]
	global_store_byte v[0:1], v5, off
.LBB134_347:
	s_mov_b64 s[28:29], -1
.LBB134_348:
	s_mov_b64 s[30:31], 0
.LBB134_349:
	s_and_b64 vcc, exec, s[30:31]
	s_cbranch_vccz .LBB134_390
; %bb.350:
	s_cmp_gt_i32 s37, 22
	s_mov_b64 s[30:31], -1
	s_cbranch_scc0 .LBB134_382
; %bb.351:
	s_cmp_lt_i32 s37, 24
	s_mov_b64 s[28:29], -1
	s_cbranch_scc1 .LBB134_371
; %bb.352:
	s_cmp_gt_i32 s37, 24
	s_cbranch_scc0 .LBB134_360
; %bb.353:
	v_cndmask_b32_e64 v4, 0, 1.0, s[24:25]
	s_mov_b32 s28, 0x47800000
	v_cmp_gt_u32_e32 vcc, s28, v4
	v_mov_b32_e32 v5, 0x80
	s_and_saveexec_b64 s[28:29], vcc
	s_cbranch_execz .LBB134_359
; %bb.354:
	s_mov_b32 s30, 0x37ffffff
	v_cmp_lt_u32_e32 vcc, s30, v4
	s_mov_b64 s[30:31], 0
                                        ; implicit-def: $vgpr3
	s_and_saveexec_b64 s[34:35], vcc
	s_xor_b64 s[34:35], exec, s[34:35]
	s_cbranch_execz .LBB134_562
; %bb.355:
	v_bfe_u32 v3, v4, 21, 1
	s_mov_b32 s38, 0x88fffff
	v_add3_u32 v3, v4, v3, s38
	s_mov_b64 s[30:31], exec
	v_lshrrev_b32_e32 v3, 21, v3
                                        ; implicit-def: $vgpr4
	s_andn2_saveexec_b64 s[34:35], s[34:35]
	s_cbranch_execnz .LBB134_563
.LBB134_356:
	s_or_b64 exec, exec, s[34:35]
	v_mov_b32_e32 v5, 0
	s_and_saveexec_b64 s[34:35], s[30:31]
.LBB134_357:
	v_mov_b32_e32 v5, v3
.LBB134_358:
	s_or_b64 exec, exec, s[34:35]
.LBB134_359:
	s_or_b64 exec, exec, s[28:29]
	s_mov_b64 s[28:29], 0
	global_store_byte v[0:1], v5, off
.LBB134_360:
	s_and_b64 vcc, exec, s[28:29]
	s_cbranch_vccz .LBB134_370
; %bb.361:
	v_cndmask_b32_e64 v3, 0, 1.0, s[24:25]
	s_mov_b32 s28, 0x43f00000
	v_cmp_gt_u32_e32 vcc, s28, v3
                                        ; implicit-def: $vgpr4
	s_and_saveexec_b64 s[28:29], vcc
	s_xor_b64 s[28:29], exec, s[28:29]
	s_cbranch_execz .LBB134_367
; %bb.362:
	s_mov_b32 s30, 0x3c7fffff
	v_cmp_lt_u32_e32 vcc, s30, v3
                                        ; implicit-def: $vgpr4
	s_and_saveexec_b64 s[30:31], vcc
	s_xor_b64 s[30:31], exec, s[30:31]
; %bb.363:
	v_bfe_u32 v4, v3, 20, 1
	s_mov_b32 s34, 0x407ffff
	v_add3_u32 v3, v3, v4, s34
	v_lshrrev_b32_e32 v4, 20, v3
	v_and_b32_e32 v3, 0xff00000, v3
	s_mov_b32 s34, 0x7f00000
	v_mov_b32_e32 v5, 0x7e
	v_cmp_ne_u32_e32 vcc, s34, v3
	v_cndmask_b32_e32 v4, v5, v4, vcc
                                        ; implicit-def: $vgpr3
; %bb.364:
	s_andn2_saveexec_b64 s[30:31], s[30:31]
; %bb.365:
	v_add_f32_e32 v4, 0x46800000, v3
; %bb.366:
	s_or_b64 exec, exec, s[30:31]
                                        ; implicit-def: $vgpr3
.LBB134_367:
	s_andn2_saveexec_b64 s[28:29], s[28:29]
; %bb.368:
	s_mov_b32 s30, 0x7f800000
	v_mov_b32_e32 v4, 0x7e
	v_mov_b32_e32 v5, 0x7f
	v_cmp_lt_u32_e32 vcc, s30, v3
	v_cndmask_b32_e32 v4, v4, v5, vcc
; %bb.369:
	s_or_b64 exec, exec, s[28:29]
	global_store_byte v[0:1], v4, off
.LBB134_370:
	s_mov_b64 s[28:29], 0
.LBB134_371:
	s_andn2_b64 vcc, exec, s[28:29]
	s_cbranch_vccnz .LBB134_381
; %bb.372:
	v_cndmask_b32_e64 v3, 0, 1.0, s[24:25]
	s_mov_b32 s28, 0x47800000
	v_cmp_gt_u32_e32 vcc, s28, v3
                                        ; implicit-def: $vgpr4
	s_and_saveexec_b64 s[28:29], vcc
	s_xor_b64 s[28:29], exec, s[28:29]
	s_cbranch_execz .LBB134_378
; %bb.373:
	s_mov_b32 s30, 0x387fffff
	v_cmp_lt_u32_e32 vcc, s30, v3
                                        ; implicit-def: $vgpr4
	s_and_saveexec_b64 s[30:31], vcc
	s_xor_b64 s[30:31], exec, s[30:31]
; %bb.374:
	v_bfe_u32 v4, v3, 21, 1
	s_mov_b32 s34, 0x80fffff
	v_add3_u32 v3, v3, v4, s34
	v_lshrrev_b32_e32 v4, 21, v3
                                        ; implicit-def: $vgpr3
; %bb.375:
	s_andn2_saveexec_b64 s[30:31], s[30:31]
; %bb.376:
	v_add_f32_e32 v4, 0x43000000, v3
; %bb.377:
	s_or_b64 exec, exec, s[30:31]
                                        ; implicit-def: $vgpr3
.LBB134_378:
	s_andn2_saveexec_b64 s[28:29], s[28:29]
; %bb.379:
	s_mov_b32 s30, 0x7f800000
	v_mov_b32_e32 v4, 0x7c
	v_mov_b32_e32 v5, 0x7f
	v_cmp_lt_u32_e32 vcc, s30, v3
	v_cndmask_b32_e32 v4, v4, v5, vcc
; %bb.380:
	s_or_b64 exec, exec, s[28:29]
	global_store_byte v[0:1], v4, off
.LBB134_381:
	s_mov_b64 s[30:31], 0
	s_mov_b64 s[28:29], -1
.LBB134_382:
	s_andn2_b64 vcc, exec, s[30:31]
	s_cbranch_vccnz .LBB134_390
; %bb.383:
	s_cmp_gt_i32 s37, 14
	s_mov_b64 s[30:31], -1
	s_cbranch_scc0 .LBB134_387
; %bb.384:
	s_cmp_eq_u32 s37, 15
	s_mov_b64 s[0:1], -1
	s_cbranch_scc0 .LBB134_386
; %bb.385:
	v_cndmask_b32_e64 v3, 0, 1.0, s[24:25]
	v_bfe_u32 v4, v3, 16, 1
	s_movk_i32 s0, 0x7fff
	v_add3_u32 v3, v3, v4, s0
	global_store_short_d16_hi v[0:1], v3, off
	s_mov_b64 s[28:29], -1
	s_mov_b64 s[0:1], 0
.LBB134_386:
	s_mov_b64 s[30:31], 0
.LBB134_387:
	s_and_b64 vcc, exec, s[30:31]
	s_cbranch_vccz .LBB134_390
; %bb.388:
	s_cmp_eq_u32 s37, 11
	s_mov_b64 s[0:1], -1
	s_cbranch_scc0 .LBB134_390
; %bb.389:
	v_cndmask_b32_e64 v3, 0, 1, s[24:25]
	s_mov_b64 s[28:29], -1
	s_mov_b64 s[0:1], 0
	global_store_byte v[0:1], v3, off
.LBB134_390:
	s_mov_b64 s[30:31], 0
.LBB134_391:
	s_and_b64 vcc, exec, s[30:31]
	s_cbranch_vccz .LBB134_430
; %bb.392:
	s_and_b32 s30, 0xffff, s36
	s_cmp_lt_i32 s30, 5
	s_mov_b64 s[28:29], -1
	s_cbranch_scc1 .LBB134_413
; %bb.393:
	s_cmp_lt_i32 s30, 8
	s_cbranch_scc1 .LBB134_403
; %bb.394:
	s_cmp_lt_i32 s30, 9
	s_cbranch_scc1 .LBB134_400
; %bb.395:
	s_cmp_gt_i32 s30, 9
	s_cbranch_scc0 .LBB134_397
; %bb.396:
	v_cndmask_b32_e64 v3, 0, 1, s[24:25]
	v_cvt_f64_u32_e32 v[3:4], v3
	v_mov_b32_e32 v5, 0
	v_mov_b32_e32 v6, v5
	s_mov_b64 s[28:29], 0
	global_store_dwordx4 v[0:1], v[3:6], off
.LBB134_397:
	s_andn2_b64 vcc, exec, s[28:29]
	s_cbranch_vccnz .LBB134_399
; %bb.398:
	v_cndmask_b32_e64 v3, 0, 1.0, s[24:25]
	v_mov_b32_e32 v4, 0
	global_store_dwordx2 v[0:1], v[3:4], off
.LBB134_399:
	s_mov_b64 s[28:29], 0
.LBB134_400:
	s_andn2_b64 vcc, exec, s[28:29]
	s_cbranch_vccnz .LBB134_402
; %bb.401:
	v_cndmask_b32_e64 v3, 0, 1.0, s[24:25]
	v_cvt_f16_f32_e32 v3, v3
	global_store_dword v[0:1], v3, off
.LBB134_402:
	s_mov_b64 s[28:29], 0
.LBB134_403:
	s_andn2_b64 vcc, exec, s[28:29]
	s_cbranch_vccnz .LBB134_412
; %bb.404:
	s_cmp_lt_i32 s30, 6
	s_mov_b64 s[28:29], -1
	s_cbranch_scc1 .LBB134_410
; %bb.405:
	s_cmp_gt_i32 s30, 6
	s_cbranch_scc0 .LBB134_407
; %bb.406:
	v_cndmask_b32_e64 v3, 0, 1, s[24:25]
	v_cvt_f64_u32_e32 v[3:4], v3
	s_mov_b64 s[28:29], 0
	global_store_dwordx2 v[0:1], v[3:4], off
.LBB134_407:
	s_andn2_b64 vcc, exec, s[28:29]
	s_cbranch_vccnz .LBB134_409
; %bb.408:
	v_cndmask_b32_e64 v3, 0, 1.0, s[24:25]
	global_store_dword v[0:1], v3, off
.LBB134_409:
	s_mov_b64 s[28:29], 0
.LBB134_410:
	s_andn2_b64 vcc, exec, s[28:29]
	s_cbranch_vccnz .LBB134_412
; %bb.411:
	v_cndmask_b32_e64 v3, 0, 1.0, s[24:25]
	v_cvt_f16_f32_e32 v3, v3
	global_store_short v[0:1], v3, off
.LBB134_412:
	s_mov_b64 s[28:29], 0
.LBB134_413:
	s_andn2_b64 vcc, exec, s[28:29]
	s_cbranch_vccnz .LBB134_429
; %bb.414:
	s_cmp_lt_i32 s30, 2
	s_mov_b64 s[28:29], -1
	s_cbranch_scc1 .LBB134_424
; %bb.415:
	s_cmp_lt_i32 s30, 3
	s_cbranch_scc1 .LBB134_421
; %bb.416:
	s_cmp_gt_i32 s30, 3
	s_cbranch_scc0 .LBB134_418
; %bb.417:
	s_mov_b32 s28, 0
	v_cndmask_b32_e64 v3, 0, 1, s[24:25]
	v_mov_b32_e32 v4, s28
	s_mov_b64 s[28:29], 0
	global_store_dwordx2 v[0:1], v[3:4], off
.LBB134_418:
	s_andn2_b64 vcc, exec, s[28:29]
	s_cbranch_vccnz .LBB134_420
; %bb.419:
	v_cndmask_b32_e64 v3, 0, 1, s[24:25]
	global_store_dword v[0:1], v3, off
.LBB134_420:
	s_mov_b64 s[28:29], 0
.LBB134_421:
	s_andn2_b64 vcc, exec, s[28:29]
	s_cbranch_vccnz .LBB134_423
; %bb.422:
	v_cndmask_b32_e64 v3, 0, 1, s[24:25]
	global_store_short v[0:1], v3, off
.LBB134_423:
	s_mov_b64 s[28:29], 0
.LBB134_424:
	s_andn2_b64 vcc, exec, s[28:29]
	s_cbranch_vccnz .LBB134_429
; %bb.425:
	s_mov_b64 s[28:29], -1
	s_cmp_gt_i32 s30, 0
	v_cndmask_b32_e64 v3, 0, 1, s[24:25]
	s_cbranch_scc0 .LBB134_427
; %bb.426:
	s_mov_b64 s[28:29], 0
	global_store_byte v[0:1], v3, off
.LBB134_427:
	s_andn2_b64 vcc, exec, s[28:29]
	s_cbranch_vccnz .LBB134_429
; %bb.428:
	global_store_byte v[0:1], v3, off
.LBB134_429:
	s_mov_b64 s[28:29], -1
.LBB134_430:
	s_andn2_b64 vcc, exec, s[28:29]
	s_cbranch_vccnz .LBB134_432
; %bb.431:
	v_add_u32_e32 v2, 0x80, v2
	s_mov_b64 s[28:29], -1
	s_branch .LBB134_545
.LBB134_432:
	s_mov_b64 s[28:29], 0
	s_branch .LBB134_544
.LBB134_433:
	s_mov_b64 s[22:23], -1
                                        ; implicit-def: $vgpr3
.LBB134_434:
	s_mov_b64 s[24:25], 0
.LBB134_435:
	s_and_b64 vcc, exec, s[24:25]
	s_cbranch_vccz .LBB134_439
; %bb.436:
	s_cmp_eq_u32 s30, 29
	s_cbranch_scc0 .LBB134_438
; %bb.437:
	global_load_dwordx2 v[3:4], v[0:1], off
	s_movk_i32 s22, 0x7fff
	s_mov_b64 s[0:1], -1
	s_mov_b64 s[24:25], 0
	s_waitcnt vmcnt(0)
	v_ffbh_u32_e32 v5, v4
	v_min_u32_e32 v5, 32, v5
	v_lshlrev_b64 v[3:4], v5, v[3:4]
	v_min_u32_e32 v3, 1, v3
	v_or_b32_e32 v3, v4, v3
	v_cvt_f32_u32_e32 v3, v3
	v_sub_u32_e32 v4, 32, v5
	v_ldexp_f32 v3, v3, v4
	v_bfe_u32 v4, v3, 16, 1
	v_add3_u32 v3, v3, v4, s22
	v_lshrrev_b32_e32 v3, 16, v3
	s_mov_b64 s[22:23], 0
	s_branch .LBB134_440
.LBB134_438:
	s_mov_b64 s[22:23], -1
                                        ; implicit-def: $vgpr3
.LBB134_439:
	s_mov_b64 s[24:25], 0
.LBB134_440:
	s_and_b64 vcc, exec, s[24:25]
	s_cbranch_vccz .LBB134_458
; %bb.441:
	s_cmp_lt_i32 s30, 27
	s_cbranch_scc1 .LBB134_444
; %bb.442:
	s_cmp_gt_i32 s30, 27
	s_cbranch_scc0 .LBB134_445
; %bb.443:
	global_load_dword v3, v[0:1], off
	s_movk_i32 s0, 0x7fff
	s_waitcnt vmcnt(0)
	v_cvt_f32_u32_e32 v3, v3
	v_bfe_u32 v4, v3, 16, 1
	v_add3_u32 v3, v3, v4, s0
	v_lshrrev_b32_e32 v3, 16, v3
	s_mov_b64 s[0:1], 0
	s_branch .LBB134_446
.LBB134_444:
	s_mov_b64 s[0:1], -1
                                        ; implicit-def: $vgpr3
	s_branch .LBB134_449
.LBB134_445:
	s_mov_b64 s[0:1], -1
                                        ; implicit-def: $vgpr3
.LBB134_446:
	s_andn2_b64 vcc, exec, s[0:1]
	s_cbranch_vccnz .LBB134_448
; %bb.447:
	global_load_ushort v3, v[0:1], off
	s_movk_i32 s0, 0x7fff
	s_waitcnt vmcnt(0)
	v_cvt_f32_u32_e32 v3, v3
	v_bfe_u32 v4, v3, 16, 1
	v_add3_u32 v3, v3, v4, s0
	v_lshrrev_b32_e32 v3, 16, v3
.LBB134_448:
	s_mov_b64 s[0:1], 0
.LBB134_449:
	s_andn2_b64 vcc, exec, s[0:1]
	s_cbranch_vccnz .LBB134_457
; %bb.450:
	global_load_ubyte v3, v[0:1], off
	s_movk_i32 s0, 0x7f
	s_waitcnt vmcnt(0)
	v_cmp_lt_i16_e32 vcc, s0, v3
	s_mov_b64 s[0:1], 0
	s_and_saveexec_b64 s[24:25], vcc
	s_xor_b64 s[24:25], exec, s[24:25]
	s_cbranch_execz .LBB134_471
; %bb.451:
	s_movk_i32 s0, 0x80
	v_cmp_eq_u16_e32 vcc, s0, v3
	s_mov_b64 s[0:1], -1
	s_and_saveexec_b64 s[28:29], vcc
; %bb.452:
	s_xor_b64 s[0:1], exec, -1
; %bb.453:
	s_or_b64 exec, exec, s[28:29]
	s_and_b64 s[0:1], s[0:1], exec
	s_or_saveexec_b64 s[24:25], s[24:25]
	v_mov_b32_e32 v4, 0x7f800001
	s_xor_b64 exec, exec, s[24:25]
	s_cbranch_execnz .LBB134_472
.LBB134_454:
	s_or_b64 exec, exec, s[24:25]
	s_and_saveexec_b64 s[24:25], s[0:1]
	s_cbranch_execz .LBB134_456
.LBB134_455:
	v_lshlrev_b32_e32 v4, 24, v3
	v_and_b32_e32 v3, 0xffff, v3
	v_and_b32_e32 v5, 7, v3
	v_ffbh_u32_e32 v7, v5
	v_min_u32_e32 v7, 32, v7
	v_subrev_u32_e32 v8, 28, v7
	v_bfe_u32 v6, v3, 3, 4
	v_lshlrev_b32_e32 v3, v8, v3
	v_sub_u32_e32 v7, 29, v7
	v_and_b32_e32 v3, 7, v3
	v_cmp_eq_u32_e32 vcc, 0, v6
	v_cndmask_b32_e32 v6, v6, v7, vcc
	v_cndmask_b32_e32 v3, v5, v3, vcc
	v_mov_b32_e32 v5, 0x3b800000
	v_lshlrev_b32_e32 v3, 20, v3
	v_and_b32_e32 v4, 0x80000000, v4
	v_lshl_add_u32 v5, v6, 23, v5
	v_or3_b32 v4, v4, v5, v3
.LBB134_456:
	s_or_b64 exec, exec, s[24:25]
	v_bfe_u32 v3, v4, 16, 1
	s_movk_i32 s0, 0x7fff
	v_add3_u32 v3, v4, v3, s0
	v_cmp_o_f32_e32 vcc, v4, v4
	v_mov_b32_e32 v4, 0x7fc0
	v_cndmask_b32_sdwa v3, v4, v3, vcc dst_sel:DWORD dst_unused:UNUSED_PAD src0_sel:DWORD src1_sel:WORD_1
.LBB134_457:
	s_mov_b64 s[0:1], -1
.LBB134_458:
	s_mov_b64 s[24:25], 0
.LBB134_459:
	s_and_b64 vcc, exec, s[24:25]
	s_cbranch_vccz .LBB134_494
; %bb.460:
	s_cmp_gt_i32 s30, 22
	s_cbranch_scc0 .LBB134_470
; %bb.461:
	s_cmp_lt_i32 s30, 24
	s_cbranch_scc1 .LBB134_473
; %bb.462:
	s_cmp_gt_i32 s30, 24
	s_cbranch_scc0 .LBB134_474
; %bb.463:
	global_load_ubyte v3, v[0:1], off
	s_movk_i32 s0, 0x7f
	s_waitcnt vmcnt(0)
	v_cmp_lt_i16_e32 vcc, s0, v3
	s_mov_b64 s[0:1], 0
	s_and_saveexec_b64 s[24:25], vcc
	s_xor_b64 s[24:25], exec, s[24:25]
	s_cbranch_execz .LBB134_486
; %bb.464:
	s_movk_i32 s0, 0x80
	v_cmp_eq_u16_e32 vcc, s0, v3
	s_mov_b64 s[0:1], -1
	s_and_saveexec_b64 s[28:29], vcc
; %bb.465:
	s_xor_b64 s[0:1], exec, -1
; %bb.466:
	s_or_b64 exec, exec, s[28:29]
	s_and_b64 s[0:1], s[0:1], exec
	s_or_saveexec_b64 s[24:25], s[24:25]
	v_mov_b32_e32 v4, 0x7f800001
	s_xor_b64 exec, exec, s[24:25]
	s_cbranch_execnz .LBB134_487
.LBB134_467:
	s_or_b64 exec, exec, s[24:25]
	s_and_saveexec_b64 s[24:25], s[0:1]
	s_cbranch_execz .LBB134_469
.LBB134_468:
	v_lshlrev_b32_e32 v4, 24, v3
	v_and_b32_e32 v3, 0xffff, v3
	v_and_b32_e32 v5, 3, v3
	v_ffbh_u32_e32 v7, v5
	v_min_u32_e32 v7, 32, v7
	v_subrev_u32_e32 v8, 29, v7
	v_bfe_u32 v6, v3, 2, 5
	v_lshlrev_b32_e32 v3, v8, v3
	v_sub_u32_e32 v7, 30, v7
	v_and_b32_e32 v3, 3, v3
	v_cmp_eq_u32_e32 vcc, 0, v6
	v_cndmask_b32_e32 v6, v6, v7, vcc
	v_cndmask_b32_e32 v3, v5, v3, vcc
	v_mov_b32_e32 v5, 0x37800000
	v_lshlrev_b32_e32 v3, 21, v3
	v_and_b32_e32 v4, 0x80000000, v4
	v_lshl_add_u32 v5, v6, 23, v5
	v_or3_b32 v4, v4, v5, v3
.LBB134_469:
	s_or_b64 exec, exec, s[24:25]
	v_bfe_u32 v3, v4, 16, 1
	s_movk_i32 s0, 0x7fff
	v_add3_u32 v3, v4, v3, s0
	v_cmp_o_f32_e32 vcc, v4, v4
	v_mov_b32_e32 v4, 0x7fc0
	v_cndmask_b32_sdwa v3, v4, v3, vcc dst_sel:DWORD dst_unused:UNUSED_PAD src0_sel:DWORD src1_sel:WORD_1
	s_mov_b64 s[0:1], 0
	s_branch .LBB134_475
.LBB134_470:
	s_mov_b64 s[24:25], -1
                                        ; implicit-def: $vgpr3
	s_branch .LBB134_481
.LBB134_471:
	s_or_saveexec_b64 s[24:25], s[24:25]
	v_mov_b32_e32 v4, 0x7f800001
	s_xor_b64 exec, exec, s[24:25]
	s_cbranch_execz .LBB134_454
.LBB134_472:
	v_cmp_ne_u16_e32 vcc, 0, v3
	s_andn2_b64 s[0:1], s[0:1], exec
	s_and_b64 s[28:29], vcc, exec
	v_mov_b32_e32 v4, 0
	s_or_b64 s[0:1], s[0:1], s[28:29]
	s_or_b64 exec, exec, s[24:25]
	s_and_saveexec_b64 s[24:25], s[0:1]
	s_cbranch_execnz .LBB134_455
	s_branch .LBB134_456
.LBB134_473:
	s_mov_b64 s[0:1], -1
                                        ; implicit-def: $vgpr3
	s_branch .LBB134_478
.LBB134_474:
	s_mov_b64 s[0:1], -1
                                        ; implicit-def: $vgpr3
.LBB134_475:
	s_and_b64 vcc, exec, s[0:1]
	s_cbranch_vccz .LBB134_477
; %bb.476:
	global_load_ubyte v3, v[0:1], off
	s_mov_b32 s0, 0x7f800000
	s_brev_b32 s1, 1
	s_movk_i32 s24, 0x7fff
	s_waitcnt vmcnt(0)
	v_lshlrev_b32_e32 v3, 24, v3
	v_and_b32_e32 v4, 0x7f000000, v3
	v_ffbh_u32_e32 v5, v4
	v_min_u32_e32 v5, 32, v5
	v_sub_u32_e64 v5, v5, 4 clamp
	v_lshlrev_b32_e32 v7, v5, v4
	v_lshlrev_b32_e32 v5, 23, v5
	v_lshrrev_b32_e32 v7, 4, v7
	v_add_u32_e32 v6, 0x1000000, v4
	v_sub_u32_e32 v5, v7, v5
	v_ashrrev_i32_e32 v6, 8, v6
	v_add_u32_e32 v5, 0x3c000000, v5
	v_and_or_b32 v5, v6, s0, v5
	v_cmp_ne_u32_e32 vcc, 0, v4
	v_cndmask_b32_e32 v4, 0, v5, vcc
	v_and_or_b32 v3, v3, s1, v4
	v_bfe_u32 v4, v4, 16, 1
	v_add3_u32 v4, v3, v4, s24
	v_cmp_o_f32_e32 vcc, v3, v3
	v_mov_b32_e32 v3, 0x7fc0
	v_cndmask_b32_sdwa v3, v3, v4, vcc dst_sel:DWORD dst_unused:UNUSED_PAD src0_sel:DWORD src1_sel:WORD_1
.LBB134_477:
	s_mov_b64 s[0:1], 0
.LBB134_478:
	s_andn2_b64 vcc, exec, s[0:1]
	s_cbranch_vccnz .LBB134_480
; %bb.479:
	global_load_ubyte v3, v[0:1], off
	s_movk_i32 s0, 0x7f00
	s_brev_b32 s1, 16
	s_brev_b32 s24, 1
	s_movk_i32 s25, 0x7fff
	s_waitcnt vmcnt(0)
	v_lshlrev_b16_e32 v4, 8, v3
	v_lshlrev_b32_e32 v3, 25, v3
	v_lshrrev_b32_e32 v5, 4, v3
	v_and_or_b32 v6, v4, s0, 0.5
	v_or_b32_e32 v5, 0x70000000, v5
	v_add_f32_e32 v6, -0.5, v6
	v_mul_f32_e32 v5, 0x7800000, v5
	v_cmp_gt_u32_e32 vcc, s1, v3
	v_bfe_i32 v4, v4, 0, 16
	v_cndmask_b32_e32 v3, v5, v6, vcc
	v_and_or_b32 v4, v4, s24, v3
	v_bfe_u32 v3, v3, 16, 1
	v_add3_u32 v3, v4, v3, s25
	v_cmp_o_f32_e32 vcc, v4, v4
	v_mov_b32_e32 v4, 0x7fc0
	v_cndmask_b32_sdwa v3, v4, v3, vcc dst_sel:DWORD dst_unused:UNUSED_PAD src0_sel:DWORD src1_sel:WORD_1
.LBB134_480:
	s_mov_b64 s[24:25], 0
	s_mov_b64 s[0:1], -1
.LBB134_481:
	s_andn2_b64 vcc, exec, s[24:25]
	s_cbranch_vccnz .LBB134_494
; %bb.482:
	s_cmp_gt_i32 s30, 14
	s_cbranch_scc0 .LBB134_485
; %bb.483:
	s_cmp_eq_u32 s30, 15
	s_cbranch_scc0 .LBB134_488
; %bb.484:
	global_load_ushort v3, v[0:1], off
	s_mov_b64 s[0:1], -1
	s_mov_b64 s[22:23], 0
	s_branch .LBB134_489
.LBB134_485:
	s_mov_b64 s[24:25], -1
                                        ; implicit-def: $vgpr3
	s_branch .LBB134_490
.LBB134_486:
	s_or_saveexec_b64 s[24:25], s[24:25]
	v_mov_b32_e32 v4, 0x7f800001
	s_xor_b64 exec, exec, s[24:25]
	s_cbranch_execz .LBB134_467
.LBB134_487:
	v_cmp_ne_u16_e32 vcc, 0, v3
	s_andn2_b64 s[0:1], s[0:1], exec
	s_and_b64 s[28:29], vcc, exec
	v_mov_b32_e32 v4, 0
	s_or_b64 s[0:1], s[0:1], s[28:29]
	s_or_b64 exec, exec, s[24:25]
	s_and_saveexec_b64 s[24:25], s[0:1]
	s_cbranch_execnz .LBB134_468
	s_branch .LBB134_469
.LBB134_488:
	s_mov_b64 s[22:23], -1
                                        ; implicit-def: $vgpr3
.LBB134_489:
	s_mov_b64 s[24:25], 0
.LBB134_490:
	s_and_b64 vcc, exec, s[24:25]
	s_cbranch_vccz .LBB134_494
; %bb.491:
	s_cmp_eq_u32 s30, 11
	s_cbranch_scc0 .LBB134_493
; %bb.492:
	global_load_ubyte v3, v[0:1], off
	s_mov_b64 s[0:1], -1
	s_mov_b64 s[22:23], 0
	s_waitcnt vmcnt(0)
	v_cmp_ne_u16_e32 vcc, 0, v3
	v_cndmask_b32_e64 v3, 0, 1.0, vcc
	v_lshrrev_b32_e32 v3, 16, v3
	s_branch .LBB134_494
.LBB134_493:
	s_mov_b64 s[22:23], -1
                                        ; implicit-def: $vgpr3
.LBB134_494:
	s_branch .LBB134_281
.LBB134_495:
	s_cmp_lt_i32 s30, 5
	s_cbranch_scc1 .LBB134_500
; %bb.496:
	s_cmp_lt_i32 s30, 8
	s_cbranch_scc1 .LBB134_501
; %bb.497:
	;; [unrolled: 3-line block ×3, first 2 shown]
	s_cmp_gt_i32 s30, 9
	s_cbranch_scc0 .LBB134_503
; %bb.499:
	global_load_dwordx2 v[3:4], v[0:1], off
	s_movk_i32 s0, 0x7fff
	s_waitcnt vmcnt(0)
	v_cvt_f32_f64_e32 v3, v[3:4]
	v_mov_b32_e32 v4, 0x7fc0
	v_bfe_u32 v5, v3, 16, 1
	v_cmp_o_f32_e32 vcc, v3, v3
	v_add3_u32 v3, v3, v5, s0
	v_cndmask_b32_sdwa v3, v4, v3, vcc dst_sel:DWORD dst_unused:UNUSED_PAD src0_sel:DWORD src1_sel:WORD_1
	s_mov_b64 s[0:1], 0
	s_branch .LBB134_504
.LBB134_500:
	s_mov_b64 s[0:1], -1
                                        ; implicit-def: $vgpr3
	s_branch .LBB134_522
.LBB134_501:
	s_mov_b64 s[0:1], -1
                                        ; implicit-def: $vgpr3
	s_branch .LBB134_510
.LBB134_502:
	s_mov_b64 s[0:1], -1
                                        ; implicit-def: $vgpr3
	s_branch .LBB134_507
.LBB134_503:
	s_mov_b64 s[0:1], -1
                                        ; implicit-def: $vgpr3
.LBB134_504:
	s_andn2_b64 vcc, exec, s[0:1]
	s_cbranch_vccnz .LBB134_506
; %bb.505:
	global_load_dword v3, v[0:1], off
	s_movk_i32 s0, 0x7fff
	v_mov_b32_e32 v4, 0x7fc0
	s_waitcnt vmcnt(0)
	v_bfe_u32 v5, v3, 16, 1
	v_cmp_o_f32_e32 vcc, v3, v3
	v_add3_u32 v3, v3, v5, s0
	v_cndmask_b32_sdwa v3, v4, v3, vcc dst_sel:DWORD dst_unused:UNUSED_PAD src0_sel:DWORD src1_sel:WORD_1
.LBB134_506:
	s_mov_b64 s[0:1], 0
.LBB134_507:
	s_andn2_b64 vcc, exec, s[0:1]
	s_cbranch_vccnz .LBB134_509
; %bb.508:
	global_load_dword v3, v[0:1], off
	s_movk_i32 s0, 0x7fff
	v_mov_b32_e32 v5, 0x7fc0
	s_waitcnt vmcnt(0)
	v_cvt_f32_f16_e32 v4, v3
	v_cmp_o_f16_e32 vcc, v3, v3
	v_bfe_u32 v3, v4, 16, 1
	v_add3_u32 v3, v4, v3, s0
	v_cndmask_b32_sdwa v3, v5, v3, vcc dst_sel:DWORD dst_unused:UNUSED_PAD src0_sel:DWORD src1_sel:WORD_1
.LBB134_509:
	s_mov_b64 s[0:1], 0
.LBB134_510:
	s_andn2_b64 vcc, exec, s[0:1]
	s_cbranch_vccnz .LBB134_521
; %bb.511:
	s_cmp_lt_i32 s30, 6
	s_cbranch_scc1 .LBB134_514
; %bb.512:
	s_cmp_gt_i32 s30, 6
	s_cbranch_scc0 .LBB134_515
; %bb.513:
	global_load_dwordx2 v[3:4], v[0:1], off
	s_movk_i32 s0, 0x7fff
	s_waitcnt vmcnt(0)
	v_cvt_f32_f64_e32 v3, v[3:4]
	v_mov_b32_e32 v4, 0x7fc0
	v_bfe_u32 v5, v3, 16, 1
	v_cmp_o_f32_e32 vcc, v3, v3
	v_add3_u32 v3, v3, v5, s0
	v_cndmask_b32_sdwa v3, v4, v3, vcc dst_sel:DWORD dst_unused:UNUSED_PAD src0_sel:DWORD src1_sel:WORD_1
	s_mov_b64 s[0:1], 0
	s_branch .LBB134_516
.LBB134_514:
	s_mov_b64 s[0:1], -1
                                        ; implicit-def: $vgpr3
	s_branch .LBB134_519
.LBB134_515:
	s_mov_b64 s[0:1], -1
                                        ; implicit-def: $vgpr3
.LBB134_516:
	s_andn2_b64 vcc, exec, s[0:1]
	s_cbranch_vccnz .LBB134_518
; %bb.517:
	global_load_dword v3, v[0:1], off
	s_movk_i32 s0, 0x7fff
	v_mov_b32_e32 v4, 0x7fc0
	s_waitcnt vmcnt(0)
	v_bfe_u32 v5, v3, 16, 1
	v_cmp_o_f32_e32 vcc, v3, v3
	v_add3_u32 v3, v3, v5, s0
	v_cndmask_b32_sdwa v3, v4, v3, vcc dst_sel:DWORD dst_unused:UNUSED_PAD src0_sel:DWORD src1_sel:WORD_1
.LBB134_518:
	s_mov_b64 s[0:1], 0
.LBB134_519:
	s_andn2_b64 vcc, exec, s[0:1]
	s_cbranch_vccnz .LBB134_521
; %bb.520:
	global_load_ushort v3, v[0:1], off
	s_movk_i32 s0, 0x7fff
	v_mov_b32_e32 v5, 0x7fc0
	s_waitcnt vmcnt(0)
	v_cvt_f32_f16_e32 v4, v3
	v_cmp_o_f16_e32 vcc, v3, v3
	v_bfe_u32 v3, v4, 16, 1
	v_add3_u32 v3, v4, v3, s0
	v_cndmask_b32_sdwa v3, v5, v3, vcc dst_sel:DWORD dst_unused:UNUSED_PAD src0_sel:DWORD src1_sel:WORD_1
.LBB134_521:
	s_mov_b64 s[0:1], 0
.LBB134_522:
	s_andn2_b64 vcc, exec, s[0:1]
	s_cbranch_vccnz .LBB134_542
; %bb.523:
	s_cmp_lt_i32 s30, 2
	s_cbranch_scc1 .LBB134_527
; %bb.524:
	s_cmp_lt_i32 s30, 3
	s_cbranch_scc1 .LBB134_528
; %bb.525:
	s_cmp_gt_i32 s30, 3
	s_cbranch_scc0 .LBB134_529
; %bb.526:
	global_load_dwordx2 v[3:4], v[0:1], off
	s_movk_i32 s0, 0x7fff
	s_waitcnt vmcnt(0)
	v_xor_b32_e32 v6, v3, v4
	v_ffbh_i32_e32 v5, v4
	v_ashrrev_i32_e32 v6, 31, v6
	v_add_u32_e32 v5, -1, v5
	v_add_u32_e32 v6, 32, v6
	v_min_u32_e32 v5, v5, v6
	v_lshlrev_b64 v[3:4], v5, v[3:4]
	v_min_u32_e32 v3, 1, v3
	v_or_b32_e32 v3, v4, v3
	v_cvt_f32_i32_e32 v3, v3
	v_sub_u32_e32 v4, 32, v5
	v_ldexp_f32 v3, v3, v4
	v_bfe_u32 v4, v3, 16, 1
	v_add3_u32 v3, v3, v4, s0
	v_lshrrev_b32_e32 v3, 16, v3
	s_mov_b64 s[0:1], 0
	s_branch .LBB134_530
.LBB134_527:
	s_mov_b64 s[0:1], -1
                                        ; implicit-def: $vgpr3
	s_branch .LBB134_536
.LBB134_528:
	s_mov_b64 s[0:1], -1
                                        ; implicit-def: $vgpr3
	s_branch .LBB134_533
.LBB134_529:
	s_mov_b64 s[0:1], -1
                                        ; implicit-def: $vgpr3
.LBB134_530:
	s_andn2_b64 vcc, exec, s[0:1]
	s_cbranch_vccnz .LBB134_532
; %bb.531:
	global_load_dword v3, v[0:1], off
	s_movk_i32 s0, 0x7fff
	s_waitcnt vmcnt(0)
	v_cvt_f32_i32_e32 v3, v3
	v_bfe_u32 v4, v3, 16, 1
	v_add3_u32 v3, v3, v4, s0
	v_lshrrev_b32_e32 v3, 16, v3
.LBB134_532:
	s_mov_b64 s[0:1], 0
.LBB134_533:
	s_andn2_b64 vcc, exec, s[0:1]
	s_cbranch_vccnz .LBB134_535
; %bb.534:
	global_load_sshort v3, v[0:1], off
	s_movk_i32 s0, 0x7fff
	s_waitcnt vmcnt(0)
	v_cvt_f32_i32_e32 v3, v3
	v_bfe_u32 v4, v3, 16, 1
	v_add3_u32 v3, v3, v4, s0
	v_lshrrev_b32_e32 v3, 16, v3
.LBB134_535:
	s_mov_b64 s[0:1], 0
.LBB134_536:
	s_andn2_b64 vcc, exec, s[0:1]
	s_cbranch_vccnz .LBB134_542
; %bb.537:
	s_cmp_gt_i32 s30, 0
	s_cbranch_scc0 .LBB134_539
; %bb.538:
	global_load_sbyte v3, v[0:1], off
	s_movk_i32 s0, 0x7fff
	s_waitcnt vmcnt(0)
	v_cvt_f32_i32_e32 v3, v3
	v_bfe_u32 v4, v3, 16, 1
	v_add3_u32 v3, v3, v4, s0
	v_lshrrev_b32_e32 v3, 16, v3
	s_mov_b64 s[0:1], 0
	s_branch .LBB134_540
.LBB134_539:
	s_mov_b64 s[0:1], -1
                                        ; implicit-def: $vgpr3
.LBB134_540:
	s_andn2_b64 vcc, exec, s[0:1]
	s_cbranch_vccnz .LBB134_542
; %bb.541:
	global_load_ubyte v0, v[0:1], off
	s_movk_i32 s0, 0x7fff
	s_waitcnt vmcnt(0)
	v_cvt_f32_ubyte0_e32 v0, v0
	v_bfe_u32 v1, v0, 16, 1
	v_add3_u32 v0, v0, v1, s0
	v_lshrrev_b32_e32 v3, 16, v0
.LBB134_542:
	s_branch .LBB134_282
.LBB134_543:
	s_mov_b64 s[28:29], 0
	s_mov_b64 s[0:1], s[16:17]
.LBB134_544:
                                        ; implicit-def: $vgpr2
.LBB134_545:
	s_andn2_b64 s[24:25], s[16:17], exec
	s_and_b64 s[0:1], s[0:1], exec
	s_or_b64 s[24:25], s[24:25], s[0:1]
	s_andn2_b64 s[0:1], s[18:19], exec
	s_and_b64 s[22:23], s[22:23], exec
	s_or_b64 s[22:23], s[0:1], s[22:23]
	s_orn2_b64 s[0:1], s[28:29], exec
.LBB134_546:
	s_or_b64 exec, exec, s[26:27]
	s_mov_b64 s[28:29], 0
	s_mov_b64 s[30:31], 0
	;; [unrolled: 1-line block ×3, first 2 shown]
                                        ; implicit-def: $vgpr0_vgpr1
                                        ; implicit-def: $vgpr3
	s_and_saveexec_b64 s[26:27], s[0:1]
	s_cbranch_execz .LBB134_909
; %bb.547:
	v_cmp_gt_i32_e32 vcc, s42, v2
	s_mov_b64 s[38:39], -1
	s_mov_b64 s[0:1], s[22:23]
	s_mov_b64 s[34:35], s[24:25]
	s_and_saveexec_b64 s[28:29], vcc
	s_cbranch_execz .LBB134_823
; %bb.548:
	v_mul_lo_u32 v0, v2, s13
	v_mov_b32_e32 v1, s11
	s_and_b32 s38, 0xffff, s15
	s_cmp_lt_i32 s38, 11
	s_waitcnt vmcnt(0)
	v_ashrrev_i32_e32 v3, 31, v0
	v_add_co_u32_e32 v0, vcc, s10, v0
	v_addc_co_u32_e32 v1, vcc, v1, v3, vcc
	s_cbranch_scc1 .LBB134_555
; %bb.549:
	s_cmp_gt_i32 s38, 25
	s_cbranch_scc0 .LBB134_556
; %bb.550:
	s_cmp_gt_i32 s38, 28
	s_cbranch_scc0 .LBB134_557
	;; [unrolled: 3-line block ×4, first 2 shown]
; %bb.553:
	s_cmp_eq_u32 s38, 46
	s_mov_b64 s[34:35], 0
	s_cbranch_scc0 .LBB134_564
; %bb.554:
	global_load_dword v3, v[0:1], off
	s_mov_b64 s[0:1], -1
	s_branch .LBB134_565
.LBB134_555:
	s_mov_b64 s[34:35], -1
	s_mov_b64 s[0:1], 0
                                        ; implicit-def: $vgpr3
	s_mov_b64 s[30:31], s[22:23]
	s_branch .LBB134_630
.LBB134_556:
	s_mov_b64 s[34:35], -1
	s_mov_b64 s[0:1], 0
	s_mov_b64 s[30:31], s[22:23]
                                        ; implicit-def: $vgpr3
	s_branch .LBB134_594
.LBB134_557:
	s_mov_b64 s[34:35], -1
	s_mov_b64 s[0:1], 0
	s_mov_b64 s[30:31], s[22:23]
                                        ; implicit-def: $vgpr3
	s_branch .LBB134_575
.LBB134_558:
	s_mov_b64 s[34:35], -1
	s_mov_b64 s[0:1], 0
	s_mov_b64 s[30:31], s[22:23]
                                        ; implicit-def: $vgpr3
	s_branch .LBB134_570
.LBB134_559:
	s_andn2_saveexec_b64 s[34:35], s[34:35]
	s_cbranch_execz .LBB134_343
.LBB134_560:
	v_add_f32_e32 v3, 0x46000000, v4
	v_and_b32_e32 v3, 0xff, v3
	v_cmp_ne_u32_e32 vcc, 0, v3
	s_andn2_b64 s[30:31], s[30:31], exec
	s_and_b64 s[38:39], vcc, exec
	s_or_b64 s[30:31], s[30:31], s[38:39]
	s_or_b64 exec, exec, s[34:35]
	v_mov_b32_e32 v5, 0
	s_and_saveexec_b64 s[34:35], s[30:31]
	s_cbranch_execnz .LBB134_344
	s_branch .LBB134_345
.LBB134_561:
	s_mov_b64 s[34:35], -1
	s_mov_b64 s[0:1], 0
	s_mov_b64 s[30:31], s[22:23]
                                        ; implicit-def: $vgpr3
	s_branch .LBB134_565
.LBB134_562:
	s_andn2_saveexec_b64 s[34:35], s[34:35]
	s_cbranch_execz .LBB134_356
.LBB134_563:
	v_add_f32_e32 v3, 0x42800000, v4
	v_and_b32_e32 v3, 0xff, v3
	v_cmp_ne_u32_e32 vcc, 0, v3
	s_andn2_b64 s[30:31], s[30:31], exec
	s_and_b64 s[38:39], vcc, exec
	s_or_b64 s[30:31], s[30:31], s[38:39]
	s_or_b64 exec, exec, s[34:35]
	v_mov_b32_e32 v5, 0
	s_and_saveexec_b64 s[34:35], s[30:31]
	s_cbranch_execnz .LBB134_357
	s_branch .LBB134_358
.LBB134_564:
	s_mov_b64 s[30:31], -1
                                        ; implicit-def: $vgpr3
	s_mov_b64 s[0:1], 0
.LBB134_565:
	s_and_b64 vcc, exec, s[34:35]
	s_cbranch_vccz .LBB134_569
; %bb.566:
	s_cmp_eq_u32 s38, 44
	s_cbranch_scc0 .LBB134_568
; %bb.567:
	global_load_ubyte v3, v[0:1], off
	s_movk_i32 s30, 0xff
	v_mov_b32_e32 v4, 0x7f800001
	v_mov_b32_e32 v5, 0x400000
	;; [unrolled: 1-line block ×3, first 2 shown]
	s_mov_b64 s[0:1], -1
	s_waitcnt vmcnt(0)
	v_lshlrev_b32_e32 v7, 23, v3
	v_cmp_ne_u32_e32 vcc, s30, v3
	v_cndmask_b32_e32 v4, v4, v7, vcc
	v_cmp_ne_u32_e32 vcc, 0, v3
	v_cndmask_b32_e32 v3, v5, v4, vcc
	v_add_u32_e32 v4, 0x7fff, v3
	v_cmp_o_f32_e32 vcc, v3, v3
	v_cndmask_b32_sdwa v3, v6, v4, vcc dst_sel:DWORD dst_unused:UNUSED_PAD src0_sel:DWORD src1_sel:WORD_1
	s_mov_b64 s[30:31], 0
	s_branch .LBB134_569
.LBB134_568:
	s_mov_b64 s[30:31], -1
                                        ; implicit-def: $vgpr3
.LBB134_569:
	s_mov_b64 s[34:35], 0
.LBB134_570:
	s_and_b64 vcc, exec, s[34:35]
	s_cbranch_vccz .LBB134_574
; %bb.571:
	s_cmp_eq_u32 s38, 29
	s_cbranch_scc0 .LBB134_573
; %bb.572:
	global_load_dwordx2 v[3:4], v[0:1], off
	s_movk_i32 s30, 0x7fff
	s_mov_b64 s[0:1], -1
	s_mov_b64 s[34:35], 0
	s_waitcnt vmcnt(0)
	v_ffbh_u32_e32 v5, v4
	v_min_u32_e32 v5, 32, v5
	v_lshlrev_b64 v[3:4], v5, v[3:4]
	v_min_u32_e32 v3, 1, v3
	v_or_b32_e32 v3, v4, v3
	v_cvt_f32_u32_e32 v3, v3
	v_sub_u32_e32 v4, 32, v5
	v_ldexp_f32 v3, v3, v4
	v_bfe_u32 v4, v3, 16, 1
	v_add3_u32 v3, v3, v4, s30
	v_lshrrev_b32_e32 v3, 16, v3
	s_mov_b64 s[30:31], 0
	s_branch .LBB134_575
.LBB134_573:
	s_mov_b64 s[30:31], -1
                                        ; implicit-def: $vgpr3
.LBB134_574:
	s_mov_b64 s[34:35], 0
.LBB134_575:
	s_and_b64 vcc, exec, s[34:35]
	s_cbranch_vccz .LBB134_593
; %bb.576:
	s_cmp_lt_i32 s38, 27
	s_cbranch_scc1 .LBB134_579
; %bb.577:
	s_cmp_gt_i32 s38, 27
	s_cbranch_scc0 .LBB134_580
; %bb.578:
	global_load_dword v3, v[0:1], off
	s_movk_i32 s0, 0x7fff
	s_waitcnt vmcnt(0)
	v_cvt_f32_u32_e32 v3, v3
	v_bfe_u32 v4, v3, 16, 1
	v_add3_u32 v3, v3, v4, s0
	v_lshrrev_b32_e32 v3, 16, v3
	s_mov_b64 s[0:1], 0
	s_branch .LBB134_581
.LBB134_579:
	s_mov_b64 s[0:1], -1
                                        ; implicit-def: $vgpr3
	s_branch .LBB134_584
.LBB134_580:
	s_mov_b64 s[0:1], -1
                                        ; implicit-def: $vgpr3
.LBB134_581:
	s_andn2_b64 vcc, exec, s[0:1]
	s_cbranch_vccnz .LBB134_583
; %bb.582:
	global_load_ushort v3, v[0:1], off
	s_movk_i32 s0, 0x7fff
	s_waitcnt vmcnt(0)
	v_cvt_f32_u32_e32 v3, v3
	v_bfe_u32 v4, v3, 16, 1
	v_add3_u32 v3, v3, v4, s0
	v_lshrrev_b32_e32 v3, 16, v3
.LBB134_583:
	s_mov_b64 s[0:1], 0
.LBB134_584:
	s_andn2_b64 vcc, exec, s[0:1]
	s_cbranch_vccnz .LBB134_592
; %bb.585:
	global_load_ubyte v3, v[0:1], off
	s_movk_i32 s0, 0x7f
	s_waitcnt vmcnt(0)
	v_cmp_lt_i16_e32 vcc, s0, v3
	s_mov_b64 s[0:1], 0
	s_and_saveexec_b64 s[34:35], vcc
	s_xor_b64 s[34:35], exec, s[34:35]
	s_cbranch_execz .LBB134_606
; %bb.586:
	s_movk_i32 s0, 0x80
	v_cmp_eq_u16_e32 vcc, s0, v3
	s_mov_b64 s[0:1], -1
	s_and_saveexec_b64 s[36:37], vcc
; %bb.587:
	s_xor_b64 s[0:1], exec, -1
; %bb.588:
	s_or_b64 exec, exec, s[36:37]
	s_and_b64 s[0:1], s[0:1], exec
	s_or_saveexec_b64 s[34:35], s[34:35]
	v_mov_b32_e32 v4, 0x7f800001
	s_xor_b64 exec, exec, s[34:35]
	s_cbranch_execnz .LBB134_607
.LBB134_589:
	s_or_b64 exec, exec, s[34:35]
	s_and_saveexec_b64 s[34:35], s[0:1]
	s_cbranch_execz .LBB134_591
.LBB134_590:
	v_lshlrev_b32_e32 v4, 24, v3
	v_and_b32_e32 v3, 0xffff, v3
	v_and_b32_e32 v5, 7, v3
	v_ffbh_u32_e32 v7, v5
	v_min_u32_e32 v7, 32, v7
	v_subrev_u32_e32 v8, 28, v7
	v_bfe_u32 v6, v3, 3, 4
	v_lshlrev_b32_e32 v3, v8, v3
	v_sub_u32_e32 v7, 29, v7
	v_and_b32_e32 v3, 7, v3
	v_cmp_eq_u32_e32 vcc, 0, v6
	v_cndmask_b32_e32 v6, v6, v7, vcc
	v_cndmask_b32_e32 v3, v5, v3, vcc
	v_mov_b32_e32 v5, 0x3b800000
	v_lshlrev_b32_e32 v3, 20, v3
	v_and_b32_e32 v4, 0x80000000, v4
	v_lshl_add_u32 v5, v6, 23, v5
	v_or3_b32 v4, v4, v5, v3
.LBB134_591:
	s_or_b64 exec, exec, s[34:35]
	v_bfe_u32 v3, v4, 16, 1
	s_movk_i32 s0, 0x7fff
	v_add3_u32 v3, v4, v3, s0
	v_cmp_o_f32_e32 vcc, v4, v4
	v_mov_b32_e32 v4, 0x7fc0
	v_cndmask_b32_sdwa v3, v4, v3, vcc dst_sel:DWORD dst_unused:UNUSED_PAD src0_sel:DWORD src1_sel:WORD_1
.LBB134_592:
	s_mov_b64 s[0:1], -1
.LBB134_593:
	s_mov_b64 s[34:35], 0
.LBB134_594:
	s_and_b64 vcc, exec, s[34:35]
	s_cbranch_vccz .LBB134_629
; %bb.595:
	s_cmp_gt_i32 s38, 22
	s_cbranch_scc0 .LBB134_605
; %bb.596:
	s_cmp_lt_i32 s38, 24
	s_cbranch_scc1 .LBB134_608
; %bb.597:
	s_cmp_gt_i32 s38, 24
	s_cbranch_scc0 .LBB134_609
; %bb.598:
	global_load_ubyte v3, v[0:1], off
	s_movk_i32 s0, 0x7f
	s_waitcnt vmcnt(0)
	v_cmp_lt_i16_e32 vcc, s0, v3
	s_mov_b64 s[0:1], 0
	s_and_saveexec_b64 s[34:35], vcc
	s_xor_b64 s[34:35], exec, s[34:35]
	s_cbranch_execz .LBB134_621
; %bb.599:
	s_movk_i32 s0, 0x80
	v_cmp_eq_u16_e32 vcc, s0, v3
	s_mov_b64 s[0:1], -1
	s_and_saveexec_b64 s[36:37], vcc
; %bb.600:
	s_xor_b64 s[0:1], exec, -1
; %bb.601:
	s_or_b64 exec, exec, s[36:37]
	s_and_b64 s[0:1], s[0:1], exec
	s_or_saveexec_b64 s[34:35], s[34:35]
	v_mov_b32_e32 v4, 0x7f800001
	s_xor_b64 exec, exec, s[34:35]
	s_cbranch_execnz .LBB134_622
.LBB134_602:
	s_or_b64 exec, exec, s[34:35]
	s_and_saveexec_b64 s[34:35], s[0:1]
	s_cbranch_execz .LBB134_604
.LBB134_603:
	v_lshlrev_b32_e32 v4, 24, v3
	v_and_b32_e32 v3, 0xffff, v3
	v_and_b32_e32 v5, 3, v3
	v_ffbh_u32_e32 v7, v5
	v_min_u32_e32 v7, 32, v7
	v_subrev_u32_e32 v8, 29, v7
	v_bfe_u32 v6, v3, 2, 5
	v_lshlrev_b32_e32 v3, v8, v3
	v_sub_u32_e32 v7, 30, v7
	v_and_b32_e32 v3, 3, v3
	v_cmp_eq_u32_e32 vcc, 0, v6
	v_cndmask_b32_e32 v6, v6, v7, vcc
	v_cndmask_b32_e32 v3, v5, v3, vcc
	v_mov_b32_e32 v5, 0x37800000
	v_lshlrev_b32_e32 v3, 21, v3
	v_and_b32_e32 v4, 0x80000000, v4
	v_lshl_add_u32 v5, v6, 23, v5
	v_or3_b32 v4, v4, v5, v3
.LBB134_604:
	s_or_b64 exec, exec, s[34:35]
	v_bfe_u32 v3, v4, 16, 1
	s_movk_i32 s0, 0x7fff
	v_add3_u32 v3, v4, v3, s0
	v_cmp_o_f32_e32 vcc, v4, v4
	v_mov_b32_e32 v4, 0x7fc0
	v_cndmask_b32_sdwa v3, v4, v3, vcc dst_sel:DWORD dst_unused:UNUSED_PAD src0_sel:DWORD src1_sel:WORD_1
	s_mov_b64 s[0:1], 0
	s_branch .LBB134_610
.LBB134_605:
	s_mov_b64 s[34:35], -1
                                        ; implicit-def: $vgpr3
	s_branch .LBB134_616
.LBB134_606:
	s_or_saveexec_b64 s[34:35], s[34:35]
	v_mov_b32_e32 v4, 0x7f800001
	s_xor_b64 exec, exec, s[34:35]
	s_cbranch_execz .LBB134_589
.LBB134_607:
	v_cmp_ne_u16_e32 vcc, 0, v3
	s_andn2_b64 s[0:1], s[0:1], exec
	s_and_b64 s[36:37], vcc, exec
	v_mov_b32_e32 v4, 0
	s_or_b64 s[0:1], s[0:1], s[36:37]
	s_or_b64 exec, exec, s[34:35]
	s_and_saveexec_b64 s[34:35], s[0:1]
	s_cbranch_execnz .LBB134_590
	s_branch .LBB134_591
.LBB134_608:
	s_mov_b64 s[0:1], -1
                                        ; implicit-def: $vgpr3
	s_branch .LBB134_613
.LBB134_609:
	s_mov_b64 s[0:1], -1
                                        ; implicit-def: $vgpr3
.LBB134_610:
	s_and_b64 vcc, exec, s[0:1]
	s_cbranch_vccz .LBB134_612
; %bb.611:
	global_load_ubyte v3, v[0:1], off
	s_mov_b32 s0, 0x7f800000
	s_brev_b32 s1, 1
	s_movk_i32 s34, 0x7fff
	s_waitcnt vmcnt(0)
	v_lshlrev_b32_e32 v3, 24, v3
	v_and_b32_e32 v4, 0x7f000000, v3
	v_ffbh_u32_e32 v5, v4
	v_min_u32_e32 v5, 32, v5
	v_sub_u32_e64 v5, v5, 4 clamp
	v_lshlrev_b32_e32 v7, v5, v4
	v_lshlrev_b32_e32 v5, 23, v5
	v_lshrrev_b32_e32 v7, 4, v7
	v_add_u32_e32 v6, 0x1000000, v4
	v_sub_u32_e32 v5, v7, v5
	v_ashrrev_i32_e32 v6, 8, v6
	v_add_u32_e32 v5, 0x3c000000, v5
	v_and_or_b32 v5, v6, s0, v5
	v_cmp_ne_u32_e32 vcc, 0, v4
	v_cndmask_b32_e32 v4, 0, v5, vcc
	v_and_or_b32 v3, v3, s1, v4
	v_bfe_u32 v4, v4, 16, 1
	v_add3_u32 v4, v3, v4, s34
	v_cmp_o_f32_e32 vcc, v3, v3
	v_mov_b32_e32 v3, 0x7fc0
	v_cndmask_b32_sdwa v3, v3, v4, vcc dst_sel:DWORD dst_unused:UNUSED_PAD src0_sel:DWORD src1_sel:WORD_1
.LBB134_612:
	s_mov_b64 s[0:1], 0
.LBB134_613:
	s_andn2_b64 vcc, exec, s[0:1]
	s_cbranch_vccnz .LBB134_615
; %bb.614:
	global_load_ubyte v3, v[0:1], off
	s_movk_i32 s0, 0x7f00
	s_brev_b32 s1, 16
	s_brev_b32 s34, 1
	s_movk_i32 s35, 0x7fff
	s_waitcnt vmcnt(0)
	v_lshlrev_b16_e32 v4, 8, v3
	v_lshlrev_b32_e32 v3, 25, v3
	v_lshrrev_b32_e32 v5, 4, v3
	v_and_or_b32 v6, v4, s0, 0.5
	v_or_b32_e32 v5, 0x70000000, v5
	v_add_f32_e32 v6, -0.5, v6
	v_mul_f32_e32 v5, 0x7800000, v5
	v_cmp_gt_u32_e32 vcc, s1, v3
	v_bfe_i32 v4, v4, 0, 16
	v_cndmask_b32_e32 v3, v5, v6, vcc
	v_and_or_b32 v4, v4, s34, v3
	v_bfe_u32 v3, v3, 16, 1
	v_add3_u32 v3, v4, v3, s35
	v_cmp_o_f32_e32 vcc, v4, v4
	v_mov_b32_e32 v4, 0x7fc0
	v_cndmask_b32_sdwa v3, v4, v3, vcc dst_sel:DWORD dst_unused:UNUSED_PAD src0_sel:DWORD src1_sel:WORD_1
.LBB134_615:
	s_mov_b64 s[34:35], 0
	s_mov_b64 s[0:1], -1
.LBB134_616:
	s_andn2_b64 vcc, exec, s[34:35]
	s_cbranch_vccnz .LBB134_629
; %bb.617:
	s_cmp_gt_i32 s38, 14
	s_cbranch_scc0 .LBB134_620
; %bb.618:
	s_cmp_eq_u32 s38, 15
	s_cbranch_scc0 .LBB134_623
; %bb.619:
	global_load_ushort v3, v[0:1], off
	s_mov_b64 s[0:1], -1
	s_mov_b64 s[30:31], 0
	s_branch .LBB134_624
.LBB134_620:
	s_mov_b64 s[34:35], -1
                                        ; implicit-def: $vgpr3
	s_branch .LBB134_625
.LBB134_621:
	s_or_saveexec_b64 s[34:35], s[34:35]
	v_mov_b32_e32 v4, 0x7f800001
	s_xor_b64 exec, exec, s[34:35]
	s_cbranch_execz .LBB134_602
.LBB134_622:
	v_cmp_ne_u16_e32 vcc, 0, v3
	s_andn2_b64 s[0:1], s[0:1], exec
	s_and_b64 s[36:37], vcc, exec
	v_mov_b32_e32 v4, 0
	s_or_b64 s[0:1], s[0:1], s[36:37]
	s_or_b64 exec, exec, s[34:35]
	s_and_saveexec_b64 s[34:35], s[0:1]
	s_cbranch_execnz .LBB134_603
	s_branch .LBB134_604
.LBB134_623:
	s_mov_b64 s[30:31], -1
                                        ; implicit-def: $vgpr3
.LBB134_624:
	s_mov_b64 s[34:35], 0
.LBB134_625:
	s_and_b64 vcc, exec, s[34:35]
	s_cbranch_vccz .LBB134_629
; %bb.626:
	s_cmp_eq_u32 s38, 11
	s_cbranch_scc0 .LBB134_628
; %bb.627:
	global_load_ubyte v3, v[0:1], off
	s_mov_b64 s[0:1], -1
	s_mov_b64 s[30:31], 0
	s_waitcnt vmcnt(0)
	v_cmp_ne_u16_e32 vcc, 0, v3
	v_cndmask_b32_e64 v3, 0, 1.0, vcc
	v_lshrrev_b32_e32 v3, 16, v3
	s_branch .LBB134_629
.LBB134_628:
	s_mov_b64 s[30:31], -1
                                        ; implicit-def: $vgpr3
.LBB134_629:
	s_mov_b64 s[34:35], 0
.LBB134_630:
	s_and_b64 vcc, exec, s[34:35]
	s_cbranch_vccz .LBB134_679
; %bb.631:
	s_cmp_lt_i32 s38, 5
	s_cbranch_scc1 .LBB134_636
; %bb.632:
	s_cmp_lt_i32 s38, 8
	s_cbranch_scc1 .LBB134_637
	;; [unrolled: 3-line block ×3, first 2 shown]
; %bb.634:
	s_cmp_gt_i32 s38, 9
	s_cbranch_scc0 .LBB134_639
; %bb.635:
	global_load_dwordx2 v[3:4], v[0:1], off
	s_movk_i32 s0, 0x7fff
	s_waitcnt vmcnt(0)
	v_cvt_f32_f64_e32 v3, v[3:4]
	v_mov_b32_e32 v4, 0x7fc0
	v_bfe_u32 v5, v3, 16, 1
	v_cmp_o_f32_e32 vcc, v3, v3
	v_add3_u32 v3, v3, v5, s0
	v_cndmask_b32_sdwa v3, v4, v3, vcc dst_sel:DWORD dst_unused:UNUSED_PAD src0_sel:DWORD src1_sel:WORD_1
	s_mov_b64 s[0:1], 0
	s_branch .LBB134_640
.LBB134_636:
	s_mov_b64 s[0:1], -1
                                        ; implicit-def: $vgpr3
	s_branch .LBB134_658
.LBB134_637:
	s_mov_b64 s[0:1], -1
                                        ; implicit-def: $vgpr3
	s_branch .LBB134_646
.LBB134_638:
	s_mov_b64 s[0:1], -1
                                        ; implicit-def: $vgpr3
	s_branch .LBB134_643
.LBB134_639:
	s_mov_b64 s[0:1], -1
                                        ; implicit-def: $vgpr3
.LBB134_640:
	s_andn2_b64 vcc, exec, s[0:1]
	s_cbranch_vccnz .LBB134_642
; %bb.641:
	global_load_dword v3, v[0:1], off
	s_movk_i32 s0, 0x7fff
	v_mov_b32_e32 v4, 0x7fc0
	s_waitcnt vmcnt(0)
	v_bfe_u32 v5, v3, 16, 1
	v_cmp_o_f32_e32 vcc, v3, v3
	v_add3_u32 v3, v3, v5, s0
	v_cndmask_b32_sdwa v3, v4, v3, vcc dst_sel:DWORD dst_unused:UNUSED_PAD src0_sel:DWORD src1_sel:WORD_1
.LBB134_642:
	s_mov_b64 s[0:1], 0
.LBB134_643:
	s_andn2_b64 vcc, exec, s[0:1]
	s_cbranch_vccnz .LBB134_645
; %bb.644:
	global_load_dword v3, v[0:1], off
	s_movk_i32 s0, 0x7fff
	v_mov_b32_e32 v5, 0x7fc0
	s_waitcnt vmcnt(0)
	v_cvt_f32_f16_e32 v4, v3
	v_cmp_o_f16_e32 vcc, v3, v3
	v_bfe_u32 v3, v4, 16, 1
	v_add3_u32 v3, v4, v3, s0
	v_cndmask_b32_sdwa v3, v5, v3, vcc dst_sel:DWORD dst_unused:UNUSED_PAD src0_sel:DWORD src1_sel:WORD_1
.LBB134_645:
	s_mov_b64 s[0:1], 0
.LBB134_646:
	s_andn2_b64 vcc, exec, s[0:1]
	s_cbranch_vccnz .LBB134_657
; %bb.647:
	s_cmp_lt_i32 s38, 6
	s_cbranch_scc1 .LBB134_650
; %bb.648:
	s_cmp_gt_i32 s38, 6
	s_cbranch_scc0 .LBB134_651
; %bb.649:
	global_load_dwordx2 v[3:4], v[0:1], off
	s_movk_i32 s0, 0x7fff
	s_waitcnt vmcnt(0)
	v_cvt_f32_f64_e32 v3, v[3:4]
	v_mov_b32_e32 v4, 0x7fc0
	v_bfe_u32 v5, v3, 16, 1
	v_cmp_o_f32_e32 vcc, v3, v3
	v_add3_u32 v3, v3, v5, s0
	v_cndmask_b32_sdwa v3, v4, v3, vcc dst_sel:DWORD dst_unused:UNUSED_PAD src0_sel:DWORD src1_sel:WORD_1
	s_mov_b64 s[0:1], 0
	s_branch .LBB134_652
.LBB134_650:
	s_mov_b64 s[0:1], -1
                                        ; implicit-def: $vgpr3
	s_branch .LBB134_655
.LBB134_651:
	s_mov_b64 s[0:1], -1
                                        ; implicit-def: $vgpr3
.LBB134_652:
	s_andn2_b64 vcc, exec, s[0:1]
	s_cbranch_vccnz .LBB134_654
; %bb.653:
	global_load_dword v3, v[0:1], off
	s_movk_i32 s0, 0x7fff
	v_mov_b32_e32 v4, 0x7fc0
	s_waitcnt vmcnt(0)
	v_bfe_u32 v5, v3, 16, 1
	v_cmp_o_f32_e32 vcc, v3, v3
	v_add3_u32 v3, v3, v5, s0
	v_cndmask_b32_sdwa v3, v4, v3, vcc dst_sel:DWORD dst_unused:UNUSED_PAD src0_sel:DWORD src1_sel:WORD_1
.LBB134_654:
	s_mov_b64 s[0:1], 0
.LBB134_655:
	s_andn2_b64 vcc, exec, s[0:1]
	s_cbranch_vccnz .LBB134_657
; %bb.656:
	global_load_ushort v3, v[0:1], off
	s_movk_i32 s0, 0x7fff
	v_mov_b32_e32 v5, 0x7fc0
	s_waitcnt vmcnt(0)
	v_cvt_f32_f16_e32 v4, v3
	v_cmp_o_f16_e32 vcc, v3, v3
	v_bfe_u32 v3, v4, 16, 1
	v_add3_u32 v3, v4, v3, s0
	v_cndmask_b32_sdwa v3, v5, v3, vcc dst_sel:DWORD dst_unused:UNUSED_PAD src0_sel:DWORD src1_sel:WORD_1
.LBB134_657:
	s_mov_b64 s[0:1], 0
.LBB134_658:
	s_andn2_b64 vcc, exec, s[0:1]
	s_cbranch_vccnz .LBB134_678
; %bb.659:
	s_cmp_lt_i32 s38, 2
	s_cbranch_scc1 .LBB134_663
; %bb.660:
	s_cmp_lt_i32 s38, 3
	s_cbranch_scc1 .LBB134_664
; %bb.661:
	s_cmp_gt_i32 s38, 3
	s_cbranch_scc0 .LBB134_665
; %bb.662:
	global_load_dwordx2 v[3:4], v[0:1], off
	s_movk_i32 s0, 0x7fff
	s_waitcnt vmcnt(0)
	v_xor_b32_e32 v6, v3, v4
	v_ffbh_i32_e32 v5, v4
	v_ashrrev_i32_e32 v6, 31, v6
	v_add_u32_e32 v5, -1, v5
	v_add_u32_e32 v6, 32, v6
	v_min_u32_e32 v5, v5, v6
	v_lshlrev_b64 v[3:4], v5, v[3:4]
	v_min_u32_e32 v3, 1, v3
	v_or_b32_e32 v3, v4, v3
	v_cvt_f32_i32_e32 v3, v3
	v_sub_u32_e32 v4, 32, v5
	v_ldexp_f32 v3, v3, v4
	v_bfe_u32 v4, v3, 16, 1
	v_add3_u32 v3, v3, v4, s0
	v_lshrrev_b32_e32 v3, 16, v3
	s_mov_b64 s[0:1], 0
	s_branch .LBB134_666
.LBB134_663:
	s_mov_b64 s[0:1], -1
                                        ; implicit-def: $vgpr3
	s_branch .LBB134_672
.LBB134_664:
	s_mov_b64 s[0:1], -1
                                        ; implicit-def: $vgpr3
	s_branch .LBB134_669
.LBB134_665:
	s_mov_b64 s[0:1], -1
                                        ; implicit-def: $vgpr3
.LBB134_666:
	s_andn2_b64 vcc, exec, s[0:1]
	s_cbranch_vccnz .LBB134_668
; %bb.667:
	global_load_dword v3, v[0:1], off
	s_movk_i32 s0, 0x7fff
	s_waitcnt vmcnt(0)
	v_cvt_f32_i32_e32 v3, v3
	v_bfe_u32 v4, v3, 16, 1
	v_add3_u32 v3, v3, v4, s0
	v_lshrrev_b32_e32 v3, 16, v3
.LBB134_668:
	s_mov_b64 s[0:1], 0
.LBB134_669:
	s_andn2_b64 vcc, exec, s[0:1]
	s_cbranch_vccnz .LBB134_671
; %bb.670:
	global_load_sshort v3, v[0:1], off
	s_movk_i32 s0, 0x7fff
	s_waitcnt vmcnt(0)
	v_cvt_f32_i32_e32 v3, v3
	v_bfe_u32 v4, v3, 16, 1
	v_add3_u32 v3, v3, v4, s0
	v_lshrrev_b32_e32 v3, 16, v3
.LBB134_671:
	s_mov_b64 s[0:1], 0
.LBB134_672:
	s_andn2_b64 vcc, exec, s[0:1]
	s_cbranch_vccnz .LBB134_678
; %bb.673:
	s_cmp_gt_i32 s38, 0
	s_cbranch_scc0 .LBB134_675
; %bb.674:
	global_load_sbyte v3, v[0:1], off
	s_movk_i32 s0, 0x7fff
	s_waitcnt vmcnt(0)
	v_cvt_f32_i32_e32 v3, v3
	v_bfe_u32 v4, v3, 16, 1
	v_add3_u32 v3, v3, v4, s0
	v_lshrrev_b32_e32 v3, 16, v3
	s_mov_b64 s[0:1], 0
	s_branch .LBB134_676
.LBB134_675:
	s_mov_b64 s[0:1], -1
                                        ; implicit-def: $vgpr3
.LBB134_676:
	s_andn2_b64 vcc, exec, s[0:1]
	s_cbranch_vccnz .LBB134_678
; %bb.677:
	global_load_ubyte v0, v[0:1], off
	s_movk_i32 s0, 0x7fff
	s_waitcnt vmcnt(0)
	v_cvt_f32_ubyte0_e32 v0, v0
	v_bfe_u32 v1, v0, 16, 1
	v_add3_u32 v0, v0, v1, s0
	v_lshrrev_b32_e32 v3, 16, v0
.LBB134_678:
	s_mov_b64 s[0:1], -1
.LBB134_679:
	s_andn2_b64 vcc, exec, s[0:1]
	s_cbranch_vccnz .LBB134_684
; %bb.680:
	s_waitcnt vmcnt(0)
	v_lshlrev_b32_e32 v0, 16, v3
	s_cmp_lt_i32 s14, 1
	s_mov_b64 s[0:1], 0
	s_cbranch_scc1 .LBB134_685
; %bb.681:
	s_cmp_gt_i32 s14, 1
	s_cbranch_scc0 .LBB134_686
; %bb.682:
	s_cmp_eq_u32 s14, 2
	s_cbranch_scc0 .LBB134_687
; %bb.683:
	v_cmp_ge_f32_e64 s[34:35], s33, v0
	s_mov_b64 s[36:37], 0
	s_branch .LBB134_688
.LBB134_684:
	s_mov_b64 s[36:37], 0
	s_mov_b64 s[0:1], s[24:25]
	s_branch .LBB134_821
.LBB134_685:
	s_mov_b64 s[38:39], -1
                                        ; implicit-def: $sgpr34_sgpr35
	s_mov_b64 s[36:37], 0
	s_branch .LBB134_692
.LBB134_686:
	s_mov_b64 s[38:39], -1
	s_mov_b64 s[36:37], 0
                                        ; implicit-def: $sgpr34_sgpr35
	s_branch .LBB134_689
.LBB134_687:
	s_mov_b64 s[36:37], -1
                                        ; implicit-def: $sgpr34_sgpr35
.LBB134_688:
	s_mov_b64 s[38:39], 0
.LBB134_689:
	s_and_b64 vcc, exec, s[38:39]
	s_cbranch_vccz .LBB134_691
; %bb.690:
	v_cmp_lt_f32_e32 vcc, s33, v0
	s_andn2_b64 s[34:35], s[34:35], exec
	s_and_b64 s[38:39], vcc, exec
	s_or_b64 s[34:35], s[34:35], s[38:39]
.LBB134_691:
	s_mov_b64 s[38:39], 0
.LBB134_692:
	s_and_b64 vcc, exec, s[38:39]
	s_cbranch_vccz .LBB134_703
; %bb.693:
	s_cmp_lg_u32 s14, 0
	s_mov_b64 s[0:1], -1
	s_cselect_b64 s[36:37], -1, 0
	s_andn2_b64 vcc, exec, s[36:37]
	s_cbranch_vccz .LBB134_704
.LBB134_694:
	s_andn2_b64 vcc, exec, s[0:1]
	s_cbranch_vccnz .LBB134_696
.LBB134_695:
	v_cmp_le_f32_e32 vcc, s33, v0
	s_andn2_b64 s[0:1], s[34:35], exec
	s_and_b64 s[34:35], vcc, exec
	s_or_b64 s[34:35], s[0:1], s[34:35]
.LBB134_696:
	v_mul_lo_u32 v0, v2, s12
	v_mov_b32_e32 v1, s9
	s_and_b32 s43, s3, 0xff
	s_cmp_lt_i32 s43, 11
	v_ashrrev_i32_e32 v3, 31, v0
	v_add_co_u32_e32 v0, vcc, s8, v0
	v_addc_co_u32_e32 v1, vcc, v1, v3, vcc
	s_cbranch_scc1 .LBB134_705
; %bb.697:
	s_and_b32 s44, 0xffff, s43
	s_cmp_gt_i32 s44, 25
	s_cbranch_scc0 .LBB134_706
; %bb.698:
	s_cmp_gt_i32 s44, 28
	s_cbranch_scc0 .LBB134_707
; %bb.699:
	s_cmp_gt_i32 s44, 43
	s_cbranch_scc0 .LBB134_708
; %bb.700:
	s_cmp_gt_i32 s44, 45
	s_cbranch_scc0 .LBB134_709
; %bb.701:
	s_mov_b64 s[38:39], 0
	s_mov_b64 s[0:1], -1
	s_cmp_eq_u32 s44, 46
	s_mov_b64 s[36:37], 0
	s_cbranch_scc0 .LBB134_710
; %bb.702:
	v_cndmask_b32_e64 v3, 0, 1.0, s[34:35]
	v_bfe_u32 v4, v3, 16, 1
	s_movk_i32 s0, 0x7fff
	v_add3_u32 v3, v3, v4, s0
	v_lshrrev_b32_e32 v3, 16, v3
	global_store_dword v[0:1], v3, off
	s_mov_b64 s[36:37], -1
	s_mov_b64 s[0:1], 0
	s_branch .LBB134_710
.LBB134_703:
	s_andn2_b64 vcc, exec, s[36:37]
	s_cbranch_vccnz .LBB134_694
.LBB134_704:
	v_cmp_gt_f32_e32 vcc, s33, v0
	s_andn2_b64 s[34:35], s[34:35], exec
	s_and_b64 s[36:37], vcc, exec
	s_or_b64 s[34:35], s[34:35], s[36:37]
	s_cbranch_execz .LBB134_695
	s_branch .LBB134_696
.LBB134_705:
	s_mov_b64 s[38:39], -1
	s_mov_b64 s[36:37], 0
	s_mov_b64 s[0:1], s[24:25]
	s_branch .LBB134_779
.LBB134_706:
	s_mov_b64 s[38:39], -1
	s_mov_b64 s[36:37], 0
	s_mov_b64 s[0:1], s[24:25]
	s_branch .LBB134_737
.LBB134_707:
	s_mov_b64 s[38:39], -1
	s_mov_b64 s[36:37], 0
	s_mov_b64 s[0:1], s[24:25]
	s_branch .LBB134_720
.LBB134_708:
	s_mov_b64 s[38:39], -1
	s_mov_b64 s[36:37], 0
	s_mov_b64 s[0:1], s[24:25]
	s_branch .LBB134_716
.LBB134_709:
	s_mov_b64 s[38:39], -1
	s_mov_b64 s[36:37], 0
	s_mov_b64 s[0:1], s[24:25]
.LBB134_710:
	s_and_b64 vcc, exec, s[38:39]
	s_cbranch_vccz .LBB134_715
; %bb.711:
	s_cmp_eq_u32 s44, 44
	s_mov_b64 s[0:1], -1
	s_cbranch_scc0 .LBB134_715
; %bb.712:
	v_cndmask_b32_e64 v4, 0, 1.0, s[34:35]
	v_lshrrev_b32_e32 v3, 23, v4
	s_movk_i32 s0, 0xff
	v_cmp_ne_u32_e32 vcc, s0, v3
	v_mov_b32_e32 v5, 0xff
	s_and_saveexec_b64 s[36:37], vcc
; %bb.713:
	s_mov_b32 s0, 0x3fffff
	v_and_b32_e32 v5, 0x400000, v4
	v_and_or_b32 v4, v4, s0, v3
	v_cmp_ne_u32_e32 vcc, 0, v5
	v_cmp_ne_u32_e64 s[0:1], 0, v4
	s_and_b64 s[0:1], vcc, s[0:1]
	v_cndmask_b32_e64 v4, 0, 1, s[0:1]
	v_add_u32_e32 v5, v3, v4
; %bb.714:
	s_or_b64 exec, exec, s[36:37]
	s_mov_b64 s[36:37], -1
	s_mov_b64 s[0:1], 0
	global_store_byte v[0:1], v5, off
.LBB134_715:
	s_mov_b64 s[38:39], 0
.LBB134_716:
	s_and_b64 vcc, exec, s[38:39]
	s_cbranch_vccz .LBB134_719
; %bb.717:
	s_cmp_eq_u32 s44, 29
	s_mov_b64 s[0:1], -1
	s_cbranch_scc0 .LBB134_719
; %bb.718:
	s_mov_b32 s0, 0
	v_cndmask_b32_e64 v3, 0, 1, s[34:35]
	v_mov_b32_e32 v4, s0
	global_store_dwordx2 v[0:1], v[3:4], off
	s_mov_b64 s[36:37], -1
	s_mov_b64 s[0:1], 0
.LBB134_719:
	s_mov_b64 s[38:39], 0
.LBB134_720:
	s_and_b64 vcc, exec, s[38:39]
	s_cbranch_vccz .LBB134_736
; %bb.721:
	s_cmp_lt_i32 s44, 27
	s_mov_b64 s[36:37], -1
	s_cbranch_scc1 .LBB134_727
; %bb.722:
	s_cmp_gt_i32 s44, 27
	s_cbranch_scc0 .LBB134_724
; %bb.723:
	v_cndmask_b32_e64 v3, 0, 1, s[34:35]
	s_mov_b64 s[36:37], 0
	global_store_dword v[0:1], v3, off
.LBB134_724:
	s_andn2_b64 vcc, exec, s[36:37]
	s_cbranch_vccnz .LBB134_726
; %bb.725:
	v_cndmask_b32_e64 v3, 0, 1, s[34:35]
	global_store_short v[0:1], v3, off
.LBB134_726:
	s_mov_b64 s[36:37], 0
.LBB134_727:
	s_andn2_b64 vcc, exec, s[36:37]
	s_cbranch_vccnz .LBB134_735
; %bb.728:
	v_cndmask_b32_e64 v4, 0, 1.0, s[34:35]
	s_mov_b32 s36, 0x43800000
	v_cmp_gt_u32_e32 vcc, s36, v4
	v_mov_b32_e32 v5, 0x80
	s_and_saveexec_b64 s[36:37], vcc
	s_cbranch_execz .LBB134_734
; %bb.729:
	s_mov_b32 s38, 0x3bffffff
	v_cmp_lt_u32_e32 vcc, s38, v4
	s_mov_b64 s[38:39], 0
                                        ; implicit-def: $vgpr3
	s_and_saveexec_b64 s[40:41], vcc
	s_xor_b64 s[40:41], exec, s[40:41]
	s_cbranch_execz .LBB134_836
; %bb.730:
	v_bfe_u32 v3, v4, 20, 1
	s_mov_b32 s45, 0x487ffff
	v_add3_u32 v3, v4, v3, s45
	s_mov_b64 s[38:39], exec
	v_lshrrev_b32_e32 v3, 20, v3
                                        ; implicit-def: $vgpr4
	s_andn2_saveexec_b64 s[40:41], s[40:41]
	s_cbranch_execnz .LBB134_837
.LBB134_731:
	s_or_b64 exec, exec, s[40:41]
	v_mov_b32_e32 v5, 0
	s_and_saveexec_b64 s[40:41], s[38:39]
.LBB134_732:
	v_mov_b32_e32 v5, v3
.LBB134_733:
	s_or_b64 exec, exec, s[40:41]
.LBB134_734:
	s_or_b64 exec, exec, s[36:37]
	global_store_byte v[0:1], v5, off
.LBB134_735:
	s_mov_b64 s[36:37], -1
.LBB134_736:
	s_mov_b64 s[38:39], 0
.LBB134_737:
	s_and_b64 vcc, exec, s[38:39]
	s_cbranch_vccz .LBB134_778
; %bb.738:
	s_cmp_gt_i32 s44, 22
	s_mov_b64 s[38:39], -1
	s_cbranch_scc0 .LBB134_770
; %bb.739:
	s_cmp_lt_i32 s44, 24
	s_mov_b64 s[36:37], -1
	s_cbranch_scc1 .LBB134_759
; %bb.740:
	s_cmp_gt_i32 s44, 24
	s_cbranch_scc0 .LBB134_748
; %bb.741:
	v_cndmask_b32_e64 v4, 0, 1.0, s[34:35]
	s_mov_b32 s36, 0x47800000
	v_cmp_gt_u32_e32 vcc, s36, v4
	v_mov_b32_e32 v5, 0x80
	s_and_saveexec_b64 s[36:37], vcc
	s_cbranch_execz .LBB134_747
; %bb.742:
	s_mov_b32 s38, 0x37ffffff
	v_cmp_lt_u32_e32 vcc, s38, v4
	s_mov_b64 s[38:39], 0
                                        ; implicit-def: $vgpr3
	s_and_saveexec_b64 s[40:41], vcc
	s_xor_b64 s[40:41], exec, s[40:41]
	s_cbranch_execz .LBB134_839
; %bb.743:
	v_bfe_u32 v3, v4, 21, 1
	s_mov_b32 s45, 0x88fffff
	v_add3_u32 v3, v4, v3, s45
	s_mov_b64 s[38:39], exec
	v_lshrrev_b32_e32 v3, 21, v3
                                        ; implicit-def: $vgpr4
	s_andn2_saveexec_b64 s[40:41], s[40:41]
	s_cbranch_execnz .LBB134_840
.LBB134_744:
	s_or_b64 exec, exec, s[40:41]
	v_mov_b32_e32 v5, 0
	s_and_saveexec_b64 s[40:41], s[38:39]
.LBB134_745:
	v_mov_b32_e32 v5, v3
.LBB134_746:
	s_or_b64 exec, exec, s[40:41]
.LBB134_747:
	s_or_b64 exec, exec, s[36:37]
	s_mov_b64 s[36:37], 0
	global_store_byte v[0:1], v5, off
.LBB134_748:
	s_and_b64 vcc, exec, s[36:37]
	s_cbranch_vccz .LBB134_758
; %bb.749:
	v_cndmask_b32_e64 v3, 0, 1.0, s[34:35]
	s_mov_b32 s36, 0x43f00000
	v_cmp_gt_u32_e32 vcc, s36, v3
                                        ; implicit-def: $vgpr4
	s_and_saveexec_b64 s[36:37], vcc
	s_xor_b64 s[36:37], exec, s[36:37]
	s_cbranch_execz .LBB134_755
; %bb.750:
	s_mov_b32 s38, 0x3c7fffff
	v_cmp_lt_u32_e32 vcc, s38, v3
                                        ; implicit-def: $vgpr4
	s_and_saveexec_b64 s[38:39], vcc
	s_xor_b64 s[38:39], exec, s[38:39]
; %bb.751:
	v_bfe_u32 v4, v3, 20, 1
	s_mov_b32 s40, 0x407ffff
	v_add3_u32 v3, v3, v4, s40
	v_lshrrev_b32_e32 v4, 20, v3
	v_and_b32_e32 v3, 0xff00000, v3
	s_mov_b32 s40, 0x7f00000
	v_mov_b32_e32 v5, 0x7e
	v_cmp_ne_u32_e32 vcc, s40, v3
	v_cndmask_b32_e32 v4, v5, v4, vcc
                                        ; implicit-def: $vgpr3
; %bb.752:
	s_andn2_saveexec_b64 s[38:39], s[38:39]
; %bb.753:
	v_add_f32_e32 v4, 0x46800000, v3
; %bb.754:
	s_or_b64 exec, exec, s[38:39]
                                        ; implicit-def: $vgpr3
.LBB134_755:
	s_andn2_saveexec_b64 s[36:37], s[36:37]
; %bb.756:
	s_mov_b32 s38, 0x7f800000
	v_mov_b32_e32 v4, 0x7e
	v_mov_b32_e32 v5, 0x7f
	v_cmp_lt_u32_e32 vcc, s38, v3
	v_cndmask_b32_e32 v4, v4, v5, vcc
; %bb.757:
	s_or_b64 exec, exec, s[36:37]
	global_store_byte v[0:1], v4, off
.LBB134_758:
	s_mov_b64 s[36:37], 0
.LBB134_759:
	s_andn2_b64 vcc, exec, s[36:37]
	s_cbranch_vccnz .LBB134_769
; %bb.760:
	v_cndmask_b32_e64 v3, 0, 1.0, s[34:35]
	s_mov_b32 s36, 0x47800000
	v_cmp_gt_u32_e32 vcc, s36, v3
                                        ; implicit-def: $vgpr4
	s_and_saveexec_b64 s[36:37], vcc
	s_xor_b64 s[36:37], exec, s[36:37]
	s_cbranch_execz .LBB134_766
; %bb.761:
	s_mov_b32 s38, 0x387fffff
	v_cmp_lt_u32_e32 vcc, s38, v3
                                        ; implicit-def: $vgpr4
	s_and_saveexec_b64 s[38:39], vcc
	s_xor_b64 s[38:39], exec, s[38:39]
; %bb.762:
	v_bfe_u32 v4, v3, 21, 1
	s_mov_b32 s40, 0x80fffff
	v_add3_u32 v3, v3, v4, s40
	v_lshrrev_b32_e32 v4, 21, v3
                                        ; implicit-def: $vgpr3
; %bb.763:
	s_andn2_saveexec_b64 s[38:39], s[38:39]
; %bb.764:
	v_add_f32_e32 v4, 0x43000000, v3
; %bb.765:
	s_or_b64 exec, exec, s[38:39]
                                        ; implicit-def: $vgpr3
.LBB134_766:
	s_andn2_saveexec_b64 s[36:37], s[36:37]
; %bb.767:
	s_mov_b32 s38, 0x7f800000
	v_mov_b32_e32 v4, 0x7c
	v_mov_b32_e32 v5, 0x7f
	v_cmp_lt_u32_e32 vcc, s38, v3
	v_cndmask_b32_e32 v4, v4, v5, vcc
; %bb.768:
	s_or_b64 exec, exec, s[36:37]
	global_store_byte v[0:1], v4, off
.LBB134_769:
	s_mov_b64 s[38:39], 0
	s_mov_b64 s[36:37], -1
.LBB134_770:
	s_andn2_b64 vcc, exec, s[38:39]
	s_cbranch_vccnz .LBB134_778
; %bb.771:
	s_cmp_gt_i32 s44, 14
	s_mov_b64 s[38:39], -1
	s_cbranch_scc0 .LBB134_775
; %bb.772:
	s_cmp_eq_u32 s44, 15
	s_mov_b64 s[0:1], -1
	s_cbranch_scc0 .LBB134_774
; %bb.773:
	v_cndmask_b32_e64 v3, 0, 1.0, s[34:35]
	v_bfe_u32 v4, v3, 16, 1
	s_movk_i32 s0, 0x7fff
	v_add3_u32 v3, v3, v4, s0
	global_store_short_d16_hi v[0:1], v3, off
	s_mov_b64 s[36:37], -1
	s_mov_b64 s[0:1], 0
.LBB134_774:
	s_mov_b64 s[38:39], 0
.LBB134_775:
	s_and_b64 vcc, exec, s[38:39]
	s_cbranch_vccz .LBB134_778
; %bb.776:
	s_cmp_eq_u32 s44, 11
	s_mov_b64 s[0:1], -1
	s_cbranch_scc0 .LBB134_778
; %bb.777:
	v_cndmask_b32_e64 v3, 0, 1, s[34:35]
	s_mov_b64 s[36:37], -1
	s_mov_b64 s[0:1], 0
	global_store_byte v[0:1], v3, off
.LBB134_778:
	s_mov_b64 s[38:39], 0
.LBB134_779:
	s_and_b64 vcc, exec, s[38:39]
	s_cbranch_vccz .LBB134_818
; %bb.780:
	s_and_b32 s38, 0xffff, s43
	s_cmp_lt_i32 s38, 5
	s_mov_b64 s[36:37], -1
	s_cbranch_scc1 .LBB134_801
; %bb.781:
	s_cmp_lt_i32 s38, 8
	s_cbranch_scc1 .LBB134_791
; %bb.782:
	s_cmp_lt_i32 s38, 9
	s_cbranch_scc1 .LBB134_788
; %bb.783:
	s_cmp_gt_i32 s38, 9
	s_cbranch_scc0 .LBB134_785
; %bb.784:
	v_cndmask_b32_e64 v3, 0, 1, s[34:35]
	v_cvt_f64_u32_e32 v[3:4], v3
	v_mov_b32_e32 v5, 0
	v_mov_b32_e32 v6, v5
	s_mov_b64 s[36:37], 0
	global_store_dwordx4 v[0:1], v[3:6], off
.LBB134_785:
	s_andn2_b64 vcc, exec, s[36:37]
	s_cbranch_vccnz .LBB134_787
; %bb.786:
	v_cndmask_b32_e64 v3, 0, 1.0, s[34:35]
	v_mov_b32_e32 v4, 0
	global_store_dwordx2 v[0:1], v[3:4], off
.LBB134_787:
	s_mov_b64 s[36:37], 0
.LBB134_788:
	s_andn2_b64 vcc, exec, s[36:37]
	s_cbranch_vccnz .LBB134_790
; %bb.789:
	v_cndmask_b32_e64 v3, 0, 1.0, s[34:35]
	v_cvt_f16_f32_e32 v3, v3
	global_store_dword v[0:1], v3, off
.LBB134_790:
	s_mov_b64 s[36:37], 0
.LBB134_791:
	s_andn2_b64 vcc, exec, s[36:37]
	s_cbranch_vccnz .LBB134_800
; %bb.792:
	s_cmp_lt_i32 s38, 6
	s_mov_b64 s[36:37], -1
	s_cbranch_scc1 .LBB134_798
; %bb.793:
	s_cmp_gt_i32 s38, 6
	s_cbranch_scc0 .LBB134_795
; %bb.794:
	v_cndmask_b32_e64 v3, 0, 1, s[34:35]
	v_cvt_f64_u32_e32 v[3:4], v3
	s_mov_b64 s[36:37], 0
	global_store_dwordx2 v[0:1], v[3:4], off
.LBB134_795:
	s_andn2_b64 vcc, exec, s[36:37]
	s_cbranch_vccnz .LBB134_797
; %bb.796:
	v_cndmask_b32_e64 v3, 0, 1.0, s[34:35]
	global_store_dword v[0:1], v3, off
.LBB134_797:
	s_mov_b64 s[36:37], 0
.LBB134_798:
	s_andn2_b64 vcc, exec, s[36:37]
	s_cbranch_vccnz .LBB134_800
; %bb.799:
	v_cndmask_b32_e64 v3, 0, 1.0, s[34:35]
	v_cvt_f16_f32_e32 v3, v3
	global_store_short v[0:1], v3, off
.LBB134_800:
	s_mov_b64 s[36:37], 0
.LBB134_801:
	s_andn2_b64 vcc, exec, s[36:37]
	s_cbranch_vccnz .LBB134_817
; %bb.802:
	s_cmp_lt_i32 s38, 2
	s_mov_b64 s[36:37], -1
	s_cbranch_scc1 .LBB134_812
; %bb.803:
	s_cmp_lt_i32 s38, 3
	s_cbranch_scc1 .LBB134_809
; %bb.804:
	s_cmp_gt_i32 s38, 3
	s_cbranch_scc0 .LBB134_806
; %bb.805:
	s_mov_b32 s36, 0
	v_cndmask_b32_e64 v3, 0, 1, s[34:35]
	v_mov_b32_e32 v4, s36
	s_mov_b64 s[36:37], 0
	global_store_dwordx2 v[0:1], v[3:4], off
.LBB134_806:
	s_andn2_b64 vcc, exec, s[36:37]
	s_cbranch_vccnz .LBB134_808
; %bb.807:
	v_cndmask_b32_e64 v3, 0, 1, s[34:35]
	global_store_dword v[0:1], v3, off
.LBB134_808:
	s_mov_b64 s[36:37], 0
.LBB134_809:
	s_andn2_b64 vcc, exec, s[36:37]
	s_cbranch_vccnz .LBB134_811
; %bb.810:
	v_cndmask_b32_e64 v3, 0, 1, s[34:35]
	global_store_short v[0:1], v3, off
.LBB134_811:
	s_mov_b64 s[36:37], 0
.LBB134_812:
	s_andn2_b64 vcc, exec, s[36:37]
	s_cbranch_vccnz .LBB134_817
; %bb.813:
	s_mov_b64 s[36:37], -1
	s_cmp_gt_i32 s38, 0
	v_cndmask_b32_e64 v3, 0, 1, s[34:35]
	s_cbranch_scc0 .LBB134_815
; %bb.814:
	s_mov_b64 s[36:37], 0
	global_store_byte v[0:1], v3, off
.LBB134_815:
	s_andn2_b64 vcc, exec, s[36:37]
	s_cbranch_vccnz .LBB134_817
; %bb.816:
	global_store_byte v[0:1], v3, off
.LBB134_817:
	s_mov_b64 s[36:37], -1
.LBB134_818:
	s_andn2_b64 vcc, exec, s[36:37]
	s_cbranch_vccnz .LBB134_820
; %bb.819:
	v_add_u32_e32 v2, 0x80, v2
	s_mov_b64 s[36:37], -1
	s_branch .LBB134_822
.LBB134_820:
	s_mov_b64 s[36:37], 0
.LBB134_821:
                                        ; implicit-def: $vgpr2
.LBB134_822:
	s_andn2_b64 s[34:35], s[24:25], exec
	s_and_b64 s[0:1], s[0:1], exec
	s_or_b64 s[34:35], s[34:35], s[0:1]
	s_andn2_b64 s[0:1], s[22:23], exec
	s_and_b64 s[30:31], s[30:31], exec
	s_or_b64 s[0:1], s[0:1], s[30:31]
	s_orn2_b64 s[38:39], s[36:37], exec
.LBB134_823:
	s_or_b64 exec, exec, s[28:29]
	s_mov_b64 s[36:37], 0
	s_mov_b64 s[30:31], 0
	;; [unrolled: 1-line block ×3, first 2 shown]
                                        ; implicit-def: $vgpr0_vgpr1
                                        ; implicit-def: $vgpr3
	s_and_saveexec_b64 s[28:29], s[38:39]
	s_cbranch_execz .LBB134_908
; %bb.824:
	v_cmp_gt_i32_e32 vcc, s42, v2
	s_mov_b64 s[38:39], 0
	s_mov_b64 s[42:43], s[0:1]
	;; [unrolled: 1-line block ×3, first 2 shown]
                                        ; implicit-def: $vgpr0_vgpr1
                                        ; implicit-def: $vgpr3
	s_and_saveexec_b64 s[30:31], vcc
	s_cbranch_execz .LBB134_907
; %bb.825:
	v_mul_lo_u32 v0, v2, s13
	v_mov_b32_e32 v1, s11
	s_and_b32 s46, 0xffff, s15
	s_cmp_lt_i32 s46, 11
	s_waitcnt vmcnt(0)
	v_ashrrev_i32_e32 v3, 31, v0
	v_add_co_u32_e32 v0, vcc, s10, v0
	v_addc_co_u32_e32 v1, vcc, v1, v3, vcc
	s_cbranch_scc1 .LBB134_832
; %bb.826:
	s_cmp_gt_i32 s46, 25
	s_cbranch_scc0 .LBB134_833
; %bb.827:
	s_cmp_gt_i32 s46, 28
	s_cbranch_scc0 .LBB134_834
	;; [unrolled: 3-line block ×4, first 2 shown]
; %bb.830:
	s_cmp_eq_u32 s46, 46
	s_mov_b64 s[42:43], 0
	s_cbranch_scc0 .LBB134_841
; %bb.831:
	global_load_dword v3, v[0:1], off
	s_mov_b64 s[40:41], -1
	s_branch .LBB134_843
.LBB134_832:
	s_mov_b64 s[42:43], -1
                                        ; implicit-def: $vgpr3
	s_mov_b64 s[36:37], s[0:1]
	s_branch .LBB134_906
.LBB134_833:
	s_mov_b64 s[42:43], -1
	s_mov_b64 s[36:37], s[0:1]
                                        ; implicit-def: $vgpr3
	s_branch .LBB134_872
.LBB134_834:
	s_mov_b64 s[42:43], -1
	s_mov_b64 s[36:37], s[0:1]
                                        ; implicit-def: $vgpr3
	s_branch .LBB134_853
.LBB134_835:
	s_mov_b64 s[42:43], -1
	s_mov_b64 s[36:37], s[0:1]
                                        ; implicit-def: $vgpr3
	s_branch .LBB134_848
.LBB134_836:
	s_andn2_saveexec_b64 s[40:41], s[40:41]
	s_cbranch_execz .LBB134_731
.LBB134_837:
	v_add_f32_e32 v3, 0x46000000, v4
	v_and_b32_e32 v3, 0xff, v3
	v_cmp_ne_u32_e32 vcc, 0, v3
	s_andn2_b64 s[38:39], s[38:39], exec
	s_and_b64 s[46:47], vcc, exec
	s_or_b64 s[38:39], s[38:39], s[46:47]
	s_or_b64 exec, exec, s[40:41]
	v_mov_b32_e32 v5, 0
	s_and_saveexec_b64 s[40:41], s[38:39]
	s_cbranch_execnz .LBB134_732
	s_branch .LBB134_733
.LBB134_838:
	s_mov_b64 s[42:43], -1
	s_mov_b64 s[36:37], s[0:1]
	s_branch .LBB134_842
.LBB134_839:
	s_andn2_saveexec_b64 s[40:41], s[40:41]
	s_cbranch_execz .LBB134_744
.LBB134_840:
	v_add_f32_e32 v3, 0x42800000, v4
	v_and_b32_e32 v3, 0xff, v3
	v_cmp_ne_u32_e32 vcc, 0, v3
	s_andn2_b64 s[38:39], s[38:39], exec
	s_and_b64 s[46:47], vcc, exec
	s_or_b64 s[38:39], s[38:39], s[46:47]
	s_or_b64 exec, exec, s[40:41]
	v_mov_b32_e32 v5, 0
	s_and_saveexec_b64 s[40:41], s[38:39]
	s_cbranch_execnz .LBB134_745
	s_branch .LBB134_746
.LBB134_841:
	s_mov_b64 s[36:37], -1
.LBB134_842:
                                        ; implicit-def: $vgpr3
.LBB134_843:
	s_and_b64 vcc, exec, s[42:43]
	s_cbranch_vccz .LBB134_847
; %bb.844:
	s_cmp_eq_u32 s46, 44
	s_cbranch_scc0 .LBB134_846
; %bb.845:
	global_load_ubyte v3, v[0:1], off
	s_movk_i32 s40, 0xff
	v_mov_b32_e32 v4, 0x7f800001
	v_mov_b32_e32 v5, 0x400000
	;; [unrolled: 1-line block ×3, first 2 shown]
	s_mov_b64 s[36:37], 0
	s_waitcnt vmcnt(0)
	v_lshlrev_b32_e32 v7, 23, v3
	v_cmp_ne_u32_e32 vcc, s40, v3
	v_cndmask_b32_e32 v4, v4, v7, vcc
	v_cmp_ne_u32_e32 vcc, 0, v3
	v_cndmask_b32_e32 v3, v5, v4, vcc
	v_add_u32_e32 v4, 0x7fff, v3
	v_cmp_o_f32_e32 vcc, v3, v3
	v_cndmask_b32_sdwa v3, v6, v4, vcc dst_sel:DWORD dst_unused:UNUSED_PAD src0_sel:DWORD src1_sel:WORD_1
	s_mov_b64 s[40:41], -1
	s_branch .LBB134_847
.LBB134_846:
	s_mov_b64 s[36:37], -1
                                        ; implicit-def: $vgpr3
.LBB134_847:
	s_mov_b64 s[42:43], 0
.LBB134_848:
	s_and_b64 vcc, exec, s[42:43]
	s_cbranch_vccz .LBB134_852
; %bb.849:
	s_cmp_eq_u32 s46, 29
	s_cbranch_scc0 .LBB134_851
; %bb.850:
	global_load_dwordx2 v[3:4], v[0:1], off
	s_movk_i32 s40, 0x7fff
	s_mov_b64 s[36:37], 0
	s_mov_b64 s[42:43], 0
	s_waitcnt vmcnt(0)
	v_ffbh_u32_e32 v5, v4
	v_min_u32_e32 v5, 32, v5
	v_lshlrev_b64 v[3:4], v5, v[3:4]
	v_min_u32_e32 v3, 1, v3
	v_or_b32_e32 v3, v4, v3
	v_cvt_f32_u32_e32 v3, v3
	v_sub_u32_e32 v4, 32, v5
	v_ldexp_f32 v3, v3, v4
	v_bfe_u32 v4, v3, 16, 1
	v_add3_u32 v3, v3, v4, s40
	v_lshrrev_b32_e32 v3, 16, v3
	s_mov_b64 s[40:41], -1
	s_branch .LBB134_853
.LBB134_851:
	s_mov_b64 s[36:37], -1
                                        ; implicit-def: $vgpr3
.LBB134_852:
	s_mov_b64 s[42:43], 0
.LBB134_853:
	s_and_b64 vcc, exec, s[42:43]
	s_cbranch_vccz .LBB134_871
; %bb.854:
	s_cmp_lt_i32 s46, 27
	s_cbranch_scc1 .LBB134_857
; %bb.855:
	s_cmp_gt_i32 s46, 27
	s_cbranch_scc0 .LBB134_858
; %bb.856:
	global_load_dword v3, v[0:1], off
	s_movk_i32 s40, 0x7fff
	s_waitcnt vmcnt(0)
	v_cvt_f32_u32_e32 v3, v3
	v_bfe_u32 v4, v3, 16, 1
	v_add3_u32 v3, v3, v4, s40
	v_lshrrev_b32_e32 v3, 16, v3
	s_mov_b64 s[40:41], 0
	s_branch .LBB134_859
.LBB134_857:
	s_mov_b64 s[40:41], -1
                                        ; implicit-def: $vgpr3
	s_branch .LBB134_862
.LBB134_858:
	s_mov_b64 s[40:41], -1
                                        ; implicit-def: $vgpr3
.LBB134_859:
	s_andn2_b64 vcc, exec, s[40:41]
	s_cbranch_vccnz .LBB134_861
; %bb.860:
	global_load_ushort v3, v[0:1], off
	s_movk_i32 s40, 0x7fff
	s_waitcnt vmcnt(0)
	v_cvt_f32_u32_e32 v3, v3
	v_bfe_u32 v4, v3, 16, 1
	v_add3_u32 v3, v3, v4, s40
	v_lshrrev_b32_e32 v3, 16, v3
.LBB134_861:
	s_mov_b64 s[40:41], 0
.LBB134_862:
	s_andn2_b64 vcc, exec, s[40:41]
	s_cbranch_vccnz .LBB134_870
; %bb.863:
	global_load_ubyte v3, v[0:1], off
	s_movk_i32 s40, 0x7f
	s_waitcnt vmcnt(0)
	v_cmp_lt_i16_e32 vcc, s40, v3
	s_mov_b64 s[40:41], 0
	s_and_saveexec_b64 s[42:43], vcc
	s_xor_b64 s[42:43], exec, s[42:43]
	s_cbranch_execz .LBB134_884
; %bb.864:
	s_movk_i32 s40, 0x80
	v_cmp_eq_u16_e32 vcc, s40, v3
	s_mov_b64 s[40:41], -1
	s_and_saveexec_b64 s[44:45], vcc
; %bb.865:
	s_xor_b64 s[40:41], exec, -1
; %bb.866:
	s_or_b64 exec, exec, s[44:45]
	s_and_b64 s[40:41], s[40:41], exec
	s_or_saveexec_b64 s[42:43], s[42:43]
	v_mov_b32_e32 v4, 0x7f800001
	s_xor_b64 exec, exec, s[42:43]
	s_cbranch_execnz .LBB134_885
.LBB134_867:
	s_or_b64 exec, exec, s[42:43]
	s_and_saveexec_b64 s[42:43], s[40:41]
	s_cbranch_execz .LBB134_869
.LBB134_868:
	v_lshlrev_b32_e32 v4, 24, v3
	v_and_b32_e32 v3, 0xffff, v3
	v_and_b32_e32 v5, 7, v3
	v_ffbh_u32_e32 v7, v5
	v_min_u32_e32 v7, 32, v7
	v_subrev_u32_e32 v8, 28, v7
	v_bfe_u32 v6, v3, 3, 4
	v_lshlrev_b32_e32 v3, v8, v3
	v_sub_u32_e32 v7, 29, v7
	v_and_b32_e32 v3, 7, v3
	v_cmp_eq_u32_e32 vcc, 0, v6
	v_cndmask_b32_e32 v6, v6, v7, vcc
	v_cndmask_b32_e32 v3, v5, v3, vcc
	v_mov_b32_e32 v5, 0x3b800000
	v_lshlrev_b32_e32 v3, 20, v3
	v_and_b32_e32 v4, 0x80000000, v4
	v_lshl_add_u32 v5, v6, 23, v5
	v_or3_b32 v4, v4, v5, v3
.LBB134_869:
	s_or_b64 exec, exec, s[42:43]
	v_bfe_u32 v3, v4, 16, 1
	s_movk_i32 s40, 0x7fff
	v_add3_u32 v3, v4, v3, s40
	v_cmp_o_f32_e32 vcc, v4, v4
	v_mov_b32_e32 v4, 0x7fc0
	v_cndmask_b32_sdwa v3, v4, v3, vcc dst_sel:DWORD dst_unused:UNUSED_PAD src0_sel:DWORD src1_sel:WORD_1
.LBB134_870:
	s_mov_b64 s[40:41], -1
.LBB134_871:
	s_mov_b64 s[42:43], 0
.LBB134_872:
	s_and_b64 vcc, exec, s[42:43]
	s_cbranch_vccz .LBB134_905
; %bb.873:
	s_cmp_gt_i32 s46, 22
	s_cbranch_scc0 .LBB134_883
; %bb.874:
	s_cmp_lt_i32 s46, 24
	s_cbranch_scc1 .LBB134_886
; %bb.875:
	s_cmp_gt_i32 s46, 24
	s_cbranch_scc0 .LBB134_887
; %bb.876:
	global_load_ubyte v3, v[0:1], off
	s_movk_i32 s38, 0x7f
	s_waitcnt vmcnt(0)
	v_cmp_lt_i16_e32 vcc, s38, v3
	s_mov_b64 s[38:39], 0
	s_and_saveexec_b64 s[40:41], vcc
	s_xor_b64 s[40:41], exec, s[40:41]
	s_cbranch_execz .LBB134_899
; %bb.877:
	s_movk_i32 s38, 0x80
	v_cmp_eq_u16_e32 vcc, s38, v3
	s_mov_b64 s[38:39], -1
	s_and_saveexec_b64 s[42:43], vcc
; %bb.878:
	s_xor_b64 s[38:39], exec, -1
; %bb.879:
	s_or_b64 exec, exec, s[42:43]
	s_and_b64 s[38:39], s[38:39], exec
	s_or_saveexec_b64 s[40:41], s[40:41]
	v_mov_b32_e32 v4, 0x7f800001
	s_xor_b64 exec, exec, s[40:41]
	s_cbranch_execnz .LBB134_900
.LBB134_880:
	s_or_b64 exec, exec, s[40:41]
	s_and_saveexec_b64 s[40:41], s[38:39]
	s_cbranch_execz .LBB134_882
.LBB134_881:
	v_lshlrev_b32_e32 v4, 24, v3
	v_and_b32_e32 v3, 0xffff, v3
	v_and_b32_e32 v5, 3, v3
	v_ffbh_u32_e32 v7, v5
	v_min_u32_e32 v7, 32, v7
	v_subrev_u32_e32 v8, 29, v7
	v_bfe_u32 v6, v3, 2, 5
	v_lshlrev_b32_e32 v3, v8, v3
	v_sub_u32_e32 v7, 30, v7
	v_and_b32_e32 v3, 3, v3
	v_cmp_eq_u32_e32 vcc, 0, v6
	v_cndmask_b32_e32 v6, v6, v7, vcc
	v_cndmask_b32_e32 v3, v5, v3, vcc
	v_mov_b32_e32 v5, 0x37800000
	v_lshlrev_b32_e32 v3, 21, v3
	v_and_b32_e32 v4, 0x80000000, v4
	v_lshl_add_u32 v5, v6, 23, v5
	v_or3_b32 v4, v4, v5, v3
.LBB134_882:
	s_or_b64 exec, exec, s[40:41]
	v_bfe_u32 v3, v4, 16, 1
	s_movk_i32 s38, 0x7fff
	v_add3_u32 v3, v4, v3, s38
	v_cmp_o_f32_e32 vcc, v4, v4
	v_mov_b32_e32 v4, 0x7fc0
	v_cndmask_b32_sdwa v3, v4, v3, vcc dst_sel:DWORD dst_unused:UNUSED_PAD src0_sel:DWORD src1_sel:WORD_1
	s_mov_b64 s[38:39], 0
	s_branch .LBB134_888
.LBB134_883:
	s_mov_b64 s[38:39], -1
                                        ; implicit-def: $vgpr3
	s_branch .LBB134_894
.LBB134_884:
	s_or_saveexec_b64 s[42:43], s[42:43]
	v_mov_b32_e32 v4, 0x7f800001
	s_xor_b64 exec, exec, s[42:43]
	s_cbranch_execz .LBB134_867
.LBB134_885:
	v_cmp_ne_u16_e32 vcc, 0, v3
	s_andn2_b64 s[40:41], s[40:41], exec
	s_and_b64 s[44:45], vcc, exec
	v_mov_b32_e32 v4, 0
	s_or_b64 s[40:41], s[40:41], s[44:45]
	s_or_b64 exec, exec, s[42:43]
	s_and_saveexec_b64 s[42:43], s[40:41]
	s_cbranch_execnz .LBB134_868
	s_branch .LBB134_869
.LBB134_886:
	s_mov_b64 s[38:39], -1
                                        ; implicit-def: $vgpr3
	s_branch .LBB134_891
.LBB134_887:
	s_mov_b64 s[38:39], -1
                                        ; implicit-def: $vgpr3
.LBB134_888:
	s_and_b64 vcc, exec, s[38:39]
	s_cbranch_vccz .LBB134_890
; %bb.889:
	global_load_ubyte v3, v[0:1], off
	s_mov_b32 s38, 0x7f800000
	s_brev_b32 s39, 1
	s_movk_i32 s40, 0x7fff
	s_waitcnt vmcnt(0)
	v_lshlrev_b32_e32 v3, 24, v3
	v_and_b32_e32 v4, 0x7f000000, v3
	v_ffbh_u32_e32 v5, v4
	v_min_u32_e32 v5, 32, v5
	v_sub_u32_e64 v5, v5, 4 clamp
	v_lshlrev_b32_e32 v7, v5, v4
	v_lshlrev_b32_e32 v5, 23, v5
	v_lshrrev_b32_e32 v7, 4, v7
	v_add_u32_e32 v6, 0x1000000, v4
	v_sub_u32_e32 v5, v7, v5
	v_ashrrev_i32_e32 v6, 8, v6
	v_add_u32_e32 v5, 0x3c000000, v5
	v_and_or_b32 v5, v6, s38, v5
	v_cmp_ne_u32_e32 vcc, 0, v4
	v_cndmask_b32_e32 v4, 0, v5, vcc
	v_and_or_b32 v3, v3, s39, v4
	v_bfe_u32 v4, v4, 16, 1
	v_add3_u32 v4, v3, v4, s40
	v_cmp_o_f32_e32 vcc, v3, v3
	v_mov_b32_e32 v3, 0x7fc0
	v_cndmask_b32_sdwa v3, v3, v4, vcc dst_sel:DWORD dst_unused:UNUSED_PAD src0_sel:DWORD src1_sel:WORD_1
.LBB134_890:
	s_mov_b64 s[38:39], 0
.LBB134_891:
	s_andn2_b64 vcc, exec, s[38:39]
	s_cbranch_vccnz .LBB134_893
; %bb.892:
	global_load_ubyte v3, v[0:1], off
	s_movk_i32 s38, 0x7f00
	s_brev_b32 s39, 16
	s_brev_b32 s40, 1
	s_movk_i32 s41, 0x7fff
	s_waitcnt vmcnt(0)
	v_lshlrev_b16_e32 v4, 8, v3
	v_lshlrev_b32_e32 v3, 25, v3
	v_lshrrev_b32_e32 v5, 4, v3
	v_and_or_b32 v6, v4, s38, 0.5
	v_or_b32_e32 v5, 0x70000000, v5
	v_add_f32_e32 v6, -0.5, v6
	v_mul_f32_e32 v5, 0x7800000, v5
	v_cmp_gt_u32_e32 vcc, s39, v3
	v_bfe_i32 v4, v4, 0, 16
	v_cndmask_b32_e32 v3, v5, v6, vcc
	v_and_or_b32 v4, v4, s40, v3
	v_bfe_u32 v3, v3, 16, 1
	v_add3_u32 v3, v4, v3, s41
	v_cmp_o_f32_e32 vcc, v4, v4
	v_mov_b32_e32 v4, 0x7fc0
	v_cndmask_b32_sdwa v3, v4, v3, vcc dst_sel:DWORD dst_unused:UNUSED_PAD src0_sel:DWORD src1_sel:WORD_1
.LBB134_893:
	s_mov_b64 s[38:39], 0
	s_mov_b64 s[40:41], -1
.LBB134_894:
	s_andn2_b64 vcc, exec, s[38:39]
	s_mov_b64 s[38:39], 0
	s_cbranch_vccnz .LBB134_905
; %bb.895:
	s_cmp_gt_i32 s46, 14
	s_cbranch_scc0 .LBB134_898
; %bb.896:
	s_cmp_eq_u32 s46, 15
	s_cbranch_scc0 .LBB134_901
; %bb.897:
	global_load_ushort v3, v[0:1], off
	s_mov_b64 s[36:37], 0
	s_mov_b64 s[40:41], -1
	s_branch .LBB134_902
.LBB134_898:
	s_mov_b64 s[42:43], -1
                                        ; implicit-def: $vgpr3
	s_branch .LBB134_903
.LBB134_899:
	s_or_saveexec_b64 s[40:41], s[40:41]
	v_mov_b32_e32 v4, 0x7f800001
	s_xor_b64 exec, exec, s[40:41]
	s_cbranch_execz .LBB134_880
.LBB134_900:
	v_cmp_ne_u16_e32 vcc, 0, v3
	s_andn2_b64 s[38:39], s[38:39], exec
	s_and_b64 s[42:43], vcc, exec
	v_mov_b32_e32 v4, 0
	s_or_b64 s[38:39], s[38:39], s[42:43]
	s_or_b64 exec, exec, s[40:41]
	s_and_saveexec_b64 s[40:41], s[38:39]
	s_cbranch_execnz .LBB134_881
	s_branch .LBB134_882
.LBB134_901:
	s_mov_b64 s[36:37], -1
                                        ; implicit-def: $vgpr3
.LBB134_902:
	s_mov_b64 s[42:43], 0
.LBB134_903:
	s_and_b64 vcc, exec, s[42:43]
	s_cbranch_vccz .LBB134_905
; %bb.904:
	s_cmp_lg_u32 s46, 11
	s_cselect_b64 s[42:43], -1, 0
	s_andn2_b64 s[36:37], s[36:37], exec
	s_and_b64 s[42:43], s[42:43], exec
	s_mov_b64 s[38:39], -1
	s_or_b64 s[36:37], s[36:37], s[42:43]
.LBB134_905:
	s_mov_b64 s[42:43], 0
.LBB134_906:
	s_and_b64 s[44:45], s[42:43], exec
	s_andn2_b64 s[42:43], s[0:1], exec
	s_and_b64 s[36:37], s[36:37], exec
	s_and_b64 s[40:41], s[40:41], exec
	;; [unrolled: 1-line block ×3, first 2 shown]
	s_or_b64 s[42:43], s[42:43], s[36:37]
.LBB134_907:
	s_or_b64 exec, exec, s[30:31]
	s_and_b64 s[36:37], s[38:39], exec
	s_andn2_b64 s[0:1], s[0:1], exec
	s_and_b64 s[38:39], s[42:43], exec
	s_and_b64 s[40:41], s[40:41], exec
	;; [unrolled: 1-line block ×3, first 2 shown]
	s_or_b64 s[0:1], s[0:1], s[38:39]
.LBB134_908:
	s_or_b64 exec, exec, s[28:29]
	s_andn2_b64 s[24:25], s[24:25], exec
	s_and_b64 s[28:29], s[34:35], exec
	s_andn2_b64 s[22:23], s[22:23], exec
	s_and_b64 s[0:1], s[0:1], exec
	s_or_b64 s[24:25], s[24:25], s[28:29]
	s_and_b64 s[34:35], s[40:41], exec
	s_and_b64 s[30:31], s[30:31], exec
	;; [unrolled: 1-line block ×3, first 2 shown]
	s_or_b64 s[22:23], s[22:23], s[0:1]
.LBB134_909:
	s_or_b64 exec, exec, s[26:27]
	s_andn2_b64 s[0:1], s[16:17], exec
	s_and_b64 s[16:17], s[24:25], exec
	s_andn2_b64 s[18:19], s[18:19], exec
	s_and_b64 s[22:23], s[22:23], exec
	s_or_b64 s[16:17], s[0:1], s[16:17]
	s_and_b64 s[0:1], s[34:35], exec
	s_and_b64 s[26:27], s[30:31], exec
	;; [unrolled: 1-line block ×3, first 2 shown]
	s_or_b64 s[18:19], s[18:19], s[22:23]
	s_or_b64 exec, exec, s[20:21]
	s_mov_b64 s[20:21], 0
	s_and_saveexec_b64 s[22:23], s[18:19]
	s_cbranch_execz .LBB134_278
.LBB134_910:
	s_mov_b64 s[20:21], exec
	s_andn2_b64 s[24:25], s[24:25], exec
	s_trap 2
	s_or_b64 exec, exec, s[22:23]
	s_and_saveexec_b64 s[18:19], s[24:25]
	s_xor_b64 s[18:19], exec, s[18:19]
	s_cbranch_execnz .LBB134_279
.LBB134_911:
	s_or_b64 exec, exec, s[18:19]
	s_and_saveexec_b64 s[18:19], s[26:27]
	s_cbranch_execz .LBB134_957
.LBB134_912:
	s_sext_i32_i16 s22, s15
	s_cmp_lt_i32 s22, 5
	s_cbranch_scc1 .LBB134_917
; %bb.913:
	s_cmp_lt_i32 s22, 8
	s_cbranch_scc1 .LBB134_918
; %bb.914:
	;; [unrolled: 3-line block ×3, first 2 shown]
	s_cmp_gt_i32 s22, 9
	s_cbranch_scc0 .LBB134_920
; %bb.916:
	global_load_dwordx2 v[3:4], v[0:1], off
	s_movk_i32 s22, 0x7fff
	s_waitcnt vmcnt(0)
	v_cvt_f32_f64_e32 v3, v[3:4]
	v_mov_b32_e32 v4, 0x7fc0
	v_bfe_u32 v5, v3, 16, 1
	v_cmp_o_f32_e32 vcc, v3, v3
	v_add3_u32 v3, v3, v5, s22
	v_cndmask_b32_sdwa v3, v4, v3, vcc dst_sel:DWORD dst_unused:UNUSED_PAD src0_sel:DWORD src1_sel:WORD_1
	s_mov_b64 s[22:23], 0
	s_branch .LBB134_921
.LBB134_917:
                                        ; implicit-def: $vgpr3
	s_branch .LBB134_938
.LBB134_918:
                                        ; implicit-def: $vgpr3
	s_branch .LBB134_927
.LBB134_919:
	s_mov_b64 s[22:23], -1
                                        ; implicit-def: $vgpr3
	s_branch .LBB134_924
.LBB134_920:
	s_mov_b64 s[22:23], -1
                                        ; implicit-def: $vgpr3
.LBB134_921:
	s_andn2_b64 vcc, exec, s[22:23]
	s_cbranch_vccnz .LBB134_923
; %bb.922:
	global_load_dword v3, v[0:1], off
	s_movk_i32 s22, 0x7fff
	v_mov_b32_e32 v4, 0x7fc0
	s_waitcnt vmcnt(0)
	v_bfe_u32 v5, v3, 16, 1
	v_cmp_o_f32_e32 vcc, v3, v3
	v_add3_u32 v3, v3, v5, s22
	v_cndmask_b32_sdwa v3, v4, v3, vcc dst_sel:DWORD dst_unused:UNUSED_PAD src0_sel:DWORD src1_sel:WORD_1
.LBB134_923:
	s_mov_b64 s[22:23], 0
.LBB134_924:
	s_andn2_b64 vcc, exec, s[22:23]
	s_cbranch_vccnz .LBB134_926
; %bb.925:
	global_load_dword v3, v[0:1], off
	s_movk_i32 s22, 0x7fff
	v_mov_b32_e32 v5, 0x7fc0
	s_waitcnt vmcnt(0)
	v_cvt_f32_f16_e32 v4, v3
	v_cmp_o_f16_e32 vcc, v3, v3
	v_bfe_u32 v3, v4, 16, 1
	v_add3_u32 v3, v4, v3, s22
	v_cndmask_b32_sdwa v3, v5, v3, vcc dst_sel:DWORD dst_unused:UNUSED_PAD src0_sel:DWORD src1_sel:WORD_1
.LBB134_926:
	s_cbranch_execnz .LBB134_937
.LBB134_927:
	s_sext_i32_i16 s22, s15
	s_cmp_lt_i32 s22, 6
	s_cbranch_scc1 .LBB134_930
; %bb.928:
	s_cmp_gt_i32 s22, 6
	s_cbranch_scc0 .LBB134_931
; %bb.929:
	global_load_dwordx2 v[3:4], v[0:1], off
	s_movk_i32 s22, 0x7fff
	s_waitcnt vmcnt(0)
	v_cvt_f32_f64_e32 v3, v[3:4]
	v_mov_b32_e32 v4, 0x7fc0
	v_bfe_u32 v5, v3, 16, 1
	v_cmp_o_f32_e32 vcc, v3, v3
	v_add3_u32 v3, v3, v5, s22
	v_cndmask_b32_sdwa v3, v4, v3, vcc dst_sel:DWORD dst_unused:UNUSED_PAD src0_sel:DWORD src1_sel:WORD_1
	s_mov_b64 s[22:23], 0
	s_branch .LBB134_932
.LBB134_930:
	s_mov_b64 s[22:23], -1
                                        ; implicit-def: $vgpr3
	s_branch .LBB134_935
.LBB134_931:
	s_mov_b64 s[22:23], -1
                                        ; implicit-def: $vgpr3
.LBB134_932:
	s_andn2_b64 vcc, exec, s[22:23]
	s_cbranch_vccnz .LBB134_934
; %bb.933:
	global_load_dword v3, v[0:1], off
	s_movk_i32 s22, 0x7fff
	v_mov_b32_e32 v4, 0x7fc0
	s_waitcnt vmcnt(0)
	v_bfe_u32 v5, v3, 16, 1
	v_cmp_o_f32_e32 vcc, v3, v3
	v_add3_u32 v3, v3, v5, s22
	v_cndmask_b32_sdwa v3, v4, v3, vcc dst_sel:DWORD dst_unused:UNUSED_PAD src0_sel:DWORD src1_sel:WORD_1
.LBB134_934:
	s_mov_b64 s[22:23], 0
.LBB134_935:
	s_andn2_b64 vcc, exec, s[22:23]
	s_cbranch_vccnz .LBB134_937
; %bb.936:
	global_load_ushort v3, v[0:1], off
	s_movk_i32 s22, 0x7fff
	v_mov_b32_e32 v5, 0x7fc0
	s_waitcnt vmcnt(0)
	v_cvt_f32_f16_e32 v4, v3
	v_cmp_o_f16_e32 vcc, v3, v3
	v_bfe_u32 v3, v4, 16, 1
	v_add3_u32 v3, v4, v3, s22
	v_cndmask_b32_sdwa v3, v5, v3, vcc dst_sel:DWORD dst_unused:UNUSED_PAD src0_sel:DWORD src1_sel:WORD_1
.LBB134_937:
	s_cbranch_execnz .LBB134_956
.LBB134_938:
	s_sext_i32_i16 s22, s15
	s_cmp_lt_i32 s22, 2
	s_cbranch_scc1 .LBB134_942
; %bb.939:
	s_cmp_lt_i32 s22, 3
	s_cbranch_scc1 .LBB134_943
; %bb.940:
	s_cmp_gt_i32 s22, 3
	s_cbranch_scc0 .LBB134_944
; %bb.941:
	global_load_dwordx2 v[3:4], v[0:1], off
	s_movk_i32 s22, 0x7fff
	s_waitcnt vmcnt(0)
	v_xor_b32_e32 v6, v3, v4
	v_ffbh_i32_e32 v5, v4
	v_ashrrev_i32_e32 v6, 31, v6
	v_add_u32_e32 v5, -1, v5
	v_add_u32_e32 v6, 32, v6
	v_min_u32_e32 v5, v5, v6
	v_lshlrev_b64 v[3:4], v5, v[3:4]
	v_min_u32_e32 v3, 1, v3
	v_or_b32_e32 v3, v4, v3
	v_cvt_f32_i32_e32 v3, v3
	v_sub_u32_e32 v4, 32, v5
	v_ldexp_f32 v3, v3, v4
	v_bfe_u32 v4, v3, 16, 1
	v_add3_u32 v3, v3, v4, s22
	v_lshrrev_b32_e32 v3, 16, v3
	s_mov_b64 s[22:23], 0
	s_branch .LBB134_945
.LBB134_942:
                                        ; implicit-def: $vgpr3
	s_branch .LBB134_951
.LBB134_943:
	s_mov_b64 s[22:23], -1
                                        ; implicit-def: $vgpr3
	s_branch .LBB134_948
.LBB134_944:
	s_mov_b64 s[22:23], -1
                                        ; implicit-def: $vgpr3
.LBB134_945:
	s_andn2_b64 vcc, exec, s[22:23]
	s_cbranch_vccnz .LBB134_947
; %bb.946:
	global_load_dword v3, v[0:1], off
	s_movk_i32 s22, 0x7fff
	s_waitcnt vmcnt(0)
	v_cvt_f32_i32_e32 v3, v3
	v_bfe_u32 v4, v3, 16, 1
	v_add3_u32 v3, v3, v4, s22
	v_lshrrev_b32_e32 v3, 16, v3
.LBB134_947:
	s_mov_b64 s[22:23], 0
.LBB134_948:
	s_andn2_b64 vcc, exec, s[22:23]
	s_cbranch_vccnz .LBB134_950
; %bb.949:
	global_load_sshort v3, v[0:1], off
	s_movk_i32 s22, 0x7fff
	s_waitcnt vmcnt(0)
	v_cvt_f32_i32_e32 v3, v3
	v_bfe_u32 v4, v3, 16, 1
	v_add3_u32 v3, v3, v4, s22
	v_lshrrev_b32_e32 v3, 16, v3
.LBB134_950:
	s_cbranch_execnz .LBB134_956
.LBB134_951:
	s_sext_i32_i16 s22, s15
	s_cmp_gt_i32 s22, 0
	s_cbranch_scc0 .LBB134_953
; %bb.952:
	global_load_sbyte v3, v[0:1], off
	s_movk_i32 s22, 0x7fff
	s_waitcnt vmcnt(0)
	v_cvt_f32_i32_e32 v3, v3
	v_bfe_u32 v4, v3, 16, 1
	v_add3_u32 v3, v3, v4, s22
	v_lshrrev_b32_e32 v3, 16, v3
	s_mov_b64 s[22:23], 0
	s_branch .LBB134_954
.LBB134_953:
	s_mov_b64 s[22:23], -1
                                        ; implicit-def: $vgpr3
.LBB134_954:
	s_andn2_b64 vcc, exec, s[22:23]
	s_cbranch_vccnz .LBB134_956
; %bb.955:
	global_load_ubyte v0, v[0:1], off
	s_movk_i32 s22, 0x7fff
	s_waitcnt vmcnt(0)
	v_cvt_f32_ubyte0_e32 v0, v0
	v_bfe_u32 v1, v0, 16, 1
	v_add3_u32 v0, v0, v1, s22
	v_lshrrev_b32_e32 v3, 16, v0
.LBB134_956:
	s_or_b64 s[0:1], s[0:1], exec
.LBB134_957:
	s_or_b64 exec, exec, s[18:19]
	s_mov_b64 s[26:27], 0
	s_mov_b64 s[24:25], 0
                                        ; implicit-def: $sgpr18_sgpr19
                                        ; implicit-def: $sgpr34
                                        ; implicit-def: $vgpr0_vgpr1
	s_and_saveexec_b64 s[22:23], s[0:1]
	s_cbranch_execz .LBB134_962
; %bb.958:
	s_waitcnt vmcnt(0)
	v_lshlrev_b32_e32 v0, 16, v3
	s_cmp_lt_i32 s14, 1
	s_mov_b64 s[0:1], 0
	s_cbranch_scc1 .LBB134_965
; %bb.959:
	s_cmp_gt_i32 s14, 1
	s_cbranch_scc0 .LBB134_966
; %bb.960:
	s_cmp_eq_u32 s14, 2
	s_cbranch_scc0 .LBB134_967
; %bb.961:
	v_cmp_ge_f32_e64 s[18:19], s33, v0
	s_branch .LBB134_969
.LBB134_962:
	s_or_b64 exec, exec, s[22:23]
	s_and_saveexec_b64 s[0:1], s[16:17]
	s_cbranch_execnz .LBB134_1054
.LBB134_963:
	s_or_b64 exec, exec, s[0:1]
	s_and_saveexec_b64 s[0:1], s[26:27]
	s_xor_b64 s[0:1], exec, s[0:1]
	s_cbranch_execz .LBB134_1055
.LBB134_964:
	v_cndmask_b32_e64 v2, 0, 1, s[18:19]
	global_store_byte v[0:1], v2, off
	s_or_b64 exec, exec, s[0:1]
	s_and_saveexec_b64 s[0:1], s[24:25]
	s_xor_b64 s[0:1], exec, s[0:1]
	s_cbranch_execz .LBB134_1093
	s_branch .LBB134_1056
.LBB134_965:
                                        ; implicit-def: $sgpr18_sgpr19
	s_cbranch_execnz .LBB134_972
	s_branch .LBB134_973
.LBB134_966:
	s_mov_b64 s[26:27], -1
	s_branch .LBB134_968
.LBB134_967:
	s_mov_b64 s[24:25], -1
.LBB134_968:
                                        ; implicit-def: $sgpr18_sgpr19
.LBB134_969:
	s_and_b64 vcc, exec, s[26:27]
	s_cbranch_vccz .LBB134_971
; %bb.970:
	v_cmp_lt_f32_e32 vcc, s33, v0
	s_andn2_b64 s[18:19], s[18:19], exec
	s_and_b64 s[26:27], vcc, exec
	s_or_b64 s[18:19], s[18:19], s[26:27]
.LBB134_971:
	s_branch .LBB134_973
.LBB134_972:
	s_cmp_lg_u32 s14, 0
	s_mov_b64 s[0:1], -1
	s_cselect_b64 s[24:25], -1, 0
.LBB134_973:
	s_andn2_b64 vcc, exec, s[24:25]
	s_cbranch_vccnz .LBB134_975
; %bb.974:
	v_cmp_gt_f32_e32 vcc, s33, v0
	s_andn2_b64 s[18:19], s[18:19], exec
	s_and_b64 s[24:25], vcc, exec
	s_or_b64 s[18:19], s[18:19], s[24:25]
	s_cbranch_execz .LBB134_976
	s_branch .LBB134_977
.LBB134_975:
	s_andn2_b64 vcc, exec, s[0:1]
	s_cbranch_vccnz .LBB134_977
.LBB134_976:
	v_cmp_le_f32_e32 vcc, s33, v0
	s_andn2_b64 s[0:1], s[18:19], exec
	s_and_b64 s[18:19], vcc, exec
	s_or_b64 s[18:19], s[0:1], s[18:19]
.LBB134_977:
	v_mul_lo_u32 v0, v2, s12
	v_mov_b32_e32 v1, s9
	s_and_b32 s34, s3, 0xff
	s_cmp_lt_i32 s34, 11
	v_ashrrev_i32_e32 v2, 31, v0
	v_add_co_u32_e32 v0, vcc, s8, v0
	v_addc_co_u32_e32 v1, vcc, v1, v2, vcc
	s_cbranch_scc1 .LBB134_1051
; %bb.978:
	s_and_b32 s33, 0xffff, s34
	s_mov_b64 s[26:27], -1
	s_cmp_gt_i32 s33, 25
	s_mov_b64 s[0:1], s[16:17]
	s_cbranch_scc0 .LBB134_1011
; %bb.979:
	s_mov_b64 s[24:25], -1
	s_cmp_gt_i32 s33, 28
	s_mov_b64 s[0:1], s[16:17]
	s_cbranch_scc0 .LBB134_995
; %bb.980:
	s_cmp_gt_i32 s33, 43
	s_mov_b64 s[0:1], s[16:17]
	s_cbranch_scc0 .LBB134_991
; %bb.981:
	;; [unrolled: 4-line block ×3, first 2 shown]
	s_cmp_eq_u32 s33, 46
	s_mov_b64 s[0:1], -1
	s_cbranch_scc0 .LBB134_984
; %bb.983:
	v_cndmask_b32_e64 v2, 0, 1.0, s[18:19]
	v_bfe_u32 v3, v2, 16, 1
	s_movk_i32 s0, 0x7fff
	v_add3_u32 v2, v2, v3, s0
	v_lshrrev_b32_e32 v2, 16, v2
	global_store_dword v[0:1], v2, off
	s_mov_b64 s[0:1], 0
.LBB134_984:
	s_mov_b64 s[24:25], 0
.LBB134_985:
	s_and_b64 vcc, exec, s[24:25]
	s_cbranch_vccz .LBB134_990
; %bb.986:
	s_cmp_eq_u32 s33, 44
	s_mov_b64 s[0:1], -1
	s_cbranch_scc0 .LBB134_990
; %bb.987:
	v_cndmask_b32_e64 v3, 0, 1.0, s[18:19]
	v_lshrrev_b32_e32 v2, 23, v3
	s_movk_i32 s0, 0xff
	v_cmp_ne_u32_e32 vcc, s0, v2
	v_mov_b32_e32 v4, 0xff
	s_and_saveexec_b64 s[24:25], vcc
; %bb.988:
	s_mov_b32 s0, 0x3fffff
	v_and_b32_e32 v4, 0x400000, v3
	v_and_or_b32 v3, v3, s0, v2
	v_cmp_ne_u32_e32 vcc, 0, v4
	v_cmp_ne_u32_e64 s[0:1], 0, v3
	s_and_b64 s[0:1], vcc, s[0:1]
	v_cndmask_b32_e64 v3, 0, 1, s[0:1]
	v_add_u32_e32 v4, v2, v3
; %bb.989:
	s_or_b64 exec, exec, s[24:25]
	s_mov_b64 s[0:1], 0
	global_store_byte v[0:1], v4, off
.LBB134_990:
	s_mov_b64 s[24:25], 0
.LBB134_991:
	s_and_b64 vcc, exec, s[24:25]
	s_cbranch_vccz .LBB134_994
; %bb.992:
	s_cmp_eq_u32 s33, 29
	s_mov_b64 s[0:1], -1
	s_cbranch_scc0 .LBB134_994
; %bb.993:
	s_mov_b32 s0, 0
	v_cndmask_b32_e64 v2, 0, 1, s[18:19]
	v_mov_b32_e32 v3, s0
	global_store_dwordx2 v[0:1], v[2:3], off
	s_mov_b64 s[0:1], 0
.LBB134_994:
	s_mov_b64 s[24:25], 0
.LBB134_995:
	s_and_b64 vcc, exec, s[24:25]
	s_cbranch_vccz .LBB134_1010
; %bb.996:
	s_cmp_lt_i32 s33, 27
	s_mov_b64 s[24:25], -1
	s_cbranch_scc1 .LBB134_1002
; %bb.997:
	s_cmp_gt_i32 s33, 27
	v_cndmask_b32_e64 v2, 0, 1, s[18:19]
	s_cbranch_scc0 .LBB134_999
; %bb.998:
	s_mov_b64 s[24:25], 0
	global_store_dword v[0:1], v2, off
.LBB134_999:
	s_andn2_b64 vcc, exec, s[24:25]
	s_cbranch_vccnz .LBB134_1001
; %bb.1000:
	global_store_short v[0:1], v2, off
.LBB134_1001:
	s_mov_b64 s[24:25], 0
.LBB134_1002:
	s_andn2_b64 vcc, exec, s[24:25]
	s_cbranch_vccnz .LBB134_1010
; %bb.1003:
	v_cndmask_b32_e64 v3, 0, 1.0, s[18:19]
	s_mov_b32 s24, 0x43800000
	v_cmp_gt_u32_e32 vcc, s24, v3
	v_mov_b32_e32 v4, 0x80
	s_and_saveexec_b64 s[24:25], vcc
	s_cbranch_execz .LBB134_1009
; %bb.1004:
	s_mov_b32 s26, 0x3bffffff
	v_cmp_lt_u32_e32 vcc, s26, v3
	s_mov_b64 s[26:27], 0
                                        ; implicit-def: $vgpr2
	s_and_saveexec_b64 s[28:29], vcc
	s_xor_b64 s[28:29], exec, s[28:29]
	s_cbranch_execz .LBB134_1108
; %bb.1005:
	v_bfe_u32 v2, v3, 20, 1
	s_mov_b32 s30, 0x487ffff
	v_add3_u32 v2, v3, v2, s30
	s_mov_b64 s[26:27], exec
	v_lshrrev_b32_e32 v2, 20, v2
                                        ; implicit-def: $vgpr3
	s_andn2_saveexec_b64 s[28:29], s[28:29]
	s_cbranch_execnz .LBB134_1109
.LBB134_1006:
	s_or_b64 exec, exec, s[28:29]
	v_mov_b32_e32 v4, 0
	s_and_saveexec_b64 s[28:29], s[26:27]
.LBB134_1007:
	v_mov_b32_e32 v4, v2
.LBB134_1008:
	s_or_b64 exec, exec, s[28:29]
.LBB134_1009:
	s_or_b64 exec, exec, s[24:25]
	global_store_byte v[0:1], v4, off
.LBB134_1010:
	s_mov_b64 s[26:27], 0
.LBB134_1011:
	s_mov_b64 s[24:25], 0
	s_and_b64 vcc, exec, s[26:27]
	s_cbranch_vccz .LBB134_1052
; %bb.1012:
	s_cmp_gt_i32 s33, 22
	s_mov_b64 s[26:27], -1
	s_cbranch_scc0 .LBB134_1044
; %bb.1013:
	s_cmp_lt_i32 s33, 24
	s_cbranch_scc1 .LBB134_1033
; %bb.1014:
	s_cmp_gt_i32 s33, 24
	s_cbranch_scc0 .LBB134_1022
; %bb.1015:
	v_cndmask_b32_e64 v3, 0, 1.0, s[18:19]
	s_mov_b32 s26, 0x47800000
	v_cmp_gt_u32_e32 vcc, s26, v3
	v_mov_b32_e32 v4, 0x80
	s_and_saveexec_b64 s[26:27], vcc
	s_cbranch_execz .LBB134_1021
; %bb.1016:
	s_mov_b32 s28, 0x37ffffff
	v_cmp_lt_u32_e32 vcc, s28, v3
	s_mov_b64 s[28:29], 0
                                        ; implicit-def: $vgpr2
	s_and_saveexec_b64 s[30:31], vcc
	s_xor_b64 s[30:31], exec, s[30:31]
	s_cbranch_execz .LBB134_1247
; %bb.1017:
	v_bfe_u32 v2, v3, 21, 1
	s_mov_b32 s35, 0x88fffff
	v_add3_u32 v2, v3, v2, s35
	s_mov_b64 s[28:29], exec
	v_lshrrev_b32_e32 v2, 21, v2
                                        ; implicit-def: $vgpr3
	s_andn2_saveexec_b64 s[30:31], s[30:31]
	s_cbranch_execnz .LBB134_1248
.LBB134_1018:
	s_or_b64 exec, exec, s[30:31]
	v_mov_b32_e32 v4, 0
	s_and_saveexec_b64 s[30:31], s[28:29]
.LBB134_1019:
	v_mov_b32_e32 v4, v2
.LBB134_1020:
	s_or_b64 exec, exec, s[30:31]
.LBB134_1021:
	s_or_b64 exec, exec, s[26:27]
	s_mov_b64 s[26:27], 0
	global_store_byte v[0:1], v4, off
.LBB134_1022:
	s_and_b64 vcc, exec, s[26:27]
	s_cbranch_vccz .LBB134_1032
; %bb.1023:
	v_cndmask_b32_e64 v2, 0, 1.0, s[18:19]
	s_mov_b32 s26, 0x43f00000
	v_cmp_gt_u32_e32 vcc, s26, v2
                                        ; implicit-def: $vgpr3
	s_and_saveexec_b64 s[26:27], vcc
	s_xor_b64 s[26:27], exec, s[26:27]
	s_cbranch_execz .LBB134_1029
; %bb.1024:
	s_mov_b32 s28, 0x3c7fffff
	v_cmp_lt_u32_e32 vcc, s28, v2
                                        ; implicit-def: $vgpr3
	s_and_saveexec_b64 s[28:29], vcc
	s_xor_b64 s[28:29], exec, s[28:29]
; %bb.1025:
	v_bfe_u32 v3, v2, 20, 1
	s_mov_b32 s30, 0x407ffff
	v_add3_u32 v2, v2, v3, s30
	v_lshrrev_b32_e32 v3, 20, v2
	v_and_b32_e32 v2, 0xff00000, v2
	s_mov_b32 s30, 0x7f00000
	v_mov_b32_e32 v4, 0x7e
	v_cmp_ne_u32_e32 vcc, s30, v2
	v_cndmask_b32_e32 v3, v4, v3, vcc
                                        ; implicit-def: $vgpr2
; %bb.1026:
	s_andn2_saveexec_b64 s[28:29], s[28:29]
; %bb.1027:
	v_add_f32_e32 v3, 0x46800000, v2
; %bb.1028:
	s_or_b64 exec, exec, s[28:29]
                                        ; implicit-def: $vgpr2
.LBB134_1029:
	s_andn2_saveexec_b64 s[26:27], s[26:27]
; %bb.1030:
	s_mov_b32 s28, 0x7f800000
	v_mov_b32_e32 v3, 0x7e
	v_mov_b32_e32 v4, 0x7f
	v_cmp_lt_u32_e32 vcc, s28, v2
	v_cndmask_b32_e32 v3, v3, v4, vcc
; %bb.1031:
	s_or_b64 exec, exec, s[26:27]
	global_store_byte v[0:1], v3, off
.LBB134_1032:
	s_mov_b64 s[26:27], 0
.LBB134_1033:
	s_andn2_b64 vcc, exec, s[26:27]
	s_cbranch_vccnz .LBB134_1043
; %bb.1034:
	v_cndmask_b32_e64 v2, 0, 1.0, s[18:19]
	s_mov_b32 s26, 0x47800000
	v_cmp_gt_u32_e32 vcc, s26, v2
                                        ; implicit-def: $vgpr3
	s_and_saveexec_b64 s[26:27], vcc
	s_xor_b64 s[26:27], exec, s[26:27]
	s_cbranch_execz .LBB134_1040
; %bb.1035:
	s_mov_b32 s28, 0x387fffff
	v_cmp_lt_u32_e32 vcc, s28, v2
                                        ; implicit-def: $vgpr3
	s_and_saveexec_b64 s[28:29], vcc
	s_xor_b64 s[28:29], exec, s[28:29]
; %bb.1036:
	v_bfe_u32 v3, v2, 21, 1
	s_mov_b32 s30, 0x80fffff
	v_add3_u32 v2, v2, v3, s30
	v_lshrrev_b32_e32 v3, 21, v2
                                        ; implicit-def: $vgpr2
; %bb.1037:
	s_andn2_saveexec_b64 s[28:29], s[28:29]
; %bb.1038:
	v_add_f32_e32 v3, 0x43000000, v2
; %bb.1039:
	s_or_b64 exec, exec, s[28:29]
                                        ; implicit-def: $vgpr2
.LBB134_1040:
	s_andn2_saveexec_b64 s[26:27], s[26:27]
; %bb.1041:
	s_mov_b32 s28, 0x7f800000
	v_mov_b32_e32 v3, 0x7c
	v_mov_b32_e32 v4, 0x7f
	v_cmp_lt_u32_e32 vcc, s28, v2
	v_cndmask_b32_e32 v3, v3, v4, vcc
; %bb.1042:
	s_or_b64 exec, exec, s[26:27]
	global_store_byte v[0:1], v3, off
.LBB134_1043:
	s_mov_b64 s[26:27], 0
.LBB134_1044:
	s_andn2_b64 vcc, exec, s[26:27]
	s_mov_b64 s[26:27], 0
	s_cbranch_vccnz .LBB134_1053
; %bb.1045:
	s_cmp_gt_i32 s33, 14
	s_mov_b64 s[28:29], -1
	s_cbranch_scc0 .LBB134_1049
; %bb.1046:
	s_cmp_eq_u32 s33, 15
	s_mov_b64 s[0:1], -1
	s_cbranch_scc0 .LBB134_1048
; %bb.1047:
	v_cndmask_b32_e64 v2, 0, 1.0, s[18:19]
	v_bfe_u32 v3, v2, 16, 1
	s_movk_i32 s0, 0x7fff
	v_add3_u32 v2, v2, v3, s0
	global_store_short_d16_hi v[0:1], v2, off
	s_mov_b64 s[0:1], 0
.LBB134_1048:
	s_mov_b64 s[28:29], 0
.LBB134_1049:
	s_and_b64 vcc, exec, s[28:29]
	s_cbranch_vccz .LBB134_1053
; %bb.1050:
	s_cmp_lg_u32 s33, 11
	s_cselect_b64 s[28:29], -1, 0
	s_andn2_b64 s[0:1], s[0:1], exec
	s_and_b64 s[28:29], s[28:29], exec
	s_mov_b64 s[26:27], -1
	s_or_b64 s[0:1], s[0:1], s[28:29]
	s_branch .LBB134_1053
.LBB134_1051:
	s_mov_b64 s[26:27], 0
	s_mov_b64 s[24:25], -1
	s_mov_b64 s[0:1], s[16:17]
	s_branch .LBB134_1053
.LBB134_1052:
	s_mov_b64 s[26:27], 0
.LBB134_1053:
	s_andn2_b64 s[16:17], s[16:17], exec
	s_and_b64 s[0:1], s[0:1], exec
	s_and_b64 s[24:25], s[24:25], exec
	;; [unrolled: 1-line block ×3, first 2 shown]
	s_or_b64 s[16:17], s[16:17], s[0:1]
	s_or_b64 exec, exec, s[22:23]
	s_and_saveexec_b64 s[0:1], s[16:17]
	s_cbranch_execz .LBB134_963
.LBB134_1054:
	s_or_b64 s[20:21], s[20:21], exec
	s_andn2_b64 s[26:27], s[26:27], exec
	s_trap 2
	s_or_b64 exec, exec, s[0:1]
	s_and_saveexec_b64 s[0:1], s[26:27]
	s_xor_b64 s[0:1], exec, s[0:1]
	s_cbranch_execnz .LBB134_964
.LBB134_1055:
	s_or_b64 exec, exec, s[0:1]
	s_and_saveexec_b64 s[0:1], s[24:25]
	s_xor_b64 s[0:1], exec, s[0:1]
	s_cbranch_execz .LBB134_1093
.LBB134_1056:
	s_sext_i32_i16 s22, s34
	s_cmp_lt_i32 s22, 5
	s_mov_b64 s[16:17], -1
	s_cbranch_scc1 .LBB134_1077
; %bb.1057:
	s_cmp_lt_i32 s22, 8
	s_cbranch_scc1 .LBB134_1067
; %bb.1058:
	s_cmp_lt_i32 s22, 9
	s_cbranch_scc1 .LBB134_1064
; %bb.1059:
	s_cmp_gt_i32 s22, 9
	s_cbranch_scc0 .LBB134_1061
; %bb.1060:
	v_cndmask_b32_e64 v2, 0, 1, s[18:19]
	s_waitcnt vmcnt(0)
	v_cvt_f64_u32_e32 v[2:3], v2
	v_mov_b32_e32 v4, 0
	v_mov_b32_e32 v5, v4
	s_mov_b64 s[16:17], 0
	global_store_dwordx4 v[0:1], v[2:5], off
.LBB134_1061:
	s_andn2_b64 vcc, exec, s[16:17]
	s_cbranch_vccnz .LBB134_1063
; %bb.1062:
	v_cndmask_b32_e64 v2, 0, 1.0, s[18:19]
	s_waitcnt vmcnt(0)
	v_mov_b32_e32 v3, 0
	global_store_dwordx2 v[0:1], v[2:3], off
.LBB134_1063:
	s_mov_b64 s[16:17], 0
.LBB134_1064:
	s_andn2_b64 vcc, exec, s[16:17]
	s_cbranch_vccnz .LBB134_1066
; %bb.1065:
	v_cndmask_b32_e64 v2, 0, 1.0, s[18:19]
	v_cvt_f16_f32_e32 v2, v2
	global_store_dword v[0:1], v2, off
.LBB134_1066:
	s_mov_b64 s[16:17], 0
.LBB134_1067:
	s_andn2_b64 vcc, exec, s[16:17]
	s_cbranch_vccnz .LBB134_1076
; %bb.1068:
	s_sext_i32_i16 s22, s34
	s_cmp_lt_i32 s22, 6
	s_mov_b64 s[16:17], -1
	s_cbranch_scc1 .LBB134_1074
; %bb.1069:
	s_cmp_gt_i32 s22, 6
	s_cbranch_scc0 .LBB134_1071
; %bb.1070:
	v_cndmask_b32_e64 v2, 0, 1, s[18:19]
	s_waitcnt vmcnt(0)
	v_cvt_f64_u32_e32 v[2:3], v2
	s_mov_b64 s[16:17], 0
	global_store_dwordx2 v[0:1], v[2:3], off
.LBB134_1071:
	s_andn2_b64 vcc, exec, s[16:17]
	s_cbranch_vccnz .LBB134_1073
; %bb.1072:
	v_cndmask_b32_e64 v2, 0, 1.0, s[18:19]
	global_store_dword v[0:1], v2, off
.LBB134_1073:
	s_mov_b64 s[16:17], 0
.LBB134_1074:
	s_andn2_b64 vcc, exec, s[16:17]
	s_cbranch_vccnz .LBB134_1076
; %bb.1075:
	v_cndmask_b32_e64 v2, 0, 1.0, s[18:19]
	v_cvt_f16_f32_e32 v2, v2
	global_store_short v[0:1], v2, off
.LBB134_1076:
	s_mov_b64 s[16:17], 0
.LBB134_1077:
	s_andn2_b64 vcc, exec, s[16:17]
	s_cbranch_vccnz .LBB134_1093
; %bb.1078:
	s_sext_i32_i16 s22, s34
	s_cmp_lt_i32 s22, 2
	s_mov_b64 s[16:17], -1
	s_cbranch_scc1 .LBB134_1088
; %bb.1079:
	s_cmp_lt_i32 s22, 3
	s_cbranch_scc1 .LBB134_1085
; %bb.1080:
	s_cmp_gt_i32 s22, 3
	s_cbranch_scc0 .LBB134_1082
; %bb.1081:
	s_mov_b32 s16, 0
	v_cndmask_b32_e64 v2, 0, 1, s[18:19]
	s_waitcnt vmcnt(0)
	v_mov_b32_e32 v3, s16
	s_mov_b64 s[16:17], 0
	global_store_dwordx2 v[0:1], v[2:3], off
.LBB134_1082:
	s_andn2_b64 vcc, exec, s[16:17]
	s_cbranch_vccnz .LBB134_1084
; %bb.1083:
	v_cndmask_b32_e64 v2, 0, 1, s[18:19]
	global_store_dword v[0:1], v2, off
.LBB134_1084:
	s_mov_b64 s[16:17], 0
.LBB134_1085:
	s_andn2_b64 vcc, exec, s[16:17]
	s_cbranch_vccnz .LBB134_1087
; %bb.1086:
	v_cndmask_b32_e64 v2, 0, 1, s[18:19]
	global_store_short v[0:1], v2, off
.LBB134_1087:
	s_mov_b64 s[16:17], 0
.LBB134_1088:
	s_andn2_b64 vcc, exec, s[16:17]
	s_cbranch_vccnz .LBB134_1093
; %bb.1089:
	s_sext_i32_i16 s22, s34
	s_mov_b64 s[16:17], -1
	s_cmp_gt_i32 s22, 0
	v_cndmask_b32_e64 v2, 0, 1, s[18:19]
	s_cbranch_scc0 .LBB134_1091
; %bb.1090:
	s_mov_b64 s[16:17], 0
	global_store_byte v[0:1], v2, off
.LBB134_1091:
	s_andn2_b64 vcc, exec, s[16:17]
	s_cbranch_vccnz .LBB134_1093
; %bb.1092:
	global_store_byte v[0:1], v2, off
.LBB134_1093:
	s_or_b64 exec, exec, s[0:1]
	s_and_b64 s[16:17], s[20:21], exec
                                        ; implicit-def: $vgpr2
.LBB134_1094:
	s_or_saveexec_b64 s[6:7], s[6:7]
	s_mov_b64 s[0:1], 0
                                        ; implicit-def: $sgpr24_sgpr25
                                        ; implicit-def: $sgpr28
                                        ; implicit-def: $vgpr0_vgpr1
	s_xor_b64 exec, exec, s[6:7]
	s_cbranch_execz .LBB134_1660
; %bb.1095:
	s_waitcnt vmcnt(0)
	v_mul_lo_u32 v3, s13, v2
	v_mov_b32_e32 v1, s11
	s_and_b32 s15, 0xffff, s15
	s_cmp_lt_i32 s15, 11
	v_ashrrev_i32_e32 v4, 31, v3
	v_add_co_u32_e32 v0, vcc, s10, v3
	v_addc_co_u32_e32 v1, vcc, v1, v4, vcc
	s_cbranch_scc1 .LBB134_1102
; %bb.1096:
	s_cmp_gt_i32 s15, 25
	s_cbranch_scc0 .LBB134_1104
; %bb.1097:
	s_cmp_gt_i32 s15, 28
	s_cbranch_scc0 .LBB134_1105
	;; [unrolled: 3-line block ×4, first 2 shown]
; %bb.1100:
	s_cmp_eq_u32 s15, 46
	s_mov_b64 s[18:19], 0
	s_cbranch_scc0 .LBB134_1110
; %bb.1101:
	global_load_dword v4, v[0:1], off
	s_mov_b64 s[20:21], -1
	s_branch .LBB134_1111
.LBB134_1102:
	s_mov_b64 s[20:21], 0
                                        ; implicit-def: $vgpr4
	s_mov_b64 s[18:19], s[16:17]
	s_cbranch_execnz .LBB134_1173
.LBB134_1103:
	s_andn2_b64 vcc, exec, s[20:21]
	s_cbranch_vccz .LBB134_1218
	s_branch .LBB134_1657
.LBB134_1104:
	s_mov_b64 s[20:21], 0
                                        ; implicit-def: $vgpr4
	s_cbranch_execnz .LBB134_1138
	s_branch .LBB134_1169
.LBB134_1105:
	s_mov_b64 s[20:21], 0
                                        ; implicit-def: $vgpr4
	s_cbranch_execz .LBB134_1137
	s_branch .LBB134_1120
.LBB134_1106:
	s_mov_b64 s[20:21], 0
                                        ; implicit-def: $vgpr4
	s_cbranch_execnz .LBB134_1116
	s_branch .LBB134_1119
.LBB134_1107:
	s_mov_b64 s[18:19], -1
	s_mov_b64 s[20:21], 0
                                        ; implicit-def: $vgpr4
	s_branch .LBB134_1111
.LBB134_1108:
	s_andn2_saveexec_b64 s[28:29], s[28:29]
	s_cbranch_execz .LBB134_1006
.LBB134_1109:
	v_add_f32_e32 v2, 0x46000000, v3
	v_and_b32_e32 v2, 0xff, v2
	v_cmp_ne_u32_e32 vcc, 0, v2
	s_andn2_b64 s[26:27], s[26:27], exec
	s_and_b64 s[30:31], vcc, exec
	s_or_b64 s[26:27], s[26:27], s[30:31]
	s_or_b64 exec, exec, s[28:29]
	v_mov_b32_e32 v4, 0
	s_and_saveexec_b64 s[28:29], s[26:27]
	s_cbranch_execnz .LBB134_1007
	s_branch .LBB134_1008
.LBB134_1110:
	s_mov_b64 s[0:1], -1
                                        ; implicit-def: $vgpr4
	s_mov_b64 s[20:21], 0
.LBB134_1111:
	s_and_b64 vcc, exec, s[18:19]
	s_cbranch_vccz .LBB134_1114
; %bb.1112:
	s_cmp_eq_u32 s15, 44
	s_cbranch_scc0 .LBB134_1115
; %bb.1113:
	global_load_ubyte v4, v[0:1], off
	s_movk_i32 s18, 0xff
	v_mov_b32_e32 v5, 0x7f800001
	v_mov_b32_e32 v6, 0x400000
	;; [unrolled: 1-line block ×3, first 2 shown]
	s_mov_b64 s[0:1], 0
	s_mov_b64 s[20:21], -1
	s_waitcnt vmcnt(0)
	v_lshlrev_b32_e32 v8, 23, v4
	v_cmp_ne_u32_e32 vcc, s18, v4
	v_cndmask_b32_e32 v5, v5, v8, vcc
	v_cmp_ne_u32_e32 vcc, 0, v4
	v_cndmask_b32_e32 v4, v6, v5, vcc
	v_add_u32_e32 v5, 0x7fff, v4
	v_cmp_o_f32_e32 vcc, v4, v4
	v_cndmask_b32_sdwa v4, v7, v5, vcc dst_sel:DWORD dst_unused:UNUSED_PAD src0_sel:DWORD src1_sel:WORD_1
.LBB134_1114:
	s_branch .LBB134_1119
.LBB134_1115:
	s_mov_b64 s[0:1], -1
                                        ; implicit-def: $vgpr4
	s_branch .LBB134_1119
.LBB134_1116:
	s_cmp_eq_u32 s15, 29
	s_cbranch_scc0 .LBB134_1118
; %bb.1117:
	global_load_dwordx2 v[4:5], v[0:1], off
	s_movk_i32 s18, 0x7fff
	s_mov_b64 s[0:1], 0
	s_mov_b64 s[20:21], -1
	s_waitcnt vmcnt(0)
	v_ffbh_u32_e32 v6, v5
	v_min_u32_e32 v6, 32, v6
	v_lshlrev_b64 v[4:5], v6, v[4:5]
	v_min_u32_e32 v4, 1, v4
	v_or_b32_e32 v4, v5, v4
	v_cvt_f32_u32_e32 v4, v4
	v_sub_u32_e32 v5, 32, v6
	v_ldexp_f32 v4, v4, v5
	v_bfe_u32 v5, v4, 16, 1
	v_add3_u32 v4, v4, v5, s18
	v_lshrrev_b32_e32 v4, 16, v4
	s_branch .LBB134_1119
.LBB134_1118:
	s_mov_b64 s[0:1], -1
                                        ; implicit-def: $vgpr4
.LBB134_1119:
	s_branch .LBB134_1137
.LBB134_1120:
	s_cmp_lt_i32 s15, 27
	s_cbranch_scc1 .LBB134_1123
; %bb.1121:
	s_cmp_gt_i32 s15, 27
	s_cbranch_scc0 .LBB134_1124
; %bb.1122:
	global_load_dword v4, v[0:1], off
	s_movk_i32 s18, 0x7fff
	s_waitcnt vmcnt(0)
	v_cvt_f32_u32_e32 v4, v4
	v_bfe_u32 v5, v4, 16, 1
	v_add3_u32 v4, v4, v5, s18
	v_lshrrev_b32_e32 v4, 16, v4
	s_mov_b64 s[18:19], 0
	s_branch .LBB134_1125
.LBB134_1123:
	s_mov_b64 s[18:19], -1
                                        ; implicit-def: $vgpr4
	s_branch .LBB134_1128
.LBB134_1124:
	s_mov_b64 s[18:19], -1
                                        ; implicit-def: $vgpr4
.LBB134_1125:
	s_andn2_b64 vcc, exec, s[18:19]
	s_cbranch_vccnz .LBB134_1127
; %bb.1126:
	global_load_ushort v4, v[0:1], off
	s_movk_i32 s18, 0x7fff
	s_waitcnt vmcnt(0)
	v_cvt_f32_u32_e32 v4, v4
	v_bfe_u32 v5, v4, 16, 1
	v_add3_u32 v4, v4, v5, s18
	v_lshrrev_b32_e32 v4, 16, v4
.LBB134_1127:
	s_mov_b64 s[18:19], 0
.LBB134_1128:
	s_andn2_b64 vcc, exec, s[18:19]
	s_cbranch_vccnz .LBB134_1136
; %bb.1129:
	global_load_ubyte v4, v[0:1], off
	s_movk_i32 s18, 0x7f
	s_waitcnt vmcnt(0)
	v_cmp_lt_i16_e32 vcc, s18, v4
	s_mov_b64 s[18:19], 0
	s_and_saveexec_b64 s[20:21], vcc
	s_xor_b64 s[20:21], exec, s[20:21]
	s_cbranch_execz .LBB134_1149
; %bb.1130:
	s_movk_i32 s18, 0x80
	v_cmp_eq_u16_e32 vcc, s18, v4
	s_mov_b64 s[18:19], -1
	s_and_saveexec_b64 s[22:23], vcc
; %bb.1131:
	s_xor_b64 s[18:19], exec, -1
; %bb.1132:
	s_or_b64 exec, exec, s[22:23]
	s_and_b64 s[18:19], s[18:19], exec
	s_or_saveexec_b64 s[20:21], s[20:21]
	v_mov_b32_e32 v5, 0x7f800001
	s_xor_b64 exec, exec, s[20:21]
	s_cbranch_execnz .LBB134_1150
.LBB134_1133:
	s_or_b64 exec, exec, s[20:21]
	s_and_saveexec_b64 s[20:21], s[18:19]
	s_cbranch_execz .LBB134_1135
.LBB134_1134:
	v_lshlrev_b32_e32 v5, 24, v4
	v_and_b32_e32 v4, 0xffff, v4
	v_and_b32_e32 v6, 7, v4
	v_ffbh_u32_e32 v8, v6
	v_min_u32_e32 v8, 32, v8
	v_subrev_u32_e32 v9, 28, v8
	v_bfe_u32 v7, v4, 3, 4
	v_lshlrev_b32_e32 v4, v9, v4
	v_sub_u32_e32 v8, 29, v8
	v_and_b32_e32 v4, 7, v4
	v_cmp_eq_u32_e32 vcc, 0, v7
	v_cndmask_b32_e32 v7, v7, v8, vcc
	v_cndmask_b32_e32 v4, v6, v4, vcc
	v_mov_b32_e32 v6, 0x3b800000
	v_lshlrev_b32_e32 v4, 20, v4
	v_and_b32_e32 v5, 0x80000000, v5
	v_lshl_add_u32 v6, v7, 23, v6
	v_or3_b32 v5, v5, v6, v4
.LBB134_1135:
	s_or_b64 exec, exec, s[20:21]
	v_bfe_u32 v4, v5, 16, 1
	s_movk_i32 s18, 0x7fff
	v_add3_u32 v4, v5, v4, s18
	v_cmp_o_f32_e32 vcc, v5, v5
	v_mov_b32_e32 v5, 0x7fc0
	v_cndmask_b32_sdwa v4, v5, v4, vcc dst_sel:DWORD dst_unused:UNUSED_PAD src0_sel:DWORD src1_sel:WORD_1
.LBB134_1136:
	s_mov_b64 s[20:21], -1
.LBB134_1137:
	s_branch .LBB134_1169
.LBB134_1138:
	s_cmp_gt_i32 s15, 22
	s_cbranch_scc0 .LBB134_1148
; %bb.1139:
	s_cmp_lt_i32 s15, 24
	s_cbranch_scc1 .LBB134_1151
; %bb.1140:
	s_cmp_gt_i32 s15, 24
	s_cbranch_scc0 .LBB134_1152
; %bb.1141:
	global_load_ubyte v4, v[0:1], off
	s_movk_i32 s4, 0x7f
	s_waitcnt vmcnt(0)
	v_cmp_lt_i16_e32 vcc, s4, v4
	s_mov_b64 s[4:5], 0
	s_and_saveexec_b64 s[18:19], vcc
	s_xor_b64 s[18:19], exec, s[18:19]
	s_cbranch_execz .LBB134_1163
; %bb.1142:
	s_movk_i32 s4, 0x80
	v_cmp_eq_u16_e32 vcc, s4, v4
	s_mov_b64 s[4:5], -1
	s_and_saveexec_b64 s[20:21], vcc
; %bb.1143:
	s_xor_b64 s[4:5], exec, -1
; %bb.1144:
	s_or_b64 exec, exec, s[20:21]
	s_and_b64 s[4:5], s[4:5], exec
	s_or_saveexec_b64 s[18:19], s[18:19]
	v_mov_b32_e32 v5, 0x7f800001
	s_xor_b64 exec, exec, s[18:19]
	s_cbranch_execnz .LBB134_1164
.LBB134_1145:
	s_or_b64 exec, exec, s[18:19]
	s_and_saveexec_b64 s[18:19], s[4:5]
	s_cbranch_execz .LBB134_1147
.LBB134_1146:
	v_lshlrev_b32_e32 v5, 24, v4
	v_and_b32_e32 v4, 0xffff, v4
	v_and_b32_e32 v6, 3, v4
	v_ffbh_u32_e32 v8, v6
	v_min_u32_e32 v8, 32, v8
	v_subrev_u32_e32 v9, 29, v8
	v_bfe_u32 v7, v4, 2, 5
	v_lshlrev_b32_e32 v4, v9, v4
	v_sub_u32_e32 v8, 30, v8
	v_and_b32_e32 v4, 3, v4
	v_cmp_eq_u32_e32 vcc, 0, v7
	v_cndmask_b32_e32 v7, v7, v8, vcc
	v_cndmask_b32_e32 v4, v6, v4, vcc
	v_mov_b32_e32 v6, 0x37800000
	v_lshlrev_b32_e32 v4, 21, v4
	v_and_b32_e32 v5, 0x80000000, v5
	v_lshl_add_u32 v6, v7, 23, v6
	v_or3_b32 v5, v5, v6, v4
.LBB134_1147:
	s_or_b64 exec, exec, s[18:19]
	v_bfe_u32 v4, v5, 16, 1
	s_movk_i32 s4, 0x7fff
	v_add3_u32 v4, v5, v4, s4
	v_cmp_o_f32_e32 vcc, v5, v5
	v_mov_b32_e32 v5, 0x7fc0
	v_cndmask_b32_sdwa v4, v5, v4, vcc dst_sel:DWORD dst_unused:UNUSED_PAD src0_sel:DWORD src1_sel:WORD_1
	s_mov_b64 s[4:5], 0
	s_branch .LBB134_1153
.LBB134_1148:
                                        ; implicit-def: $vgpr4
	s_mov_b64 s[4:5], 0
	s_branch .LBB134_1159
.LBB134_1149:
	s_or_saveexec_b64 s[20:21], s[20:21]
	v_mov_b32_e32 v5, 0x7f800001
	s_xor_b64 exec, exec, s[20:21]
	s_cbranch_execz .LBB134_1133
.LBB134_1150:
	v_cmp_ne_u16_e32 vcc, 0, v4
	s_andn2_b64 s[18:19], s[18:19], exec
	s_and_b64 s[22:23], vcc, exec
	v_mov_b32_e32 v5, 0
	s_or_b64 s[18:19], s[18:19], s[22:23]
	s_or_b64 exec, exec, s[20:21]
	s_and_saveexec_b64 s[20:21], s[18:19]
	s_cbranch_execnz .LBB134_1134
	s_branch .LBB134_1135
.LBB134_1151:
	s_mov_b64 s[4:5], -1
                                        ; implicit-def: $vgpr4
	s_branch .LBB134_1156
.LBB134_1152:
	s_mov_b64 s[4:5], -1
                                        ; implicit-def: $vgpr4
.LBB134_1153:
	s_and_b64 vcc, exec, s[4:5]
	s_cbranch_vccz .LBB134_1155
; %bb.1154:
	global_load_ubyte v4, v[0:1], off
	s_mov_b32 s4, 0x7f800000
	s_brev_b32 s5, 1
	s_movk_i32 s18, 0x7fff
	s_waitcnt vmcnt(0)
	v_lshlrev_b32_e32 v4, 24, v4
	v_and_b32_e32 v5, 0x7f000000, v4
	v_ffbh_u32_e32 v6, v5
	v_min_u32_e32 v6, 32, v6
	v_sub_u32_e64 v6, v6, 4 clamp
	v_lshlrev_b32_e32 v8, v6, v5
	v_lshlrev_b32_e32 v6, 23, v6
	v_lshrrev_b32_e32 v8, 4, v8
	v_add_u32_e32 v7, 0x1000000, v5
	v_sub_u32_e32 v6, v8, v6
	v_ashrrev_i32_e32 v7, 8, v7
	v_add_u32_e32 v6, 0x3c000000, v6
	v_and_or_b32 v6, v7, s4, v6
	v_cmp_ne_u32_e32 vcc, 0, v5
	v_cndmask_b32_e32 v5, 0, v6, vcc
	v_and_or_b32 v4, v4, s5, v5
	v_bfe_u32 v5, v5, 16, 1
	v_add3_u32 v5, v4, v5, s18
	v_cmp_o_f32_e32 vcc, v4, v4
	v_mov_b32_e32 v4, 0x7fc0
	v_cndmask_b32_sdwa v4, v4, v5, vcc dst_sel:DWORD dst_unused:UNUSED_PAD src0_sel:DWORD src1_sel:WORD_1
.LBB134_1155:
	s_mov_b64 s[4:5], 0
.LBB134_1156:
	s_andn2_b64 vcc, exec, s[4:5]
	s_cbranch_vccnz .LBB134_1158
; %bb.1157:
	global_load_ubyte v4, v[0:1], off
	s_movk_i32 s4, 0x7f00
	s_brev_b32 s5, 16
	s_brev_b32 s18, 1
	s_movk_i32 s19, 0x7fff
	s_waitcnt vmcnt(0)
	v_lshlrev_b16_e32 v5, 8, v4
	v_lshlrev_b32_e32 v4, 25, v4
	v_lshrrev_b32_e32 v6, 4, v4
	v_and_or_b32 v7, v5, s4, 0.5
	v_or_b32_e32 v6, 0x70000000, v6
	v_add_f32_e32 v7, -0.5, v7
	v_mul_f32_e32 v6, 0x7800000, v6
	v_cmp_gt_u32_e32 vcc, s5, v4
	v_bfe_i32 v5, v5, 0, 16
	v_cndmask_b32_e32 v4, v6, v7, vcc
	v_and_or_b32 v5, v5, s18, v4
	v_bfe_u32 v4, v4, 16, 1
	v_add3_u32 v4, v5, v4, s19
	v_cmp_o_f32_e32 vcc, v5, v5
	v_mov_b32_e32 v5, 0x7fc0
	v_cndmask_b32_sdwa v4, v5, v4, vcc dst_sel:DWORD dst_unused:UNUSED_PAD src0_sel:DWORD src1_sel:WORD_1
.LBB134_1158:
	s_mov_b64 s[20:21], -1
	s_mov_b64 s[4:5], 0
	s_cbranch_execnz .LBB134_1169
.LBB134_1159:
	s_cmp_gt_i32 s15, 14
	s_cbranch_scc0 .LBB134_1162
; %bb.1160:
	s_cmp_eq_u32 s15, 15
	s_cbranch_scc0 .LBB134_1165
; %bb.1161:
	global_load_ushort v4, v[0:1], off
	s_mov_b64 s[0:1], 0
	s_mov_b64 s[20:21], -1
	s_branch .LBB134_1166
.LBB134_1162:
	s_mov_b64 s[18:19], -1
                                        ; implicit-def: $vgpr4
	s_branch .LBB134_1167
.LBB134_1163:
	s_or_saveexec_b64 s[18:19], s[18:19]
	v_mov_b32_e32 v5, 0x7f800001
	s_xor_b64 exec, exec, s[18:19]
	s_cbranch_execz .LBB134_1145
.LBB134_1164:
	v_cmp_ne_u16_e32 vcc, 0, v4
	s_andn2_b64 s[4:5], s[4:5], exec
	s_and_b64 s[20:21], vcc, exec
	v_mov_b32_e32 v5, 0
	s_or_b64 s[4:5], s[4:5], s[20:21]
	s_or_b64 exec, exec, s[18:19]
	s_and_saveexec_b64 s[18:19], s[4:5]
	s_cbranch_execnz .LBB134_1146
	s_branch .LBB134_1147
.LBB134_1165:
	s_mov_b64 s[0:1], -1
                                        ; implicit-def: $vgpr4
.LBB134_1166:
	s_mov_b64 s[18:19], 0
.LBB134_1167:
	s_and_b64 vcc, exec, s[18:19]
	s_cbranch_vccz .LBB134_1169
; %bb.1168:
	s_cmp_lg_u32 s15, 11
	s_mov_b64 s[4:5], -1
	s_cselect_b64 s[0:1], -1, 0
.LBB134_1169:
	s_and_b64 vcc, exec, s[0:1]
	s_mov_b64 s[18:19], s[16:17]
	s_cbranch_vccnz .LBB134_1245
; %bb.1170:
	s_andn2_b64 vcc, exec, s[4:5]
	s_cbranch_vccnz .LBB134_1172
.LBB134_1171:
	global_load_ubyte v4, v[0:1], off
	s_mov_b64 s[20:21], -1
	s_waitcnt vmcnt(0)
	v_cmp_ne_u16_e32 vcc, 0, v4
	v_cndmask_b32_e64 v4, 0, 1.0, vcc
	v_lshrrev_b32_e32 v4, 16, v4
.LBB134_1172:
	s_branch .LBB134_1103
.LBB134_1173:
	s_cmp_lt_i32 s15, 5
	s_cbranch_scc1 .LBB134_1178
; %bb.1174:
	s_cmp_lt_i32 s15, 8
	s_cbranch_scc1 .LBB134_1179
; %bb.1175:
	;; [unrolled: 3-line block ×3, first 2 shown]
	s_cmp_gt_i32 s15, 9
	s_cbranch_scc0 .LBB134_1181
; %bb.1177:
	global_load_dwordx2 v[4:5], v[0:1], off
	s_movk_i32 s0, 0x7fff
	s_waitcnt vmcnt(0)
	v_cvt_f32_f64_e32 v4, v[4:5]
	v_mov_b32_e32 v5, 0x7fc0
	v_bfe_u32 v6, v4, 16, 1
	v_cmp_o_f32_e32 vcc, v4, v4
	v_add3_u32 v4, v4, v6, s0
	v_cndmask_b32_sdwa v4, v5, v4, vcc dst_sel:DWORD dst_unused:UNUSED_PAD src0_sel:DWORD src1_sel:WORD_1
	s_mov_b64 s[0:1], 0
	s_branch .LBB134_1182
.LBB134_1178:
                                        ; implicit-def: $vgpr4
	s_branch .LBB134_1199
.LBB134_1179:
                                        ; implicit-def: $vgpr4
	s_branch .LBB134_1188
.LBB134_1180:
	s_mov_b64 s[0:1], -1
                                        ; implicit-def: $vgpr4
	s_branch .LBB134_1185
.LBB134_1181:
	s_mov_b64 s[0:1], -1
                                        ; implicit-def: $vgpr4
.LBB134_1182:
	s_andn2_b64 vcc, exec, s[0:1]
	s_cbranch_vccnz .LBB134_1184
; %bb.1183:
	global_load_dword v4, v[0:1], off
	s_movk_i32 s0, 0x7fff
	v_mov_b32_e32 v5, 0x7fc0
	s_waitcnt vmcnt(0)
	v_bfe_u32 v6, v4, 16, 1
	v_cmp_o_f32_e32 vcc, v4, v4
	v_add3_u32 v4, v4, v6, s0
	v_cndmask_b32_sdwa v4, v5, v4, vcc dst_sel:DWORD dst_unused:UNUSED_PAD src0_sel:DWORD src1_sel:WORD_1
.LBB134_1184:
	s_mov_b64 s[0:1], 0
.LBB134_1185:
	s_andn2_b64 vcc, exec, s[0:1]
	s_cbranch_vccnz .LBB134_1187
; %bb.1186:
	global_load_dword v4, v[0:1], off
	s_movk_i32 s0, 0x7fff
	v_mov_b32_e32 v6, 0x7fc0
	s_waitcnt vmcnt(0)
	v_cvt_f32_f16_e32 v5, v4
	v_cmp_o_f16_e32 vcc, v4, v4
	v_bfe_u32 v4, v5, 16, 1
	v_add3_u32 v4, v5, v4, s0
	v_cndmask_b32_sdwa v4, v6, v4, vcc dst_sel:DWORD dst_unused:UNUSED_PAD src0_sel:DWORD src1_sel:WORD_1
.LBB134_1187:
	s_cbranch_execnz .LBB134_1198
.LBB134_1188:
	s_cmp_lt_i32 s15, 6
	s_cbranch_scc1 .LBB134_1191
; %bb.1189:
	s_cmp_gt_i32 s15, 6
	s_cbranch_scc0 .LBB134_1192
; %bb.1190:
	global_load_dwordx2 v[4:5], v[0:1], off
	s_movk_i32 s0, 0x7fff
	s_waitcnt vmcnt(0)
	v_cvt_f32_f64_e32 v4, v[4:5]
	v_mov_b32_e32 v5, 0x7fc0
	v_bfe_u32 v6, v4, 16, 1
	v_cmp_o_f32_e32 vcc, v4, v4
	v_add3_u32 v4, v4, v6, s0
	v_cndmask_b32_sdwa v4, v5, v4, vcc dst_sel:DWORD dst_unused:UNUSED_PAD src0_sel:DWORD src1_sel:WORD_1
	s_mov_b64 s[0:1], 0
	s_branch .LBB134_1193
.LBB134_1191:
	s_mov_b64 s[0:1], -1
                                        ; implicit-def: $vgpr4
	s_branch .LBB134_1196
.LBB134_1192:
	s_mov_b64 s[0:1], -1
                                        ; implicit-def: $vgpr4
.LBB134_1193:
	s_andn2_b64 vcc, exec, s[0:1]
	s_cbranch_vccnz .LBB134_1195
; %bb.1194:
	global_load_dword v4, v[0:1], off
	s_movk_i32 s0, 0x7fff
	v_mov_b32_e32 v5, 0x7fc0
	s_waitcnt vmcnt(0)
	v_bfe_u32 v6, v4, 16, 1
	v_cmp_o_f32_e32 vcc, v4, v4
	v_add3_u32 v4, v4, v6, s0
	v_cndmask_b32_sdwa v4, v5, v4, vcc dst_sel:DWORD dst_unused:UNUSED_PAD src0_sel:DWORD src1_sel:WORD_1
.LBB134_1195:
	s_mov_b64 s[0:1], 0
.LBB134_1196:
	s_andn2_b64 vcc, exec, s[0:1]
	s_cbranch_vccnz .LBB134_1198
; %bb.1197:
	global_load_ushort v4, v[0:1], off
	s_movk_i32 s0, 0x7fff
	v_mov_b32_e32 v6, 0x7fc0
	s_waitcnt vmcnt(0)
	v_cvt_f32_f16_e32 v5, v4
	v_cmp_o_f16_e32 vcc, v4, v4
	v_bfe_u32 v4, v5, 16, 1
	v_add3_u32 v4, v5, v4, s0
	v_cndmask_b32_sdwa v4, v6, v4, vcc dst_sel:DWORD dst_unused:UNUSED_PAD src0_sel:DWORD src1_sel:WORD_1
.LBB134_1198:
	s_cbranch_execnz .LBB134_1217
.LBB134_1199:
	s_cmp_lt_i32 s15, 2
	s_cbranch_scc1 .LBB134_1203
; %bb.1200:
	s_cmp_lt_i32 s15, 3
	s_cbranch_scc1 .LBB134_1204
; %bb.1201:
	s_cmp_gt_i32 s15, 3
	s_cbranch_scc0 .LBB134_1205
; %bb.1202:
	global_load_dwordx2 v[4:5], v[0:1], off
	s_movk_i32 s0, 0x7fff
	s_waitcnt vmcnt(0)
	v_xor_b32_e32 v7, v4, v5
	v_ffbh_i32_e32 v6, v5
	v_ashrrev_i32_e32 v7, 31, v7
	v_add_u32_e32 v6, -1, v6
	v_add_u32_e32 v7, 32, v7
	v_min_u32_e32 v6, v6, v7
	v_lshlrev_b64 v[4:5], v6, v[4:5]
	v_min_u32_e32 v4, 1, v4
	v_or_b32_e32 v4, v5, v4
	v_cvt_f32_i32_e32 v4, v4
	v_sub_u32_e32 v5, 32, v6
	v_ldexp_f32 v4, v4, v5
	v_bfe_u32 v5, v4, 16, 1
	v_add3_u32 v4, v4, v5, s0
	v_lshrrev_b32_e32 v4, 16, v4
	s_mov_b64 s[0:1], 0
	s_branch .LBB134_1206
.LBB134_1203:
                                        ; implicit-def: $vgpr4
	s_branch .LBB134_1212
.LBB134_1204:
	s_mov_b64 s[0:1], -1
                                        ; implicit-def: $vgpr4
	s_branch .LBB134_1209
.LBB134_1205:
	s_mov_b64 s[0:1], -1
                                        ; implicit-def: $vgpr4
.LBB134_1206:
	s_andn2_b64 vcc, exec, s[0:1]
	s_cbranch_vccnz .LBB134_1208
; %bb.1207:
	global_load_dword v4, v[0:1], off
	s_movk_i32 s0, 0x7fff
	s_waitcnt vmcnt(0)
	v_cvt_f32_i32_e32 v4, v4
	v_bfe_u32 v5, v4, 16, 1
	v_add3_u32 v4, v4, v5, s0
	v_lshrrev_b32_e32 v4, 16, v4
.LBB134_1208:
	s_mov_b64 s[0:1], 0
.LBB134_1209:
	s_andn2_b64 vcc, exec, s[0:1]
	s_cbranch_vccnz .LBB134_1211
; %bb.1210:
	global_load_sshort v4, v[0:1], off
	s_movk_i32 s0, 0x7fff
	s_waitcnt vmcnt(0)
	v_cvt_f32_i32_e32 v4, v4
	v_bfe_u32 v5, v4, 16, 1
	v_add3_u32 v4, v4, v5, s0
	v_lshrrev_b32_e32 v4, 16, v4
.LBB134_1211:
	s_cbranch_execnz .LBB134_1217
.LBB134_1212:
	s_cmp_gt_i32 s15, 0
	s_cbranch_scc0 .LBB134_1214
; %bb.1213:
	global_load_sbyte v4, v[0:1], off
	s_movk_i32 s0, 0x7fff
	s_waitcnt vmcnt(0)
	v_cvt_f32_i32_e32 v4, v4
	v_bfe_u32 v5, v4, 16, 1
	v_add3_u32 v4, v4, v5, s0
	v_lshrrev_b32_e32 v4, 16, v4
	s_mov_b64 s[0:1], 0
	s_branch .LBB134_1215
.LBB134_1214:
	s_mov_b64 s[0:1], -1
                                        ; implicit-def: $vgpr4
.LBB134_1215:
	s_andn2_b64 vcc, exec, s[0:1]
	s_cbranch_vccnz .LBB134_1217
; %bb.1216:
	global_load_ubyte v0, v[0:1], off
	s_movk_i32 s0, 0x7fff
	s_waitcnt vmcnt(0)
	v_cvt_f32_ubyte0_e32 v0, v0
	v_bfe_u32 v1, v0, 16, 1
	v_add3_u32 v0, v0, v1, s0
	v_lshrrev_b32_e32 v4, 16, v0
.LBB134_1217:
.LBB134_1218:
	s_lshl_b32 s2, s2, 16
	s_waitcnt vmcnt(0)
	v_lshlrev_b32_e32 v0, 16, v4
	s_cmp_lt_i32 s14, 1
	s_mov_b64 s[0:1], 0
	s_cbranch_scc1 .LBB134_1222
; %bb.1219:
	s_cmp_gt_i32 s14, 1
	s_cbranch_scc0 .LBB134_1223
; %bb.1220:
	s_cmp_eq_u32 s14, 2
	s_cbranch_scc0 .LBB134_1224
; %bb.1221:
	v_cmp_ge_f32_e64 s[4:5], s2, v0
	s_mov_b64 s[20:21], 0
	s_branch .LBB134_1225
.LBB134_1222:
                                        ; implicit-def: $sgpr4_sgpr5
	s_mov_b64 s[20:21], 0
	s_cbranch_execnz .LBB134_1228
	s_branch .LBB134_1229
.LBB134_1223:
	s_mov_b64 s[20:21], 0
                                        ; implicit-def: $sgpr4_sgpr5
	s_cbranch_execnz .LBB134_1226
	s_branch .LBB134_1227
.LBB134_1224:
	s_mov_b64 s[20:21], -1
                                        ; implicit-def: $sgpr4_sgpr5
.LBB134_1225:
	s_branch .LBB134_1227
.LBB134_1226:
	v_cmp_lt_f32_e32 vcc, s2, v0
	s_andn2_b64 s[4:5], s[4:5], exec
	s_and_b64 s[22:23], vcc, exec
	s_or_b64 s[4:5], s[4:5], s[22:23]
.LBB134_1227:
	s_branch .LBB134_1229
.LBB134_1228:
	s_cmp_lg_u32 s14, 0
	s_mov_b64 s[0:1], -1
	s_cselect_b64 s[20:21], -1, 0
.LBB134_1229:
	s_andn2_b64 vcc, exec, s[20:21]
	s_cbranch_vccnz .LBB134_1231
; %bb.1230:
	v_cmp_gt_f32_e32 vcc, s2, v0
	s_andn2_b64 s[4:5], s[4:5], exec
	s_and_b64 s[20:21], vcc, exec
	s_or_b64 s[4:5], s[4:5], s[20:21]
	s_cbranch_execz .LBB134_1232
	s_branch .LBB134_1233
.LBB134_1231:
	s_andn2_b64 vcc, exec, s[0:1]
	s_cbranch_vccnz .LBB134_1233
.LBB134_1232:
	v_cmp_le_f32_e32 vcc, s2, v0
	s_andn2_b64 s[0:1], s[4:5], exec
	s_and_b64 s[4:5], vcc, exec
	s_or_b64 s[4:5], s[0:1], s[4:5]
.LBB134_1233:
	s_lshl_b32 s13, s13, 7
	v_add_u32_e32 v3, s13, v3
	v_ashrrev_i32_e32 v1, 31, v3
	v_mov_b32_e32 v4, s11
	v_add_co_u32_e32 v0, vcc, s10, v3
	s_cmp_lt_i32 s15, 11
	v_addc_co_u32_e32 v1, vcc, v4, v1, vcc
	s_cbranch_scc1 .LBB134_1240
; %bb.1234:
	s_cmp_gt_i32 s15, 25
	s_mov_b64 s[20:21], 0
	s_cbranch_scc0 .LBB134_1242
; %bb.1235:
	s_cmp_gt_i32 s15, 28
	s_cbranch_scc0 .LBB134_1243
; %bb.1236:
	s_cmp_gt_i32 s15, 43
	;; [unrolled: 3-line block ×3, first 2 shown]
	s_cbranch_scc0 .LBB134_1246
; %bb.1238:
	s_cmp_eq_u32 s15, 46
	s_mov_b64 s[24:25], 0
	s_cbranch_scc0 .LBB134_1249
; %bb.1239:
	global_load_dword v4, v[0:1], off
	s_mov_b64 s[0:1], 0
	s_mov_b64 s[22:23], -1
	s_branch .LBB134_1250
.LBB134_1240:
	s_mov_b64 s[22:23], 0
                                        ; implicit-def: $vgpr4
	s_cbranch_execnz .LBB134_1315
.LBB134_1241:
	s_andn2_b64 vcc, exec, s[22:23]
	s_cbranch_vccnz .LBB134_1657
	s_branch .LBB134_1362
.LBB134_1242:
	s_mov_b64 s[22:23], 0
	s_mov_b64 s[0:1], 0
                                        ; implicit-def: $vgpr4
	s_cbranch_execnz .LBB134_1279
	s_branch .LBB134_1311
.LBB134_1243:
	s_mov_b64 s[24:25], -1
	s_mov_b64 s[22:23], 0
	s_mov_b64 s[0:1], 0
                                        ; implicit-def: $vgpr4
	s_branch .LBB134_1260
.LBB134_1244:
	s_mov_b64 s[24:25], -1
	s_mov_b64 s[22:23], 0
	s_mov_b64 s[0:1], 0
                                        ; implicit-def: $vgpr4
	s_branch .LBB134_1255
.LBB134_1245:
	s_or_b64 s[18:19], s[16:17], exec
	s_trap 2
	s_cbranch_execz .LBB134_1171
	s_branch .LBB134_1172
.LBB134_1246:
	s_mov_b64 s[24:25], -1
	s_mov_b64 s[22:23], 0
	s_mov_b64 s[0:1], 0
                                        ; implicit-def: $vgpr4
	s_branch .LBB134_1250
.LBB134_1247:
	s_andn2_saveexec_b64 s[30:31], s[30:31]
	s_cbranch_execz .LBB134_1018
.LBB134_1248:
	v_add_f32_e32 v2, 0x42800000, v3
	v_and_b32_e32 v2, 0xff, v2
	v_cmp_ne_u32_e32 vcc, 0, v2
	s_andn2_b64 s[28:29], s[28:29], exec
	s_and_b64 s[36:37], vcc, exec
	s_or_b64 s[28:29], s[28:29], s[36:37]
	s_or_b64 exec, exec, s[30:31]
	v_mov_b32_e32 v4, 0
	s_and_saveexec_b64 s[30:31], s[28:29]
	s_cbranch_execnz .LBB134_1019
	s_branch .LBB134_1020
.LBB134_1249:
	s_mov_b64 s[0:1], -1
                                        ; implicit-def: $vgpr4
	s_mov_b64 s[22:23], 0
.LBB134_1250:
	s_and_b64 vcc, exec, s[24:25]
	s_cbranch_vccz .LBB134_1254
; %bb.1251:
	s_cmp_eq_u32 s15, 44
	s_cbranch_scc0 .LBB134_1253
; %bb.1252:
	global_load_ubyte v4, v[0:1], off
	s_movk_i32 s22, 0xff
	v_mov_b32_e32 v5, 0x7f800001
	v_mov_b32_e32 v6, 0x400000
	;; [unrolled: 1-line block ×3, first 2 shown]
	s_mov_b64 s[0:1], 0
	s_waitcnt vmcnt(0)
	v_lshlrev_b32_e32 v8, 23, v4
	v_cmp_ne_u32_e32 vcc, s22, v4
	v_cndmask_b32_e32 v5, v5, v8, vcc
	v_cmp_ne_u32_e32 vcc, 0, v4
	v_cndmask_b32_e32 v4, v6, v5, vcc
	v_add_u32_e32 v5, 0x7fff, v4
	v_cmp_o_f32_e32 vcc, v4, v4
	v_cndmask_b32_sdwa v4, v7, v5, vcc dst_sel:DWORD dst_unused:UNUSED_PAD src0_sel:DWORD src1_sel:WORD_1
	s_mov_b64 s[22:23], -1
	s_branch .LBB134_1254
.LBB134_1253:
	s_mov_b64 s[0:1], -1
                                        ; implicit-def: $vgpr4
.LBB134_1254:
	s_mov_b64 s[24:25], 0
.LBB134_1255:
	s_and_b64 vcc, exec, s[24:25]
	s_cbranch_vccz .LBB134_1259
; %bb.1256:
	s_cmp_eq_u32 s15, 29
	s_cbranch_scc0 .LBB134_1258
; %bb.1257:
	global_load_dwordx2 v[4:5], v[0:1], off
	s_movk_i32 s22, 0x7fff
	s_mov_b64 s[0:1], 0
	s_mov_b64 s[24:25], 0
	s_waitcnt vmcnt(0)
	v_ffbh_u32_e32 v6, v5
	v_min_u32_e32 v6, 32, v6
	v_lshlrev_b64 v[4:5], v6, v[4:5]
	v_min_u32_e32 v4, 1, v4
	v_or_b32_e32 v4, v5, v4
	v_cvt_f32_u32_e32 v4, v4
	v_sub_u32_e32 v5, 32, v6
	v_ldexp_f32 v4, v4, v5
	v_bfe_u32 v5, v4, 16, 1
	v_add3_u32 v4, v4, v5, s22
	v_lshrrev_b32_e32 v4, 16, v4
	s_mov_b64 s[22:23], -1
	s_branch .LBB134_1260
.LBB134_1258:
	s_mov_b64 s[0:1], -1
                                        ; implicit-def: $vgpr4
.LBB134_1259:
	s_mov_b64 s[24:25], 0
.LBB134_1260:
	s_and_b64 vcc, exec, s[24:25]
	s_cbranch_vccz .LBB134_1278
; %bb.1261:
	s_cmp_lt_i32 s15, 27
	s_cbranch_scc1 .LBB134_1264
; %bb.1262:
	s_cmp_gt_i32 s15, 27
	s_cbranch_scc0 .LBB134_1265
; %bb.1263:
	global_load_dword v4, v[0:1], off
	s_movk_i32 s22, 0x7fff
	s_waitcnt vmcnt(0)
	v_cvt_f32_u32_e32 v4, v4
	v_bfe_u32 v5, v4, 16, 1
	v_add3_u32 v4, v4, v5, s22
	v_lshrrev_b32_e32 v4, 16, v4
	s_mov_b64 s[22:23], 0
	s_branch .LBB134_1266
.LBB134_1264:
	s_mov_b64 s[22:23], -1
                                        ; implicit-def: $vgpr4
	s_branch .LBB134_1269
.LBB134_1265:
	s_mov_b64 s[22:23], -1
                                        ; implicit-def: $vgpr4
.LBB134_1266:
	s_andn2_b64 vcc, exec, s[22:23]
	s_cbranch_vccnz .LBB134_1268
; %bb.1267:
	global_load_ushort v4, v[0:1], off
	s_movk_i32 s22, 0x7fff
	s_waitcnt vmcnt(0)
	v_cvt_f32_u32_e32 v4, v4
	v_bfe_u32 v5, v4, 16, 1
	v_add3_u32 v4, v4, v5, s22
	v_lshrrev_b32_e32 v4, 16, v4
.LBB134_1268:
	s_mov_b64 s[22:23], 0
.LBB134_1269:
	s_andn2_b64 vcc, exec, s[22:23]
	s_cbranch_vccnz .LBB134_1277
; %bb.1270:
	global_load_ubyte v4, v[0:1], off
	s_movk_i32 s22, 0x7f
	s_waitcnt vmcnt(0)
	v_cmp_lt_i16_e32 vcc, s22, v4
	s_mov_b64 s[22:23], 0
	s_and_saveexec_b64 s[24:25], vcc
	s_xor_b64 s[24:25], exec, s[24:25]
	s_cbranch_execz .LBB134_1290
; %bb.1271:
	s_movk_i32 s22, 0x80
	v_cmp_eq_u16_e32 vcc, s22, v4
	s_mov_b64 s[22:23], -1
	s_and_saveexec_b64 s[26:27], vcc
; %bb.1272:
	s_xor_b64 s[22:23], exec, -1
; %bb.1273:
	s_or_b64 exec, exec, s[26:27]
	s_and_b64 s[22:23], s[22:23], exec
	s_or_saveexec_b64 s[24:25], s[24:25]
	v_mov_b32_e32 v5, 0x7f800001
	s_xor_b64 exec, exec, s[24:25]
	s_cbranch_execnz .LBB134_1291
.LBB134_1274:
	s_or_b64 exec, exec, s[24:25]
	s_and_saveexec_b64 s[24:25], s[22:23]
	s_cbranch_execz .LBB134_1276
.LBB134_1275:
	v_lshlrev_b32_e32 v5, 24, v4
	v_and_b32_e32 v4, 0xffff, v4
	v_and_b32_e32 v6, 7, v4
	v_ffbh_u32_e32 v8, v6
	v_min_u32_e32 v8, 32, v8
	v_subrev_u32_e32 v9, 28, v8
	v_bfe_u32 v7, v4, 3, 4
	v_lshlrev_b32_e32 v4, v9, v4
	v_sub_u32_e32 v8, 29, v8
	v_and_b32_e32 v4, 7, v4
	v_cmp_eq_u32_e32 vcc, 0, v7
	v_cndmask_b32_e32 v7, v7, v8, vcc
	v_cndmask_b32_e32 v4, v6, v4, vcc
	v_mov_b32_e32 v6, 0x3b800000
	v_lshlrev_b32_e32 v4, 20, v4
	v_and_b32_e32 v5, 0x80000000, v5
	v_lshl_add_u32 v6, v7, 23, v6
	v_or3_b32 v5, v5, v6, v4
.LBB134_1276:
	s_or_b64 exec, exec, s[24:25]
	v_bfe_u32 v4, v5, 16, 1
	s_movk_i32 s22, 0x7fff
	v_add3_u32 v4, v5, v4, s22
	v_cmp_o_f32_e32 vcc, v5, v5
	v_mov_b32_e32 v5, 0x7fc0
	v_cndmask_b32_sdwa v4, v5, v4, vcc dst_sel:DWORD dst_unused:UNUSED_PAD src0_sel:DWORD src1_sel:WORD_1
.LBB134_1277:
	s_mov_b64 s[22:23], -1
.LBB134_1278:
	s_branch .LBB134_1311
.LBB134_1279:
	s_cmp_gt_i32 s15, 22
	s_cbranch_scc0 .LBB134_1289
; %bb.1280:
	s_cmp_lt_i32 s15, 24
	s_cbranch_scc1 .LBB134_1292
; %bb.1281:
	s_cmp_gt_i32 s15, 24
	s_cbranch_scc0 .LBB134_1293
; %bb.1282:
	global_load_ubyte v4, v[0:1], off
	s_movk_i32 s20, 0x7f
	s_waitcnt vmcnt(0)
	v_cmp_lt_i16_e32 vcc, s20, v4
	s_mov_b64 s[20:21], 0
	s_and_saveexec_b64 s[22:23], vcc
	s_xor_b64 s[22:23], exec, s[22:23]
	s_cbranch_execz .LBB134_1305
; %bb.1283:
	s_movk_i32 s20, 0x80
	v_cmp_eq_u16_e32 vcc, s20, v4
	s_mov_b64 s[20:21], -1
	s_and_saveexec_b64 s[24:25], vcc
; %bb.1284:
	s_xor_b64 s[20:21], exec, -1
; %bb.1285:
	s_or_b64 exec, exec, s[24:25]
	s_and_b64 s[20:21], s[20:21], exec
	s_or_saveexec_b64 s[22:23], s[22:23]
	v_mov_b32_e32 v5, 0x7f800001
	s_xor_b64 exec, exec, s[22:23]
	s_cbranch_execnz .LBB134_1306
.LBB134_1286:
	s_or_b64 exec, exec, s[22:23]
	s_and_saveexec_b64 s[22:23], s[20:21]
	s_cbranch_execz .LBB134_1288
.LBB134_1287:
	v_lshlrev_b32_e32 v5, 24, v4
	v_and_b32_e32 v4, 0xffff, v4
	v_and_b32_e32 v6, 3, v4
	v_ffbh_u32_e32 v8, v6
	v_min_u32_e32 v8, 32, v8
	v_subrev_u32_e32 v9, 29, v8
	v_bfe_u32 v7, v4, 2, 5
	v_lshlrev_b32_e32 v4, v9, v4
	v_sub_u32_e32 v8, 30, v8
	v_and_b32_e32 v4, 3, v4
	v_cmp_eq_u32_e32 vcc, 0, v7
	v_cndmask_b32_e32 v7, v7, v8, vcc
	v_cndmask_b32_e32 v4, v6, v4, vcc
	v_mov_b32_e32 v6, 0x37800000
	v_lshlrev_b32_e32 v4, 21, v4
	v_and_b32_e32 v5, 0x80000000, v5
	v_lshl_add_u32 v6, v7, 23, v6
	v_or3_b32 v5, v5, v6, v4
.LBB134_1288:
	s_or_b64 exec, exec, s[22:23]
	v_bfe_u32 v4, v5, 16, 1
	s_movk_i32 s20, 0x7fff
	v_add3_u32 v4, v5, v4, s20
	v_cmp_o_f32_e32 vcc, v5, v5
	v_mov_b32_e32 v5, 0x7fc0
	v_cndmask_b32_sdwa v4, v5, v4, vcc dst_sel:DWORD dst_unused:UNUSED_PAD src0_sel:DWORD src1_sel:WORD_1
	s_mov_b64 s[20:21], 0
	s_branch .LBB134_1294
.LBB134_1289:
	s_mov_b64 s[20:21], -1
                                        ; implicit-def: $vgpr4
	s_branch .LBB134_1300
.LBB134_1290:
	s_or_saveexec_b64 s[24:25], s[24:25]
	v_mov_b32_e32 v5, 0x7f800001
	s_xor_b64 exec, exec, s[24:25]
	s_cbranch_execz .LBB134_1274
.LBB134_1291:
	v_cmp_ne_u16_e32 vcc, 0, v4
	s_andn2_b64 s[22:23], s[22:23], exec
	s_and_b64 s[26:27], vcc, exec
	v_mov_b32_e32 v5, 0
	s_or_b64 s[22:23], s[22:23], s[26:27]
	s_or_b64 exec, exec, s[24:25]
	s_and_saveexec_b64 s[24:25], s[22:23]
	s_cbranch_execnz .LBB134_1275
	s_branch .LBB134_1276
.LBB134_1292:
	s_mov_b64 s[20:21], -1
                                        ; implicit-def: $vgpr4
	s_branch .LBB134_1297
.LBB134_1293:
	s_mov_b64 s[20:21], -1
                                        ; implicit-def: $vgpr4
.LBB134_1294:
	s_and_b64 vcc, exec, s[20:21]
	s_cbranch_vccz .LBB134_1296
; %bb.1295:
	global_load_ubyte v4, v[0:1], off
	s_mov_b32 s20, 0x7f800000
	s_brev_b32 s21, 1
	s_movk_i32 s22, 0x7fff
	s_waitcnt vmcnt(0)
	v_lshlrev_b32_e32 v4, 24, v4
	v_and_b32_e32 v5, 0x7f000000, v4
	v_ffbh_u32_e32 v6, v5
	v_min_u32_e32 v6, 32, v6
	v_sub_u32_e64 v6, v6, 4 clamp
	v_lshlrev_b32_e32 v8, v6, v5
	v_lshlrev_b32_e32 v6, 23, v6
	v_lshrrev_b32_e32 v8, 4, v8
	v_add_u32_e32 v7, 0x1000000, v5
	v_sub_u32_e32 v6, v8, v6
	v_ashrrev_i32_e32 v7, 8, v7
	v_add_u32_e32 v6, 0x3c000000, v6
	v_and_or_b32 v6, v7, s20, v6
	v_cmp_ne_u32_e32 vcc, 0, v5
	v_cndmask_b32_e32 v5, 0, v6, vcc
	v_and_or_b32 v4, v4, s21, v5
	v_bfe_u32 v5, v5, 16, 1
	v_add3_u32 v5, v4, v5, s22
	v_cmp_o_f32_e32 vcc, v4, v4
	v_mov_b32_e32 v4, 0x7fc0
	v_cndmask_b32_sdwa v4, v4, v5, vcc dst_sel:DWORD dst_unused:UNUSED_PAD src0_sel:DWORD src1_sel:WORD_1
.LBB134_1296:
	s_mov_b64 s[20:21], 0
.LBB134_1297:
	s_andn2_b64 vcc, exec, s[20:21]
	s_cbranch_vccnz .LBB134_1299
; %bb.1298:
	global_load_ubyte v4, v[0:1], off
	s_movk_i32 s20, 0x7f00
	s_brev_b32 s21, 16
	s_brev_b32 s22, 1
	s_movk_i32 s23, 0x7fff
	s_waitcnt vmcnt(0)
	v_lshlrev_b16_e32 v5, 8, v4
	v_lshlrev_b32_e32 v4, 25, v4
	v_lshrrev_b32_e32 v6, 4, v4
	v_and_or_b32 v7, v5, s20, 0.5
	v_or_b32_e32 v6, 0x70000000, v6
	v_add_f32_e32 v7, -0.5, v7
	v_mul_f32_e32 v6, 0x7800000, v6
	v_cmp_gt_u32_e32 vcc, s21, v4
	v_bfe_i32 v5, v5, 0, 16
	v_cndmask_b32_e32 v4, v6, v7, vcc
	v_and_or_b32 v5, v5, s22, v4
	v_bfe_u32 v4, v4, 16, 1
	v_add3_u32 v4, v5, v4, s23
	v_cmp_o_f32_e32 vcc, v5, v5
	v_mov_b32_e32 v5, 0x7fc0
	v_cndmask_b32_sdwa v4, v5, v4, vcc dst_sel:DWORD dst_unused:UNUSED_PAD src0_sel:DWORD src1_sel:WORD_1
.LBB134_1299:
	s_mov_b64 s[20:21], 0
	s_mov_b64 s[22:23], -1
.LBB134_1300:
	s_andn2_b64 vcc, exec, s[20:21]
	s_mov_b64 s[20:21], 0
	s_cbranch_vccnz .LBB134_1311
; %bb.1301:
	s_cmp_gt_i32 s15, 14
	s_cbranch_scc0 .LBB134_1304
; %bb.1302:
	s_cmp_eq_u32 s15, 15
	s_cbranch_scc0 .LBB134_1307
; %bb.1303:
	global_load_ushort v4, v[0:1], off
	s_mov_b64 s[0:1], 0
	s_mov_b64 s[22:23], -1
	s_branch .LBB134_1308
.LBB134_1304:
	s_mov_b64 s[24:25], -1
                                        ; implicit-def: $vgpr4
	s_branch .LBB134_1309
.LBB134_1305:
	s_or_saveexec_b64 s[22:23], s[22:23]
	v_mov_b32_e32 v5, 0x7f800001
	s_xor_b64 exec, exec, s[22:23]
	s_cbranch_execz .LBB134_1286
.LBB134_1306:
	v_cmp_ne_u16_e32 vcc, 0, v4
	s_andn2_b64 s[20:21], s[20:21], exec
	s_and_b64 s[24:25], vcc, exec
	v_mov_b32_e32 v5, 0
	s_or_b64 s[20:21], s[20:21], s[24:25]
	s_or_b64 exec, exec, s[22:23]
	s_and_saveexec_b64 s[22:23], s[20:21]
	s_cbranch_execnz .LBB134_1287
	s_branch .LBB134_1288
.LBB134_1307:
	s_mov_b64 s[0:1], -1
                                        ; implicit-def: $vgpr4
.LBB134_1308:
	s_mov_b64 s[24:25], 0
.LBB134_1309:
	s_and_b64 vcc, exec, s[24:25]
	s_cbranch_vccz .LBB134_1311
; %bb.1310:
	s_cmp_lg_u32 s15, 11
	s_mov_b64 s[20:21], -1
	s_cselect_b64 s[0:1], -1, 0
.LBB134_1311:
	s_and_b64 vcc, exec, s[0:1]
	s_cbranch_vccnz .LBB134_1390
; %bb.1312:
	s_andn2_b64 vcc, exec, s[20:21]
	s_cbranch_vccnz .LBB134_1314
.LBB134_1313:
	global_load_ubyte v4, v[0:1], off
	s_mov_b64 s[22:23], -1
	s_waitcnt vmcnt(0)
	v_cmp_ne_u16_e32 vcc, 0, v4
	v_cndmask_b32_e64 v4, 0, 1.0, vcc
	v_lshrrev_b32_e32 v4, 16, v4
.LBB134_1314:
	s_branch .LBB134_1241
.LBB134_1315:
	s_cmp_lt_i32 s15, 5
	s_cbranch_scc1 .LBB134_1320
; %bb.1316:
	s_cmp_lt_i32 s15, 8
	s_cbranch_scc1 .LBB134_1321
; %bb.1317:
	s_cmp_lt_i32 s15, 9
	s_cbranch_scc1 .LBB134_1322
; %bb.1318:
	s_cmp_gt_i32 s15, 9
	s_cbranch_scc0 .LBB134_1323
; %bb.1319:
	global_load_dwordx2 v[4:5], v[0:1], off
	s_movk_i32 s0, 0x7fff
	s_waitcnt vmcnt(0)
	v_cvt_f32_f64_e32 v4, v[4:5]
	v_mov_b32_e32 v5, 0x7fc0
	v_bfe_u32 v6, v4, 16, 1
	v_cmp_o_f32_e32 vcc, v4, v4
	v_add3_u32 v4, v4, v6, s0
	v_cndmask_b32_sdwa v4, v5, v4, vcc dst_sel:DWORD dst_unused:UNUSED_PAD src0_sel:DWORD src1_sel:WORD_1
	s_mov_b64 s[0:1], 0
	s_branch .LBB134_1324
.LBB134_1320:
                                        ; implicit-def: $vgpr4
	s_branch .LBB134_1342
.LBB134_1321:
	s_mov_b64 s[0:1], -1
                                        ; implicit-def: $vgpr4
	s_branch .LBB134_1330
.LBB134_1322:
	s_mov_b64 s[0:1], -1
                                        ; implicit-def: $vgpr4
	s_branch .LBB134_1327
.LBB134_1323:
	s_mov_b64 s[0:1], -1
                                        ; implicit-def: $vgpr4
.LBB134_1324:
	s_andn2_b64 vcc, exec, s[0:1]
	s_cbranch_vccnz .LBB134_1326
; %bb.1325:
	global_load_dword v4, v[0:1], off
	s_movk_i32 s0, 0x7fff
	v_mov_b32_e32 v5, 0x7fc0
	s_waitcnt vmcnt(0)
	v_bfe_u32 v6, v4, 16, 1
	v_cmp_o_f32_e32 vcc, v4, v4
	v_add3_u32 v4, v4, v6, s0
	v_cndmask_b32_sdwa v4, v5, v4, vcc dst_sel:DWORD dst_unused:UNUSED_PAD src0_sel:DWORD src1_sel:WORD_1
.LBB134_1326:
	s_mov_b64 s[0:1], 0
.LBB134_1327:
	s_andn2_b64 vcc, exec, s[0:1]
	s_cbranch_vccnz .LBB134_1329
; %bb.1328:
	global_load_dword v4, v[0:1], off
	s_movk_i32 s0, 0x7fff
	v_mov_b32_e32 v6, 0x7fc0
	s_waitcnt vmcnt(0)
	v_cvt_f32_f16_e32 v5, v4
	v_cmp_o_f16_e32 vcc, v4, v4
	v_bfe_u32 v4, v5, 16, 1
	v_add3_u32 v4, v5, v4, s0
	v_cndmask_b32_sdwa v4, v6, v4, vcc dst_sel:DWORD dst_unused:UNUSED_PAD src0_sel:DWORD src1_sel:WORD_1
.LBB134_1329:
	s_mov_b64 s[0:1], 0
.LBB134_1330:
	s_andn2_b64 vcc, exec, s[0:1]
	s_cbranch_vccnz .LBB134_1341
; %bb.1331:
	s_cmp_lt_i32 s15, 6
	s_cbranch_scc1 .LBB134_1334
; %bb.1332:
	s_cmp_gt_i32 s15, 6
	s_cbranch_scc0 .LBB134_1335
; %bb.1333:
	global_load_dwordx2 v[4:5], v[0:1], off
	s_movk_i32 s0, 0x7fff
	s_waitcnt vmcnt(0)
	v_cvt_f32_f64_e32 v4, v[4:5]
	v_mov_b32_e32 v5, 0x7fc0
	v_bfe_u32 v6, v4, 16, 1
	v_cmp_o_f32_e32 vcc, v4, v4
	v_add3_u32 v4, v4, v6, s0
	v_cndmask_b32_sdwa v4, v5, v4, vcc dst_sel:DWORD dst_unused:UNUSED_PAD src0_sel:DWORD src1_sel:WORD_1
	s_mov_b64 s[0:1], 0
	s_branch .LBB134_1336
.LBB134_1334:
	s_mov_b64 s[0:1], -1
                                        ; implicit-def: $vgpr4
	s_branch .LBB134_1339
.LBB134_1335:
	s_mov_b64 s[0:1], -1
                                        ; implicit-def: $vgpr4
.LBB134_1336:
	s_andn2_b64 vcc, exec, s[0:1]
	s_cbranch_vccnz .LBB134_1338
; %bb.1337:
	global_load_dword v4, v[0:1], off
	s_movk_i32 s0, 0x7fff
	v_mov_b32_e32 v5, 0x7fc0
	s_waitcnt vmcnt(0)
	v_bfe_u32 v6, v4, 16, 1
	v_cmp_o_f32_e32 vcc, v4, v4
	v_add3_u32 v4, v4, v6, s0
	v_cndmask_b32_sdwa v4, v5, v4, vcc dst_sel:DWORD dst_unused:UNUSED_PAD src0_sel:DWORD src1_sel:WORD_1
.LBB134_1338:
	s_mov_b64 s[0:1], 0
.LBB134_1339:
	s_andn2_b64 vcc, exec, s[0:1]
	s_cbranch_vccnz .LBB134_1341
; %bb.1340:
	global_load_ushort v4, v[0:1], off
	s_movk_i32 s0, 0x7fff
	v_mov_b32_e32 v6, 0x7fc0
	s_waitcnt vmcnt(0)
	v_cvt_f32_f16_e32 v5, v4
	v_cmp_o_f16_e32 vcc, v4, v4
	v_bfe_u32 v4, v5, 16, 1
	v_add3_u32 v4, v5, v4, s0
	v_cndmask_b32_sdwa v4, v6, v4, vcc dst_sel:DWORD dst_unused:UNUSED_PAD src0_sel:DWORD src1_sel:WORD_1
.LBB134_1341:
	s_cbranch_execnz .LBB134_1361
.LBB134_1342:
	s_cmp_lt_i32 s15, 2
	s_cbranch_scc1 .LBB134_1346
; %bb.1343:
	s_cmp_lt_i32 s15, 3
	s_cbranch_scc1 .LBB134_1347
; %bb.1344:
	s_cmp_gt_i32 s15, 3
	s_cbranch_scc0 .LBB134_1348
; %bb.1345:
	global_load_dwordx2 v[4:5], v[0:1], off
	s_movk_i32 s0, 0x7fff
	s_waitcnt vmcnt(0)
	v_xor_b32_e32 v7, v4, v5
	v_ffbh_i32_e32 v6, v5
	v_ashrrev_i32_e32 v7, 31, v7
	v_add_u32_e32 v6, -1, v6
	v_add_u32_e32 v7, 32, v7
	v_min_u32_e32 v6, v6, v7
	v_lshlrev_b64 v[4:5], v6, v[4:5]
	v_min_u32_e32 v4, 1, v4
	v_or_b32_e32 v4, v5, v4
	v_cvt_f32_i32_e32 v4, v4
	v_sub_u32_e32 v5, 32, v6
	v_ldexp_f32 v4, v4, v5
	v_bfe_u32 v5, v4, 16, 1
	v_add3_u32 v4, v4, v5, s0
	v_lshrrev_b32_e32 v4, 16, v4
	s_mov_b64 s[0:1], 0
	s_branch .LBB134_1349
.LBB134_1346:
	s_mov_b64 s[0:1], -1
                                        ; implicit-def: $vgpr4
	s_branch .LBB134_1355
.LBB134_1347:
	s_mov_b64 s[0:1], -1
                                        ; implicit-def: $vgpr4
	s_branch .LBB134_1352
.LBB134_1348:
	s_mov_b64 s[0:1], -1
                                        ; implicit-def: $vgpr4
.LBB134_1349:
	s_andn2_b64 vcc, exec, s[0:1]
	s_cbranch_vccnz .LBB134_1351
; %bb.1350:
	global_load_dword v4, v[0:1], off
	s_movk_i32 s0, 0x7fff
	s_waitcnt vmcnt(0)
	v_cvt_f32_i32_e32 v4, v4
	v_bfe_u32 v5, v4, 16, 1
	v_add3_u32 v4, v4, v5, s0
	v_lshrrev_b32_e32 v4, 16, v4
.LBB134_1351:
	s_mov_b64 s[0:1], 0
.LBB134_1352:
	s_andn2_b64 vcc, exec, s[0:1]
	s_cbranch_vccnz .LBB134_1354
; %bb.1353:
	global_load_sshort v4, v[0:1], off
	s_movk_i32 s0, 0x7fff
	s_waitcnt vmcnt(0)
	v_cvt_f32_i32_e32 v4, v4
	v_bfe_u32 v5, v4, 16, 1
	v_add3_u32 v4, v4, v5, s0
	v_lshrrev_b32_e32 v4, 16, v4
.LBB134_1354:
	s_mov_b64 s[0:1], 0
.LBB134_1355:
	s_andn2_b64 vcc, exec, s[0:1]
	s_cbranch_vccnz .LBB134_1361
; %bb.1356:
	s_cmp_gt_i32 s15, 0
	s_cbranch_scc0 .LBB134_1358
; %bb.1357:
	global_load_sbyte v4, v[0:1], off
	s_movk_i32 s0, 0x7fff
	s_waitcnt vmcnt(0)
	v_cvt_f32_i32_e32 v4, v4
	v_bfe_u32 v5, v4, 16, 1
	v_add3_u32 v4, v4, v5, s0
	v_lshrrev_b32_e32 v4, 16, v4
	s_mov_b64 s[0:1], 0
	s_branch .LBB134_1359
.LBB134_1358:
	s_mov_b64 s[0:1], -1
                                        ; implicit-def: $vgpr4
.LBB134_1359:
	s_andn2_b64 vcc, exec, s[0:1]
	s_cbranch_vccnz .LBB134_1361
; %bb.1360:
	global_load_ubyte v0, v[0:1], off
	s_movk_i32 s0, 0x7fff
	s_waitcnt vmcnt(0)
	v_cvt_f32_ubyte0_e32 v0, v0
	v_bfe_u32 v1, v0, 16, 1
	v_add3_u32 v0, v0, v1, s0
	v_lshrrev_b32_e32 v4, 16, v0
.LBB134_1361:
.LBB134_1362:
	s_waitcnt vmcnt(0)
	v_lshlrev_b32_e32 v0, 16, v4
	s_cmp_lt_i32 s14, 1
	s_mov_b64 s[0:1], 0
	s_cbranch_scc1 .LBB134_1366
; %bb.1363:
	s_cmp_gt_i32 s14, 1
	s_cbranch_scc0 .LBB134_1367
; %bb.1364:
	s_cmp_eq_u32 s14, 2
	s_cbranch_scc0 .LBB134_1368
; %bb.1365:
	v_cmp_ge_f32_e64 s[20:21], s2, v0
	s_mov_b64 s[22:23], 0
	s_branch .LBB134_1369
.LBB134_1366:
                                        ; implicit-def: $sgpr20_sgpr21
	s_mov_b64 s[22:23], 0
	s_cbranch_execnz .LBB134_1373
	s_branch .LBB134_1374
.LBB134_1367:
	s_mov_b64 s[24:25], -1
	s_mov_b64 s[22:23], 0
                                        ; implicit-def: $sgpr20_sgpr21
	s_branch .LBB134_1370
.LBB134_1368:
	s_mov_b64 s[22:23], -1
                                        ; implicit-def: $sgpr20_sgpr21
.LBB134_1369:
	s_mov_b64 s[24:25], 0
.LBB134_1370:
	s_and_b64 vcc, exec, s[24:25]
	s_cbranch_vccz .LBB134_1372
; %bb.1371:
	v_cmp_lt_f32_e32 vcc, s2, v0
	s_andn2_b64 s[20:21], s[20:21], exec
	s_and_b64 s[24:25], vcc, exec
	s_or_b64 s[20:21], s[20:21], s[24:25]
.LBB134_1372:
	s_branch .LBB134_1374
.LBB134_1373:
	s_cmp_lg_u32 s14, 0
	s_mov_b64 s[0:1], -1
	s_cselect_b64 s[22:23], -1, 0
.LBB134_1374:
	s_andn2_b64 vcc, exec, s[22:23]
	s_cbranch_vccnz .LBB134_1376
; %bb.1375:
	v_cmp_gt_f32_e32 vcc, s2, v0
	s_andn2_b64 s[20:21], s[20:21], exec
	s_and_b64 s[22:23], vcc, exec
	s_or_b64 s[20:21], s[20:21], s[22:23]
	s_cbranch_execz .LBB134_1377
	s_branch .LBB134_1378
.LBB134_1376:
	s_andn2_b64 vcc, exec, s[0:1]
	s_cbranch_vccnz .LBB134_1378
.LBB134_1377:
	v_cmp_le_f32_e32 vcc, s2, v0
	s_andn2_b64 s[0:1], s[20:21], exec
	s_and_b64 s[20:21], vcc, exec
	s_or_b64 s[20:21], s[0:1], s[20:21]
.LBB134_1378:
	v_add_u32_e32 v3, s13, v3
	v_ashrrev_i32_e32 v1, 31, v3
	v_mov_b32_e32 v4, s11
	v_add_co_u32_e32 v0, vcc, s10, v3
	s_cmp_lt_i32 s15, 11
	v_addc_co_u32_e32 v1, vcc, v4, v1, vcc
	s_cbranch_scc1 .LBB134_1385
; %bb.1379:
	s_cmp_gt_i32 s15, 25
	s_mov_b64 s[22:23], 0
	s_cbranch_scc0 .LBB134_1387
; %bb.1380:
	s_cmp_gt_i32 s15, 28
	s_cbranch_scc0 .LBB134_1388
; %bb.1381:
	s_cmp_gt_i32 s15, 43
	;; [unrolled: 3-line block ×3, first 2 shown]
	s_cbranch_scc0 .LBB134_1391
; %bb.1383:
	s_cmp_eq_u32 s15, 46
	s_mov_b64 s[26:27], 0
	s_cbranch_scc0 .LBB134_1392
; %bb.1384:
	global_load_dword v4, v[0:1], off
	s_mov_b64 s[0:1], 0
	s_mov_b64 s[24:25], -1
	s_branch .LBB134_1393
.LBB134_1385:
	s_mov_b64 s[24:25], 0
                                        ; implicit-def: $vgpr4
	s_cbranch_execnz .LBB134_1459
.LBB134_1386:
	s_andn2_b64 vcc, exec, s[24:25]
	s_cbranch_vccnz .LBB134_1657
	s_branch .LBB134_1507
.LBB134_1387:
	s_mov_b64 s[26:27], -1
	s_mov_b64 s[24:25], 0
	s_mov_b64 s[0:1], 0
                                        ; implicit-def: $vgpr4
	s_branch .LBB134_1422
.LBB134_1388:
	s_mov_b64 s[26:27], -1
	s_mov_b64 s[24:25], 0
	s_mov_b64 s[0:1], 0
                                        ; implicit-def: $vgpr4
	s_branch .LBB134_1403
.LBB134_1389:
	s_mov_b64 s[26:27], -1
	s_mov_b64 s[24:25], 0
	s_mov_b64 s[0:1], 0
                                        ; implicit-def: $vgpr4
	s_branch .LBB134_1398
.LBB134_1390:
	s_trap 2
	s_or_b64 s[18:19], s[18:19], exec
	s_cbranch_execz .LBB134_1313
	s_branch .LBB134_1314
.LBB134_1391:
	s_mov_b64 s[26:27], -1
	s_mov_b64 s[24:25], 0
	s_mov_b64 s[0:1], 0
                                        ; implicit-def: $vgpr4
	s_branch .LBB134_1393
.LBB134_1392:
	s_mov_b64 s[0:1], -1
                                        ; implicit-def: $vgpr4
	s_mov_b64 s[24:25], 0
.LBB134_1393:
	s_and_b64 vcc, exec, s[26:27]
	s_cbranch_vccz .LBB134_1397
; %bb.1394:
	s_cmp_eq_u32 s15, 44
	s_cbranch_scc0 .LBB134_1396
; %bb.1395:
	global_load_ubyte v4, v[0:1], off
	s_movk_i32 s24, 0xff
	v_mov_b32_e32 v5, 0x7f800001
	v_mov_b32_e32 v6, 0x400000
	;; [unrolled: 1-line block ×3, first 2 shown]
	s_mov_b64 s[0:1], 0
	s_waitcnt vmcnt(0)
	v_lshlrev_b32_e32 v8, 23, v4
	v_cmp_ne_u32_e32 vcc, s24, v4
	v_cndmask_b32_e32 v5, v5, v8, vcc
	v_cmp_ne_u32_e32 vcc, 0, v4
	v_cndmask_b32_e32 v4, v6, v5, vcc
	v_add_u32_e32 v5, 0x7fff, v4
	v_cmp_o_f32_e32 vcc, v4, v4
	v_cndmask_b32_sdwa v4, v7, v5, vcc dst_sel:DWORD dst_unused:UNUSED_PAD src0_sel:DWORD src1_sel:WORD_1
	s_mov_b64 s[24:25], -1
	s_branch .LBB134_1397
.LBB134_1396:
	s_mov_b64 s[0:1], -1
                                        ; implicit-def: $vgpr4
.LBB134_1397:
	s_mov_b64 s[26:27], 0
.LBB134_1398:
	s_and_b64 vcc, exec, s[26:27]
	s_cbranch_vccz .LBB134_1402
; %bb.1399:
	s_cmp_eq_u32 s15, 29
	s_cbranch_scc0 .LBB134_1401
; %bb.1400:
	global_load_dwordx2 v[4:5], v[0:1], off
	s_movk_i32 s24, 0x7fff
	s_mov_b64 s[0:1], 0
	s_mov_b64 s[26:27], 0
	s_waitcnt vmcnt(0)
	v_ffbh_u32_e32 v6, v5
	v_min_u32_e32 v6, 32, v6
	v_lshlrev_b64 v[4:5], v6, v[4:5]
	v_min_u32_e32 v4, 1, v4
	v_or_b32_e32 v4, v5, v4
	v_cvt_f32_u32_e32 v4, v4
	v_sub_u32_e32 v5, 32, v6
	v_ldexp_f32 v4, v4, v5
	v_bfe_u32 v5, v4, 16, 1
	v_add3_u32 v4, v4, v5, s24
	v_lshrrev_b32_e32 v4, 16, v4
	s_mov_b64 s[24:25], -1
	s_branch .LBB134_1403
.LBB134_1401:
	s_mov_b64 s[0:1], -1
                                        ; implicit-def: $vgpr4
.LBB134_1402:
	s_mov_b64 s[26:27], 0
.LBB134_1403:
	s_and_b64 vcc, exec, s[26:27]
	s_cbranch_vccz .LBB134_1421
; %bb.1404:
	s_cmp_lt_i32 s15, 27
	s_cbranch_scc1 .LBB134_1407
; %bb.1405:
	s_cmp_gt_i32 s15, 27
	s_cbranch_scc0 .LBB134_1408
; %bb.1406:
	global_load_dword v4, v[0:1], off
	s_movk_i32 s24, 0x7fff
	s_waitcnt vmcnt(0)
	v_cvt_f32_u32_e32 v4, v4
	v_bfe_u32 v5, v4, 16, 1
	v_add3_u32 v4, v4, v5, s24
	v_lshrrev_b32_e32 v4, 16, v4
	s_mov_b64 s[24:25], 0
	s_branch .LBB134_1409
.LBB134_1407:
	s_mov_b64 s[24:25], -1
                                        ; implicit-def: $vgpr4
	s_branch .LBB134_1412
.LBB134_1408:
	s_mov_b64 s[24:25], -1
                                        ; implicit-def: $vgpr4
.LBB134_1409:
	s_andn2_b64 vcc, exec, s[24:25]
	s_cbranch_vccnz .LBB134_1411
; %bb.1410:
	global_load_ushort v4, v[0:1], off
	s_movk_i32 s24, 0x7fff
	s_waitcnt vmcnt(0)
	v_cvt_f32_u32_e32 v4, v4
	v_bfe_u32 v5, v4, 16, 1
	v_add3_u32 v4, v4, v5, s24
	v_lshrrev_b32_e32 v4, 16, v4
.LBB134_1411:
	s_mov_b64 s[24:25], 0
.LBB134_1412:
	s_andn2_b64 vcc, exec, s[24:25]
	s_cbranch_vccnz .LBB134_1420
; %bb.1413:
	global_load_ubyte v4, v[0:1], off
	s_movk_i32 s24, 0x7f
	s_waitcnt vmcnt(0)
	v_cmp_lt_i16_e32 vcc, s24, v4
	s_mov_b64 s[24:25], 0
	s_and_saveexec_b64 s[26:27], vcc
	s_xor_b64 s[26:27], exec, s[26:27]
	s_cbranch_execz .LBB134_1434
; %bb.1414:
	s_movk_i32 s24, 0x80
	v_cmp_eq_u16_e32 vcc, s24, v4
	s_mov_b64 s[24:25], -1
	s_and_saveexec_b64 s[28:29], vcc
; %bb.1415:
	s_xor_b64 s[24:25], exec, -1
; %bb.1416:
	s_or_b64 exec, exec, s[28:29]
	s_and_b64 s[24:25], s[24:25], exec
	s_or_saveexec_b64 s[26:27], s[26:27]
	v_mov_b32_e32 v5, 0x7f800001
	s_xor_b64 exec, exec, s[26:27]
	s_cbranch_execnz .LBB134_1435
.LBB134_1417:
	s_or_b64 exec, exec, s[26:27]
	s_and_saveexec_b64 s[26:27], s[24:25]
	s_cbranch_execz .LBB134_1419
.LBB134_1418:
	v_lshlrev_b32_e32 v5, 24, v4
	v_and_b32_e32 v4, 0xffff, v4
	v_and_b32_e32 v6, 7, v4
	v_ffbh_u32_e32 v8, v6
	v_min_u32_e32 v8, 32, v8
	v_subrev_u32_e32 v9, 28, v8
	v_bfe_u32 v7, v4, 3, 4
	v_lshlrev_b32_e32 v4, v9, v4
	v_sub_u32_e32 v8, 29, v8
	v_and_b32_e32 v4, 7, v4
	v_cmp_eq_u32_e32 vcc, 0, v7
	v_cndmask_b32_e32 v7, v7, v8, vcc
	v_cndmask_b32_e32 v4, v6, v4, vcc
	v_mov_b32_e32 v6, 0x3b800000
	v_lshlrev_b32_e32 v4, 20, v4
	v_and_b32_e32 v5, 0x80000000, v5
	v_lshl_add_u32 v6, v7, 23, v6
	v_or3_b32 v5, v5, v6, v4
.LBB134_1419:
	s_or_b64 exec, exec, s[26:27]
	v_bfe_u32 v4, v5, 16, 1
	s_movk_i32 s24, 0x7fff
	v_add3_u32 v4, v5, v4, s24
	v_cmp_o_f32_e32 vcc, v5, v5
	v_mov_b32_e32 v5, 0x7fc0
	v_cndmask_b32_sdwa v4, v5, v4, vcc dst_sel:DWORD dst_unused:UNUSED_PAD src0_sel:DWORD src1_sel:WORD_1
.LBB134_1420:
	s_mov_b64 s[24:25], -1
.LBB134_1421:
	s_mov_b64 s[26:27], 0
.LBB134_1422:
	s_and_b64 vcc, exec, s[26:27]
	s_cbranch_vccz .LBB134_1455
; %bb.1423:
	s_cmp_gt_i32 s15, 22
	s_cbranch_scc0 .LBB134_1433
; %bb.1424:
	s_cmp_lt_i32 s15, 24
	s_cbranch_scc1 .LBB134_1436
; %bb.1425:
	s_cmp_gt_i32 s15, 24
	s_cbranch_scc0 .LBB134_1437
; %bb.1426:
	global_load_ubyte v4, v[0:1], off
	s_movk_i32 s22, 0x7f
	s_waitcnt vmcnt(0)
	v_cmp_lt_i16_e32 vcc, s22, v4
	s_mov_b64 s[22:23], 0
	s_and_saveexec_b64 s[24:25], vcc
	s_xor_b64 s[24:25], exec, s[24:25]
	s_cbranch_execz .LBB134_1449
; %bb.1427:
	s_movk_i32 s22, 0x80
	v_cmp_eq_u16_e32 vcc, s22, v4
	s_mov_b64 s[22:23], -1
	s_and_saveexec_b64 s[26:27], vcc
; %bb.1428:
	s_xor_b64 s[22:23], exec, -1
; %bb.1429:
	s_or_b64 exec, exec, s[26:27]
	s_and_b64 s[22:23], s[22:23], exec
	s_or_saveexec_b64 s[24:25], s[24:25]
	v_mov_b32_e32 v5, 0x7f800001
	s_xor_b64 exec, exec, s[24:25]
	s_cbranch_execnz .LBB134_1450
.LBB134_1430:
	s_or_b64 exec, exec, s[24:25]
	s_and_saveexec_b64 s[24:25], s[22:23]
	s_cbranch_execz .LBB134_1432
.LBB134_1431:
	v_lshlrev_b32_e32 v5, 24, v4
	v_and_b32_e32 v4, 0xffff, v4
	v_and_b32_e32 v6, 3, v4
	v_ffbh_u32_e32 v8, v6
	v_min_u32_e32 v8, 32, v8
	v_subrev_u32_e32 v9, 29, v8
	v_bfe_u32 v7, v4, 2, 5
	v_lshlrev_b32_e32 v4, v9, v4
	v_sub_u32_e32 v8, 30, v8
	v_and_b32_e32 v4, 3, v4
	v_cmp_eq_u32_e32 vcc, 0, v7
	v_cndmask_b32_e32 v7, v7, v8, vcc
	v_cndmask_b32_e32 v4, v6, v4, vcc
	v_mov_b32_e32 v6, 0x37800000
	v_lshlrev_b32_e32 v4, 21, v4
	v_and_b32_e32 v5, 0x80000000, v5
	v_lshl_add_u32 v6, v7, 23, v6
	v_or3_b32 v5, v5, v6, v4
.LBB134_1432:
	s_or_b64 exec, exec, s[24:25]
	v_bfe_u32 v4, v5, 16, 1
	s_movk_i32 s22, 0x7fff
	v_add3_u32 v4, v5, v4, s22
	v_cmp_o_f32_e32 vcc, v5, v5
	v_mov_b32_e32 v5, 0x7fc0
	v_cndmask_b32_sdwa v4, v5, v4, vcc dst_sel:DWORD dst_unused:UNUSED_PAD src0_sel:DWORD src1_sel:WORD_1
	s_mov_b64 s[22:23], 0
	s_branch .LBB134_1438
.LBB134_1433:
	s_mov_b64 s[22:23], -1
                                        ; implicit-def: $vgpr4
	s_branch .LBB134_1444
.LBB134_1434:
	s_or_saveexec_b64 s[26:27], s[26:27]
	v_mov_b32_e32 v5, 0x7f800001
	s_xor_b64 exec, exec, s[26:27]
	s_cbranch_execz .LBB134_1417
.LBB134_1435:
	v_cmp_ne_u16_e32 vcc, 0, v4
	s_andn2_b64 s[24:25], s[24:25], exec
	s_and_b64 s[28:29], vcc, exec
	v_mov_b32_e32 v5, 0
	s_or_b64 s[24:25], s[24:25], s[28:29]
	s_or_b64 exec, exec, s[26:27]
	s_and_saveexec_b64 s[26:27], s[24:25]
	s_cbranch_execnz .LBB134_1418
	s_branch .LBB134_1419
.LBB134_1436:
	s_mov_b64 s[22:23], -1
                                        ; implicit-def: $vgpr4
	s_branch .LBB134_1441
.LBB134_1437:
	s_mov_b64 s[22:23], -1
                                        ; implicit-def: $vgpr4
.LBB134_1438:
	s_and_b64 vcc, exec, s[22:23]
	s_cbranch_vccz .LBB134_1440
; %bb.1439:
	global_load_ubyte v4, v[0:1], off
	s_mov_b32 s22, 0x7f800000
	s_brev_b32 s23, 1
	s_movk_i32 s24, 0x7fff
	s_waitcnt vmcnt(0)
	v_lshlrev_b32_e32 v4, 24, v4
	v_and_b32_e32 v5, 0x7f000000, v4
	v_ffbh_u32_e32 v6, v5
	v_min_u32_e32 v6, 32, v6
	v_sub_u32_e64 v6, v6, 4 clamp
	v_lshlrev_b32_e32 v8, v6, v5
	v_lshlrev_b32_e32 v6, 23, v6
	v_lshrrev_b32_e32 v8, 4, v8
	v_add_u32_e32 v7, 0x1000000, v5
	v_sub_u32_e32 v6, v8, v6
	v_ashrrev_i32_e32 v7, 8, v7
	v_add_u32_e32 v6, 0x3c000000, v6
	v_and_or_b32 v6, v7, s22, v6
	v_cmp_ne_u32_e32 vcc, 0, v5
	v_cndmask_b32_e32 v5, 0, v6, vcc
	v_and_or_b32 v4, v4, s23, v5
	v_bfe_u32 v5, v5, 16, 1
	v_add3_u32 v5, v4, v5, s24
	v_cmp_o_f32_e32 vcc, v4, v4
	v_mov_b32_e32 v4, 0x7fc0
	v_cndmask_b32_sdwa v4, v4, v5, vcc dst_sel:DWORD dst_unused:UNUSED_PAD src0_sel:DWORD src1_sel:WORD_1
.LBB134_1440:
	s_mov_b64 s[22:23], 0
.LBB134_1441:
	s_andn2_b64 vcc, exec, s[22:23]
	s_cbranch_vccnz .LBB134_1443
; %bb.1442:
	global_load_ubyte v4, v[0:1], off
	s_movk_i32 s22, 0x7f00
	s_brev_b32 s23, 16
	s_brev_b32 s24, 1
	s_movk_i32 s25, 0x7fff
	s_waitcnt vmcnt(0)
	v_lshlrev_b16_e32 v5, 8, v4
	v_lshlrev_b32_e32 v4, 25, v4
	v_lshrrev_b32_e32 v6, 4, v4
	v_and_or_b32 v7, v5, s22, 0.5
	v_or_b32_e32 v6, 0x70000000, v6
	v_add_f32_e32 v7, -0.5, v7
	v_mul_f32_e32 v6, 0x7800000, v6
	v_cmp_gt_u32_e32 vcc, s23, v4
	v_bfe_i32 v5, v5, 0, 16
	v_cndmask_b32_e32 v4, v6, v7, vcc
	v_and_or_b32 v5, v5, s24, v4
	v_bfe_u32 v4, v4, 16, 1
	v_add3_u32 v4, v5, v4, s25
	v_cmp_o_f32_e32 vcc, v5, v5
	v_mov_b32_e32 v5, 0x7fc0
	v_cndmask_b32_sdwa v4, v5, v4, vcc dst_sel:DWORD dst_unused:UNUSED_PAD src0_sel:DWORD src1_sel:WORD_1
.LBB134_1443:
	s_mov_b64 s[22:23], 0
	s_mov_b64 s[24:25], -1
.LBB134_1444:
	s_andn2_b64 vcc, exec, s[22:23]
	s_mov_b64 s[22:23], 0
	s_cbranch_vccnz .LBB134_1455
; %bb.1445:
	s_cmp_gt_i32 s15, 14
	s_cbranch_scc0 .LBB134_1448
; %bb.1446:
	s_cmp_eq_u32 s15, 15
	s_cbranch_scc0 .LBB134_1451
; %bb.1447:
	global_load_ushort v4, v[0:1], off
	s_mov_b64 s[0:1], 0
	s_mov_b64 s[24:25], -1
	s_branch .LBB134_1452
.LBB134_1448:
	s_mov_b64 s[26:27], -1
                                        ; implicit-def: $vgpr4
	s_branch .LBB134_1453
.LBB134_1449:
	s_or_saveexec_b64 s[24:25], s[24:25]
	v_mov_b32_e32 v5, 0x7f800001
	s_xor_b64 exec, exec, s[24:25]
	s_cbranch_execz .LBB134_1430
.LBB134_1450:
	v_cmp_ne_u16_e32 vcc, 0, v4
	s_andn2_b64 s[22:23], s[22:23], exec
	s_and_b64 s[26:27], vcc, exec
	v_mov_b32_e32 v5, 0
	s_or_b64 s[22:23], s[22:23], s[26:27]
	s_or_b64 exec, exec, s[24:25]
	s_and_saveexec_b64 s[24:25], s[22:23]
	s_cbranch_execnz .LBB134_1431
	s_branch .LBB134_1432
.LBB134_1451:
	s_mov_b64 s[0:1], -1
                                        ; implicit-def: $vgpr4
.LBB134_1452:
	s_mov_b64 s[26:27], 0
.LBB134_1453:
	s_and_b64 vcc, exec, s[26:27]
	s_cbranch_vccz .LBB134_1455
; %bb.1454:
	s_cmp_lg_u32 s15, 11
	s_mov_b64 s[22:23], -1
	s_cselect_b64 s[0:1], -1, 0
.LBB134_1455:
	s_and_b64 vcc, exec, s[0:1]
	s_cbranch_vccnz .LBB134_1534
; %bb.1456:
	s_andn2_b64 vcc, exec, s[22:23]
	s_cbranch_vccnz .LBB134_1458
.LBB134_1457:
	global_load_ubyte v4, v[0:1], off
	s_mov_b64 s[24:25], -1
	s_waitcnt vmcnt(0)
	v_cmp_ne_u16_e32 vcc, 0, v4
	v_cndmask_b32_e64 v4, 0, 1.0, vcc
	v_lshrrev_b32_e32 v4, 16, v4
.LBB134_1458:
	s_branch .LBB134_1386
.LBB134_1459:
	s_cmp_lt_i32 s15, 5
	s_cbranch_scc1 .LBB134_1464
; %bb.1460:
	s_cmp_lt_i32 s15, 8
	s_cbranch_scc1 .LBB134_1465
; %bb.1461:
	;; [unrolled: 3-line block ×3, first 2 shown]
	s_cmp_gt_i32 s15, 9
	s_cbranch_scc0 .LBB134_1467
; %bb.1463:
	global_load_dwordx2 v[4:5], v[0:1], off
	s_movk_i32 s0, 0x7fff
	s_waitcnt vmcnt(0)
	v_cvt_f32_f64_e32 v4, v[4:5]
	v_mov_b32_e32 v5, 0x7fc0
	v_bfe_u32 v6, v4, 16, 1
	v_cmp_o_f32_e32 vcc, v4, v4
	v_add3_u32 v4, v4, v6, s0
	v_cndmask_b32_sdwa v4, v5, v4, vcc dst_sel:DWORD dst_unused:UNUSED_PAD src0_sel:DWORD src1_sel:WORD_1
	s_mov_b64 s[0:1], 0
	s_branch .LBB134_1468
.LBB134_1464:
	s_mov_b64 s[0:1], -1
                                        ; implicit-def: $vgpr4
	s_branch .LBB134_1486
.LBB134_1465:
	s_mov_b64 s[0:1], -1
                                        ; implicit-def: $vgpr4
	s_branch .LBB134_1474
.LBB134_1466:
	s_mov_b64 s[0:1], -1
                                        ; implicit-def: $vgpr4
	s_branch .LBB134_1471
.LBB134_1467:
	s_mov_b64 s[0:1], -1
                                        ; implicit-def: $vgpr4
.LBB134_1468:
	s_andn2_b64 vcc, exec, s[0:1]
	s_cbranch_vccnz .LBB134_1470
; %bb.1469:
	global_load_dword v4, v[0:1], off
	s_movk_i32 s0, 0x7fff
	v_mov_b32_e32 v5, 0x7fc0
	s_waitcnt vmcnt(0)
	v_bfe_u32 v6, v4, 16, 1
	v_cmp_o_f32_e32 vcc, v4, v4
	v_add3_u32 v4, v4, v6, s0
	v_cndmask_b32_sdwa v4, v5, v4, vcc dst_sel:DWORD dst_unused:UNUSED_PAD src0_sel:DWORD src1_sel:WORD_1
.LBB134_1470:
	s_mov_b64 s[0:1], 0
.LBB134_1471:
	s_andn2_b64 vcc, exec, s[0:1]
	s_cbranch_vccnz .LBB134_1473
; %bb.1472:
	global_load_dword v4, v[0:1], off
	s_movk_i32 s0, 0x7fff
	v_mov_b32_e32 v6, 0x7fc0
	s_waitcnt vmcnt(0)
	v_cvt_f32_f16_e32 v5, v4
	v_cmp_o_f16_e32 vcc, v4, v4
	v_bfe_u32 v4, v5, 16, 1
	v_add3_u32 v4, v5, v4, s0
	v_cndmask_b32_sdwa v4, v6, v4, vcc dst_sel:DWORD dst_unused:UNUSED_PAD src0_sel:DWORD src1_sel:WORD_1
.LBB134_1473:
	s_mov_b64 s[0:1], 0
.LBB134_1474:
	s_andn2_b64 vcc, exec, s[0:1]
	s_cbranch_vccnz .LBB134_1485
; %bb.1475:
	s_cmp_lt_i32 s15, 6
	s_cbranch_scc1 .LBB134_1478
; %bb.1476:
	s_cmp_gt_i32 s15, 6
	s_cbranch_scc0 .LBB134_1479
; %bb.1477:
	global_load_dwordx2 v[4:5], v[0:1], off
	s_movk_i32 s0, 0x7fff
	s_waitcnt vmcnt(0)
	v_cvt_f32_f64_e32 v4, v[4:5]
	v_mov_b32_e32 v5, 0x7fc0
	v_bfe_u32 v6, v4, 16, 1
	v_cmp_o_f32_e32 vcc, v4, v4
	v_add3_u32 v4, v4, v6, s0
	v_cndmask_b32_sdwa v4, v5, v4, vcc dst_sel:DWORD dst_unused:UNUSED_PAD src0_sel:DWORD src1_sel:WORD_1
	s_mov_b64 s[0:1], 0
	s_branch .LBB134_1480
.LBB134_1478:
	s_mov_b64 s[0:1], -1
                                        ; implicit-def: $vgpr4
	s_branch .LBB134_1483
.LBB134_1479:
	s_mov_b64 s[0:1], -1
                                        ; implicit-def: $vgpr4
.LBB134_1480:
	s_andn2_b64 vcc, exec, s[0:1]
	s_cbranch_vccnz .LBB134_1482
; %bb.1481:
	global_load_dword v4, v[0:1], off
	s_movk_i32 s0, 0x7fff
	v_mov_b32_e32 v5, 0x7fc0
	s_waitcnt vmcnt(0)
	v_bfe_u32 v6, v4, 16, 1
	v_cmp_o_f32_e32 vcc, v4, v4
	v_add3_u32 v4, v4, v6, s0
	v_cndmask_b32_sdwa v4, v5, v4, vcc dst_sel:DWORD dst_unused:UNUSED_PAD src0_sel:DWORD src1_sel:WORD_1
.LBB134_1482:
	s_mov_b64 s[0:1], 0
.LBB134_1483:
	s_andn2_b64 vcc, exec, s[0:1]
	s_cbranch_vccnz .LBB134_1485
; %bb.1484:
	global_load_ushort v4, v[0:1], off
	s_movk_i32 s0, 0x7fff
	v_mov_b32_e32 v6, 0x7fc0
	s_waitcnt vmcnt(0)
	v_cvt_f32_f16_e32 v5, v4
	v_cmp_o_f16_e32 vcc, v4, v4
	v_bfe_u32 v4, v5, 16, 1
	v_add3_u32 v4, v5, v4, s0
	v_cndmask_b32_sdwa v4, v6, v4, vcc dst_sel:DWORD dst_unused:UNUSED_PAD src0_sel:DWORD src1_sel:WORD_1
.LBB134_1485:
	s_mov_b64 s[0:1], 0
.LBB134_1486:
	s_andn2_b64 vcc, exec, s[0:1]
	s_cbranch_vccnz .LBB134_1506
; %bb.1487:
	s_cmp_lt_i32 s15, 2
	s_cbranch_scc1 .LBB134_1491
; %bb.1488:
	s_cmp_lt_i32 s15, 3
	s_cbranch_scc1 .LBB134_1492
; %bb.1489:
	s_cmp_gt_i32 s15, 3
	s_cbranch_scc0 .LBB134_1493
; %bb.1490:
	global_load_dwordx2 v[4:5], v[0:1], off
	s_movk_i32 s0, 0x7fff
	s_waitcnt vmcnt(0)
	v_xor_b32_e32 v7, v4, v5
	v_ffbh_i32_e32 v6, v5
	v_ashrrev_i32_e32 v7, 31, v7
	v_add_u32_e32 v6, -1, v6
	v_add_u32_e32 v7, 32, v7
	v_min_u32_e32 v6, v6, v7
	v_lshlrev_b64 v[4:5], v6, v[4:5]
	v_min_u32_e32 v4, 1, v4
	v_or_b32_e32 v4, v5, v4
	v_cvt_f32_i32_e32 v4, v4
	v_sub_u32_e32 v5, 32, v6
	v_ldexp_f32 v4, v4, v5
	v_bfe_u32 v5, v4, 16, 1
	v_add3_u32 v4, v4, v5, s0
	v_lshrrev_b32_e32 v4, 16, v4
	s_mov_b64 s[0:1], 0
	s_branch .LBB134_1494
.LBB134_1491:
	s_mov_b64 s[0:1], -1
                                        ; implicit-def: $vgpr4
	s_branch .LBB134_1500
.LBB134_1492:
	s_mov_b64 s[0:1], -1
                                        ; implicit-def: $vgpr4
	s_branch .LBB134_1497
.LBB134_1493:
	s_mov_b64 s[0:1], -1
                                        ; implicit-def: $vgpr4
.LBB134_1494:
	s_andn2_b64 vcc, exec, s[0:1]
	s_cbranch_vccnz .LBB134_1496
; %bb.1495:
	global_load_dword v4, v[0:1], off
	s_movk_i32 s0, 0x7fff
	s_waitcnt vmcnt(0)
	v_cvt_f32_i32_e32 v4, v4
	v_bfe_u32 v5, v4, 16, 1
	v_add3_u32 v4, v4, v5, s0
	v_lshrrev_b32_e32 v4, 16, v4
.LBB134_1496:
	s_mov_b64 s[0:1], 0
.LBB134_1497:
	s_andn2_b64 vcc, exec, s[0:1]
	s_cbranch_vccnz .LBB134_1499
; %bb.1498:
	global_load_sshort v4, v[0:1], off
	s_movk_i32 s0, 0x7fff
	s_waitcnt vmcnt(0)
	v_cvt_f32_i32_e32 v4, v4
	v_bfe_u32 v5, v4, 16, 1
	v_add3_u32 v4, v4, v5, s0
	v_lshrrev_b32_e32 v4, 16, v4
.LBB134_1499:
	s_mov_b64 s[0:1], 0
.LBB134_1500:
	s_andn2_b64 vcc, exec, s[0:1]
	s_cbranch_vccnz .LBB134_1506
; %bb.1501:
	s_cmp_gt_i32 s15, 0
	s_cbranch_scc0 .LBB134_1503
; %bb.1502:
	global_load_sbyte v4, v[0:1], off
	s_movk_i32 s0, 0x7fff
	s_waitcnt vmcnt(0)
	v_cvt_f32_i32_e32 v4, v4
	v_bfe_u32 v5, v4, 16, 1
	v_add3_u32 v4, v4, v5, s0
	v_lshrrev_b32_e32 v4, 16, v4
	s_mov_b64 s[0:1], 0
	s_branch .LBB134_1504
.LBB134_1503:
	s_mov_b64 s[0:1], -1
                                        ; implicit-def: $vgpr4
.LBB134_1504:
	s_andn2_b64 vcc, exec, s[0:1]
	s_cbranch_vccnz .LBB134_1506
; %bb.1505:
	global_load_ubyte v0, v[0:1], off
	s_movk_i32 s0, 0x7fff
	s_waitcnt vmcnt(0)
	v_cvt_f32_ubyte0_e32 v0, v0
	v_bfe_u32 v1, v0, 16, 1
	v_add3_u32 v0, v0, v1, s0
	v_lshrrev_b32_e32 v4, 16, v0
.LBB134_1506:
.LBB134_1507:
	s_waitcnt vmcnt(0)
	v_lshlrev_b32_e32 v0, 16, v4
	s_cmp_lt_i32 s14, 1
	s_mov_b64 s[0:1], 0
	s_cbranch_scc1 .LBB134_1511
; %bb.1508:
	s_cmp_gt_i32 s14, 1
	s_cbranch_scc0 .LBB134_1514
; %bb.1509:
	s_cmp_eq_u32 s14, 2
	s_cbranch_scc0 .LBB134_1515
; %bb.1510:
	v_cmp_ge_f32_e64 s[22:23], s2, v0
	s_mov_b64 s[24:25], 0
	s_branch .LBB134_1516
.LBB134_1511:
                                        ; implicit-def: $sgpr22_sgpr23
	s_mov_b64 s[24:25], 0
	s_cbranch_execnz .LBB134_1520
.LBB134_1512:
	s_andn2_b64 vcc, exec, s[24:25]
	s_cbranch_vccnz .LBB134_1521
.LBB134_1513:
	v_cmp_gt_f32_e32 vcc, s2, v0
	s_andn2_b64 s[22:23], s[22:23], exec
	s_and_b64 s[24:25], vcc, exec
	s_or_b64 s[22:23], s[22:23], s[24:25]
	s_cbranch_execz .LBB134_1522
	s_branch .LBB134_1523
.LBB134_1514:
	s_mov_b64 s[26:27], -1
	s_mov_b64 s[24:25], 0
                                        ; implicit-def: $sgpr22_sgpr23
	s_branch .LBB134_1517
.LBB134_1515:
	s_mov_b64 s[24:25], -1
                                        ; implicit-def: $sgpr22_sgpr23
.LBB134_1516:
	s_mov_b64 s[26:27], 0
.LBB134_1517:
	s_and_b64 vcc, exec, s[26:27]
	s_cbranch_vccz .LBB134_1519
; %bb.1518:
	v_cmp_lt_f32_e32 vcc, s2, v0
	s_andn2_b64 s[22:23], s[22:23], exec
	s_and_b64 s[26:27], vcc, exec
	s_or_b64 s[22:23], s[22:23], s[26:27]
.LBB134_1519:
	s_branch .LBB134_1512
.LBB134_1520:
	s_cmp_lg_u32 s14, 0
	s_mov_b64 s[0:1], -1
	s_cselect_b64 s[24:25], -1, 0
	s_andn2_b64 vcc, exec, s[24:25]
	s_cbranch_vccz .LBB134_1513
.LBB134_1521:
	s_andn2_b64 vcc, exec, s[0:1]
	s_cbranch_vccnz .LBB134_1523
.LBB134_1522:
	v_cmp_le_f32_e32 vcc, s2, v0
	s_andn2_b64 s[0:1], s[22:23], exec
	s_and_b64 s[22:23], vcc, exec
	s_or_b64 s[22:23], s[0:1], s[22:23]
.LBB134_1523:
	v_add_u32_e32 v0, s13, v3
	v_ashrrev_i32_e32 v1, 31, v0
	v_mov_b32_e32 v3, s11
	v_add_co_u32_e32 v0, vcc, s10, v0
	s_cmp_lt_i32 s15, 11
	v_addc_co_u32_e32 v1, vcc, v3, v1, vcc
	s_cbranch_scc1 .LBB134_1530
; %bb.1524:
	s_cmp_gt_i32 s15, 25
	s_mov_b64 s[10:11], 0
	s_cbranch_scc0 .LBB134_1531
; %bb.1525:
	s_cmp_gt_i32 s15, 28
	s_cbranch_scc0 .LBB134_1532
; %bb.1526:
	s_cmp_gt_i32 s15, 43
	;; [unrolled: 3-line block ×3, first 2 shown]
	s_cbranch_scc0 .LBB134_1535
; %bb.1528:
	s_cmp_eq_u32 s15, 46
	s_mov_b64 s[26:27], 0
	s_cbranch_scc0 .LBB134_1536
; %bb.1529:
	global_load_dword v3, v[0:1], off
	s_mov_b64 s[0:1], 0
	s_mov_b64 s[24:25], -1
	s_branch .LBB134_1537
.LBB134_1530:
	s_mov_b64 s[0:1], -1
	s_mov_b64 s[24:25], 0
                                        ; implicit-def: $vgpr3
	s_branch .LBB134_1603
.LBB134_1531:
	s_mov_b64 s[26:27], -1
	s_mov_b64 s[24:25], 0
	s_mov_b64 s[0:1], 0
                                        ; implicit-def: $vgpr3
	s_branch .LBB134_1566
.LBB134_1532:
	s_mov_b64 s[26:27], -1
	s_mov_b64 s[24:25], 0
	s_mov_b64 s[0:1], 0
                                        ; implicit-def: $vgpr3
	s_branch .LBB134_1547
.LBB134_1533:
	s_mov_b64 s[26:27], -1
	s_mov_b64 s[24:25], 0
	s_mov_b64 s[0:1], 0
                                        ; implicit-def: $vgpr3
	s_branch .LBB134_1542
.LBB134_1534:
	s_trap 2
	s_or_b64 s[18:19], s[18:19], exec
	s_cbranch_execz .LBB134_1457
	s_branch .LBB134_1458
.LBB134_1535:
	s_mov_b64 s[26:27], -1
	s_mov_b64 s[24:25], 0
	s_mov_b64 s[0:1], 0
                                        ; implicit-def: $vgpr3
	s_branch .LBB134_1537
.LBB134_1536:
	s_mov_b64 s[0:1], -1
                                        ; implicit-def: $vgpr3
	s_mov_b64 s[24:25], 0
.LBB134_1537:
	s_and_b64 vcc, exec, s[26:27]
	s_cbranch_vccz .LBB134_1541
; %bb.1538:
	s_cmp_eq_u32 s15, 44
	s_cbranch_scc0 .LBB134_1540
; %bb.1539:
	global_load_ubyte v3, v[0:1], off
	s_movk_i32 s13, 0xff
	v_mov_b32_e32 v4, 0x7f800001
	v_mov_b32_e32 v5, 0x400000
	;; [unrolled: 1-line block ×3, first 2 shown]
	s_mov_b64 s[0:1], 0
	s_mov_b64 s[24:25], -1
	s_waitcnt vmcnt(0)
	v_lshlrev_b32_e32 v7, 23, v3
	v_cmp_ne_u32_e32 vcc, s13, v3
	v_cndmask_b32_e32 v4, v4, v7, vcc
	v_cmp_ne_u32_e32 vcc, 0, v3
	v_cndmask_b32_e32 v3, v5, v4, vcc
	v_add_u32_e32 v4, 0x7fff, v3
	v_cmp_o_f32_e32 vcc, v3, v3
	v_cndmask_b32_sdwa v3, v6, v4, vcc dst_sel:DWORD dst_unused:UNUSED_PAD src0_sel:DWORD src1_sel:WORD_1
	s_branch .LBB134_1541
.LBB134_1540:
	s_mov_b64 s[0:1], -1
                                        ; implicit-def: $vgpr3
.LBB134_1541:
	s_mov_b64 s[26:27], 0
.LBB134_1542:
	s_and_b64 vcc, exec, s[26:27]
	s_cbranch_vccz .LBB134_1546
; %bb.1543:
	s_cmp_eq_u32 s15, 29
	s_cbranch_scc0 .LBB134_1545
; %bb.1544:
	global_load_dwordx2 v[3:4], v[0:1], off
	s_movk_i32 s13, 0x7fff
	s_mov_b64 s[0:1], 0
	s_mov_b64 s[24:25], -1
	s_mov_b64 s[26:27], 0
	s_waitcnt vmcnt(0)
	v_ffbh_u32_e32 v5, v4
	v_min_u32_e32 v5, 32, v5
	v_lshlrev_b64 v[3:4], v5, v[3:4]
	v_min_u32_e32 v3, 1, v3
	v_or_b32_e32 v3, v4, v3
	v_cvt_f32_u32_e32 v3, v3
	v_sub_u32_e32 v4, 32, v5
	v_ldexp_f32 v3, v3, v4
	v_bfe_u32 v4, v3, 16, 1
	v_add3_u32 v3, v3, v4, s13
	v_lshrrev_b32_e32 v3, 16, v3
	s_branch .LBB134_1547
.LBB134_1545:
	s_mov_b64 s[0:1], -1
                                        ; implicit-def: $vgpr3
.LBB134_1546:
	s_mov_b64 s[26:27], 0
.LBB134_1547:
	s_and_b64 vcc, exec, s[26:27]
	s_cbranch_vccz .LBB134_1565
; %bb.1548:
	s_cmp_lt_i32 s15, 27
	s_cbranch_scc1 .LBB134_1551
; %bb.1549:
	s_cmp_gt_i32 s15, 27
	s_cbranch_scc0 .LBB134_1552
; %bb.1550:
	global_load_dword v3, v[0:1], off
	s_movk_i32 s13, 0x7fff
	s_mov_b64 s[24:25], 0
	s_waitcnt vmcnt(0)
	v_cvt_f32_u32_e32 v3, v3
	v_bfe_u32 v4, v3, 16, 1
	v_add3_u32 v3, v3, v4, s13
	v_lshrrev_b32_e32 v3, 16, v3
	s_branch .LBB134_1553
.LBB134_1551:
	s_mov_b64 s[24:25], -1
                                        ; implicit-def: $vgpr3
	s_branch .LBB134_1556
.LBB134_1552:
	s_mov_b64 s[24:25], -1
                                        ; implicit-def: $vgpr3
.LBB134_1553:
	s_andn2_b64 vcc, exec, s[24:25]
	s_cbranch_vccnz .LBB134_1555
; %bb.1554:
	global_load_ushort v3, v[0:1], off
	s_movk_i32 s13, 0x7fff
	s_waitcnt vmcnt(0)
	v_cvt_f32_u32_e32 v3, v3
	v_bfe_u32 v4, v3, 16, 1
	v_add3_u32 v3, v3, v4, s13
	v_lshrrev_b32_e32 v3, 16, v3
.LBB134_1555:
	s_mov_b64 s[24:25], 0
.LBB134_1556:
	s_andn2_b64 vcc, exec, s[24:25]
	s_cbranch_vccnz .LBB134_1564
; %bb.1557:
	global_load_ubyte v3, v[0:1], off
	s_movk_i32 s13, 0x7f
	s_mov_b64 s[24:25], 0
	s_waitcnt vmcnt(0)
	v_cmp_lt_i16_e32 vcc, s13, v3
	s_and_saveexec_b64 s[26:27], vcc
	s_xor_b64 s[26:27], exec, s[26:27]
	s_cbranch_execz .LBB134_1578
; %bb.1558:
	s_movk_i32 s13, 0x80
	v_cmp_eq_u16_e32 vcc, s13, v3
	s_mov_b64 s[24:25], -1
	s_and_saveexec_b64 s[28:29], vcc
; %bb.1559:
	s_xor_b64 s[24:25], exec, -1
; %bb.1560:
	s_or_b64 exec, exec, s[28:29]
	s_and_b64 s[24:25], s[24:25], exec
	s_or_saveexec_b64 s[26:27], s[26:27]
	v_mov_b32_e32 v4, 0x7f800001
	s_xor_b64 exec, exec, s[26:27]
	s_cbranch_execnz .LBB134_1579
.LBB134_1561:
	s_or_b64 exec, exec, s[26:27]
	s_and_saveexec_b64 s[26:27], s[24:25]
	s_cbranch_execz .LBB134_1563
.LBB134_1562:
	v_lshlrev_b32_e32 v4, 24, v3
	v_and_b32_e32 v3, 0xffff, v3
	v_and_b32_e32 v5, 7, v3
	v_ffbh_u32_e32 v7, v5
	v_min_u32_e32 v7, 32, v7
	v_subrev_u32_e32 v8, 28, v7
	v_bfe_u32 v6, v3, 3, 4
	v_lshlrev_b32_e32 v3, v8, v3
	v_sub_u32_e32 v7, 29, v7
	v_and_b32_e32 v3, 7, v3
	v_cmp_eq_u32_e32 vcc, 0, v6
	v_cndmask_b32_e32 v6, v6, v7, vcc
	v_cndmask_b32_e32 v3, v5, v3, vcc
	v_mov_b32_e32 v5, 0x3b800000
	v_lshlrev_b32_e32 v3, 20, v3
	v_and_b32_e32 v4, 0x80000000, v4
	v_lshl_add_u32 v5, v6, 23, v5
	v_or3_b32 v4, v4, v5, v3
.LBB134_1563:
	s_or_b64 exec, exec, s[26:27]
	v_bfe_u32 v3, v4, 16, 1
	s_movk_i32 s13, 0x7fff
	v_add3_u32 v3, v4, v3, s13
	v_cmp_o_f32_e32 vcc, v4, v4
	v_mov_b32_e32 v4, 0x7fc0
	v_cndmask_b32_sdwa v3, v4, v3, vcc dst_sel:DWORD dst_unused:UNUSED_PAD src0_sel:DWORD src1_sel:WORD_1
.LBB134_1564:
	s_mov_b64 s[24:25], -1
.LBB134_1565:
	s_mov_b64 s[26:27], 0
.LBB134_1566:
	s_and_b64 vcc, exec, s[26:27]
	s_cbranch_vccz .LBB134_1599
; %bb.1567:
	s_cmp_gt_i32 s15, 22
	s_cbranch_scc0 .LBB134_1577
; %bb.1568:
	s_cmp_lt_i32 s15, 24
	s_cbranch_scc1 .LBB134_1580
; %bb.1569:
	s_cmp_gt_i32 s15, 24
	s_cbranch_scc0 .LBB134_1581
; %bb.1570:
	global_load_ubyte v3, v[0:1], off
	s_movk_i32 s10, 0x7f
	s_waitcnt vmcnt(0)
	v_cmp_lt_i16_e32 vcc, s10, v3
	s_mov_b64 s[10:11], 0
	s_and_saveexec_b64 s[24:25], vcc
	s_xor_b64 s[24:25], exec, s[24:25]
	s_cbranch_execz .LBB134_1593
; %bb.1571:
	s_movk_i32 s10, 0x80
	v_cmp_eq_u16_e32 vcc, s10, v3
	s_mov_b64 s[10:11], -1
	s_and_saveexec_b64 s[26:27], vcc
; %bb.1572:
	s_xor_b64 s[10:11], exec, -1
; %bb.1573:
	s_or_b64 exec, exec, s[26:27]
	s_and_b64 s[10:11], s[10:11], exec
	s_or_saveexec_b64 s[24:25], s[24:25]
	v_mov_b32_e32 v4, 0x7f800001
	s_xor_b64 exec, exec, s[24:25]
	s_cbranch_execnz .LBB134_1594
.LBB134_1574:
	s_or_b64 exec, exec, s[24:25]
	s_and_saveexec_b64 s[24:25], s[10:11]
	s_cbranch_execz .LBB134_1576
.LBB134_1575:
	v_lshlrev_b32_e32 v4, 24, v3
	v_and_b32_e32 v3, 0xffff, v3
	v_and_b32_e32 v5, 3, v3
	v_ffbh_u32_e32 v7, v5
	v_min_u32_e32 v7, 32, v7
	v_subrev_u32_e32 v8, 29, v7
	v_bfe_u32 v6, v3, 2, 5
	v_lshlrev_b32_e32 v3, v8, v3
	v_sub_u32_e32 v7, 30, v7
	v_and_b32_e32 v3, 3, v3
	v_cmp_eq_u32_e32 vcc, 0, v6
	v_cndmask_b32_e32 v6, v6, v7, vcc
	v_cndmask_b32_e32 v3, v5, v3, vcc
	v_mov_b32_e32 v5, 0x37800000
	v_lshlrev_b32_e32 v3, 21, v3
	v_and_b32_e32 v4, 0x80000000, v4
	v_lshl_add_u32 v5, v6, 23, v5
	v_or3_b32 v4, v4, v5, v3
.LBB134_1576:
	s_or_b64 exec, exec, s[24:25]
	v_bfe_u32 v3, v4, 16, 1
	s_movk_i32 s10, 0x7fff
	v_add3_u32 v3, v4, v3, s10
	v_cmp_o_f32_e32 vcc, v4, v4
	v_mov_b32_e32 v4, 0x7fc0
	v_cndmask_b32_sdwa v3, v4, v3, vcc dst_sel:DWORD dst_unused:UNUSED_PAD src0_sel:DWORD src1_sel:WORD_1
	s_mov_b64 s[10:11], 0
	s_branch .LBB134_1582
.LBB134_1577:
	s_mov_b64 s[10:11], -1
                                        ; implicit-def: $vgpr3
	s_branch .LBB134_1588
.LBB134_1578:
	s_or_saveexec_b64 s[26:27], s[26:27]
	v_mov_b32_e32 v4, 0x7f800001
	s_xor_b64 exec, exec, s[26:27]
	s_cbranch_execz .LBB134_1561
.LBB134_1579:
	v_cmp_ne_u16_e32 vcc, 0, v3
	s_andn2_b64 s[24:25], s[24:25], exec
	s_and_b64 s[28:29], vcc, exec
	v_mov_b32_e32 v4, 0
	s_or_b64 s[24:25], s[24:25], s[28:29]
	s_or_b64 exec, exec, s[26:27]
	s_and_saveexec_b64 s[26:27], s[24:25]
	s_cbranch_execnz .LBB134_1562
	s_branch .LBB134_1563
.LBB134_1580:
	s_mov_b64 s[10:11], -1
                                        ; implicit-def: $vgpr3
	s_branch .LBB134_1585
.LBB134_1581:
	s_mov_b64 s[10:11], -1
                                        ; implicit-def: $vgpr3
.LBB134_1582:
	s_and_b64 vcc, exec, s[10:11]
	s_cbranch_vccz .LBB134_1584
; %bb.1583:
	global_load_ubyte v3, v[0:1], off
	s_mov_b32 s10, 0x7f800000
	s_brev_b32 s11, 1
	s_movk_i32 s13, 0x7fff
	s_waitcnt vmcnt(0)
	v_lshlrev_b32_e32 v3, 24, v3
	v_and_b32_e32 v4, 0x7f000000, v3
	v_ffbh_u32_e32 v5, v4
	v_min_u32_e32 v5, 32, v5
	v_sub_u32_e64 v5, v5, 4 clamp
	v_lshlrev_b32_e32 v7, v5, v4
	v_lshlrev_b32_e32 v5, 23, v5
	v_lshrrev_b32_e32 v7, 4, v7
	v_add_u32_e32 v6, 0x1000000, v4
	v_sub_u32_e32 v5, v7, v5
	v_ashrrev_i32_e32 v6, 8, v6
	v_add_u32_e32 v5, 0x3c000000, v5
	v_and_or_b32 v5, v6, s10, v5
	v_cmp_ne_u32_e32 vcc, 0, v4
	v_cndmask_b32_e32 v4, 0, v5, vcc
	v_and_or_b32 v3, v3, s11, v4
	v_bfe_u32 v4, v4, 16, 1
	v_add3_u32 v4, v3, v4, s13
	v_cmp_o_f32_e32 vcc, v3, v3
	v_mov_b32_e32 v3, 0x7fc0
	v_cndmask_b32_sdwa v3, v3, v4, vcc dst_sel:DWORD dst_unused:UNUSED_PAD src0_sel:DWORD src1_sel:WORD_1
.LBB134_1584:
	s_mov_b64 s[10:11], 0
.LBB134_1585:
	s_andn2_b64 vcc, exec, s[10:11]
	s_cbranch_vccnz .LBB134_1587
; %bb.1586:
	global_load_ubyte v3, v[0:1], off
	s_movk_i32 s10, 0x7f00
	s_brev_b32 s11, 16
	s_brev_b32 s13, 1
	s_movk_i32 s24, 0x7fff
	s_waitcnt vmcnt(0)
	v_lshlrev_b16_e32 v4, 8, v3
	v_lshlrev_b32_e32 v3, 25, v3
	v_lshrrev_b32_e32 v5, 4, v3
	v_and_or_b32 v6, v4, s10, 0.5
	v_or_b32_e32 v5, 0x70000000, v5
	v_add_f32_e32 v6, -0.5, v6
	v_mul_f32_e32 v5, 0x7800000, v5
	v_cmp_gt_u32_e32 vcc, s11, v3
	v_bfe_i32 v4, v4, 0, 16
	v_cndmask_b32_e32 v3, v5, v6, vcc
	v_and_or_b32 v4, v4, s13, v3
	v_bfe_u32 v3, v3, 16, 1
	v_add3_u32 v3, v4, v3, s24
	v_cmp_o_f32_e32 vcc, v4, v4
	v_mov_b32_e32 v4, 0x7fc0
	v_cndmask_b32_sdwa v3, v4, v3, vcc dst_sel:DWORD dst_unused:UNUSED_PAD src0_sel:DWORD src1_sel:WORD_1
.LBB134_1587:
	s_mov_b64 s[10:11], 0
	s_mov_b64 s[24:25], -1
.LBB134_1588:
	s_andn2_b64 vcc, exec, s[10:11]
	s_mov_b64 s[10:11], 0
	s_cbranch_vccnz .LBB134_1599
; %bb.1589:
	s_cmp_gt_i32 s15, 14
	s_cbranch_scc0 .LBB134_1592
; %bb.1590:
	s_cmp_eq_u32 s15, 15
	s_cbranch_scc0 .LBB134_1595
; %bb.1591:
	global_load_ushort v3, v[0:1], off
	s_mov_b64 s[0:1], 0
	s_mov_b64 s[24:25], -1
	s_branch .LBB134_1596
.LBB134_1592:
	s_mov_b64 s[26:27], -1
                                        ; implicit-def: $vgpr3
	s_branch .LBB134_1597
.LBB134_1593:
	s_or_saveexec_b64 s[24:25], s[24:25]
	v_mov_b32_e32 v4, 0x7f800001
	s_xor_b64 exec, exec, s[24:25]
	s_cbranch_execz .LBB134_1574
.LBB134_1594:
	v_cmp_ne_u16_e32 vcc, 0, v3
	s_andn2_b64 s[10:11], s[10:11], exec
	s_and_b64 s[26:27], vcc, exec
	v_mov_b32_e32 v4, 0
	s_or_b64 s[10:11], s[10:11], s[26:27]
	s_or_b64 exec, exec, s[24:25]
	s_and_saveexec_b64 s[24:25], s[10:11]
	s_cbranch_execnz .LBB134_1575
	s_branch .LBB134_1576
.LBB134_1595:
	s_mov_b64 s[0:1], -1
                                        ; implicit-def: $vgpr3
.LBB134_1596:
	s_mov_b64 s[26:27], 0
.LBB134_1597:
	s_and_b64 vcc, exec, s[26:27]
	s_cbranch_vccz .LBB134_1599
; %bb.1598:
	s_cmp_lg_u32 s15, 11
	s_mov_b64 s[10:11], -1
	s_cselect_b64 s[0:1], -1, 0
.LBB134_1599:
	s_and_b64 vcc, exec, s[0:1]
	s_cbranch_vccnz .LBB134_2151
; %bb.1600:
	s_andn2_b64 vcc, exec, s[10:11]
	s_cbranch_vccnz .LBB134_1602
.LBB134_1601:
	global_load_ubyte v3, v[0:1], off
	s_mov_b64 s[24:25], -1
	s_waitcnt vmcnt(0)
	v_cmp_ne_u16_e32 vcc, 0, v3
	v_cndmask_b32_e64 v3, 0, 1.0, vcc
	v_lshrrev_b32_e32 v3, 16, v3
.LBB134_1602:
	s_mov_b64 s[0:1], 0
.LBB134_1603:
	s_and_b64 vcc, exec, s[0:1]
	s_cbranch_vccz .LBB134_1652
; %bb.1604:
	s_cmp_lt_i32 s15, 5
	s_cbranch_scc1 .LBB134_1609
; %bb.1605:
	s_cmp_lt_i32 s15, 8
	s_cbranch_scc1 .LBB134_1610
; %bb.1606:
	s_cmp_lt_i32 s15, 9
	s_cbranch_scc1 .LBB134_1611
; %bb.1607:
	s_cmp_gt_i32 s15, 9
	s_cbranch_scc0 .LBB134_1612
; %bb.1608:
	global_load_dwordx2 v[3:4], v[0:1], off
	s_movk_i32 s0, 0x7fff
	s_waitcnt vmcnt(0)
	v_cvt_f32_f64_e32 v3, v[3:4]
	v_mov_b32_e32 v4, 0x7fc0
	v_bfe_u32 v5, v3, 16, 1
	v_cmp_o_f32_e32 vcc, v3, v3
	v_add3_u32 v3, v3, v5, s0
	v_cndmask_b32_sdwa v3, v4, v3, vcc dst_sel:DWORD dst_unused:UNUSED_PAD src0_sel:DWORD src1_sel:WORD_1
	s_mov_b64 s[0:1], 0
	s_branch .LBB134_1613
.LBB134_1609:
	s_mov_b64 s[0:1], -1
                                        ; implicit-def: $vgpr3
	s_branch .LBB134_1631
.LBB134_1610:
	s_mov_b64 s[0:1], -1
                                        ; implicit-def: $vgpr3
	s_branch .LBB134_1619
.LBB134_1611:
	s_mov_b64 s[0:1], -1
                                        ; implicit-def: $vgpr3
	s_branch .LBB134_1616
.LBB134_1612:
	s_mov_b64 s[0:1], -1
                                        ; implicit-def: $vgpr3
.LBB134_1613:
	s_andn2_b64 vcc, exec, s[0:1]
	s_cbranch_vccnz .LBB134_1615
; %bb.1614:
	global_load_dword v3, v[0:1], off
	s_movk_i32 s0, 0x7fff
	v_mov_b32_e32 v4, 0x7fc0
	s_waitcnt vmcnt(0)
	v_bfe_u32 v5, v3, 16, 1
	v_cmp_o_f32_e32 vcc, v3, v3
	v_add3_u32 v3, v3, v5, s0
	v_cndmask_b32_sdwa v3, v4, v3, vcc dst_sel:DWORD dst_unused:UNUSED_PAD src0_sel:DWORD src1_sel:WORD_1
.LBB134_1615:
	s_mov_b64 s[0:1], 0
.LBB134_1616:
	s_andn2_b64 vcc, exec, s[0:1]
	s_cbranch_vccnz .LBB134_1618
; %bb.1617:
	global_load_dword v3, v[0:1], off
	s_movk_i32 s0, 0x7fff
	v_mov_b32_e32 v5, 0x7fc0
	s_waitcnt vmcnt(0)
	v_cvt_f32_f16_e32 v4, v3
	v_cmp_o_f16_e32 vcc, v3, v3
	v_bfe_u32 v3, v4, 16, 1
	v_add3_u32 v3, v4, v3, s0
	v_cndmask_b32_sdwa v3, v5, v3, vcc dst_sel:DWORD dst_unused:UNUSED_PAD src0_sel:DWORD src1_sel:WORD_1
.LBB134_1618:
	s_mov_b64 s[0:1], 0
.LBB134_1619:
	s_andn2_b64 vcc, exec, s[0:1]
	s_cbranch_vccnz .LBB134_1630
; %bb.1620:
	s_cmp_lt_i32 s15, 6
	s_cbranch_scc1 .LBB134_1623
; %bb.1621:
	s_cmp_gt_i32 s15, 6
	s_cbranch_scc0 .LBB134_1624
; %bb.1622:
	global_load_dwordx2 v[3:4], v[0:1], off
	s_movk_i32 s0, 0x7fff
	s_waitcnt vmcnt(0)
	v_cvt_f32_f64_e32 v3, v[3:4]
	v_mov_b32_e32 v4, 0x7fc0
	v_bfe_u32 v5, v3, 16, 1
	v_cmp_o_f32_e32 vcc, v3, v3
	v_add3_u32 v3, v3, v5, s0
	v_cndmask_b32_sdwa v3, v4, v3, vcc dst_sel:DWORD dst_unused:UNUSED_PAD src0_sel:DWORD src1_sel:WORD_1
	s_mov_b64 s[0:1], 0
	s_branch .LBB134_1625
.LBB134_1623:
	s_mov_b64 s[0:1], -1
                                        ; implicit-def: $vgpr3
	s_branch .LBB134_1628
.LBB134_1624:
	s_mov_b64 s[0:1], -1
                                        ; implicit-def: $vgpr3
.LBB134_1625:
	s_andn2_b64 vcc, exec, s[0:1]
	s_cbranch_vccnz .LBB134_1627
; %bb.1626:
	global_load_dword v3, v[0:1], off
	s_movk_i32 s0, 0x7fff
	v_mov_b32_e32 v4, 0x7fc0
	s_waitcnt vmcnt(0)
	v_bfe_u32 v5, v3, 16, 1
	v_cmp_o_f32_e32 vcc, v3, v3
	v_add3_u32 v3, v3, v5, s0
	v_cndmask_b32_sdwa v3, v4, v3, vcc dst_sel:DWORD dst_unused:UNUSED_PAD src0_sel:DWORD src1_sel:WORD_1
.LBB134_1627:
	s_mov_b64 s[0:1], 0
.LBB134_1628:
	s_andn2_b64 vcc, exec, s[0:1]
	s_cbranch_vccnz .LBB134_1630
; %bb.1629:
	global_load_ushort v3, v[0:1], off
	s_movk_i32 s0, 0x7fff
	v_mov_b32_e32 v5, 0x7fc0
	s_waitcnt vmcnt(0)
	v_cvt_f32_f16_e32 v4, v3
	v_cmp_o_f16_e32 vcc, v3, v3
	v_bfe_u32 v3, v4, 16, 1
	v_add3_u32 v3, v4, v3, s0
	v_cndmask_b32_sdwa v3, v5, v3, vcc dst_sel:DWORD dst_unused:UNUSED_PAD src0_sel:DWORD src1_sel:WORD_1
.LBB134_1630:
	s_mov_b64 s[0:1], 0
.LBB134_1631:
	s_andn2_b64 vcc, exec, s[0:1]
	s_cbranch_vccnz .LBB134_1651
; %bb.1632:
	s_cmp_lt_i32 s15, 2
	s_cbranch_scc1 .LBB134_1636
; %bb.1633:
	s_cmp_lt_i32 s15, 3
	s_cbranch_scc1 .LBB134_1637
; %bb.1634:
	s_cmp_gt_i32 s15, 3
	s_cbranch_scc0 .LBB134_1638
; %bb.1635:
	global_load_dwordx2 v[3:4], v[0:1], off
	s_movk_i32 s0, 0x7fff
	s_waitcnt vmcnt(0)
	v_xor_b32_e32 v6, v3, v4
	v_ffbh_i32_e32 v5, v4
	v_ashrrev_i32_e32 v6, 31, v6
	v_add_u32_e32 v5, -1, v5
	v_add_u32_e32 v6, 32, v6
	v_min_u32_e32 v5, v5, v6
	v_lshlrev_b64 v[3:4], v5, v[3:4]
	v_min_u32_e32 v3, 1, v3
	v_or_b32_e32 v3, v4, v3
	v_cvt_f32_i32_e32 v3, v3
	v_sub_u32_e32 v4, 32, v5
	v_ldexp_f32 v3, v3, v4
	v_bfe_u32 v4, v3, 16, 1
	v_add3_u32 v3, v3, v4, s0
	v_lshrrev_b32_e32 v3, 16, v3
	s_mov_b64 s[0:1], 0
	s_branch .LBB134_1639
.LBB134_1636:
	s_mov_b64 s[0:1], -1
                                        ; implicit-def: $vgpr3
	s_branch .LBB134_1645
.LBB134_1637:
	s_mov_b64 s[0:1], -1
                                        ; implicit-def: $vgpr3
	s_branch .LBB134_1642
.LBB134_1638:
	s_mov_b64 s[0:1], -1
                                        ; implicit-def: $vgpr3
.LBB134_1639:
	s_andn2_b64 vcc, exec, s[0:1]
	s_cbranch_vccnz .LBB134_1641
; %bb.1640:
	global_load_dword v3, v[0:1], off
	s_movk_i32 s0, 0x7fff
	s_waitcnt vmcnt(0)
	v_cvt_f32_i32_e32 v3, v3
	v_bfe_u32 v4, v3, 16, 1
	v_add3_u32 v3, v3, v4, s0
	v_lshrrev_b32_e32 v3, 16, v3
.LBB134_1641:
	s_mov_b64 s[0:1], 0
.LBB134_1642:
	s_andn2_b64 vcc, exec, s[0:1]
	s_cbranch_vccnz .LBB134_1644
; %bb.1643:
	global_load_sshort v3, v[0:1], off
	s_movk_i32 s0, 0x7fff
	s_waitcnt vmcnt(0)
	v_cvt_f32_i32_e32 v3, v3
	v_bfe_u32 v4, v3, 16, 1
	v_add3_u32 v3, v3, v4, s0
	v_lshrrev_b32_e32 v3, 16, v3
.LBB134_1644:
	s_mov_b64 s[0:1], 0
.LBB134_1645:
	s_andn2_b64 vcc, exec, s[0:1]
	s_cbranch_vccnz .LBB134_1651
; %bb.1646:
	s_cmp_gt_i32 s15, 0
	s_cbranch_scc0 .LBB134_1648
; %bb.1647:
	global_load_sbyte v3, v[0:1], off
	s_movk_i32 s0, 0x7fff
	s_waitcnt vmcnt(0)
	v_cvt_f32_i32_e32 v3, v3
	v_bfe_u32 v4, v3, 16, 1
	v_add3_u32 v3, v3, v4, s0
	v_lshrrev_b32_e32 v3, 16, v3
	s_mov_b64 s[0:1], 0
	s_branch .LBB134_1649
.LBB134_1648:
	s_mov_b64 s[0:1], -1
                                        ; implicit-def: $vgpr3
.LBB134_1649:
	s_andn2_b64 vcc, exec, s[0:1]
	s_cbranch_vccnz .LBB134_1651
; %bb.1650:
	global_load_ubyte v0, v[0:1], off
	s_movk_i32 s0, 0x7fff
	s_waitcnt vmcnt(0)
	v_cvt_f32_ubyte0_e32 v0, v0
	v_bfe_u32 v1, v0, 16, 1
	v_add3_u32 v0, v0, v1, s0
	v_lshrrev_b32_e32 v3, 16, v0
.LBB134_1651:
	s_mov_b64 s[24:25], -1
.LBB134_1652:
	s_andn2_b64 vcc, exec, s[24:25]
	s_cbranch_vccnz .LBB134_1657
; %bb.1653:
	s_waitcnt vmcnt(0)
	v_lshlrev_b32_e32 v0, 16, v3
	s_cmp_lt_i32 s14, 1
	s_mov_b64 s[0:1], 0
	s_cbranch_scc1 .LBB134_1703
; %bb.1654:
	s_cmp_gt_i32 s14, 1
	s_cbranch_scc0 .LBB134_1704
; %bb.1655:
	s_cmp_eq_u32 s14, 2
	s_cbranch_scc0 .LBB134_1705
; %bb.1656:
	v_cmp_ge_f32_e64 s[24:25], s2, v0
	s_mov_b64 s[10:11], 0
	s_branch .LBB134_1706
.LBB134_1657:
	s_mov_b64 s[0:1], 0
                                        ; implicit-def: $sgpr24_sgpr25
.LBB134_1658:
	s_mov_b64 s[2:3], 0
                                        ; implicit-def: $sgpr28
                                        ; implicit-def: $vgpr0_vgpr1
.LBB134_1659:
	s_and_b64 s[4:5], s[2:3], exec
	s_andn2_b64 s[2:3], s[16:17], exec
	s_and_b64 s[8:9], s[18:19], exec
	s_and_b64 s[0:1], s[0:1], exec
	s_or_b64 s[16:17], s[2:3], s[8:9]
.LBB134_1660:
	s_or_b64 exec, exec, s[6:7]
	s_and_saveexec_b64 s[2:3], s[16:17]
	s_cbranch_execz .LBB134_1663
; %bb.1661:
	; divergent unreachable
	s_or_b64 exec, exec, s[2:3]
	s_and_saveexec_b64 s[2:3], s[4:5]
	s_xor_b64 s[2:3], exec, s[2:3]
	s_cbranch_execnz .LBB134_1664
.LBB134_1662:
	s_or_b64 exec, exec, s[2:3]
	s_and_saveexec_b64 s[2:3], s[0:1]
	s_cbranch_execnz .LBB134_1665
	s_branch .LBB134_1702
.LBB134_1663:
	s_or_b64 exec, exec, s[2:3]
	s_and_saveexec_b64 s[2:3], s[4:5]
	s_xor_b64 s[2:3], exec, s[2:3]
	s_cbranch_execz .LBB134_1662
.LBB134_1664:
	v_cndmask_b32_e64 v2, 0, 1, s[24:25]
	global_store_byte v[0:1], v2, off
	s_or_b64 exec, exec, s[2:3]
	s_and_saveexec_b64 s[2:3], s[0:1]
	s_cbranch_execz .LBB134_1702
.LBB134_1665:
	s_sext_i32_i16 s2, s28
	s_cmp_lt_i32 s2, 5
	s_mov_b64 s[0:1], -1
	s_cbranch_scc1 .LBB134_1686
; %bb.1666:
	s_cmp_lt_i32 s2, 8
	s_cbranch_scc1 .LBB134_1676
; %bb.1667:
	s_cmp_lt_i32 s2, 9
	s_cbranch_scc1 .LBB134_1673
; %bb.1668:
	s_cmp_gt_i32 s2, 9
	s_cbranch_scc0 .LBB134_1670
; %bb.1669:
	v_cndmask_b32_e64 v2, 0, 1, s[24:25]
	s_waitcnt vmcnt(0)
	v_cvt_f64_u32_e32 v[2:3], v2
	v_mov_b32_e32 v4, 0
	v_mov_b32_e32 v5, v4
	s_mov_b64 s[0:1], 0
	global_store_dwordx4 v[0:1], v[2:5], off
.LBB134_1670:
	s_andn2_b64 vcc, exec, s[0:1]
	s_cbranch_vccnz .LBB134_1672
; %bb.1671:
	v_cndmask_b32_e64 v2, 0, 1.0, s[24:25]
	s_waitcnt vmcnt(0)
	v_mov_b32_e32 v3, 0
	global_store_dwordx2 v[0:1], v[2:3], off
.LBB134_1672:
	s_mov_b64 s[0:1], 0
.LBB134_1673:
	s_andn2_b64 vcc, exec, s[0:1]
	s_cbranch_vccnz .LBB134_1675
; %bb.1674:
	v_cndmask_b32_e64 v2, 0, 1.0, s[24:25]
	v_cvt_f16_f32_e32 v2, v2
	global_store_dword v[0:1], v2, off
.LBB134_1675:
	s_mov_b64 s[0:1], 0
.LBB134_1676:
	s_andn2_b64 vcc, exec, s[0:1]
	s_cbranch_vccnz .LBB134_1685
; %bb.1677:
	s_sext_i32_i16 s2, s28
	s_cmp_lt_i32 s2, 6
	s_mov_b64 s[0:1], -1
	s_cbranch_scc1 .LBB134_1683
; %bb.1678:
	s_cmp_gt_i32 s2, 6
	s_cbranch_scc0 .LBB134_1680
; %bb.1679:
	v_cndmask_b32_e64 v2, 0, 1, s[24:25]
	s_waitcnt vmcnt(0)
	v_cvt_f64_u32_e32 v[2:3], v2
	s_mov_b64 s[0:1], 0
	global_store_dwordx2 v[0:1], v[2:3], off
.LBB134_1680:
	s_andn2_b64 vcc, exec, s[0:1]
	s_cbranch_vccnz .LBB134_1682
; %bb.1681:
	v_cndmask_b32_e64 v2, 0, 1.0, s[24:25]
	global_store_dword v[0:1], v2, off
.LBB134_1682:
	s_mov_b64 s[0:1], 0
.LBB134_1683:
	s_andn2_b64 vcc, exec, s[0:1]
	s_cbranch_vccnz .LBB134_1685
; %bb.1684:
	v_cndmask_b32_e64 v2, 0, 1.0, s[24:25]
	v_cvt_f16_f32_e32 v2, v2
	global_store_short v[0:1], v2, off
.LBB134_1685:
	s_mov_b64 s[0:1], 0
.LBB134_1686:
	s_andn2_b64 vcc, exec, s[0:1]
	s_cbranch_vccnz .LBB134_1702
; %bb.1687:
	s_sext_i32_i16 s2, s28
	s_cmp_lt_i32 s2, 2
	s_mov_b64 s[0:1], -1
	s_cbranch_scc1 .LBB134_1697
; %bb.1688:
	s_cmp_lt_i32 s2, 3
	s_cbranch_scc1 .LBB134_1694
; %bb.1689:
	s_cmp_gt_i32 s2, 3
	s_cbranch_scc0 .LBB134_1691
; %bb.1690:
	s_mov_b32 s0, 0
	v_cndmask_b32_e64 v2, 0, 1, s[24:25]
	s_waitcnt vmcnt(0)
	v_mov_b32_e32 v3, s0
	global_store_dwordx2 v[0:1], v[2:3], off
	s_mov_b64 s[0:1], 0
.LBB134_1691:
	s_andn2_b64 vcc, exec, s[0:1]
	s_cbranch_vccnz .LBB134_1693
; %bb.1692:
	v_cndmask_b32_e64 v2, 0, 1, s[24:25]
	global_store_dword v[0:1], v2, off
.LBB134_1693:
	s_mov_b64 s[0:1], 0
.LBB134_1694:
	s_andn2_b64 vcc, exec, s[0:1]
	s_cbranch_vccnz .LBB134_1696
; %bb.1695:
	v_cndmask_b32_e64 v2, 0, 1, s[24:25]
	global_store_short v[0:1], v2, off
.LBB134_1696:
	s_mov_b64 s[0:1], 0
.LBB134_1697:
	s_andn2_b64 vcc, exec, s[0:1]
	s_cbranch_vccnz .LBB134_1702
; %bb.1698:
	s_sext_i32_i16 s2, s28
	s_mov_b64 s[0:1], -1
	s_cmp_gt_i32 s2, 0
	v_cndmask_b32_e64 v2, 0, 1, s[24:25]
	s_cbranch_scc0 .LBB134_1700
; %bb.1699:
	global_store_byte v[0:1], v2, off
	s_mov_b64 s[0:1], 0
.LBB134_1700:
	s_andn2_b64 vcc, exec, s[0:1]
	s_cbranch_vccnz .LBB134_1702
; %bb.1701:
	global_store_byte v[0:1], v2, off
	s_endpgm
.LBB134_1702:
	s_endpgm
.LBB134_1703:
	s_mov_b64 s[26:27], -1
                                        ; implicit-def: $sgpr24_sgpr25
	s_mov_b64 s[10:11], 0
	s_branch .LBB134_1710
.LBB134_1704:
	s_mov_b64 s[26:27], -1
	s_mov_b64 s[10:11], 0
                                        ; implicit-def: $sgpr24_sgpr25
	s_branch .LBB134_1707
.LBB134_1705:
	s_mov_b64 s[10:11], -1
                                        ; implicit-def: $sgpr24_sgpr25
.LBB134_1706:
	s_mov_b64 s[26:27], 0
.LBB134_1707:
	s_and_b64 vcc, exec, s[26:27]
	s_cbranch_vccz .LBB134_1709
; %bb.1708:
	v_cmp_lt_f32_e32 vcc, s2, v0
	s_andn2_b64 s[24:25], s[24:25], exec
	s_and_b64 s[26:27], vcc, exec
	s_or_b64 s[24:25], s[24:25], s[26:27]
.LBB134_1709:
	s_mov_b64 s[26:27], 0
.LBB134_1710:
	s_and_b64 vcc, exec, s[26:27]
	s_cbranch_vccz .LBB134_1792
; %bb.1711:
	s_cmp_lg_u32 s14, 0
	s_mov_b64 s[0:1], -1
	s_cselect_b64 s[10:11], -1, 0
	s_andn2_b64 vcc, exec, s[10:11]
	s_cbranch_vccz .LBB134_1793
.LBB134_1712:
	s_andn2_b64 vcc, exec, s[0:1]
	s_cbranch_vccnz .LBB134_1714
.LBB134_1713:
	v_cmp_le_f32_e32 vcc, s2, v0
	s_andn2_b64 s[0:1], s[24:25], exec
	s_and_b64 s[10:11], vcc, exec
	s_or_b64 s[24:25], s[0:1], s[10:11]
.LBB134_1714:
	v_mul_lo_u32 v2, s12, v2
	v_mov_b32_e32 v1, s9
	s_and_b32 s28, s3, 0xff
	s_cmp_lt_i32 s28, 11
	v_ashrrev_i32_e32 v3, 31, v2
	v_add_co_u32_e32 v0, vcc, s8, v2
	v_addc_co_u32_e32 v1, vcc, v1, v3, vcc
	s_cbranch_scc1 .LBB134_1794
; %bb.1715:
	s_and_b32 s13, 0xffff, s28
	s_mov_b64 s[14:15], -1
	s_mov_b64 s[2:3], 0
	s_cmp_gt_i32 s13, 25
	s_mov_b64 s[10:11], 0
	s_mov_b64 s[0:1], 0
	s_cbranch_scc0 .LBB134_1748
; %bb.1716:
	s_cmp_gt_i32 s13, 28
	s_cbranch_scc0 .LBB134_1731
; %bb.1717:
	s_cmp_gt_i32 s13, 43
	;; [unrolled: 3-line block ×3, first 2 shown]
	s_cbranch_scc0 .LBB134_1721
; %bb.1719:
	s_mov_b64 s[0:1], -1
	s_mov_b64 s[14:15], 0
	s_cmp_eq_u32 s13, 46
	s_cbranch_scc0 .LBB134_1721
; %bb.1720:
	v_cndmask_b32_e64 v3, 0, 1.0, s[4:5]
	v_bfe_u32 v4, v3, 16, 1
	s_movk_i32 s0, 0x7fff
	v_add3_u32 v3, v3, v4, s0
	v_lshrrev_b32_e32 v3, 16, v3
	global_store_dword v[0:1], v3, off
	s_mov_b64 s[0:1], 0
	s_mov_b64 s[10:11], -1
.LBB134_1721:
	s_and_b64 vcc, exec, s[14:15]
	s_cbranch_vccz .LBB134_1726
; %bb.1722:
	s_cmp_eq_u32 s13, 44
	s_mov_b64 s[0:1], -1
	s_cbranch_scc0 .LBB134_1726
; %bb.1723:
	v_cndmask_b32_e64 v4, 0, 1.0, s[4:5]
	v_lshrrev_b32_e32 v3, 23, v4
	s_movk_i32 s0, 0xff
	v_cmp_ne_u32_e32 vcc, s0, v3
	v_mov_b32_e32 v5, 0xff
	s_and_saveexec_b64 s[10:11], vcc
; %bb.1724:
	s_mov_b32 s0, 0x3fffff
	v_and_b32_e32 v5, 0x400000, v4
	v_and_or_b32 v4, v4, s0, v3
	v_cmp_ne_u32_e32 vcc, 0, v5
	v_cmp_ne_u32_e64 s[0:1], 0, v4
	s_and_b64 s[0:1], vcc, s[0:1]
	v_cndmask_b32_e64 v4, 0, 1, s[0:1]
	v_add_u32_e32 v5, v3, v4
; %bb.1725:
	s_or_b64 exec, exec, s[10:11]
	s_mov_b64 s[0:1], 0
	s_mov_b64 s[10:11], -1
	global_store_byte v[0:1], v5, off
.LBB134_1726:
	s_mov_b64 s[14:15], 0
.LBB134_1727:
	s_and_b64 vcc, exec, s[14:15]
	s_cbranch_vccz .LBB134_1730
; %bb.1728:
	s_cmp_eq_u32 s13, 29
	s_mov_b64 s[0:1], -1
	s_cbranch_scc0 .LBB134_1730
; %bb.1729:
	s_mov_b32 s0, 0
	v_cndmask_b32_e64 v3, 0, 1, s[4:5]
	v_mov_b32_e32 v4, s0
	global_store_dwordx2 v[0:1], v[3:4], off
	s_mov_b64 s[0:1], 0
	s_mov_b64 s[10:11], -1
.LBB134_1730:
	s_mov_b64 s[14:15], 0
.LBB134_1731:
	s_and_b64 vcc, exec, s[14:15]
	s_cbranch_vccz .LBB134_1747
; %bb.1732:
	s_cmp_lt_i32 s13, 27
	s_mov_b64 s[10:11], -1
	s_cbranch_scc1 .LBB134_1738
; %bb.1733:
	s_cmp_gt_i32 s13, 27
	s_cbranch_scc0 .LBB134_1735
; %bb.1734:
	v_cndmask_b32_e64 v3, 0, 1, s[4:5]
	s_mov_b64 s[10:11], 0
	global_store_dword v[0:1], v3, off
.LBB134_1735:
	s_andn2_b64 vcc, exec, s[10:11]
	s_cbranch_vccnz .LBB134_1737
; %bb.1736:
	v_cndmask_b32_e64 v3, 0, 1, s[4:5]
	global_store_short v[0:1], v3, off
.LBB134_1737:
	s_mov_b64 s[10:11], 0
.LBB134_1738:
	s_andn2_b64 vcc, exec, s[10:11]
	s_cbranch_vccnz .LBB134_1746
; %bb.1739:
	v_cndmask_b32_e64 v4, 0, 1.0, s[4:5]
	s_mov_b32 s10, 0x43800000
	v_cmp_gt_u32_e32 vcc, s10, v4
	v_mov_b32_e32 v5, 0x80
	s_and_saveexec_b64 s[10:11], vcc
	s_cbranch_execz .LBB134_1745
; %bb.1740:
	s_mov_b32 s14, 0x3bffffff
	v_cmp_lt_u32_e32 vcc, s14, v4
	s_mov_b64 s[14:15], 0
                                        ; implicit-def: $vgpr3
	s_and_saveexec_b64 s[26:27], vcc
	s_xor_b64 s[26:27], exec, s[26:27]
	s_cbranch_execz .LBB134_2152
; %bb.1741:
	v_bfe_u32 v3, v4, 20, 1
	s_mov_b32 s29, 0x487ffff
	v_add3_u32 v3, v4, v3, s29
	s_mov_b64 s[14:15], exec
	v_lshrrev_b32_e32 v3, 20, v3
                                        ; implicit-def: $vgpr4
	s_andn2_saveexec_b64 s[26:27], s[26:27]
	s_cbranch_execnz .LBB134_2153
.LBB134_1742:
	s_or_b64 exec, exec, s[26:27]
	v_mov_b32_e32 v5, 0
	s_and_saveexec_b64 s[26:27], s[14:15]
.LBB134_1743:
	v_mov_b32_e32 v5, v3
.LBB134_1744:
	s_or_b64 exec, exec, s[26:27]
.LBB134_1745:
	s_or_b64 exec, exec, s[10:11]
	global_store_byte v[0:1], v5, off
.LBB134_1746:
	s_mov_b64 s[10:11], -1
.LBB134_1747:
	s_mov_b64 s[14:15], 0
.LBB134_1748:
	s_and_b64 vcc, exec, s[14:15]
	s_cbranch_vccz .LBB134_1788
; %bb.1749:
	s_cmp_gt_i32 s13, 22
	s_mov_b64 s[2:3], -1
	s_cbranch_scc0 .LBB134_1781
; %bb.1750:
	s_cmp_lt_i32 s13, 24
	s_cbranch_scc1 .LBB134_1770
; %bb.1751:
	s_cmp_gt_i32 s13, 24
	s_cbranch_scc0 .LBB134_1759
; %bb.1752:
	v_cndmask_b32_e64 v4, 0, 1.0, s[4:5]
	s_mov_b32 s2, 0x47800000
	v_cmp_gt_u32_e32 vcc, s2, v4
	v_mov_b32_e32 v5, 0x80
	s_and_saveexec_b64 s[2:3], vcc
	s_cbranch_execz .LBB134_1758
; %bb.1753:
	s_mov_b32 s10, 0x37ffffff
	v_cmp_lt_u32_e32 vcc, s10, v4
	s_mov_b64 s[10:11], 0
                                        ; implicit-def: $vgpr3
	s_and_saveexec_b64 s[14:15], vcc
	s_xor_b64 s[14:15], exec, s[14:15]
	s_cbranch_execz .LBB134_2155
; %bb.1754:
	v_bfe_u32 v3, v4, 21, 1
	s_mov_b32 s26, 0x88fffff
	v_add3_u32 v3, v4, v3, s26
	s_mov_b64 s[10:11], exec
	v_lshrrev_b32_e32 v3, 21, v3
                                        ; implicit-def: $vgpr4
	s_andn2_saveexec_b64 s[14:15], s[14:15]
	s_cbranch_execnz .LBB134_2156
.LBB134_1755:
	s_or_b64 exec, exec, s[14:15]
	v_mov_b32_e32 v5, 0
	s_and_saveexec_b64 s[14:15], s[10:11]
.LBB134_1756:
	v_mov_b32_e32 v5, v3
.LBB134_1757:
	s_or_b64 exec, exec, s[14:15]
.LBB134_1758:
	s_or_b64 exec, exec, s[2:3]
	s_mov_b64 s[2:3], 0
	global_store_byte v[0:1], v5, off
.LBB134_1759:
	s_and_b64 vcc, exec, s[2:3]
	s_cbranch_vccz .LBB134_1769
; %bb.1760:
	v_cndmask_b32_e64 v3, 0, 1.0, s[4:5]
	s_mov_b32 s2, 0x43f00000
	v_cmp_gt_u32_e32 vcc, s2, v3
                                        ; implicit-def: $vgpr4
	s_and_saveexec_b64 s[2:3], vcc
	s_xor_b64 s[2:3], exec, s[2:3]
	s_cbranch_execz .LBB134_1766
; %bb.1761:
	s_mov_b32 s10, 0x3c7fffff
	v_cmp_lt_u32_e32 vcc, s10, v3
                                        ; implicit-def: $vgpr4
	s_and_saveexec_b64 s[10:11], vcc
	s_xor_b64 s[10:11], exec, s[10:11]
; %bb.1762:
	v_bfe_u32 v4, v3, 20, 1
	s_mov_b32 s14, 0x407ffff
	v_add3_u32 v3, v3, v4, s14
	v_lshrrev_b32_e32 v4, 20, v3
	v_and_b32_e32 v3, 0xff00000, v3
	s_mov_b32 s14, 0x7f00000
	v_mov_b32_e32 v5, 0x7e
	v_cmp_ne_u32_e32 vcc, s14, v3
	v_cndmask_b32_e32 v4, v5, v4, vcc
                                        ; implicit-def: $vgpr3
; %bb.1763:
	s_andn2_saveexec_b64 s[10:11], s[10:11]
; %bb.1764:
	v_add_f32_e32 v4, 0x46800000, v3
; %bb.1765:
	s_or_b64 exec, exec, s[10:11]
                                        ; implicit-def: $vgpr3
.LBB134_1766:
	s_andn2_saveexec_b64 s[2:3], s[2:3]
; %bb.1767:
	s_mov_b32 s10, 0x7f800000
	v_mov_b32_e32 v4, 0x7e
	v_mov_b32_e32 v5, 0x7f
	v_cmp_lt_u32_e32 vcc, s10, v3
	v_cndmask_b32_e32 v4, v4, v5, vcc
; %bb.1768:
	s_or_b64 exec, exec, s[2:3]
	global_store_byte v[0:1], v4, off
.LBB134_1769:
	s_mov_b64 s[2:3], 0
.LBB134_1770:
	s_andn2_b64 vcc, exec, s[2:3]
	s_cbranch_vccnz .LBB134_1780
; %bb.1771:
	v_cndmask_b32_e64 v3, 0, 1.0, s[4:5]
	s_mov_b32 s2, 0x47800000
	v_cmp_gt_u32_e32 vcc, s2, v3
                                        ; implicit-def: $vgpr4
	s_and_saveexec_b64 s[2:3], vcc
	s_xor_b64 s[2:3], exec, s[2:3]
	s_cbranch_execz .LBB134_1777
; %bb.1772:
	s_mov_b32 s10, 0x387fffff
	v_cmp_lt_u32_e32 vcc, s10, v3
                                        ; implicit-def: $vgpr4
	s_and_saveexec_b64 s[10:11], vcc
	s_xor_b64 s[10:11], exec, s[10:11]
; %bb.1773:
	v_bfe_u32 v4, v3, 21, 1
	s_mov_b32 s14, 0x80fffff
	v_add3_u32 v3, v3, v4, s14
	v_lshrrev_b32_e32 v4, 21, v3
                                        ; implicit-def: $vgpr3
; %bb.1774:
	s_andn2_saveexec_b64 s[10:11], s[10:11]
; %bb.1775:
	v_add_f32_e32 v4, 0x43000000, v3
; %bb.1776:
	s_or_b64 exec, exec, s[10:11]
                                        ; implicit-def: $vgpr3
.LBB134_1777:
	s_andn2_saveexec_b64 s[2:3], s[2:3]
; %bb.1778:
	s_mov_b32 s10, 0x7f800000
	v_mov_b32_e32 v4, 0x7c
	v_mov_b32_e32 v5, 0x7f
	v_cmp_lt_u32_e32 vcc, s10, v3
	v_cndmask_b32_e32 v4, v4, v5, vcc
; %bb.1779:
	s_or_b64 exec, exec, s[2:3]
	global_store_byte v[0:1], v4, off
.LBB134_1780:
	s_mov_b64 s[2:3], 0
	s_mov_b64 s[10:11], -1
.LBB134_1781:
	s_andn2_b64 vcc, exec, s[2:3]
	s_mov_b64 s[2:3], 0
	s_cbranch_vccnz .LBB134_1788
; %bb.1782:
	s_cmp_gt_i32 s13, 14
	s_mov_b64 s[14:15], -1
	s_cbranch_scc0 .LBB134_1786
; %bb.1783:
	s_cmp_eq_u32 s13, 15
	s_mov_b64 s[0:1], -1
	s_cbranch_scc0 .LBB134_1785
; %bb.1784:
	v_cndmask_b32_e64 v3, 0, 1.0, s[4:5]
	v_bfe_u32 v4, v3, 16, 1
	s_movk_i32 s0, 0x7fff
	v_add3_u32 v3, v3, v4, s0
	global_store_short_d16_hi v[0:1], v3, off
	s_mov_b64 s[0:1], 0
	s_mov_b64 s[10:11], -1
.LBB134_1785:
	s_mov_b64 s[14:15], 0
.LBB134_1786:
	s_and_b64 vcc, exec, s[14:15]
	s_cbranch_vccz .LBB134_1788
; %bb.1787:
	s_cmp_lg_u32 s13, 11
	s_mov_b64 s[2:3], -1
	s_cselect_b64 s[0:1], -1, 0
.LBB134_1788:
	s_and_b64 vcc, exec, s[0:1]
	s_cbranch_vccnz .LBB134_2154
; %bb.1789:
	s_andn2_b64 vcc, exec, s[2:3]
	s_cbranch_vccnz .LBB134_1791
.LBB134_1790:
	v_cndmask_b32_e64 v3, 0, 1, s[4:5]
	s_mov_b64 s[10:11], -1
	global_store_byte v[0:1], v3, off
.LBB134_1791:
	s_mov_b64 s[0:1], 0
	s_branch .LBB134_1795
.LBB134_1792:
	s_andn2_b64 vcc, exec, s[10:11]
	s_cbranch_vccnz .LBB134_1712
.LBB134_1793:
	v_cmp_gt_f32_e32 vcc, s2, v0
	s_andn2_b64 s[10:11], s[24:25], exec
	s_and_b64 s[14:15], vcc, exec
	s_or_b64 s[24:25], s[10:11], s[14:15]
	s_cbranch_execz .LBB134_1713
	s_branch .LBB134_1714
.LBB134_1794:
	s_mov_b64 s[0:1], -1
	s_mov_b64 s[10:11], 0
.LBB134_1795:
	s_and_b64 vcc, exec, s[0:1]
	s_cbranch_vccz .LBB134_1834
; %bb.1796:
	s_and_b32 s2, 0xffff, s28
	s_cmp_lt_i32 s2, 5
	s_mov_b64 s[0:1], -1
	s_cbranch_scc1 .LBB134_1817
; %bb.1797:
	s_cmp_lt_i32 s2, 8
	s_cbranch_scc1 .LBB134_1807
; %bb.1798:
	s_cmp_lt_i32 s2, 9
	s_cbranch_scc1 .LBB134_1804
; %bb.1799:
	s_cmp_gt_i32 s2, 9
	s_cbranch_scc0 .LBB134_1801
; %bb.1800:
	v_cndmask_b32_e64 v3, 0, 1, s[4:5]
	v_cvt_f64_u32_e32 v[3:4], v3
	v_mov_b32_e32 v5, 0
	v_mov_b32_e32 v6, v5
	s_mov_b64 s[0:1], 0
	global_store_dwordx4 v[0:1], v[3:6], off
.LBB134_1801:
	s_andn2_b64 vcc, exec, s[0:1]
	s_cbranch_vccnz .LBB134_1803
; %bb.1802:
	v_cndmask_b32_e64 v3, 0, 1.0, s[4:5]
	v_mov_b32_e32 v4, 0
	global_store_dwordx2 v[0:1], v[3:4], off
.LBB134_1803:
	s_mov_b64 s[0:1], 0
.LBB134_1804:
	s_andn2_b64 vcc, exec, s[0:1]
	s_cbranch_vccnz .LBB134_1806
; %bb.1805:
	v_cndmask_b32_e64 v3, 0, 1.0, s[4:5]
	v_cvt_f16_f32_e32 v3, v3
	global_store_dword v[0:1], v3, off
.LBB134_1806:
	s_mov_b64 s[0:1], 0
.LBB134_1807:
	s_andn2_b64 vcc, exec, s[0:1]
	s_cbranch_vccnz .LBB134_1816
; %bb.1808:
	s_cmp_lt_i32 s2, 6
	s_mov_b64 s[0:1], -1
	s_cbranch_scc1 .LBB134_1814
; %bb.1809:
	s_cmp_gt_i32 s2, 6
	s_cbranch_scc0 .LBB134_1811
; %bb.1810:
	v_cndmask_b32_e64 v3, 0, 1, s[4:5]
	v_cvt_f64_u32_e32 v[3:4], v3
	s_mov_b64 s[0:1], 0
	global_store_dwordx2 v[0:1], v[3:4], off
.LBB134_1811:
	s_andn2_b64 vcc, exec, s[0:1]
	s_cbranch_vccnz .LBB134_1813
; %bb.1812:
	v_cndmask_b32_e64 v3, 0, 1.0, s[4:5]
	global_store_dword v[0:1], v3, off
.LBB134_1813:
	s_mov_b64 s[0:1], 0
.LBB134_1814:
	s_andn2_b64 vcc, exec, s[0:1]
	s_cbranch_vccnz .LBB134_1816
; %bb.1815:
	v_cndmask_b32_e64 v3, 0, 1.0, s[4:5]
	v_cvt_f16_f32_e32 v3, v3
	global_store_short v[0:1], v3, off
.LBB134_1816:
	s_mov_b64 s[0:1], 0
.LBB134_1817:
	s_andn2_b64 vcc, exec, s[0:1]
	s_cbranch_vccnz .LBB134_1833
; %bb.1818:
	s_cmp_lt_i32 s2, 2
	s_mov_b64 s[0:1], -1
	s_cbranch_scc1 .LBB134_1828
; %bb.1819:
	s_cmp_lt_i32 s2, 3
	s_cbranch_scc1 .LBB134_1825
; %bb.1820:
	s_cmp_gt_i32 s2, 3
	s_cbranch_scc0 .LBB134_1822
; %bb.1821:
	s_mov_b32 s0, 0
	v_cndmask_b32_e64 v3, 0, 1, s[4:5]
	v_mov_b32_e32 v4, s0
	global_store_dwordx2 v[0:1], v[3:4], off
	s_mov_b64 s[0:1], 0
.LBB134_1822:
	s_andn2_b64 vcc, exec, s[0:1]
	s_cbranch_vccnz .LBB134_1824
; %bb.1823:
	v_cndmask_b32_e64 v3, 0, 1, s[4:5]
	global_store_dword v[0:1], v3, off
.LBB134_1824:
	s_mov_b64 s[0:1], 0
.LBB134_1825:
	s_andn2_b64 vcc, exec, s[0:1]
	s_cbranch_vccnz .LBB134_1827
; %bb.1826:
	v_cndmask_b32_e64 v3, 0, 1, s[4:5]
	global_store_short v[0:1], v3, off
.LBB134_1827:
	s_mov_b64 s[0:1], 0
.LBB134_1828:
	s_andn2_b64 vcc, exec, s[0:1]
	s_cbranch_vccnz .LBB134_1833
; %bb.1829:
	s_mov_b64 s[0:1], -1
	s_cmp_gt_i32 s2, 0
	v_cndmask_b32_e64 v3, 0, 1, s[4:5]
	s_cbranch_scc0 .LBB134_1831
; %bb.1830:
	global_store_byte v[0:1], v3, off
	s_mov_b64 s[0:1], 0
.LBB134_1831:
	s_andn2_b64 vcc, exec, s[0:1]
	s_cbranch_vccnz .LBB134_1833
; %bb.1832:
	global_store_byte v[0:1], v3, off
.LBB134_1833:
	s_mov_b64 s[10:11], -1
.LBB134_1834:
	s_andn2_b64 vcc, exec, s[10:11]
	s_cbranch_vccnz .LBB134_2149
; %bb.1835:
	s_lshl_b32 s14, s12, 7
	v_add_u32_e32 v2, s14, v2
	v_ashrrev_i32_e32 v1, 31, v2
	v_mov_b32_e32 v3, s9
	v_add_co_u32_e32 v0, vcc, s8, v2
	s_cmp_lt_i32 s28, 11
	v_addc_co_u32_e32 v1, vcc, v3, v1, vcc
	s_cbranch_scc1 .LBB134_1913
; %bb.1836:
	s_and_b32 s15, 0xffff, s28
	s_mov_b64 s[10:11], -1
	s_mov_b64 s[2:3], 0
	s_cmp_gt_i32 s15, 25
	s_mov_b64 s[4:5], 0
	s_mov_b64 s[0:1], 0
	s_cbranch_scc0 .LBB134_1869
; %bb.1837:
	s_cmp_gt_i32 s15, 28
	s_cbranch_scc0 .LBB134_1852
; %bb.1838:
	s_cmp_gt_i32 s15, 43
	;; [unrolled: 3-line block ×3, first 2 shown]
	s_cbranch_scc0 .LBB134_1842
; %bb.1840:
	s_mov_b64 s[0:1], -1
	s_mov_b64 s[10:11], 0
	s_cmp_eq_u32 s15, 46
	s_cbranch_scc0 .LBB134_1842
; %bb.1841:
	v_cndmask_b32_e64 v3, 0, 1.0, s[20:21]
	v_bfe_u32 v4, v3, 16, 1
	s_movk_i32 s0, 0x7fff
	v_add3_u32 v3, v3, v4, s0
	v_lshrrev_b32_e32 v3, 16, v3
	global_store_dword v[0:1], v3, off
	s_mov_b64 s[0:1], 0
	s_mov_b64 s[4:5], -1
.LBB134_1842:
	s_and_b64 vcc, exec, s[10:11]
	s_cbranch_vccz .LBB134_1847
; %bb.1843:
	s_cmp_eq_u32 s15, 44
	s_mov_b64 s[0:1], -1
	s_cbranch_scc0 .LBB134_1847
; %bb.1844:
	v_cndmask_b32_e64 v4, 0, 1.0, s[20:21]
	v_lshrrev_b32_e32 v3, 23, v4
	s_movk_i32 s0, 0xff
	v_cmp_ne_u32_e32 vcc, s0, v3
	v_mov_b32_e32 v5, 0xff
	s_and_saveexec_b64 s[4:5], vcc
; %bb.1845:
	s_mov_b32 s0, 0x3fffff
	v_and_b32_e32 v5, 0x400000, v4
	v_and_or_b32 v4, v4, s0, v3
	v_cmp_ne_u32_e32 vcc, 0, v5
	v_cmp_ne_u32_e64 s[0:1], 0, v4
	s_and_b64 s[0:1], vcc, s[0:1]
	v_cndmask_b32_e64 v4, 0, 1, s[0:1]
	v_add_u32_e32 v5, v3, v4
; %bb.1846:
	s_or_b64 exec, exec, s[4:5]
	s_mov_b64 s[0:1], 0
	s_mov_b64 s[4:5], -1
	global_store_byte v[0:1], v5, off
.LBB134_1847:
	s_mov_b64 s[10:11], 0
.LBB134_1848:
	s_and_b64 vcc, exec, s[10:11]
	s_cbranch_vccz .LBB134_1851
; %bb.1849:
	s_cmp_eq_u32 s15, 29
	s_mov_b64 s[0:1], -1
	s_cbranch_scc0 .LBB134_1851
; %bb.1850:
	s_mov_b32 s0, 0
	v_cndmask_b32_e64 v3, 0, 1, s[20:21]
	v_mov_b32_e32 v4, s0
	global_store_dwordx2 v[0:1], v[3:4], off
	s_mov_b64 s[0:1], 0
	s_mov_b64 s[4:5], -1
.LBB134_1851:
	s_mov_b64 s[10:11], 0
.LBB134_1852:
	s_and_b64 vcc, exec, s[10:11]
	s_cbranch_vccz .LBB134_1868
; %bb.1853:
	s_cmp_lt_i32 s15, 27
	s_mov_b64 s[4:5], -1
	s_cbranch_scc1 .LBB134_1859
; %bb.1854:
	s_cmp_gt_i32 s15, 27
	s_cbranch_scc0 .LBB134_1856
; %bb.1855:
	v_cndmask_b32_e64 v3, 0, 1, s[20:21]
	s_mov_b64 s[4:5], 0
	global_store_dword v[0:1], v3, off
.LBB134_1856:
	s_andn2_b64 vcc, exec, s[4:5]
	s_cbranch_vccnz .LBB134_1858
; %bb.1857:
	v_cndmask_b32_e64 v3, 0, 1, s[20:21]
	global_store_short v[0:1], v3, off
.LBB134_1858:
	s_mov_b64 s[4:5], 0
.LBB134_1859:
	s_andn2_b64 vcc, exec, s[4:5]
	s_cbranch_vccnz .LBB134_1867
; %bb.1860:
	v_cndmask_b32_e64 v4, 0, 1.0, s[20:21]
	s_mov_b32 s4, 0x43800000
	v_cmp_gt_u32_e32 vcc, s4, v4
	v_mov_b32_e32 v5, 0x80
	s_and_saveexec_b64 s[4:5], vcc
	s_cbranch_execz .LBB134_1866
; %bb.1861:
	s_mov_b32 s10, 0x3bffffff
	v_cmp_lt_u32_e32 vcc, s10, v4
	s_mov_b64 s[10:11], 0
                                        ; implicit-def: $vgpr3
	s_and_saveexec_b64 s[12:13], vcc
	s_xor_b64 s[12:13], exec, s[12:13]
	s_cbranch_execz .LBB134_2157
; %bb.1862:
	v_bfe_u32 v3, v4, 20, 1
	s_mov_b32 s26, 0x487ffff
	v_add3_u32 v3, v4, v3, s26
	s_mov_b64 s[10:11], exec
	v_lshrrev_b32_e32 v3, 20, v3
                                        ; implicit-def: $vgpr4
	s_andn2_saveexec_b64 s[12:13], s[12:13]
	s_cbranch_execnz .LBB134_2158
.LBB134_1863:
	s_or_b64 exec, exec, s[12:13]
	v_mov_b32_e32 v5, 0
	s_and_saveexec_b64 s[12:13], s[10:11]
.LBB134_1864:
	v_mov_b32_e32 v5, v3
.LBB134_1865:
	s_or_b64 exec, exec, s[12:13]
.LBB134_1866:
	s_or_b64 exec, exec, s[4:5]
	global_store_byte v[0:1], v5, off
.LBB134_1867:
	s_mov_b64 s[4:5], -1
.LBB134_1868:
	s_mov_b64 s[10:11], 0
.LBB134_1869:
	s_and_b64 vcc, exec, s[10:11]
	s_cbranch_vccz .LBB134_1909
; %bb.1870:
	s_cmp_gt_i32 s15, 22
	s_mov_b64 s[2:3], -1
	s_cbranch_scc0 .LBB134_1902
; %bb.1871:
	s_cmp_lt_i32 s15, 24
	s_cbranch_scc1 .LBB134_1891
; %bb.1872:
	s_cmp_gt_i32 s15, 24
	s_cbranch_scc0 .LBB134_1880
; %bb.1873:
	v_cndmask_b32_e64 v4, 0, 1.0, s[20:21]
	s_mov_b32 s2, 0x47800000
	v_cmp_gt_u32_e32 vcc, s2, v4
	v_mov_b32_e32 v5, 0x80
	s_and_saveexec_b64 s[2:3], vcc
	s_cbranch_execz .LBB134_1879
; %bb.1874:
	s_mov_b32 s4, 0x37ffffff
	v_cmp_lt_u32_e32 vcc, s4, v4
	s_mov_b64 s[4:5], 0
                                        ; implicit-def: $vgpr3
	s_and_saveexec_b64 s[10:11], vcc
	s_xor_b64 s[10:11], exec, s[10:11]
	s_cbranch_execz .LBB134_2160
; %bb.1875:
	v_bfe_u32 v3, v4, 21, 1
	s_mov_b32 s12, 0x88fffff
	v_add3_u32 v3, v4, v3, s12
	s_mov_b64 s[4:5], exec
	v_lshrrev_b32_e32 v3, 21, v3
                                        ; implicit-def: $vgpr4
	s_andn2_saveexec_b64 s[10:11], s[10:11]
	s_cbranch_execnz .LBB134_2161
.LBB134_1876:
	s_or_b64 exec, exec, s[10:11]
	v_mov_b32_e32 v5, 0
	s_and_saveexec_b64 s[10:11], s[4:5]
.LBB134_1877:
	v_mov_b32_e32 v5, v3
.LBB134_1878:
	s_or_b64 exec, exec, s[10:11]
.LBB134_1879:
	s_or_b64 exec, exec, s[2:3]
	s_mov_b64 s[2:3], 0
	global_store_byte v[0:1], v5, off
.LBB134_1880:
	s_and_b64 vcc, exec, s[2:3]
	s_cbranch_vccz .LBB134_1890
; %bb.1881:
	v_cndmask_b32_e64 v3, 0, 1.0, s[20:21]
	s_mov_b32 s2, 0x43f00000
	v_cmp_gt_u32_e32 vcc, s2, v3
                                        ; implicit-def: $vgpr4
	s_and_saveexec_b64 s[2:3], vcc
	s_xor_b64 s[2:3], exec, s[2:3]
	s_cbranch_execz .LBB134_1887
; %bb.1882:
	s_mov_b32 s4, 0x3c7fffff
	v_cmp_lt_u32_e32 vcc, s4, v3
                                        ; implicit-def: $vgpr4
	s_and_saveexec_b64 s[4:5], vcc
	s_xor_b64 s[4:5], exec, s[4:5]
; %bb.1883:
	v_bfe_u32 v4, v3, 20, 1
	s_mov_b32 s10, 0x407ffff
	v_add3_u32 v3, v3, v4, s10
	v_lshrrev_b32_e32 v4, 20, v3
	v_and_b32_e32 v3, 0xff00000, v3
	s_mov_b32 s10, 0x7f00000
	v_mov_b32_e32 v5, 0x7e
	v_cmp_ne_u32_e32 vcc, s10, v3
	v_cndmask_b32_e32 v4, v5, v4, vcc
                                        ; implicit-def: $vgpr3
; %bb.1884:
	s_andn2_saveexec_b64 s[4:5], s[4:5]
; %bb.1885:
	v_add_f32_e32 v4, 0x46800000, v3
; %bb.1886:
	s_or_b64 exec, exec, s[4:5]
                                        ; implicit-def: $vgpr3
.LBB134_1887:
	s_andn2_saveexec_b64 s[2:3], s[2:3]
; %bb.1888:
	s_mov_b32 s4, 0x7f800000
	v_mov_b32_e32 v4, 0x7e
	v_mov_b32_e32 v5, 0x7f
	v_cmp_lt_u32_e32 vcc, s4, v3
	v_cndmask_b32_e32 v4, v4, v5, vcc
; %bb.1889:
	s_or_b64 exec, exec, s[2:3]
	global_store_byte v[0:1], v4, off
.LBB134_1890:
	s_mov_b64 s[2:3], 0
.LBB134_1891:
	s_andn2_b64 vcc, exec, s[2:3]
	s_cbranch_vccnz .LBB134_1901
; %bb.1892:
	v_cndmask_b32_e64 v3, 0, 1.0, s[20:21]
	s_mov_b32 s2, 0x47800000
	v_cmp_gt_u32_e32 vcc, s2, v3
                                        ; implicit-def: $vgpr4
	s_and_saveexec_b64 s[2:3], vcc
	s_xor_b64 s[2:3], exec, s[2:3]
	s_cbranch_execz .LBB134_1898
; %bb.1893:
	s_mov_b32 s4, 0x387fffff
	v_cmp_lt_u32_e32 vcc, s4, v3
                                        ; implicit-def: $vgpr4
	s_and_saveexec_b64 s[4:5], vcc
	s_xor_b64 s[4:5], exec, s[4:5]
; %bb.1894:
	v_bfe_u32 v4, v3, 21, 1
	s_mov_b32 s10, 0x80fffff
	v_add3_u32 v3, v3, v4, s10
	v_lshrrev_b32_e32 v4, 21, v3
                                        ; implicit-def: $vgpr3
; %bb.1895:
	s_andn2_saveexec_b64 s[4:5], s[4:5]
; %bb.1896:
	v_add_f32_e32 v4, 0x43000000, v3
; %bb.1897:
	s_or_b64 exec, exec, s[4:5]
                                        ; implicit-def: $vgpr3
.LBB134_1898:
	s_andn2_saveexec_b64 s[2:3], s[2:3]
; %bb.1899:
	s_mov_b32 s4, 0x7f800000
	v_mov_b32_e32 v4, 0x7c
	v_mov_b32_e32 v5, 0x7f
	v_cmp_lt_u32_e32 vcc, s4, v3
	v_cndmask_b32_e32 v4, v4, v5, vcc
; %bb.1900:
	s_or_b64 exec, exec, s[2:3]
	global_store_byte v[0:1], v4, off
.LBB134_1901:
	s_mov_b64 s[2:3], 0
	s_mov_b64 s[4:5], -1
.LBB134_1902:
	s_andn2_b64 vcc, exec, s[2:3]
	s_mov_b64 s[2:3], 0
	s_cbranch_vccnz .LBB134_1909
; %bb.1903:
	s_cmp_gt_i32 s15, 14
	s_mov_b64 s[10:11], -1
	s_cbranch_scc0 .LBB134_1907
; %bb.1904:
	s_cmp_eq_u32 s15, 15
	s_mov_b64 s[0:1], -1
	s_cbranch_scc0 .LBB134_1906
; %bb.1905:
	v_cndmask_b32_e64 v3, 0, 1.0, s[20:21]
	v_bfe_u32 v4, v3, 16, 1
	s_movk_i32 s0, 0x7fff
	v_add3_u32 v3, v3, v4, s0
	global_store_short_d16_hi v[0:1], v3, off
	s_mov_b64 s[0:1], 0
	s_mov_b64 s[4:5], -1
.LBB134_1906:
	s_mov_b64 s[10:11], 0
.LBB134_1907:
	s_and_b64 vcc, exec, s[10:11]
	s_cbranch_vccz .LBB134_1909
; %bb.1908:
	s_cmp_lg_u32 s15, 11
	s_mov_b64 s[2:3], -1
	s_cselect_b64 s[0:1], -1, 0
.LBB134_1909:
	s_and_b64 vcc, exec, s[0:1]
	s_cbranch_vccnz .LBB134_2159
; %bb.1910:
	s_andn2_b64 vcc, exec, s[2:3]
	s_cbranch_vccnz .LBB134_1912
.LBB134_1911:
	v_cndmask_b32_e64 v3, 0, 1, s[20:21]
	s_mov_b64 s[4:5], -1
	global_store_byte v[0:1], v3, off
.LBB134_1912:
	s_mov_b64 s[0:1], 0
	s_branch .LBB134_1914
.LBB134_1913:
	s_mov_b64 s[0:1], -1
	s_mov_b64 s[4:5], 0
.LBB134_1914:
	s_and_b64 vcc, exec, s[0:1]
	s_cbranch_vccz .LBB134_1953
; %bb.1915:
	s_and_b32 s2, 0xffff, s28
	s_cmp_lt_i32 s2, 5
	s_mov_b64 s[0:1], -1
	s_cbranch_scc1 .LBB134_1936
; %bb.1916:
	s_cmp_lt_i32 s2, 8
	s_cbranch_scc1 .LBB134_1926
; %bb.1917:
	s_cmp_lt_i32 s2, 9
	s_cbranch_scc1 .LBB134_1923
; %bb.1918:
	s_cmp_gt_i32 s2, 9
	s_cbranch_scc0 .LBB134_1920
; %bb.1919:
	v_cndmask_b32_e64 v3, 0, 1, s[20:21]
	v_cvt_f64_u32_e32 v[3:4], v3
	v_mov_b32_e32 v5, 0
	v_mov_b32_e32 v6, v5
	s_mov_b64 s[0:1], 0
	global_store_dwordx4 v[0:1], v[3:6], off
.LBB134_1920:
	s_andn2_b64 vcc, exec, s[0:1]
	s_cbranch_vccnz .LBB134_1922
; %bb.1921:
	v_cndmask_b32_e64 v3, 0, 1.0, s[20:21]
	v_mov_b32_e32 v4, 0
	global_store_dwordx2 v[0:1], v[3:4], off
.LBB134_1922:
	s_mov_b64 s[0:1], 0
.LBB134_1923:
	s_andn2_b64 vcc, exec, s[0:1]
	s_cbranch_vccnz .LBB134_1925
; %bb.1924:
	v_cndmask_b32_e64 v3, 0, 1.0, s[20:21]
	v_cvt_f16_f32_e32 v3, v3
	global_store_dword v[0:1], v3, off
.LBB134_1925:
	s_mov_b64 s[0:1], 0
.LBB134_1926:
	s_andn2_b64 vcc, exec, s[0:1]
	s_cbranch_vccnz .LBB134_1935
; %bb.1927:
	s_cmp_lt_i32 s2, 6
	s_mov_b64 s[0:1], -1
	s_cbranch_scc1 .LBB134_1933
; %bb.1928:
	s_cmp_gt_i32 s2, 6
	s_cbranch_scc0 .LBB134_1930
; %bb.1929:
	v_cndmask_b32_e64 v3, 0, 1, s[20:21]
	v_cvt_f64_u32_e32 v[3:4], v3
	s_mov_b64 s[0:1], 0
	global_store_dwordx2 v[0:1], v[3:4], off
.LBB134_1930:
	s_andn2_b64 vcc, exec, s[0:1]
	s_cbranch_vccnz .LBB134_1932
; %bb.1931:
	v_cndmask_b32_e64 v3, 0, 1.0, s[20:21]
	global_store_dword v[0:1], v3, off
.LBB134_1932:
	s_mov_b64 s[0:1], 0
.LBB134_1933:
	s_andn2_b64 vcc, exec, s[0:1]
	s_cbranch_vccnz .LBB134_1935
; %bb.1934:
	v_cndmask_b32_e64 v3, 0, 1.0, s[20:21]
	v_cvt_f16_f32_e32 v3, v3
	global_store_short v[0:1], v3, off
.LBB134_1935:
	s_mov_b64 s[0:1], 0
.LBB134_1936:
	s_andn2_b64 vcc, exec, s[0:1]
	s_cbranch_vccnz .LBB134_1952
; %bb.1937:
	s_cmp_lt_i32 s2, 2
	s_mov_b64 s[0:1], -1
	s_cbranch_scc1 .LBB134_1947
; %bb.1938:
	s_cmp_lt_i32 s2, 3
	s_cbranch_scc1 .LBB134_1944
; %bb.1939:
	s_cmp_gt_i32 s2, 3
	s_cbranch_scc0 .LBB134_1941
; %bb.1940:
	s_mov_b32 s0, 0
	v_cndmask_b32_e64 v3, 0, 1, s[20:21]
	v_mov_b32_e32 v4, s0
	global_store_dwordx2 v[0:1], v[3:4], off
	s_mov_b64 s[0:1], 0
.LBB134_1941:
	s_andn2_b64 vcc, exec, s[0:1]
	s_cbranch_vccnz .LBB134_1943
; %bb.1942:
	v_cndmask_b32_e64 v3, 0, 1, s[20:21]
	global_store_dword v[0:1], v3, off
.LBB134_1943:
	s_mov_b64 s[0:1], 0
.LBB134_1944:
	s_andn2_b64 vcc, exec, s[0:1]
	s_cbranch_vccnz .LBB134_1946
; %bb.1945:
	v_cndmask_b32_e64 v3, 0, 1, s[20:21]
	global_store_short v[0:1], v3, off
.LBB134_1946:
	s_mov_b64 s[0:1], 0
.LBB134_1947:
	s_andn2_b64 vcc, exec, s[0:1]
	s_cbranch_vccnz .LBB134_1952
; %bb.1948:
	s_mov_b64 s[0:1], -1
	s_cmp_gt_i32 s2, 0
	v_cndmask_b32_e64 v3, 0, 1, s[20:21]
	s_cbranch_scc0 .LBB134_1950
; %bb.1949:
	global_store_byte v[0:1], v3, off
	s_mov_b64 s[0:1], 0
.LBB134_1950:
	s_andn2_b64 vcc, exec, s[0:1]
	s_cbranch_vccnz .LBB134_1952
; %bb.1951:
	global_store_byte v[0:1], v3, off
.LBB134_1952:
	s_mov_b64 s[4:5], -1
.LBB134_1953:
	s_andn2_b64 vcc, exec, s[4:5]
	s_cbranch_vccnz .LBB134_2149
; %bb.1954:
	v_add_u32_e32 v2, s14, v2
	v_ashrrev_i32_e32 v1, 31, v2
	v_mov_b32_e32 v3, s9
	v_add_co_u32_e32 v0, vcc, s8, v2
	s_cmp_lt_i32 s28, 11
	v_addc_co_u32_e32 v1, vcc, v3, v1, vcc
	s_cbranch_scc1 .LBB134_2032
; %bb.1955:
	s_and_b32 s15, 0xffff, s28
	s_mov_b64 s[10:11], -1
	s_mov_b64 s[2:3], 0
	s_cmp_gt_i32 s15, 25
	s_mov_b64 s[4:5], 0
	s_mov_b64 s[0:1], 0
	s_cbranch_scc0 .LBB134_1988
; %bb.1956:
	s_cmp_gt_i32 s15, 28
	s_cbranch_scc0 .LBB134_1971
; %bb.1957:
	s_cmp_gt_i32 s15, 43
	;; [unrolled: 3-line block ×3, first 2 shown]
	s_cbranch_scc0 .LBB134_1961
; %bb.1959:
	s_mov_b64 s[0:1], -1
	s_mov_b64 s[10:11], 0
	s_cmp_eq_u32 s15, 46
	s_cbranch_scc0 .LBB134_1961
; %bb.1960:
	v_cndmask_b32_e64 v3, 0, 1.0, s[22:23]
	v_bfe_u32 v4, v3, 16, 1
	s_movk_i32 s0, 0x7fff
	v_add3_u32 v3, v3, v4, s0
	v_lshrrev_b32_e32 v3, 16, v3
	global_store_dword v[0:1], v3, off
	s_mov_b64 s[0:1], 0
	s_mov_b64 s[4:5], -1
.LBB134_1961:
	s_and_b64 vcc, exec, s[10:11]
	s_cbranch_vccz .LBB134_1966
; %bb.1962:
	s_cmp_eq_u32 s15, 44
	s_mov_b64 s[0:1], -1
	s_cbranch_scc0 .LBB134_1966
; %bb.1963:
	v_cndmask_b32_e64 v4, 0, 1.0, s[22:23]
	v_lshrrev_b32_e32 v3, 23, v4
	s_movk_i32 s0, 0xff
	v_cmp_ne_u32_e32 vcc, s0, v3
	v_mov_b32_e32 v5, 0xff
	s_and_saveexec_b64 s[4:5], vcc
; %bb.1964:
	s_mov_b32 s0, 0x3fffff
	v_and_b32_e32 v5, 0x400000, v4
	v_and_or_b32 v4, v4, s0, v3
	v_cmp_ne_u32_e32 vcc, 0, v5
	v_cmp_ne_u32_e64 s[0:1], 0, v4
	s_and_b64 s[0:1], vcc, s[0:1]
	v_cndmask_b32_e64 v4, 0, 1, s[0:1]
	v_add_u32_e32 v5, v3, v4
; %bb.1965:
	s_or_b64 exec, exec, s[4:5]
	s_mov_b64 s[0:1], 0
	s_mov_b64 s[4:5], -1
	global_store_byte v[0:1], v5, off
.LBB134_1966:
	s_mov_b64 s[10:11], 0
.LBB134_1967:
	s_and_b64 vcc, exec, s[10:11]
	s_cbranch_vccz .LBB134_1970
; %bb.1968:
	s_cmp_eq_u32 s15, 29
	s_mov_b64 s[0:1], -1
	s_cbranch_scc0 .LBB134_1970
; %bb.1969:
	s_mov_b32 s0, 0
	v_cndmask_b32_e64 v3, 0, 1, s[22:23]
	v_mov_b32_e32 v4, s0
	global_store_dwordx2 v[0:1], v[3:4], off
	s_mov_b64 s[0:1], 0
	s_mov_b64 s[4:5], -1
.LBB134_1970:
	s_mov_b64 s[10:11], 0
.LBB134_1971:
	s_and_b64 vcc, exec, s[10:11]
	s_cbranch_vccz .LBB134_1987
; %bb.1972:
	s_cmp_lt_i32 s15, 27
	s_mov_b64 s[4:5], -1
	s_cbranch_scc1 .LBB134_1978
; %bb.1973:
	s_cmp_gt_i32 s15, 27
	s_cbranch_scc0 .LBB134_1975
; %bb.1974:
	v_cndmask_b32_e64 v3, 0, 1, s[22:23]
	s_mov_b64 s[4:5], 0
	global_store_dword v[0:1], v3, off
.LBB134_1975:
	s_andn2_b64 vcc, exec, s[4:5]
	s_cbranch_vccnz .LBB134_1977
; %bb.1976:
	v_cndmask_b32_e64 v3, 0, 1, s[22:23]
	global_store_short v[0:1], v3, off
.LBB134_1977:
	s_mov_b64 s[4:5], 0
.LBB134_1978:
	s_andn2_b64 vcc, exec, s[4:5]
	s_cbranch_vccnz .LBB134_1986
; %bb.1979:
	v_cndmask_b32_e64 v4, 0, 1.0, s[22:23]
	s_mov_b32 s4, 0x43800000
	v_cmp_gt_u32_e32 vcc, s4, v4
	v_mov_b32_e32 v5, 0x80
	s_and_saveexec_b64 s[4:5], vcc
	s_cbranch_execz .LBB134_1985
; %bb.1980:
	s_mov_b32 s10, 0x3bffffff
	v_cmp_lt_u32_e32 vcc, s10, v4
	s_mov_b64 s[10:11], 0
                                        ; implicit-def: $vgpr3
	s_and_saveexec_b64 s[12:13], vcc
	s_xor_b64 s[12:13], exec, s[12:13]
	s_cbranch_execz .LBB134_2162
; %bb.1981:
	v_bfe_u32 v3, v4, 20, 1
	s_mov_b32 s20, 0x487ffff
	v_add3_u32 v3, v4, v3, s20
	s_mov_b64 s[10:11], exec
	v_lshrrev_b32_e32 v3, 20, v3
                                        ; implicit-def: $vgpr4
	s_andn2_saveexec_b64 s[12:13], s[12:13]
	s_cbranch_execnz .LBB134_2163
.LBB134_1982:
	s_or_b64 exec, exec, s[12:13]
	v_mov_b32_e32 v5, 0
	s_and_saveexec_b64 s[12:13], s[10:11]
.LBB134_1983:
	v_mov_b32_e32 v5, v3
.LBB134_1984:
	s_or_b64 exec, exec, s[12:13]
.LBB134_1985:
	s_or_b64 exec, exec, s[4:5]
	global_store_byte v[0:1], v5, off
.LBB134_1986:
	s_mov_b64 s[4:5], -1
.LBB134_1987:
	s_mov_b64 s[10:11], 0
.LBB134_1988:
	s_and_b64 vcc, exec, s[10:11]
	s_cbranch_vccz .LBB134_2028
; %bb.1989:
	s_cmp_gt_i32 s15, 22
	s_mov_b64 s[2:3], -1
	s_cbranch_scc0 .LBB134_2021
; %bb.1990:
	s_cmp_lt_i32 s15, 24
	s_cbranch_scc1 .LBB134_2010
; %bb.1991:
	s_cmp_gt_i32 s15, 24
	s_cbranch_scc0 .LBB134_1999
; %bb.1992:
	v_cndmask_b32_e64 v4, 0, 1.0, s[22:23]
	s_mov_b32 s2, 0x47800000
	v_cmp_gt_u32_e32 vcc, s2, v4
	v_mov_b32_e32 v5, 0x80
	s_and_saveexec_b64 s[2:3], vcc
	s_cbranch_execz .LBB134_1998
; %bb.1993:
	s_mov_b32 s4, 0x37ffffff
	v_cmp_lt_u32_e32 vcc, s4, v4
	s_mov_b64 s[4:5], 0
                                        ; implicit-def: $vgpr3
	s_and_saveexec_b64 s[10:11], vcc
	s_xor_b64 s[10:11], exec, s[10:11]
	s_cbranch_execz .LBB134_2165
; %bb.1994:
	v_bfe_u32 v3, v4, 21, 1
	s_mov_b32 s12, 0x88fffff
	v_add3_u32 v3, v4, v3, s12
	s_mov_b64 s[4:5], exec
	v_lshrrev_b32_e32 v3, 21, v3
                                        ; implicit-def: $vgpr4
	s_andn2_saveexec_b64 s[10:11], s[10:11]
	s_cbranch_execnz .LBB134_2166
.LBB134_1995:
	s_or_b64 exec, exec, s[10:11]
	v_mov_b32_e32 v5, 0
	s_and_saveexec_b64 s[10:11], s[4:5]
.LBB134_1996:
	v_mov_b32_e32 v5, v3
.LBB134_1997:
	s_or_b64 exec, exec, s[10:11]
.LBB134_1998:
	s_or_b64 exec, exec, s[2:3]
	s_mov_b64 s[2:3], 0
	global_store_byte v[0:1], v5, off
.LBB134_1999:
	s_and_b64 vcc, exec, s[2:3]
	s_cbranch_vccz .LBB134_2009
; %bb.2000:
	v_cndmask_b32_e64 v3, 0, 1.0, s[22:23]
	s_mov_b32 s2, 0x43f00000
	v_cmp_gt_u32_e32 vcc, s2, v3
                                        ; implicit-def: $vgpr4
	s_and_saveexec_b64 s[2:3], vcc
	s_xor_b64 s[2:3], exec, s[2:3]
	s_cbranch_execz .LBB134_2006
; %bb.2001:
	s_mov_b32 s4, 0x3c7fffff
	v_cmp_lt_u32_e32 vcc, s4, v3
                                        ; implicit-def: $vgpr4
	s_and_saveexec_b64 s[4:5], vcc
	s_xor_b64 s[4:5], exec, s[4:5]
; %bb.2002:
	v_bfe_u32 v4, v3, 20, 1
	s_mov_b32 s10, 0x407ffff
	v_add3_u32 v3, v3, v4, s10
	v_lshrrev_b32_e32 v4, 20, v3
	v_and_b32_e32 v3, 0xff00000, v3
	s_mov_b32 s10, 0x7f00000
	v_mov_b32_e32 v5, 0x7e
	v_cmp_ne_u32_e32 vcc, s10, v3
	v_cndmask_b32_e32 v4, v5, v4, vcc
                                        ; implicit-def: $vgpr3
; %bb.2003:
	s_andn2_saveexec_b64 s[4:5], s[4:5]
; %bb.2004:
	v_add_f32_e32 v4, 0x46800000, v3
; %bb.2005:
	s_or_b64 exec, exec, s[4:5]
                                        ; implicit-def: $vgpr3
.LBB134_2006:
	s_andn2_saveexec_b64 s[2:3], s[2:3]
; %bb.2007:
	s_mov_b32 s4, 0x7f800000
	v_mov_b32_e32 v4, 0x7e
	v_mov_b32_e32 v5, 0x7f
	v_cmp_lt_u32_e32 vcc, s4, v3
	v_cndmask_b32_e32 v4, v4, v5, vcc
; %bb.2008:
	s_or_b64 exec, exec, s[2:3]
	global_store_byte v[0:1], v4, off
.LBB134_2009:
	s_mov_b64 s[2:3], 0
.LBB134_2010:
	s_andn2_b64 vcc, exec, s[2:3]
	s_cbranch_vccnz .LBB134_2020
; %bb.2011:
	v_cndmask_b32_e64 v3, 0, 1.0, s[22:23]
	s_mov_b32 s2, 0x47800000
	v_cmp_gt_u32_e32 vcc, s2, v3
                                        ; implicit-def: $vgpr4
	s_and_saveexec_b64 s[2:3], vcc
	s_xor_b64 s[2:3], exec, s[2:3]
	s_cbranch_execz .LBB134_2017
; %bb.2012:
	s_mov_b32 s4, 0x387fffff
	v_cmp_lt_u32_e32 vcc, s4, v3
                                        ; implicit-def: $vgpr4
	s_and_saveexec_b64 s[4:5], vcc
	s_xor_b64 s[4:5], exec, s[4:5]
; %bb.2013:
	v_bfe_u32 v4, v3, 21, 1
	s_mov_b32 s10, 0x80fffff
	v_add3_u32 v3, v3, v4, s10
	v_lshrrev_b32_e32 v4, 21, v3
                                        ; implicit-def: $vgpr3
; %bb.2014:
	s_andn2_saveexec_b64 s[4:5], s[4:5]
; %bb.2015:
	v_add_f32_e32 v4, 0x43000000, v3
; %bb.2016:
	s_or_b64 exec, exec, s[4:5]
                                        ; implicit-def: $vgpr3
.LBB134_2017:
	s_andn2_saveexec_b64 s[2:3], s[2:3]
; %bb.2018:
	s_mov_b32 s4, 0x7f800000
	v_mov_b32_e32 v4, 0x7c
	v_mov_b32_e32 v5, 0x7f
	v_cmp_lt_u32_e32 vcc, s4, v3
	v_cndmask_b32_e32 v4, v4, v5, vcc
; %bb.2019:
	s_or_b64 exec, exec, s[2:3]
	global_store_byte v[0:1], v4, off
.LBB134_2020:
	s_mov_b64 s[2:3], 0
	s_mov_b64 s[4:5], -1
.LBB134_2021:
	s_andn2_b64 vcc, exec, s[2:3]
	s_mov_b64 s[2:3], 0
	s_cbranch_vccnz .LBB134_2028
; %bb.2022:
	s_cmp_gt_i32 s15, 14
	s_mov_b64 s[10:11], -1
	s_cbranch_scc0 .LBB134_2026
; %bb.2023:
	s_cmp_eq_u32 s15, 15
	s_mov_b64 s[0:1], -1
	s_cbranch_scc0 .LBB134_2025
; %bb.2024:
	v_cndmask_b32_e64 v3, 0, 1.0, s[22:23]
	v_bfe_u32 v4, v3, 16, 1
	s_movk_i32 s0, 0x7fff
	v_add3_u32 v3, v3, v4, s0
	global_store_short_d16_hi v[0:1], v3, off
	s_mov_b64 s[0:1], 0
	s_mov_b64 s[4:5], -1
.LBB134_2025:
	s_mov_b64 s[10:11], 0
.LBB134_2026:
	s_and_b64 vcc, exec, s[10:11]
	s_cbranch_vccz .LBB134_2028
; %bb.2027:
	s_cmp_lg_u32 s15, 11
	s_mov_b64 s[2:3], -1
	s_cselect_b64 s[0:1], -1, 0
.LBB134_2028:
	s_and_b64 vcc, exec, s[0:1]
	s_cbranch_vccnz .LBB134_2164
; %bb.2029:
	s_andn2_b64 vcc, exec, s[2:3]
	s_cbranch_vccnz .LBB134_2031
.LBB134_2030:
	v_cndmask_b32_e64 v3, 0, 1, s[22:23]
	s_mov_b64 s[4:5], -1
	global_store_byte v[0:1], v3, off
.LBB134_2031:
	s_mov_b64 s[0:1], 0
	s_branch .LBB134_2033
.LBB134_2032:
	s_mov_b64 s[0:1], -1
	s_mov_b64 s[4:5], 0
.LBB134_2033:
	s_and_b64 vcc, exec, s[0:1]
	s_cbranch_vccz .LBB134_2072
; %bb.2034:
	s_and_b32 s2, 0xffff, s28
	s_cmp_lt_i32 s2, 5
	s_mov_b64 s[0:1], -1
	s_cbranch_scc1 .LBB134_2055
; %bb.2035:
	s_cmp_lt_i32 s2, 8
	s_cbranch_scc1 .LBB134_2045
; %bb.2036:
	s_cmp_lt_i32 s2, 9
	s_cbranch_scc1 .LBB134_2042
; %bb.2037:
	s_cmp_gt_i32 s2, 9
	s_cbranch_scc0 .LBB134_2039
; %bb.2038:
	v_cndmask_b32_e64 v3, 0, 1, s[22:23]
	v_cvt_f64_u32_e32 v[3:4], v3
	v_mov_b32_e32 v5, 0
	v_mov_b32_e32 v6, v5
	s_mov_b64 s[0:1], 0
	global_store_dwordx4 v[0:1], v[3:6], off
.LBB134_2039:
	s_andn2_b64 vcc, exec, s[0:1]
	s_cbranch_vccnz .LBB134_2041
; %bb.2040:
	v_cndmask_b32_e64 v3, 0, 1.0, s[22:23]
	v_mov_b32_e32 v4, 0
	global_store_dwordx2 v[0:1], v[3:4], off
.LBB134_2041:
	s_mov_b64 s[0:1], 0
.LBB134_2042:
	s_andn2_b64 vcc, exec, s[0:1]
	s_cbranch_vccnz .LBB134_2044
; %bb.2043:
	v_cndmask_b32_e64 v3, 0, 1.0, s[22:23]
	v_cvt_f16_f32_e32 v3, v3
	global_store_dword v[0:1], v3, off
.LBB134_2044:
	s_mov_b64 s[0:1], 0
.LBB134_2045:
	s_andn2_b64 vcc, exec, s[0:1]
	s_cbranch_vccnz .LBB134_2054
; %bb.2046:
	s_cmp_lt_i32 s2, 6
	s_mov_b64 s[0:1], -1
	s_cbranch_scc1 .LBB134_2052
; %bb.2047:
	s_cmp_gt_i32 s2, 6
	s_cbranch_scc0 .LBB134_2049
; %bb.2048:
	v_cndmask_b32_e64 v3, 0, 1, s[22:23]
	v_cvt_f64_u32_e32 v[3:4], v3
	s_mov_b64 s[0:1], 0
	global_store_dwordx2 v[0:1], v[3:4], off
.LBB134_2049:
	s_andn2_b64 vcc, exec, s[0:1]
	s_cbranch_vccnz .LBB134_2051
; %bb.2050:
	v_cndmask_b32_e64 v3, 0, 1.0, s[22:23]
	global_store_dword v[0:1], v3, off
.LBB134_2051:
	s_mov_b64 s[0:1], 0
.LBB134_2052:
	s_andn2_b64 vcc, exec, s[0:1]
	s_cbranch_vccnz .LBB134_2054
; %bb.2053:
	v_cndmask_b32_e64 v3, 0, 1.0, s[22:23]
	v_cvt_f16_f32_e32 v3, v3
	global_store_short v[0:1], v3, off
.LBB134_2054:
	s_mov_b64 s[0:1], 0
.LBB134_2055:
	s_andn2_b64 vcc, exec, s[0:1]
	s_cbranch_vccnz .LBB134_2071
; %bb.2056:
	s_cmp_lt_i32 s2, 2
	s_mov_b64 s[0:1], -1
	s_cbranch_scc1 .LBB134_2066
; %bb.2057:
	s_cmp_lt_i32 s2, 3
	s_cbranch_scc1 .LBB134_2063
; %bb.2058:
	s_cmp_gt_i32 s2, 3
	s_cbranch_scc0 .LBB134_2060
; %bb.2059:
	s_mov_b32 s0, 0
	v_cndmask_b32_e64 v3, 0, 1, s[22:23]
	v_mov_b32_e32 v4, s0
	global_store_dwordx2 v[0:1], v[3:4], off
	s_mov_b64 s[0:1], 0
.LBB134_2060:
	s_andn2_b64 vcc, exec, s[0:1]
	s_cbranch_vccnz .LBB134_2062
; %bb.2061:
	v_cndmask_b32_e64 v3, 0, 1, s[22:23]
	global_store_dword v[0:1], v3, off
.LBB134_2062:
	s_mov_b64 s[0:1], 0
.LBB134_2063:
	s_andn2_b64 vcc, exec, s[0:1]
	s_cbranch_vccnz .LBB134_2065
; %bb.2064:
	v_cndmask_b32_e64 v3, 0, 1, s[22:23]
	global_store_short v[0:1], v3, off
.LBB134_2065:
	s_mov_b64 s[0:1], 0
.LBB134_2066:
	s_andn2_b64 vcc, exec, s[0:1]
	s_cbranch_vccnz .LBB134_2071
; %bb.2067:
	s_mov_b64 s[0:1], -1
	s_cmp_gt_i32 s2, 0
	v_cndmask_b32_e64 v3, 0, 1, s[22:23]
	s_cbranch_scc0 .LBB134_2069
; %bb.2068:
	global_store_byte v[0:1], v3, off
	s_mov_b64 s[0:1], 0
.LBB134_2069:
	s_andn2_b64 vcc, exec, s[0:1]
	s_cbranch_vccnz .LBB134_2071
; %bb.2070:
	global_store_byte v[0:1], v3, off
.LBB134_2071:
	s_mov_b64 s[4:5], -1
.LBB134_2072:
	s_andn2_b64 vcc, exec, s[4:5]
	s_cbranch_vccnz .LBB134_2149
; %bb.2073:
	v_add_u32_e32 v0, s14, v2
	v_ashrrev_i32_e32 v1, 31, v0
	v_mov_b32_e32 v2, s9
	v_add_co_u32_e32 v0, vcc, s8, v0
	s_cmp_lt_i32 s28, 11
	v_addc_co_u32_e32 v1, vcc, v2, v1, vcc
	s_cbranch_scc1 .LBB134_2150
; %bb.2074:
	s_and_b32 s12, 0xffff, s28
	s_mov_b64 s[4:5], -1
	s_mov_b64 s[2:3], 0
	s_cmp_gt_i32 s12, 25
	s_mov_b64 s[0:1], 0
	s_cbranch_scc0 .LBB134_2107
; %bb.2075:
	s_cmp_gt_i32 s12, 28
	s_cbranch_scc0 .LBB134_2091
; %bb.2076:
	s_cmp_gt_i32 s12, 43
	s_cbranch_scc0 .LBB134_2087
; %bb.2077:
	s_cmp_gt_i32 s12, 45
	s_cbranch_scc0 .LBB134_2081
; %bb.2078:
	s_cmp_eq_u32 s12, 46
	s_mov_b64 s[0:1], -1
	s_cbranch_scc0 .LBB134_2080
; %bb.2079:
	v_cndmask_b32_e64 v2, 0, 1.0, s[24:25]
	v_bfe_u32 v3, v2, 16, 1
	s_movk_i32 s0, 0x7fff
	v_add3_u32 v2, v2, v3, s0
	v_lshrrev_b32_e32 v2, 16, v2
	global_store_dword v[0:1], v2, off
	s_mov_b64 s[0:1], 0
.LBB134_2080:
	s_mov_b64 s[4:5], 0
.LBB134_2081:
	s_and_b64 vcc, exec, s[4:5]
	s_cbranch_vccz .LBB134_2086
; %bb.2082:
	s_cmp_eq_u32 s12, 44
	s_mov_b64 s[0:1], -1
	s_cbranch_scc0 .LBB134_2086
; %bb.2083:
	v_cndmask_b32_e64 v3, 0, 1.0, s[24:25]
	v_lshrrev_b32_e32 v2, 23, v3
	s_movk_i32 s0, 0xff
	v_cmp_ne_u32_e32 vcc, s0, v2
	v_mov_b32_e32 v4, 0xff
	s_and_saveexec_b64 s[4:5], vcc
; %bb.2084:
	s_mov_b32 s0, 0x3fffff
	v_and_b32_e32 v4, 0x400000, v3
	v_and_or_b32 v3, v3, s0, v2
	v_cmp_ne_u32_e32 vcc, 0, v4
	v_cmp_ne_u32_e64 s[0:1], 0, v3
	s_and_b64 s[0:1], vcc, s[0:1]
	v_cndmask_b32_e64 v3, 0, 1, s[0:1]
	v_add_u32_e32 v4, v2, v3
; %bb.2085:
	s_or_b64 exec, exec, s[4:5]
	s_mov_b64 s[0:1], 0
	global_store_byte v[0:1], v4, off
.LBB134_2086:
	s_mov_b64 s[4:5], 0
.LBB134_2087:
	s_and_b64 vcc, exec, s[4:5]
	s_cbranch_vccz .LBB134_2090
; %bb.2088:
	s_cmp_eq_u32 s12, 29
	s_mov_b64 s[0:1], -1
	s_cbranch_scc0 .LBB134_2090
; %bb.2089:
	s_mov_b32 s0, 0
	v_cndmask_b32_e64 v2, 0, 1, s[24:25]
	v_mov_b32_e32 v3, s0
	global_store_dwordx2 v[0:1], v[2:3], off
	s_mov_b64 s[0:1], 0
.LBB134_2090:
	s_mov_b64 s[4:5], 0
.LBB134_2091:
	s_and_b64 vcc, exec, s[4:5]
	s_cbranch_vccz .LBB134_2106
; %bb.2092:
	s_cmp_lt_i32 s12, 27
	s_mov_b64 s[4:5], -1
	s_cbranch_scc1 .LBB134_2098
; %bb.2093:
	s_cmp_gt_i32 s12, 27
	v_cndmask_b32_e64 v2, 0, 1, s[24:25]
	s_cbranch_scc0 .LBB134_2095
; %bb.2094:
	global_store_dword v[0:1], v2, off
	s_mov_b64 s[4:5], 0
.LBB134_2095:
	s_andn2_b64 vcc, exec, s[4:5]
	s_cbranch_vccnz .LBB134_2097
; %bb.2096:
	global_store_short v[0:1], v2, off
.LBB134_2097:
	s_mov_b64 s[4:5], 0
.LBB134_2098:
	s_andn2_b64 vcc, exec, s[4:5]
	s_cbranch_vccnz .LBB134_2106
; %bb.2099:
	v_cndmask_b32_e64 v3, 0, 1.0, s[24:25]
	s_mov_b32 s4, 0x43800000
	v_cmp_gt_u32_e32 vcc, s4, v3
	v_mov_b32_e32 v4, 0x80
	s_and_saveexec_b64 s[4:5], vcc
	s_cbranch_execz .LBB134_2105
; %bb.2100:
	s_mov_b32 s8, 0x3bffffff
	v_cmp_lt_u32_e32 vcc, s8, v3
	s_mov_b64 s[8:9], 0
                                        ; implicit-def: $vgpr2
	s_and_saveexec_b64 s[10:11], vcc
	s_xor_b64 s[10:11], exec, s[10:11]
	s_cbranch_execz .LBB134_2167
; %bb.2101:
	v_bfe_u32 v2, v3, 20, 1
	s_mov_b32 s13, 0x487ffff
	v_add3_u32 v2, v3, v2, s13
	s_mov_b64 s[8:9], exec
	v_lshrrev_b32_e32 v2, 20, v2
                                        ; implicit-def: $vgpr3
	s_andn2_saveexec_b64 s[10:11], s[10:11]
	s_cbranch_execnz .LBB134_2168
.LBB134_2102:
	s_or_b64 exec, exec, s[10:11]
	v_mov_b32_e32 v4, 0
	s_and_saveexec_b64 s[10:11], s[8:9]
.LBB134_2103:
	v_mov_b32_e32 v4, v2
.LBB134_2104:
	s_or_b64 exec, exec, s[10:11]
.LBB134_2105:
	s_or_b64 exec, exec, s[4:5]
	global_store_byte v[0:1], v4, off
.LBB134_2106:
	s_mov_b64 s[4:5], 0
.LBB134_2107:
	s_and_b64 vcc, exec, s[4:5]
	s_cbranch_vccz .LBB134_2147
; %bb.2108:
	s_cmp_gt_i32 s12, 22
	s_mov_b64 s[2:3], -1
	s_cbranch_scc0 .LBB134_2140
; %bb.2109:
	s_cmp_lt_i32 s12, 24
	s_cbranch_scc1 .LBB134_2129
; %bb.2110:
	s_cmp_gt_i32 s12, 24
	s_cbranch_scc0 .LBB134_2118
; %bb.2111:
	v_cndmask_b32_e64 v3, 0, 1.0, s[24:25]
	s_mov_b32 s2, 0x47800000
	v_cmp_gt_u32_e32 vcc, s2, v3
	v_mov_b32_e32 v4, 0x80
	s_and_saveexec_b64 s[2:3], vcc
	s_cbranch_execz .LBB134_2117
; %bb.2112:
	s_mov_b32 s4, 0x37ffffff
	v_cmp_lt_u32_e32 vcc, s4, v3
	s_mov_b64 s[4:5], 0
                                        ; implicit-def: $vgpr2
	s_and_saveexec_b64 s[8:9], vcc
	s_xor_b64 s[8:9], exec, s[8:9]
	s_cbranch_execz .LBB134_2170
; %bb.2113:
	v_bfe_u32 v2, v3, 21, 1
	s_mov_b32 s10, 0x88fffff
	v_add3_u32 v2, v3, v2, s10
	s_mov_b64 s[4:5], exec
	v_lshrrev_b32_e32 v2, 21, v2
                                        ; implicit-def: $vgpr3
	s_andn2_saveexec_b64 s[8:9], s[8:9]
	s_cbranch_execnz .LBB134_2171
.LBB134_2114:
	s_or_b64 exec, exec, s[8:9]
	v_mov_b32_e32 v4, 0
	s_and_saveexec_b64 s[8:9], s[4:5]
.LBB134_2115:
	v_mov_b32_e32 v4, v2
.LBB134_2116:
	s_or_b64 exec, exec, s[8:9]
.LBB134_2117:
	s_or_b64 exec, exec, s[2:3]
	s_mov_b64 s[2:3], 0
	global_store_byte v[0:1], v4, off
.LBB134_2118:
	s_and_b64 vcc, exec, s[2:3]
	s_cbranch_vccz .LBB134_2128
; %bb.2119:
	v_cndmask_b32_e64 v2, 0, 1.0, s[24:25]
	s_mov_b32 s2, 0x43f00000
	v_cmp_gt_u32_e32 vcc, s2, v2
                                        ; implicit-def: $vgpr3
	s_and_saveexec_b64 s[2:3], vcc
	s_xor_b64 s[2:3], exec, s[2:3]
	s_cbranch_execz .LBB134_2125
; %bb.2120:
	s_mov_b32 s4, 0x3c7fffff
	v_cmp_lt_u32_e32 vcc, s4, v2
                                        ; implicit-def: $vgpr3
	s_and_saveexec_b64 s[4:5], vcc
	s_xor_b64 s[4:5], exec, s[4:5]
; %bb.2121:
	v_bfe_u32 v3, v2, 20, 1
	s_mov_b32 s8, 0x407ffff
	v_add3_u32 v2, v2, v3, s8
	v_lshrrev_b32_e32 v3, 20, v2
	v_and_b32_e32 v2, 0xff00000, v2
	s_mov_b32 s8, 0x7f00000
	v_mov_b32_e32 v4, 0x7e
	v_cmp_ne_u32_e32 vcc, s8, v2
	v_cndmask_b32_e32 v3, v4, v3, vcc
                                        ; implicit-def: $vgpr2
; %bb.2122:
	s_andn2_saveexec_b64 s[4:5], s[4:5]
; %bb.2123:
	v_add_f32_e32 v3, 0x46800000, v2
; %bb.2124:
	s_or_b64 exec, exec, s[4:5]
                                        ; implicit-def: $vgpr2
.LBB134_2125:
	s_andn2_saveexec_b64 s[2:3], s[2:3]
; %bb.2126:
	s_mov_b32 s4, 0x7f800000
	v_mov_b32_e32 v3, 0x7e
	v_mov_b32_e32 v4, 0x7f
	v_cmp_lt_u32_e32 vcc, s4, v2
	v_cndmask_b32_e32 v3, v3, v4, vcc
; %bb.2127:
	s_or_b64 exec, exec, s[2:3]
	global_store_byte v[0:1], v3, off
.LBB134_2128:
	s_mov_b64 s[2:3], 0
.LBB134_2129:
	s_andn2_b64 vcc, exec, s[2:3]
	s_cbranch_vccnz .LBB134_2139
; %bb.2130:
	v_cndmask_b32_e64 v2, 0, 1.0, s[24:25]
	s_mov_b32 s2, 0x47800000
	v_cmp_gt_u32_e32 vcc, s2, v2
                                        ; implicit-def: $vgpr3
	s_and_saveexec_b64 s[2:3], vcc
	s_xor_b64 s[2:3], exec, s[2:3]
	s_cbranch_execz .LBB134_2136
; %bb.2131:
	s_mov_b32 s4, 0x387fffff
	v_cmp_lt_u32_e32 vcc, s4, v2
                                        ; implicit-def: $vgpr3
	s_and_saveexec_b64 s[4:5], vcc
	s_xor_b64 s[4:5], exec, s[4:5]
; %bb.2132:
	v_bfe_u32 v3, v2, 21, 1
	s_mov_b32 s8, 0x80fffff
	v_add3_u32 v2, v2, v3, s8
	v_lshrrev_b32_e32 v3, 21, v2
                                        ; implicit-def: $vgpr2
; %bb.2133:
	s_andn2_saveexec_b64 s[4:5], s[4:5]
; %bb.2134:
	v_add_f32_e32 v3, 0x43000000, v2
; %bb.2135:
	s_or_b64 exec, exec, s[4:5]
                                        ; implicit-def: $vgpr2
.LBB134_2136:
	s_andn2_saveexec_b64 s[2:3], s[2:3]
; %bb.2137:
	s_mov_b32 s4, 0x7f800000
	v_mov_b32_e32 v3, 0x7c
	v_mov_b32_e32 v4, 0x7f
	v_cmp_lt_u32_e32 vcc, s4, v2
	v_cndmask_b32_e32 v3, v3, v4, vcc
; %bb.2138:
	s_or_b64 exec, exec, s[2:3]
	global_store_byte v[0:1], v3, off
.LBB134_2139:
	s_mov_b64 s[2:3], 0
.LBB134_2140:
	s_andn2_b64 vcc, exec, s[2:3]
	s_mov_b64 s[2:3], 0
	s_cbranch_vccnz .LBB134_2147
; %bb.2141:
	s_cmp_gt_i32 s12, 14
	s_mov_b64 s[4:5], -1
	s_cbranch_scc0 .LBB134_2145
; %bb.2142:
	s_cmp_eq_u32 s12, 15
	s_mov_b64 s[0:1], -1
	s_cbranch_scc0 .LBB134_2144
; %bb.2143:
	v_cndmask_b32_e64 v2, 0, 1.0, s[24:25]
	v_bfe_u32 v3, v2, 16, 1
	s_movk_i32 s0, 0x7fff
	v_add3_u32 v2, v2, v3, s0
	global_store_short_d16_hi v[0:1], v2, off
	s_mov_b64 s[0:1], 0
.LBB134_2144:
	s_mov_b64 s[4:5], 0
.LBB134_2145:
	s_and_b64 vcc, exec, s[4:5]
	s_cbranch_vccz .LBB134_2147
; %bb.2146:
	s_cmp_lg_u32 s12, 11
	s_mov_b64 s[2:3], -1
	s_cselect_b64 s[0:1], -1, 0
.LBB134_2147:
	s_and_b64 vcc, exec, s[0:1]
	s_cbranch_vccnz .LBB134_2169
.LBB134_2148:
	s_mov_b64 s[0:1], 0
	s_branch .LBB134_1659
.LBB134_2149:
	s_mov_b64 s[0:1], 0
	s_branch .LBB134_1658
.LBB134_2150:
	s_mov_b64 s[2:3], 0
	s_mov_b64 s[0:1], -1
	s_branch .LBB134_1659
.LBB134_2151:
	s_trap 2
	s_or_b64 s[18:19], s[18:19], exec
	s_cbranch_execz .LBB134_1601
	s_branch .LBB134_1602
.LBB134_2152:
	s_andn2_saveexec_b64 s[26:27], s[26:27]
	s_cbranch_execz .LBB134_1742
.LBB134_2153:
	v_add_f32_e32 v3, 0x46000000, v4
	v_and_b32_e32 v3, 0xff, v3
	v_cmp_ne_u32_e32 vcc, 0, v3
	s_andn2_b64 s[14:15], s[14:15], exec
	s_and_b64 s[30:31], vcc, exec
	s_or_b64 s[14:15], s[14:15], s[30:31]
	s_or_b64 exec, exec, s[26:27]
	v_mov_b32_e32 v5, 0
	s_and_saveexec_b64 s[26:27], s[14:15]
	s_cbranch_execnz .LBB134_1743
	s_branch .LBB134_1744
.LBB134_2154:
	s_trap 2
	s_or_b64 s[18:19], s[18:19], exec
	s_cbranch_execz .LBB134_1790
	s_branch .LBB134_1791
.LBB134_2155:
	s_andn2_saveexec_b64 s[14:15], s[14:15]
	s_cbranch_execz .LBB134_1755
.LBB134_2156:
	v_add_f32_e32 v3, 0x42800000, v4
	v_and_b32_e32 v3, 0xff, v3
	v_cmp_ne_u32_e32 vcc, 0, v3
	s_andn2_b64 s[10:11], s[10:11], exec
	s_and_b64 s[26:27], vcc, exec
	s_or_b64 s[10:11], s[10:11], s[26:27]
	s_or_b64 exec, exec, s[14:15]
	v_mov_b32_e32 v5, 0
	s_and_saveexec_b64 s[14:15], s[10:11]
	s_cbranch_execnz .LBB134_1756
	s_branch .LBB134_1757
.LBB134_2157:
	s_andn2_saveexec_b64 s[12:13], s[12:13]
	s_cbranch_execz .LBB134_1863
.LBB134_2158:
	v_add_f32_e32 v3, 0x46000000, v4
	v_and_b32_e32 v3, 0xff, v3
	v_cmp_ne_u32_e32 vcc, 0, v3
	s_andn2_b64 s[10:11], s[10:11], exec
	s_and_b64 s[26:27], vcc, exec
	s_or_b64 s[10:11], s[10:11], s[26:27]
	s_or_b64 exec, exec, s[12:13]
	v_mov_b32_e32 v5, 0
	s_and_saveexec_b64 s[12:13], s[10:11]
	s_cbranch_execnz .LBB134_1864
	s_branch .LBB134_1865
.LBB134_2159:
	s_trap 2
	s_or_b64 s[18:19], s[18:19], exec
	s_cbranch_execz .LBB134_1911
	s_branch .LBB134_1912
.LBB134_2160:
	s_andn2_saveexec_b64 s[10:11], s[10:11]
	s_cbranch_execz .LBB134_1876
.LBB134_2161:
	v_add_f32_e32 v3, 0x42800000, v4
	v_and_b32_e32 v3, 0xff, v3
	v_cmp_ne_u32_e32 vcc, 0, v3
	s_andn2_b64 s[4:5], s[4:5], exec
	s_and_b64 s[12:13], vcc, exec
	s_or_b64 s[4:5], s[4:5], s[12:13]
	s_or_b64 exec, exec, s[10:11]
	v_mov_b32_e32 v5, 0
	s_and_saveexec_b64 s[10:11], s[4:5]
	s_cbranch_execnz .LBB134_1877
	s_branch .LBB134_1878
.LBB134_2162:
	s_andn2_saveexec_b64 s[12:13], s[12:13]
	s_cbranch_execz .LBB134_1982
.LBB134_2163:
	v_add_f32_e32 v3, 0x46000000, v4
	v_and_b32_e32 v3, 0xff, v3
	v_cmp_ne_u32_e32 vcc, 0, v3
	s_andn2_b64 s[10:11], s[10:11], exec
	s_and_b64 s[20:21], vcc, exec
	s_or_b64 s[10:11], s[10:11], s[20:21]
	s_or_b64 exec, exec, s[12:13]
	v_mov_b32_e32 v5, 0
	s_and_saveexec_b64 s[12:13], s[10:11]
	s_cbranch_execnz .LBB134_1983
	s_branch .LBB134_1984
.LBB134_2164:
	s_trap 2
	s_or_b64 s[18:19], s[18:19], exec
	s_cbranch_execz .LBB134_2030
	s_branch .LBB134_2031
.LBB134_2165:
	s_andn2_saveexec_b64 s[10:11], s[10:11]
	s_cbranch_execz .LBB134_1995
.LBB134_2166:
	v_add_f32_e32 v3, 0x42800000, v4
	v_and_b32_e32 v3, 0xff, v3
	v_cmp_ne_u32_e32 vcc, 0, v3
	s_andn2_b64 s[4:5], s[4:5], exec
	s_and_b64 s[12:13], vcc, exec
	s_or_b64 s[4:5], s[4:5], s[12:13]
	s_or_b64 exec, exec, s[10:11]
	v_mov_b32_e32 v5, 0
	s_and_saveexec_b64 s[10:11], s[4:5]
	s_cbranch_execnz .LBB134_1996
	s_branch .LBB134_1997
.LBB134_2167:
	s_andn2_saveexec_b64 s[10:11], s[10:11]
	s_cbranch_execz .LBB134_2102
.LBB134_2168:
	v_add_f32_e32 v2, 0x46000000, v3
	v_and_b32_e32 v2, 0xff, v2
	v_cmp_ne_u32_e32 vcc, 0, v2
	s_andn2_b64 s[8:9], s[8:9], exec
	s_and_b64 s[14:15], vcc, exec
	s_or_b64 s[8:9], s[8:9], s[14:15]
	s_or_b64 exec, exec, s[10:11]
	v_mov_b32_e32 v4, 0
	s_and_saveexec_b64 s[10:11], s[8:9]
	s_cbranch_execnz .LBB134_2103
	s_branch .LBB134_2104
.LBB134_2169:
	s_mov_b64 s[2:3], 0
	s_or_b64 s[18:19], s[18:19], exec
	s_trap 2
	s_branch .LBB134_2148
.LBB134_2170:
	s_andn2_saveexec_b64 s[8:9], s[8:9]
	s_cbranch_execz .LBB134_2114
.LBB134_2171:
	v_add_f32_e32 v2, 0x42800000, v3
	v_and_b32_e32 v2, 0xff, v2
	v_cmp_ne_u32_e32 vcc, 0, v2
	s_andn2_b64 s[4:5], s[4:5], exec
	s_and_b64 s[10:11], vcc, exec
	s_or_b64 s[4:5], s[4:5], s[10:11]
	s_or_b64 exec, exec, s[8:9]
	v_mov_b32_e32 v4, 0
	s_and_saveexec_b64 s[8:9], s[4:5]
	s_cbranch_execnz .LBB134_2115
	s_branch .LBB134_2116
	.section	.rodata,"a",@progbits
	.p2align	6, 0x0
	.amdhsa_kernel _ZN2at6native32elementwise_kernel_manual_unrollILi128ELi4EZNS0_15gpu_kernel_implIZNS0_21compare_scalar_kernelIN3c108BFloat16EEEvRNS_18TensorIteratorBaseENS0_12_GLOBAL__N_16OpTypeET_EUlS5_E_EEvS7_RKSA_EUlibE_EEviT1_
		.amdhsa_group_segment_fixed_size 0
		.amdhsa_private_segment_fixed_size 0
		.amdhsa_kernarg_size 48
		.amdhsa_user_sgpr_count 6
		.amdhsa_user_sgpr_private_segment_buffer 1
		.amdhsa_user_sgpr_dispatch_ptr 0
		.amdhsa_user_sgpr_queue_ptr 0
		.amdhsa_user_sgpr_kernarg_segment_ptr 1
		.amdhsa_user_sgpr_dispatch_id 0
		.amdhsa_user_sgpr_flat_scratch_init 0
		.amdhsa_user_sgpr_private_segment_size 0
		.amdhsa_uses_dynamic_stack 0
		.amdhsa_system_sgpr_private_segment_wavefront_offset 0
		.amdhsa_system_sgpr_workgroup_id_x 1
		.amdhsa_system_sgpr_workgroup_id_y 0
		.amdhsa_system_sgpr_workgroup_id_z 0
		.amdhsa_system_sgpr_workgroup_info 0
		.amdhsa_system_vgpr_workitem_id 0
		.amdhsa_next_free_vgpr 10
		.amdhsa_next_free_sgpr 48
		.amdhsa_reserve_vcc 1
		.amdhsa_reserve_flat_scratch 0
		.amdhsa_float_round_mode_32 0
		.amdhsa_float_round_mode_16_64 0
		.amdhsa_float_denorm_mode_32 3
		.amdhsa_float_denorm_mode_16_64 3
		.amdhsa_dx10_clamp 1
		.amdhsa_ieee_mode 1
		.amdhsa_fp16_overflow 0
		.amdhsa_exception_fp_ieee_invalid_op 0
		.amdhsa_exception_fp_denorm_src 0
		.amdhsa_exception_fp_ieee_div_zero 0
		.amdhsa_exception_fp_ieee_overflow 0
		.amdhsa_exception_fp_ieee_underflow 0
		.amdhsa_exception_fp_ieee_inexact 0
		.amdhsa_exception_int_div_zero 0
	.end_amdhsa_kernel
	.section	.text._ZN2at6native32elementwise_kernel_manual_unrollILi128ELi4EZNS0_15gpu_kernel_implIZNS0_21compare_scalar_kernelIN3c108BFloat16EEEvRNS_18TensorIteratorBaseENS0_12_GLOBAL__N_16OpTypeET_EUlS5_E_EEvS7_RKSA_EUlibE_EEviT1_,"axG",@progbits,_ZN2at6native32elementwise_kernel_manual_unrollILi128ELi4EZNS0_15gpu_kernel_implIZNS0_21compare_scalar_kernelIN3c108BFloat16EEEvRNS_18TensorIteratorBaseENS0_12_GLOBAL__N_16OpTypeET_EUlS5_E_EEvS7_RKSA_EUlibE_EEviT1_,comdat
.Lfunc_end134:
	.size	_ZN2at6native32elementwise_kernel_manual_unrollILi128ELi4EZNS0_15gpu_kernel_implIZNS0_21compare_scalar_kernelIN3c108BFloat16EEEvRNS_18TensorIteratorBaseENS0_12_GLOBAL__N_16OpTypeET_EUlS5_E_EEvS7_RKSA_EUlibE_EEviT1_, .Lfunc_end134-_ZN2at6native32elementwise_kernel_manual_unrollILi128ELi4EZNS0_15gpu_kernel_implIZNS0_21compare_scalar_kernelIN3c108BFloat16EEEvRNS_18TensorIteratorBaseENS0_12_GLOBAL__N_16OpTypeET_EUlS5_E_EEvS7_RKSA_EUlibE_EEviT1_
                                        ; -- End function
	.set _ZN2at6native32elementwise_kernel_manual_unrollILi128ELi4EZNS0_15gpu_kernel_implIZNS0_21compare_scalar_kernelIN3c108BFloat16EEEvRNS_18TensorIteratorBaseENS0_12_GLOBAL__N_16OpTypeET_EUlS5_E_EEvS7_RKSA_EUlibE_EEviT1_.num_vgpr, 10
	.set _ZN2at6native32elementwise_kernel_manual_unrollILi128ELi4EZNS0_15gpu_kernel_implIZNS0_21compare_scalar_kernelIN3c108BFloat16EEEvRNS_18TensorIteratorBaseENS0_12_GLOBAL__N_16OpTypeET_EUlS5_E_EEvS7_RKSA_EUlibE_EEviT1_.num_agpr, 0
	.set _ZN2at6native32elementwise_kernel_manual_unrollILi128ELi4EZNS0_15gpu_kernel_implIZNS0_21compare_scalar_kernelIN3c108BFloat16EEEvRNS_18TensorIteratorBaseENS0_12_GLOBAL__N_16OpTypeET_EUlS5_E_EEvS7_RKSA_EUlibE_EEviT1_.numbered_sgpr, 48
	.set _ZN2at6native32elementwise_kernel_manual_unrollILi128ELi4EZNS0_15gpu_kernel_implIZNS0_21compare_scalar_kernelIN3c108BFloat16EEEvRNS_18TensorIteratorBaseENS0_12_GLOBAL__N_16OpTypeET_EUlS5_E_EEvS7_RKSA_EUlibE_EEviT1_.num_named_barrier, 0
	.set _ZN2at6native32elementwise_kernel_manual_unrollILi128ELi4EZNS0_15gpu_kernel_implIZNS0_21compare_scalar_kernelIN3c108BFloat16EEEvRNS_18TensorIteratorBaseENS0_12_GLOBAL__N_16OpTypeET_EUlS5_E_EEvS7_RKSA_EUlibE_EEviT1_.private_seg_size, 0
	.set _ZN2at6native32elementwise_kernel_manual_unrollILi128ELi4EZNS0_15gpu_kernel_implIZNS0_21compare_scalar_kernelIN3c108BFloat16EEEvRNS_18TensorIteratorBaseENS0_12_GLOBAL__N_16OpTypeET_EUlS5_E_EEvS7_RKSA_EUlibE_EEviT1_.uses_vcc, 1
	.set _ZN2at6native32elementwise_kernel_manual_unrollILi128ELi4EZNS0_15gpu_kernel_implIZNS0_21compare_scalar_kernelIN3c108BFloat16EEEvRNS_18TensorIteratorBaseENS0_12_GLOBAL__N_16OpTypeET_EUlS5_E_EEvS7_RKSA_EUlibE_EEviT1_.uses_flat_scratch, 0
	.set _ZN2at6native32elementwise_kernel_manual_unrollILi128ELi4EZNS0_15gpu_kernel_implIZNS0_21compare_scalar_kernelIN3c108BFloat16EEEvRNS_18TensorIteratorBaseENS0_12_GLOBAL__N_16OpTypeET_EUlS5_E_EEvS7_RKSA_EUlibE_EEviT1_.has_dyn_sized_stack, 0
	.set _ZN2at6native32elementwise_kernel_manual_unrollILi128ELi4EZNS0_15gpu_kernel_implIZNS0_21compare_scalar_kernelIN3c108BFloat16EEEvRNS_18TensorIteratorBaseENS0_12_GLOBAL__N_16OpTypeET_EUlS5_E_EEvS7_RKSA_EUlibE_EEviT1_.has_recursion, 0
	.set _ZN2at6native32elementwise_kernel_manual_unrollILi128ELi4EZNS0_15gpu_kernel_implIZNS0_21compare_scalar_kernelIN3c108BFloat16EEEvRNS_18TensorIteratorBaseENS0_12_GLOBAL__N_16OpTypeET_EUlS5_E_EEvS7_RKSA_EUlibE_EEviT1_.has_indirect_call, 0
	.section	.AMDGPU.csdata,"",@progbits
; Kernel info:
; codeLenInByte = 37116
; TotalNumSgprs: 52
; NumVgprs: 10
; ScratchSize: 0
; MemoryBound: 0
; FloatMode: 240
; IeeeMode: 1
; LDSByteSize: 0 bytes/workgroup (compile time only)
; SGPRBlocks: 6
; VGPRBlocks: 2
; NumSGPRsForWavesPerEU: 52
; NumVGPRsForWavesPerEU: 10
; Occupancy: 10
; WaveLimiterHint : 0
; COMPUTE_PGM_RSRC2:SCRATCH_EN: 0
; COMPUTE_PGM_RSRC2:USER_SGPR: 6
; COMPUTE_PGM_RSRC2:TRAP_HANDLER: 0
; COMPUTE_PGM_RSRC2:TGID_X_EN: 1
; COMPUTE_PGM_RSRC2:TGID_Y_EN: 0
; COMPUTE_PGM_RSRC2:TGID_Z_EN: 0
; COMPUTE_PGM_RSRC2:TIDIG_COMP_CNT: 0
	.section	.text._ZN2at6native32elementwise_kernel_manual_unrollILi128ELi4EZNS0_15gpu_kernel_implIZNS0_21compare_scalar_kernelIN3c108BFloat16EEEvRNS_18TensorIteratorBaseENS0_12_GLOBAL__N_16OpTypeET_EUlS5_E_EEvS7_RKSA_EUlibE0_EEviT1_,"axG",@progbits,_ZN2at6native32elementwise_kernel_manual_unrollILi128ELi4EZNS0_15gpu_kernel_implIZNS0_21compare_scalar_kernelIN3c108BFloat16EEEvRNS_18TensorIteratorBaseENS0_12_GLOBAL__N_16OpTypeET_EUlS5_E_EEvS7_RKSA_EUlibE0_EEviT1_,comdat
	.globl	_ZN2at6native32elementwise_kernel_manual_unrollILi128ELi4EZNS0_15gpu_kernel_implIZNS0_21compare_scalar_kernelIN3c108BFloat16EEEvRNS_18TensorIteratorBaseENS0_12_GLOBAL__N_16OpTypeET_EUlS5_E_EEvS7_RKSA_EUlibE0_EEviT1_ ; -- Begin function _ZN2at6native32elementwise_kernel_manual_unrollILi128ELi4EZNS0_15gpu_kernel_implIZNS0_21compare_scalar_kernelIN3c108BFloat16EEEvRNS_18TensorIteratorBaseENS0_12_GLOBAL__N_16OpTypeET_EUlS5_E_EEvS7_RKSA_EUlibE0_EEviT1_
	.p2align	8
	.type	_ZN2at6native32elementwise_kernel_manual_unrollILi128ELi4EZNS0_15gpu_kernel_implIZNS0_21compare_scalar_kernelIN3c108BFloat16EEEvRNS_18TensorIteratorBaseENS0_12_GLOBAL__N_16OpTypeET_EUlS5_E_EEvS7_RKSA_EUlibE0_EEviT1_,@function
_ZN2at6native32elementwise_kernel_manual_unrollILi128ELi4EZNS0_15gpu_kernel_implIZNS0_21compare_scalar_kernelIN3c108BFloat16EEEvRNS_18TensorIteratorBaseENS0_12_GLOBAL__N_16OpTypeET_EUlS5_E_EEvS7_RKSA_EUlibE0_EEviT1_: ; @_ZN2at6native32elementwise_kernel_manual_unrollILi128ELi4EZNS0_15gpu_kernel_implIZNS0_21compare_scalar_kernelIN3c108BFloat16EEEvRNS_18TensorIteratorBaseENS0_12_GLOBAL__N_16OpTypeET_EUlS5_E_EEvS7_RKSA_EUlibE0_EEviT1_
; %bb.0:
	s_load_dword s72, s[4:5], 0x0
	s_load_dword s33, s[4:5], 0x8
	s_add_u32 s34, s4, 8
	s_addc_u32 s35, s5, 0
	v_lshl_or_b32 v8, s6, 9, v0
	v_or_b32_e32 v15, 0x180, v8
	s_waitcnt lgkmcnt(0)
	s_add_i32 s74, s33, -1
	s_cmp_gt_u32 s74, 1
	v_cmp_le_i32_e32 vcc, s72, v15
	s_cselect_b64 s[40:41], -1, 0
	s_mov_b64 s[6:7], 0
	s_mov_b64 s[28:29], 0
	s_and_saveexec_b64 s[0:1], vcc
	s_xor_b64 s[42:43], exec, s[0:1]
	s_cbranch_execz .LBB135_1151
; %bb.1:
	s_load_dwordx4 s[28:31], s[34:35], 0x4
	s_load_dwordx2 s[46:47], s[34:35], 0x14
	s_load_dwordx2 s[44:45], s[34:35], 0x158
	s_load_dword s75, s[34:35], 0x160
	s_cmp_lg_u32 s33, 0
	s_load_dwordx4 s[36:39], s[34:35], 0xc4
	s_load_dwordx4 s[24:27], s[34:35], 0x148
	s_cselect_b64 s[52:53], -1, 0
	s_add_u32 s50, s34, 0xc4
	s_addc_u32 s51, s35, 0
	s_min_u32 s77, s74, 15
	s_cmp_gt_u32 s33, 1
	s_cselect_b64 s[48:49], -1, 0
	s_waitcnt lgkmcnt(0)
	s_bfe_u32 s76, s75, 0x80008
	s_lshl_b32 s45, s45, 16
	v_cmp_gt_i32_e32 vcc, s72, v8
	s_mov_b64 s[2:3], -1
	s_mov_b64 s[62:63], 0
	s_mov_b64 s[56:57], 0
	;; [unrolled: 1-line block ×3, first 2 shown]
	s_and_saveexec_b64 s[58:59], vcc
	s_cbranch_execz .LBB135_282
; %bb.2:
	s_andn2_b64 vcc, exec, s[40:41]
	s_cbranch_vccnz .LBB135_7
; %bb.3:
	s_andn2_b64 vcc, exec, s[52:53]
	s_cbranch_vccnz .LBB135_8
; %bb.4:
	s_add_i32 s61, s77, 1
	s_cmp_eq_u32 s74, 2
	s_cbranch_scc1 .LBB135_9
; %bb.5:
	s_and_b32 s60, s61, 28
	v_mov_b32_e32 v2, 0
	s_mov_b32 s64, 0
	s_mov_b64 s[54:55], s[34:35]
	s_mov_b64 s[56:57], s[50:51]
	v_mov_b32_e32 v0, 0
	v_mov_b32_e32 v1, v8
.LBB135_6:                              ; =>This Inner Loop Header: Depth=1
	s_load_dwordx8 s[16:23], s[54:55], 0x4
	s_load_dwordx4 s[0:3], s[54:55], 0x24
	s_load_dwordx8 s[8:15], s[56:57], 0x0
	s_add_u32 s54, s54, 48
	s_addc_u32 s55, s55, 0
	s_waitcnt lgkmcnt(0)
	v_mul_hi_u32 v3, s17, v1
	s_add_i32 s64, s64, 4
	s_add_u32 s56, s56, 32
	s_addc_u32 s57, s57, 0
	v_add_u32_e32 v3, v1, v3
	v_lshrrev_b32_e32 v3, s18, v3
	v_mul_lo_u32 v4, v3, s16
	v_mul_hi_u32 v5, s20, v3
	s_cmp_lg_u32 s60, s64
	v_sub_u32_e32 v1, v1, v4
	v_add_u32_e32 v4, v3, v5
	v_mul_lo_u32 v5, v1, s8
	v_mul_lo_u32 v6, v1, s9
	v_lshrrev_b32_e32 v1, s21, v4
	v_mul_lo_u32 v4, v1, s19
	v_mul_hi_u32 v7, s23, v1
	v_sub_u32_e32 v3, v3, v4
	v_add_u32_e32 v4, v1, v7
	v_lshrrev_b32_e32 v4, s0, v4
	v_mul_hi_u32 v9, s2, v4
	v_mul_lo_u32 v10, v4, s22
	v_mul_lo_u32 v7, v3, s10
	;; [unrolled: 1-line block ×3, first 2 shown]
	v_sub_u32_e32 v10, v1, v10
	v_add_u32_e32 v1, v4, v9
	v_lshrrev_b32_e32 v1, s3, v1
	v_mul_lo_u32 v9, v1, s1
	v_mul_lo_u32 v11, v10, s12
	v_mul_lo_u32 v10, v10, s13
	v_add3_u32 v0, v5, v0, v7
	v_sub_u32_e32 v4, v4, v9
	v_mul_lo_u32 v9, v4, s14
	v_mul_lo_u32 v4, v4, s15
	v_add3_u32 v2, v6, v2, v3
	v_add3_u32 v0, v11, v0, v9
	;; [unrolled: 1-line block ×3, first 2 shown]
	s_cbranch_scc1 .LBB135_6
	s_branch .LBB135_10
.LBB135_7:
                                        ; implicit-def: $vgpr0
                                        ; implicit-def: $vgpr2
	s_branch .LBB135_14
.LBB135_8:
	v_mov_b32_e32 v0, 0
	v_mov_b32_e32 v2, 0
	s_branch .LBB135_13
.LBB135_9:
	s_mov_b32 s60, 0
	v_mov_b32_e32 v0, 0
	v_mov_b32_e32 v2, 0
	v_mov_b32_e32 v1, v8
.LBB135_10:
	s_and_b32 s8, s61, 3
	s_cmp_eq_u32 s8, 0
	s_cbranch_scc1 .LBB135_13
; %bb.11:
	s_lshl_b32 s0, s60, 3
	s_add_u32 s0, s34, s0
	s_addc_u32 s1, s35, 0
	s_add_u32 s0, s0, 0xc4
	s_addc_u32 s1, s1, 0
	s_mul_i32 s2, s60, 12
	s_add_u32 s2, s34, s2
	s_addc_u32 s3, s35, 0
.LBB135_12:                             ; =>This Inner Loop Header: Depth=1
	s_load_dwordx2 s[10:11], s[2:3], 0x4
	s_load_dword s9, s[2:3], 0xc
	s_load_dwordx2 s[12:13], s[0:1], 0x0
	s_add_u32 s2, s2, 12
	s_addc_u32 s3, s3, 0
	s_waitcnt lgkmcnt(0)
	v_mul_hi_u32 v3, s11, v1
	s_add_u32 s0, s0, 8
	s_addc_u32 s1, s1, 0
	s_add_i32 s8, s8, -1
	v_add_u32_e32 v3, v1, v3
	v_lshrrev_b32_e32 v4, s9, v3
	v_mul_lo_u32 v3, v4, s10
	s_cmp_lg_u32 s8, 0
	v_sub_u32_e32 v3, v1, v3
	v_mad_u64_u32 v[0:1], s[10:11], v3, s12, v[0:1]
	v_mad_u64_u32 v[2:3], s[10:11], v3, s13, v[2:3]
	v_mov_b32_e32 v1, v4
	s_cbranch_scc1 .LBB135_12
.LBB135_13:
	s_cbranch_execnz .LBB135_16
.LBB135_14:
	v_mul_hi_u32 v0, s29, v8
	s_andn2_b64 vcc, exec, s[48:49]
	v_add_u32_e32 v0, v8, v0
	v_lshrrev_b32_e32 v1, s30, v0
	v_mul_lo_u32 v0, v1, s28
	v_sub_u32_e32 v2, v8, v0
	v_mul_lo_u32 v0, v2, s36
	v_mul_lo_u32 v2, v2, s37
	s_cbranch_vccnz .LBB135_16
; %bb.15:
	v_mul_hi_u32 v3, s46, v1
	v_add_u32_e32 v3, v1, v3
	v_lshrrev_b32_e32 v3, s47, v3
	v_mul_lo_u32 v3, v3, s31
	v_sub_u32_e32 v3, v1, v3
	v_mad_u64_u32 v[0:1], s[0:1], v3, s38, v[0:1]
	v_mad_u64_u32 v[2:3], s[0:1], v3, s39, v[2:3]
.LBB135_16:
	v_mov_b32_e32 v3, s27
	s_and_b32 s12, 0xffff, s76
	v_add_co_u32_e32 v1, vcc, s26, v2
	s_cmp_lt_i32 s12, 11
	v_addc_co_u32_e32 v2, vcc, 0, v3, vcc
	s_cbranch_scc1 .LBB135_23
; %bb.17:
	s_cmp_gt_i32 s12, 25
	s_cbranch_scc0 .LBB135_29
; %bb.18:
	s_cmp_gt_i32 s12, 28
	s_cbranch_scc0 .LBB135_31
	;; [unrolled: 3-line block ×4, first 2 shown]
; %bb.21:
	s_cmp_eq_u32 s12, 46
	s_mov_b64 s[8:9], 0
	s_cbranch_scc0 .LBB135_57
; %bb.22:
	global_load_dword v3, v[1:2], off
	s_mov_b64 s[0:1], -1
	s_mov_b64 s[2:3], 0
	s_branch .LBB135_59
.LBB135_23:
	s_mov_b64 s[2:3], 0
                                        ; implicit-def: $vgpr3
	s_mov_b64 s[0:1], 0
	s_cbranch_execnz .LBB135_232
.LBB135_24:
	s_andn2_b64 vcc, exec, s[0:1]
	s_cbranch_vccnz .LBB135_279
.LBB135_25:
	s_waitcnt vmcnt(0)
	v_lshlrev_b32_e32 v1, 16, v3
	s_cmp_lt_i32 s44, 1
	s_mov_b64 s[0:1], 0
	s_cbranch_scc1 .LBB135_30
; %bb.26:
	s_cmp_gt_i32 s44, 1
	s_cbranch_scc0 .LBB135_32
; %bb.27:
	s_cmp_eq_u32 s44, 2
	s_cbranch_scc0 .LBB135_34
; %bb.28:
	v_cmp_ge_f32_e64 s[8:9], s45, v1
	s_mov_b64 s[10:11], 0
	s_branch .LBB135_35
.LBB135_29:
	s_mov_b64 s[2:3], 0
	s_mov_b64 s[0:1], 0
                                        ; implicit-def: $vgpr3
	s_cbranch_execnz .LBB135_197
	s_branch .LBB135_231
.LBB135_30:
                                        ; implicit-def: $sgpr8_sgpr9
	s_mov_b64 s[10:11], 0
	s_cbranch_execnz .LBB135_39
	s_branch .LBB135_40
.LBB135_31:
	s_mov_b64 s[8:9], -1
	s_mov_b64 s[2:3], 0
	s_mov_b64 s[0:1], 0
                                        ; implicit-def: $vgpr3
	s_branch .LBB135_178
.LBB135_32:
	s_mov_b64 s[12:13], -1
	s_mov_b64 s[10:11], 0
                                        ; implicit-def: $sgpr8_sgpr9
	s_branch .LBB135_36
.LBB135_33:
	s_mov_b64 s[8:9], -1
	s_mov_b64 s[2:3], 0
	s_mov_b64 s[0:1], 0
                                        ; implicit-def: $vgpr3
	s_branch .LBB135_173
.LBB135_34:
	s_mov_b64 s[10:11], -1
                                        ; implicit-def: $sgpr8_sgpr9
.LBB135_35:
	s_mov_b64 s[12:13], 0
.LBB135_36:
	s_and_b64 vcc, exec, s[12:13]
	s_cbranch_vccz .LBB135_38
; %bb.37:
	v_cmp_lt_f32_e32 vcc, s45, v1
	s_andn2_b64 s[8:9], s[8:9], exec
	s_and_b64 s[12:13], vcc, exec
	s_or_b64 s[8:9], s[8:9], s[12:13]
.LBB135_38:
	s_branch .LBB135_40
.LBB135_39:
	s_cmp_lg_u32 s44, 0
	s_mov_b64 s[0:1], -1
	s_cselect_b64 s[10:11], -1, 0
.LBB135_40:
	s_andn2_b64 vcc, exec, s[10:11]
	s_cbranch_vccnz .LBB135_42
; %bb.41:
	v_cmp_gt_f32_e32 vcc, s45, v1
	s_andn2_b64 s[8:9], s[8:9], exec
	s_and_b64 s[10:11], vcc, exec
	s_or_b64 s[8:9], s[8:9], s[10:11]
	s_cbranch_execz .LBB135_43
	s_branch .LBB135_44
.LBB135_42:
	s_andn2_b64 vcc, exec, s[0:1]
	s_cbranch_vccnz .LBB135_44
.LBB135_43:
	v_cmp_le_f32_e32 vcc, s45, v1
	s_andn2_b64 s[0:1], s[8:9], exec
	s_and_b64 s[8:9], vcc, exec
	s_or_b64 s[8:9], s[0:1], s[8:9]
.LBB135_44:
	v_mov_b32_e32 v1, s25
	s_and_b32 s16, s75, 0xff
	v_add_co_u32_e32 v0, vcc, s24, v0
	s_cmp_lt_i32 s16, 11
	v_addc_co_u32_e32 v1, vcc, 0, v1, vcc
	s_cbranch_scc1 .LBB135_51
; %bb.45:
	s_and_b32 s17, 0xffff, s16
	s_cmp_gt_i32 s17, 25
	s_cbranch_scc0 .LBB135_53
; %bb.46:
	s_cmp_gt_i32 s17, 28
	s_cbranch_scc0 .LBB135_54
; %bb.47:
	;; [unrolled: 3-line block ×4, first 2 shown]
	s_mov_b64 s[12:13], 0
	s_mov_b64 s[0:1], -1
	s_cmp_eq_u32 s17, 46
	s_mov_b64 s[10:11], 0
	s_cbranch_scc0 .LBB135_63
; %bb.50:
	v_cndmask_b32_e64 v2, 0, 1.0, s[8:9]
	v_bfe_u32 v3, v2, 16, 1
	s_movk_i32 s0, 0x7fff
	v_add3_u32 v2, v2, v3, s0
	v_lshrrev_b32_e32 v2, 16, v2
	global_store_dword v[0:1], v2, off
	s_mov_b64 s[10:11], -1
	s_mov_b64 s[0:1], 0
	s_branch .LBB135_63
.LBB135_51:
	s_mov_b64 s[0:1], 0
	s_mov_b64 s[10:11], 0
	s_cbranch_execnz .LBB135_132
.LBB135_52:
	s_andn2_b64 vcc, exec, s[10:11]
	s_cbranch_vccnz .LBB135_280
	s_branch .LBB135_170
.LBB135_53:
	s_mov_b64 s[12:13], -1
	s_mov_b64 s[0:1], 0
	s_mov_b64 s[10:11], 0
	s_branch .LBB135_90
.LBB135_54:
	s_mov_b64 s[12:13], -1
	s_mov_b64 s[0:1], 0
	s_mov_b64 s[10:11], 0
	s_branch .LBB135_73
.LBB135_55:
	s_mov_b64 s[8:9], -1
	s_mov_b64 s[2:3], 0
	s_branch .LBB135_58
.LBB135_56:
	s_mov_b64 s[12:13], -1
	s_mov_b64 s[0:1], 0
	s_mov_b64 s[10:11], 0
	s_branch .LBB135_69
.LBB135_57:
	s_mov_b64 s[2:3], -1
.LBB135_58:
	s_mov_b64 s[0:1], 0
                                        ; implicit-def: $vgpr3
.LBB135_59:
	s_and_b64 vcc, exec, s[8:9]
	s_cbranch_vccz .LBB135_172
; %bb.60:
	s_cmp_eq_u32 s12, 44
	s_cbranch_scc0 .LBB135_171
; %bb.61:
	global_load_ubyte v3, v[1:2], off
	s_movk_i32 s2, 0xff
	v_mov_b32_e32 v4, 0x7f800001
	v_mov_b32_e32 v5, 0x400000
	;; [unrolled: 1-line block ×3, first 2 shown]
	s_mov_b64 s[0:1], -1
	s_waitcnt vmcnt(0)
	v_lshlrev_b32_e32 v7, 23, v3
	v_cmp_ne_u32_e32 vcc, s2, v3
	v_cndmask_b32_e32 v4, v4, v7, vcc
	v_cmp_ne_u32_e32 vcc, 0, v3
	v_cndmask_b32_e32 v3, v5, v4, vcc
	v_add_u32_e32 v4, 0x7fff, v3
	v_cmp_o_f32_e32 vcc, v3, v3
	v_cndmask_b32_sdwa v3, v6, v4, vcc dst_sel:DWORD dst_unused:UNUSED_PAD src0_sel:DWORD src1_sel:WORD_1
	s_mov_b64 s[2:3], 0
	s_branch .LBB135_172
.LBB135_62:
	s_mov_b64 s[12:13], -1
	s_mov_b64 s[0:1], 0
	s_mov_b64 s[10:11], 0
.LBB135_63:
	s_and_b64 vcc, exec, s[12:13]
	s_cbranch_vccz .LBB135_68
; %bb.64:
	s_cmp_eq_u32 s17, 44
	s_mov_b64 s[0:1], -1
	s_cbranch_scc0 .LBB135_68
; %bb.65:
	v_cndmask_b32_e64 v3, 0, 1.0, s[8:9]
	v_lshrrev_b32_e32 v2, 23, v3
	s_movk_i32 s0, 0xff
	v_cmp_ne_u32_e32 vcc, s0, v2
	v_mov_b32_e32 v4, 0xff
	s_and_saveexec_b64 s[10:11], vcc
; %bb.66:
	s_mov_b32 s0, 0x3fffff
	v_and_b32_e32 v4, 0x400000, v3
	v_and_or_b32 v3, v3, s0, v2
	v_cmp_ne_u32_e32 vcc, 0, v4
	v_cmp_ne_u32_e64 s[0:1], 0, v3
	s_and_b64 s[0:1], vcc, s[0:1]
	v_cndmask_b32_e64 v3, 0, 1, s[0:1]
	v_add_u32_e32 v4, v2, v3
; %bb.67:
	s_or_b64 exec, exec, s[10:11]
	s_mov_b64 s[10:11], -1
	s_mov_b64 s[0:1], 0
	global_store_byte v[0:1], v4, off
.LBB135_68:
	s_mov_b64 s[12:13], 0
.LBB135_69:
	s_and_b64 vcc, exec, s[12:13]
	s_cbranch_vccz .LBB135_72
; %bb.70:
	s_cmp_eq_u32 s17, 29
	s_mov_b64 s[0:1], -1
	s_cbranch_scc0 .LBB135_72
; %bb.71:
	s_mov_b32 s0, 0
	v_cndmask_b32_e64 v2, 0, 1, s[8:9]
	v_mov_b32_e32 v3, s0
	global_store_dwordx2 v[0:1], v[2:3], off
	s_mov_b64 s[10:11], -1
	s_mov_b64 s[0:1], 0
.LBB135_72:
	s_mov_b64 s[12:13], 0
.LBB135_73:
	s_and_b64 vcc, exec, s[12:13]
	s_cbranch_vccz .LBB135_89
; %bb.74:
	s_cmp_lt_i32 s17, 27
	s_mov_b64 s[10:11], -1
	s_cbranch_scc1 .LBB135_80
; %bb.75:
	s_cmp_gt_i32 s17, 27
	s_cbranch_scc0 .LBB135_77
; %bb.76:
	v_cndmask_b32_e64 v2, 0, 1, s[8:9]
	s_mov_b64 s[10:11], 0
	global_store_dword v[0:1], v2, off
.LBB135_77:
	s_andn2_b64 vcc, exec, s[10:11]
	s_cbranch_vccnz .LBB135_79
; %bb.78:
	v_cndmask_b32_e64 v2, 0, 1, s[8:9]
	global_store_short v[0:1], v2, off
.LBB135_79:
	s_mov_b64 s[10:11], 0
.LBB135_80:
	s_andn2_b64 vcc, exec, s[10:11]
	s_cbranch_vccnz .LBB135_88
; %bb.81:
	v_cndmask_b32_e64 v3, 0, 1.0, s[8:9]
	s_mov_b32 s10, 0x43800000
	v_cmp_gt_u32_e32 vcc, s10, v3
	v_mov_b32_e32 v4, 0x80
	s_and_saveexec_b64 s[10:11], vcc
	s_cbranch_execz .LBB135_87
; %bb.82:
	s_mov_b32 s12, 0x3bffffff
	v_cmp_lt_u32_e32 vcc, s12, v3
	s_mov_b64 s[12:13], 0
                                        ; implicit-def: $vgpr2
	s_and_saveexec_b64 s[14:15], vcc
	s_xor_b64 s[14:15], exec, s[14:15]
	s_cbranch_execz .LBB135_339
; %bb.83:
	v_bfe_u32 v2, v3, 20, 1
	s_mov_b32 s18, 0x487ffff
	v_add3_u32 v2, v3, v2, s18
	s_mov_b64 s[12:13], exec
	v_lshrrev_b32_e32 v2, 20, v2
                                        ; implicit-def: $vgpr3
	s_andn2_saveexec_b64 s[14:15], s[14:15]
	s_cbranch_execnz .LBB135_340
.LBB135_84:
	s_or_b64 exec, exec, s[14:15]
	v_mov_b32_e32 v4, 0
	s_and_saveexec_b64 s[14:15], s[12:13]
.LBB135_85:
	v_mov_b32_e32 v4, v2
.LBB135_86:
	s_or_b64 exec, exec, s[14:15]
.LBB135_87:
	s_or_b64 exec, exec, s[10:11]
	global_store_byte v[0:1], v4, off
.LBB135_88:
	s_mov_b64 s[10:11], -1
.LBB135_89:
	s_mov_b64 s[12:13], 0
.LBB135_90:
	s_and_b64 vcc, exec, s[12:13]
	s_cbranch_vccz .LBB135_131
; %bb.91:
	s_cmp_gt_i32 s17, 22
	s_mov_b64 s[12:13], -1
	s_cbranch_scc0 .LBB135_123
; %bb.92:
	s_cmp_lt_i32 s17, 24
	s_mov_b64 s[10:11], -1
	s_cbranch_scc1 .LBB135_112
; %bb.93:
	s_cmp_gt_i32 s17, 24
	s_cbranch_scc0 .LBB135_101
; %bb.94:
	v_cndmask_b32_e64 v3, 0, 1.0, s[8:9]
	s_mov_b32 s10, 0x47800000
	v_cmp_gt_u32_e32 vcc, s10, v3
	v_mov_b32_e32 v4, 0x80
	s_and_saveexec_b64 s[10:11], vcc
	s_cbranch_execz .LBB135_100
; %bb.95:
	s_mov_b32 s12, 0x37ffffff
	v_cmp_lt_u32_e32 vcc, s12, v3
	s_mov_b64 s[12:13], 0
                                        ; implicit-def: $vgpr2
	s_and_saveexec_b64 s[14:15], vcc
	s_xor_b64 s[14:15], exec, s[14:15]
	s_cbranch_execz .LBB135_343
; %bb.96:
	v_bfe_u32 v2, v3, 21, 1
	s_mov_b32 s18, 0x88fffff
	v_add3_u32 v2, v3, v2, s18
	s_mov_b64 s[12:13], exec
	v_lshrrev_b32_e32 v2, 21, v2
                                        ; implicit-def: $vgpr3
	s_andn2_saveexec_b64 s[14:15], s[14:15]
	s_cbranch_execnz .LBB135_344
.LBB135_97:
	s_or_b64 exec, exec, s[14:15]
	v_mov_b32_e32 v4, 0
	s_and_saveexec_b64 s[14:15], s[12:13]
.LBB135_98:
	v_mov_b32_e32 v4, v2
.LBB135_99:
	s_or_b64 exec, exec, s[14:15]
.LBB135_100:
	s_or_b64 exec, exec, s[10:11]
	s_mov_b64 s[10:11], 0
	global_store_byte v[0:1], v4, off
.LBB135_101:
	s_and_b64 vcc, exec, s[10:11]
	s_cbranch_vccz .LBB135_111
; %bb.102:
	v_cndmask_b32_e64 v2, 0, 1.0, s[8:9]
	s_mov_b32 s10, 0x43f00000
	v_cmp_gt_u32_e32 vcc, s10, v2
                                        ; implicit-def: $vgpr3
	s_and_saveexec_b64 s[10:11], vcc
	s_xor_b64 s[10:11], exec, s[10:11]
	s_cbranch_execz .LBB135_108
; %bb.103:
	s_mov_b32 s12, 0x3c7fffff
	v_cmp_lt_u32_e32 vcc, s12, v2
                                        ; implicit-def: $vgpr3
	s_and_saveexec_b64 s[12:13], vcc
	s_xor_b64 s[12:13], exec, s[12:13]
; %bb.104:
	v_bfe_u32 v3, v2, 20, 1
	s_mov_b32 s14, 0x407ffff
	v_add3_u32 v2, v2, v3, s14
	v_lshrrev_b32_e32 v3, 20, v2
	v_and_b32_e32 v2, 0xff00000, v2
	s_mov_b32 s14, 0x7f00000
	v_mov_b32_e32 v4, 0x7e
	v_cmp_ne_u32_e32 vcc, s14, v2
	v_cndmask_b32_e32 v3, v4, v3, vcc
                                        ; implicit-def: $vgpr2
; %bb.105:
	s_andn2_saveexec_b64 s[12:13], s[12:13]
; %bb.106:
	v_add_f32_e32 v3, 0x46800000, v2
; %bb.107:
	s_or_b64 exec, exec, s[12:13]
                                        ; implicit-def: $vgpr2
.LBB135_108:
	s_andn2_saveexec_b64 s[10:11], s[10:11]
; %bb.109:
	s_mov_b32 s12, 0x7f800000
	v_mov_b32_e32 v3, 0x7e
	v_mov_b32_e32 v4, 0x7f
	v_cmp_lt_u32_e32 vcc, s12, v2
	v_cndmask_b32_e32 v3, v3, v4, vcc
; %bb.110:
	s_or_b64 exec, exec, s[10:11]
	global_store_byte v[0:1], v3, off
.LBB135_111:
	s_mov_b64 s[10:11], 0
.LBB135_112:
	s_andn2_b64 vcc, exec, s[10:11]
	s_cbranch_vccnz .LBB135_122
; %bb.113:
	v_cndmask_b32_e64 v2, 0, 1.0, s[8:9]
	s_mov_b32 s10, 0x47800000
	v_cmp_gt_u32_e32 vcc, s10, v2
                                        ; implicit-def: $vgpr3
	s_and_saveexec_b64 s[10:11], vcc
	s_xor_b64 s[10:11], exec, s[10:11]
	s_cbranch_execz .LBB135_119
; %bb.114:
	s_mov_b32 s12, 0x387fffff
	v_cmp_lt_u32_e32 vcc, s12, v2
                                        ; implicit-def: $vgpr3
	s_and_saveexec_b64 s[12:13], vcc
	s_xor_b64 s[12:13], exec, s[12:13]
; %bb.115:
	v_bfe_u32 v3, v2, 21, 1
	s_mov_b32 s14, 0x80fffff
	v_add3_u32 v2, v2, v3, s14
	v_lshrrev_b32_e32 v3, 21, v2
                                        ; implicit-def: $vgpr2
; %bb.116:
	s_andn2_saveexec_b64 s[12:13], s[12:13]
; %bb.117:
	v_add_f32_e32 v3, 0x43000000, v2
; %bb.118:
	s_or_b64 exec, exec, s[12:13]
                                        ; implicit-def: $vgpr2
.LBB135_119:
	s_andn2_saveexec_b64 s[10:11], s[10:11]
; %bb.120:
	s_mov_b32 s12, 0x7f800000
	v_mov_b32_e32 v3, 0x7c
	v_mov_b32_e32 v4, 0x7f
	v_cmp_lt_u32_e32 vcc, s12, v2
	v_cndmask_b32_e32 v3, v3, v4, vcc
; %bb.121:
	s_or_b64 exec, exec, s[10:11]
	global_store_byte v[0:1], v3, off
.LBB135_122:
	s_mov_b64 s[12:13], 0
	s_mov_b64 s[10:11], -1
.LBB135_123:
	s_andn2_b64 vcc, exec, s[12:13]
	s_cbranch_vccnz .LBB135_131
; %bb.124:
	s_cmp_gt_i32 s17, 14
	s_mov_b64 s[12:13], -1
	s_cbranch_scc0 .LBB135_128
; %bb.125:
	s_cmp_eq_u32 s17, 15
	s_mov_b64 s[0:1], -1
	s_cbranch_scc0 .LBB135_127
; %bb.126:
	v_cndmask_b32_e64 v2, 0, 1.0, s[8:9]
	v_bfe_u32 v3, v2, 16, 1
	s_movk_i32 s0, 0x7fff
	v_add3_u32 v2, v2, v3, s0
	global_store_short_d16_hi v[0:1], v2, off
	s_mov_b64 s[10:11], -1
	s_mov_b64 s[0:1], 0
.LBB135_127:
	s_mov_b64 s[12:13], 0
.LBB135_128:
	s_and_b64 vcc, exec, s[12:13]
	s_cbranch_vccz .LBB135_131
; %bb.129:
	s_cmp_eq_u32 s17, 11
	s_mov_b64 s[0:1], -1
	s_cbranch_scc0 .LBB135_131
; %bb.130:
	v_cndmask_b32_e64 v2, 0, 1, s[8:9]
	s_mov_b64 s[10:11], -1
	s_mov_b64 s[0:1], 0
	global_store_byte v[0:1], v2, off
.LBB135_131:
	s_branch .LBB135_52
.LBB135_132:
	s_and_b32 s12, 0xffff, s16
	s_cmp_lt_i32 s12, 5
	s_mov_b64 s[10:11], -1
	s_cbranch_scc1 .LBB135_153
; %bb.133:
	s_cmp_lt_i32 s12, 8
	s_cbranch_scc1 .LBB135_143
; %bb.134:
	s_cmp_lt_i32 s12, 9
	s_cbranch_scc1 .LBB135_140
; %bb.135:
	s_cmp_gt_i32 s12, 9
	s_cbranch_scc0 .LBB135_137
; %bb.136:
	v_cndmask_b32_e64 v2, 0, 1, s[8:9]
	v_cvt_f64_u32_e32 v[2:3], v2
	v_mov_b32_e32 v4, 0
	v_mov_b32_e32 v5, v4
	s_mov_b64 s[10:11], 0
	global_store_dwordx4 v[0:1], v[2:5], off
.LBB135_137:
	s_andn2_b64 vcc, exec, s[10:11]
	s_cbranch_vccnz .LBB135_139
; %bb.138:
	v_cndmask_b32_e64 v2, 0, 1.0, s[8:9]
	v_mov_b32_e32 v3, 0
	global_store_dwordx2 v[0:1], v[2:3], off
.LBB135_139:
	s_mov_b64 s[10:11], 0
.LBB135_140:
	s_andn2_b64 vcc, exec, s[10:11]
	s_cbranch_vccnz .LBB135_142
; %bb.141:
	v_cndmask_b32_e64 v2, 0, 1.0, s[8:9]
	v_cvt_f16_f32_e32 v2, v2
	global_store_dword v[0:1], v2, off
.LBB135_142:
	s_mov_b64 s[10:11], 0
.LBB135_143:
	s_andn2_b64 vcc, exec, s[10:11]
	s_cbranch_vccnz .LBB135_152
; %bb.144:
	s_cmp_lt_i32 s12, 6
	s_mov_b64 s[10:11], -1
	s_cbranch_scc1 .LBB135_150
; %bb.145:
	s_cmp_gt_i32 s12, 6
	s_cbranch_scc0 .LBB135_147
; %bb.146:
	v_cndmask_b32_e64 v2, 0, 1, s[8:9]
	v_cvt_f64_u32_e32 v[2:3], v2
	s_mov_b64 s[10:11], 0
	global_store_dwordx2 v[0:1], v[2:3], off
.LBB135_147:
	s_andn2_b64 vcc, exec, s[10:11]
	s_cbranch_vccnz .LBB135_149
; %bb.148:
	v_cndmask_b32_e64 v2, 0, 1.0, s[8:9]
	global_store_dword v[0:1], v2, off
.LBB135_149:
	s_mov_b64 s[10:11], 0
.LBB135_150:
	s_andn2_b64 vcc, exec, s[10:11]
	s_cbranch_vccnz .LBB135_152
; %bb.151:
	v_cndmask_b32_e64 v2, 0, 1.0, s[8:9]
	v_cvt_f16_f32_e32 v2, v2
	global_store_short v[0:1], v2, off
.LBB135_152:
	s_mov_b64 s[10:11], 0
.LBB135_153:
	s_andn2_b64 vcc, exec, s[10:11]
	s_cbranch_vccnz .LBB135_169
; %bb.154:
	s_cmp_lt_i32 s12, 2
	s_mov_b64 s[10:11], -1
	s_cbranch_scc1 .LBB135_164
; %bb.155:
	s_cmp_lt_i32 s12, 3
	s_cbranch_scc1 .LBB135_161
; %bb.156:
	s_cmp_gt_i32 s12, 3
	s_cbranch_scc0 .LBB135_158
; %bb.157:
	s_mov_b32 s10, 0
	v_cndmask_b32_e64 v2, 0, 1, s[8:9]
	v_mov_b32_e32 v3, s10
	global_store_dwordx2 v[0:1], v[2:3], off
	s_mov_b64 s[10:11], 0
.LBB135_158:
	s_andn2_b64 vcc, exec, s[10:11]
	s_cbranch_vccnz .LBB135_160
; %bb.159:
	v_cndmask_b32_e64 v2, 0, 1, s[8:9]
	global_store_dword v[0:1], v2, off
.LBB135_160:
	s_mov_b64 s[10:11], 0
.LBB135_161:
	s_andn2_b64 vcc, exec, s[10:11]
	s_cbranch_vccnz .LBB135_163
; %bb.162:
	v_cndmask_b32_e64 v2, 0, 1, s[8:9]
	global_store_short v[0:1], v2, off
.LBB135_163:
	s_mov_b64 s[10:11], 0
.LBB135_164:
	s_andn2_b64 vcc, exec, s[10:11]
	s_cbranch_vccnz .LBB135_169
; %bb.165:
	s_cmp_gt_i32 s12, 0
	s_mov_b64 s[10:11], -1
	s_cbranch_scc0 .LBB135_167
; %bb.166:
	v_cndmask_b32_e64 v2, 0, 1, s[8:9]
	global_store_byte v[0:1], v2, off
	s_mov_b64 s[10:11], 0
.LBB135_167:
	s_andn2_b64 vcc, exec, s[10:11]
	s_cbranch_vccnz .LBB135_169
; %bb.168:
	v_cndmask_b32_e64 v2, 0, 1, s[8:9]
	global_store_byte v[0:1], v2, off
.LBB135_169:
.LBB135_170:
	v_add_u32_e32 v8, 0x80, v8
	s_mov_b64 s[8:9], -1
	s_branch .LBB135_281
.LBB135_171:
	s_mov_b64 s[2:3], -1
                                        ; implicit-def: $vgpr3
.LBB135_172:
	s_mov_b64 s[8:9], 0
.LBB135_173:
	s_and_b64 vcc, exec, s[8:9]
	s_cbranch_vccz .LBB135_177
; %bb.174:
	s_cmp_eq_u32 s12, 29
	s_cbranch_scc0 .LBB135_176
; %bb.175:
	global_load_dwordx2 v[3:4], v[1:2], off
	s_movk_i32 s2, 0x7fff
	s_mov_b64 s[0:1], -1
	s_mov_b64 s[8:9], 0
	s_waitcnt vmcnt(0)
	v_ffbh_u32_e32 v5, v4
	v_min_u32_e32 v5, 32, v5
	v_lshlrev_b64 v[3:4], v5, v[3:4]
	v_min_u32_e32 v3, 1, v3
	v_or_b32_e32 v3, v4, v3
	v_cvt_f32_u32_e32 v3, v3
	v_sub_u32_e32 v4, 32, v5
	v_ldexp_f32 v3, v3, v4
	v_bfe_u32 v4, v3, 16, 1
	v_add3_u32 v3, v3, v4, s2
	v_lshrrev_b32_e32 v3, 16, v3
	s_mov_b64 s[2:3], 0
	s_branch .LBB135_178
.LBB135_176:
	s_mov_b64 s[2:3], -1
                                        ; implicit-def: $vgpr3
.LBB135_177:
	s_mov_b64 s[8:9], 0
.LBB135_178:
	s_and_b64 vcc, exec, s[8:9]
	s_cbranch_vccz .LBB135_196
; %bb.179:
	s_cmp_lt_i32 s12, 27
	s_cbranch_scc1 .LBB135_182
; %bb.180:
	s_cmp_gt_i32 s12, 27
	s_cbranch_scc0 .LBB135_183
; %bb.181:
	global_load_dword v3, v[1:2], off
	s_movk_i32 s0, 0x7fff
	s_waitcnt vmcnt(0)
	v_cvt_f32_u32_e32 v3, v3
	v_bfe_u32 v4, v3, 16, 1
	v_add3_u32 v3, v3, v4, s0
	v_lshrrev_b32_e32 v3, 16, v3
	s_mov_b64 s[0:1], 0
	s_branch .LBB135_184
.LBB135_182:
	s_mov_b64 s[0:1], -1
                                        ; implicit-def: $vgpr3
	s_branch .LBB135_187
.LBB135_183:
	s_mov_b64 s[0:1], -1
                                        ; implicit-def: $vgpr3
.LBB135_184:
	s_andn2_b64 vcc, exec, s[0:1]
	s_cbranch_vccnz .LBB135_186
; %bb.185:
	global_load_ushort v3, v[1:2], off
	s_movk_i32 s0, 0x7fff
	s_waitcnt vmcnt(0)
	v_cvt_f32_u32_e32 v3, v3
	v_bfe_u32 v4, v3, 16, 1
	v_add3_u32 v3, v3, v4, s0
	v_lshrrev_b32_e32 v3, 16, v3
.LBB135_186:
	s_mov_b64 s[0:1], 0
.LBB135_187:
	s_andn2_b64 vcc, exec, s[0:1]
	s_cbranch_vccnz .LBB135_195
; %bb.188:
	global_load_ubyte v3, v[1:2], off
	s_movk_i32 s0, 0x7f
	s_waitcnt vmcnt(0)
	v_cmp_lt_i16_e32 vcc, s0, v3
	s_mov_b64 s[0:1], 0
	s_and_saveexec_b64 s[8:9], vcc
	s_xor_b64 s[8:9], exec, s[8:9]
	s_cbranch_execz .LBB135_208
; %bb.189:
	s_movk_i32 s0, 0x80
	v_cmp_eq_u16_e32 vcc, s0, v3
	s_mov_b64 s[0:1], -1
	s_and_saveexec_b64 s[10:11], vcc
; %bb.190:
	s_xor_b64 s[0:1], exec, -1
; %bb.191:
	s_or_b64 exec, exec, s[10:11]
	s_and_b64 s[0:1], s[0:1], exec
	s_or_saveexec_b64 s[8:9], s[8:9]
	v_mov_b32_e32 v4, 0x7f800001
	s_xor_b64 exec, exec, s[8:9]
	s_cbranch_execnz .LBB135_209
.LBB135_192:
	s_or_b64 exec, exec, s[8:9]
	s_and_saveexec_b64 s[8:9], s[0:1]
	s_cbranch_execz .LBB135_194
.LBB135_193:
	v_lshlrev_b32_e32 v4, 24, v3
	v_and_b32_e32 v3, 0xffff, v3
	v_and_b32_e32 v5, 7, v3
	v_ffbh_u32_e32 v7, v5
	v_min_u32_e32 v7, 32, v7
	v_subrev_u32_e32 v9, 28, v7
	v_bfe_u32 v6, v3, 3, 4
	v_lshlrev_b32_e32 v3, v9, v3
	v_sub_u32_e32 v7, 29, v7
	v_and_b32_e32 v3, 7, v3
	v_cmp_eq_u32_e32 vcc, 0, v6
	v_cndmask_b32_e32 v6, v6, v7, vcc
	v_cndmask_b32_e32 v3, v5, v3, vcc
	v_mov_b32_e32 v5, 0x3b800000
	v_lshlrev_b32_e32 v3, 20, v3
	v_and_b32_e32 v4, 0x80000000, v4
	v_lshl_add_u32 v5, v6, 23, v5
	v_or3_b32 v4, v4, v5, v3
.LBB135_194:
	s_or_b64 exec, exec, s[8:9]
	v_bfe_u32 v3, v4, 16, 1
	s_movk_i32 s0, 0x7fff
	v_add3_u32 v3, v4, v3, s0
	v_cmp_o_f32_e32 vcc, v4, v4
	v_mov_b32_e32 v4, 0x7fc0
	v_cndmask_b32_sdwa v3, v4, v3, vcc dst_sel:DWORD dst_unused:UNUSED_PAD src0_sel:DWORD src1_sel:WORD_1
.LBB135_195:
	s_mov_b64 s[0:1], -1
.LBB135_196:
	s_branch .LBB135_231
.LBB135_197:
	s_cmp_gt_i32 s12, 22
	s_cbranch_scc0 .LBB135_207
; %bb.198:
	s_cmp_lt_i32 s12, 24
	s_cbranch_scc1 .LBB135_210
; %bb.199:
	s_cmp_gt_i32 s12, 24
	s_cbranch_scc0 .LBB135_211
; %bb.200:
	global_load_ubyte v3, v[1:2], off
	s_movk_i32 s0, 0x7f
	s_waitcnt vmcnt(0)
	v_cmp_lt_i16_e32 vcc, s0, v3
	s_mov_b64 s[0:1], 0
	s_and_saveexec_b64 s[8:9], vcc
	s_xor_b64 s[8:9], exec, s[8:9]
	s_cbranch_execz .LBB135_223
; %bb.201:
	s_movk_i32 s0, 0x80
	v_cmp_eq_u16_e32 vcc, s0, v3
	s_mov_b64 s[0:1], -1
	s_and_saveexec_b64 s[10:11], vcc
; %bb.202:
	s_xor_b64 s[0:1], exec, -1
; %bb.203:
	s_or_b64 exec, exec, s[10:11]
	s_and_b64 s[0:1], s[0:1], exec
	s_or_saveexec_b64 s[8:9], s[8:9]
	v_mov_b32_e32 v4, 0x7f800001
	s_xor_b64 exec, exec, s[8:9]
	s_cbranch_execnz .LBB135_224
.LBB135_204:
	s_or_b64 exec, exec, s[8:9]
	s_and_saveexec_b64 s[8:9], s[0:1]
	s_cbranch_execz .LBB135_206
.LBB135_205:
	v_lshlrev_b32_e32 v4, 24, v3
	v_and_b32_e32 v3, 0xffff, v3
	v_and_b32_e32 v5, 3, v3
	v_ffbh_u32_e32 v7, v5
	v_min_u32_e32 v7, 32, v7
	v_subrev_u32_e32 v9, 29, v7
	v_bfe_u32 v6, v3, 2, 5
	v_lshlrev_b32_e32 v3, v9, v3
	v_sub_u32_e32 v7, 30, v7
	v_and_b32_e32 v3, 3, v3
	v_cmp_eq_u32_e32 vcc, 0, v6
	v_cndmask_b32_e32 v6, v6, v7, vcc
	v_cndmask_b32_e32 v3, v5, v3, vcc
	v_mov_b32_e32 v5, 0x37800000
	v_lshlrev_b32_e32 v3, 21, v3
	v_and_b32_e32 v4, 0x80000000, v4
	v_lshl_add_u32 v5, v6, 23, v5
	v_or3_b32 v4, v4, v5, v3
.LBB135_206:
	s_or_b64 exec, exec, s[8:9]
	v_bfe_u32 v3, v4, 16, 1
	s_movk_i32 s0, 0x7fff
	v_add3_u32 v3, v4, v3, s0
	v_cmp_o_f32_e32 vcc, v4, v4
	v_mov_b32_e32 v4, 0x7fc0
	v_cndmask_b32_sdwa v3, v4, v3, vcc dst_sel:DWORD dst_unused:UNUSED_PAD src0_sel:DWORD src1_sel:WORD_1
	s_mov_b64 s[0:1], 0
	s_branch .LBB135_212
.LBB135_207:
	s_mov_b64 s[8:9], -1
                                        ; implicit-def: $vgpr3
	s_branch .LBB135_218
.LBB135_208:
	s_or_saveexec_b64 s[8:9], s[8:9]
	v_mov_b32_e32 v4, 0x7f800001
	s_xor_b64 exec, exec, s[8:9]
	s_cbranch_execz .LBB135_192
.LBB135_209:
	v_cmp_ne_u16_e32 vcc, 0, v3
	s_andn2_b64 s[0:1], s[0:1], exec
	s_and_b64 s[10:11], vcc, exec
	v_mov_b32_e32 v4, 0
	s_or_b64 s[0:1], s[0:1], s[10:11]
	s_or_b64 exec, exec, s[8:9]
	s_and_saveexec_b64 s[8:9], s[0:1]
	s_cbranch_execnz .LBB135_193
	s_branch .LBB135_194
.LBB135_210:
	s_mov_b64 s[0:1], -1
                                        ; implicit-def: $vgpr3
	s_branch .LBB135_215
.LBB135_211:
	s_mov_b64 s[0:1], -1
                                        ; implicit-def: $vgpr3
.LBB135_212:
	s_and_b64 vcc, exec, s[0:1]
	s_cbranch_vccz .LBB135_214
; %bb.213:
	global_load_ubyte v3, v[1:2], off
	s_mov_b32 s0, 0x7f800000
	s_brev_b32 s1, 1
	s_movk_i32 s8, 0x7fff
	s_waitcnt vmcnt(0)
	v_lshlrev_b32_e32 v3, 24, v3
	v_and_b32_e32 v4, 0x7f000000, v3
	v_ffbh_u32_e32 v5, v4
	v_min_u32_e32 v5, 32, v5
	v_sub_u32_e64 v5, v5, 4 clamp
	v_lshlrev_b32_e32 v7, v5, v4
	v_lshlrev_b32_e32 v5, 23, v5
	v_lshrrev_b32_e32 v7, 4, v7
	v_add_u32_e32 v6, 0x1000000, v4
	v_sub_u32_e32 v5, v7, v5
	v_ashrrev_i32_e32 v6, 8, v6
	v_add_u32_e32 v5, 0x3c000000, v5
	v_and_or_b32 v5, v6, s0, v5
	v_cmp_ne_u32_e32 vcc, 0, v4
	v_cndmask_b32_e32 v4, 0, v5, vcc
	v_and_or_b32 v3, v3, s1, v4
	v_bfe_u32 v4, v4, 16, 1
	v_add3_u32 v4, v3, v4, s8
	v_cmp_o_f32_e32 vcc, v3, v3
	v_mov_b32_e32 v3, 0x7fc0
	v_cndmask_b32_sdwa v3, v3, v4, vcc dst_sel:DWORD dst_unused:UNUSED_PAD src0_sel:DWORD src1_sel:WORD_1
.LBB135_214:
	s_mov_b64 s[0:1], 0
.LBB135_215:
	s_andn2_b64 vcc, exec, s[0:1]
	s_cbranch_vccnz .LBB135_217
; %bb.216:
	global_load_ubyte v3, v[1:2], off
	s_movk_i32 s0, 0x7f00
	s_brev_b32 s1, 16
	s_brev_b32 s8, 1
	s_movk_i32 s9, 0x7fff
	s_waitcnt vmcnt(0)
	v_lshlrev_b16_e32 v4, 8, v3
	v_lshlrev_b32_e32 v3, 25, v3
	v_lshrrev_b32_e32 v5, 4, v3
	v_and_or_b32 v6, v4, s0, 0.5
	v_or_b32_e32 v5, 0x70000000, v5
	v_add_f32_e32 v6, -0.5, v6
	v_mul_f32_e32 v5, 0x7800000, v5
	v_cmp_gt_u32_e32 vcc, s1, v3
	v_bfe_i32 v4, v4, 0, 16
	v_cndmask_b32_e32 v3, v5, v6, vcc
	v_and_or_b32 v4, v4, s8, v3
	v_bfe_u32 v3, v3, 16, 1
	v_add3_u32 v3, v4, v3, s9
	v_cmp_o_f32_e32 vcc, v4, v4
	v_mov_b32_e32 v4, 0x7fc0
	v_cndmask_b32_sdwa v3, v4, v3, vcc dst_sel:DWORD dst_unused:UNUSED_PAD src0_sel:DWORD src1_sel:WORD_1
.LBB135_217:
	s_mov_b64 s[8:9], 0
	s_mov_b64 s[0:1], -1
.LBB135_218:
	s_andn2_b64 vcc, exec, s[8:9]
	s_cbranch_vccnz .LBB135_231
; %bb.219:
	s_cmp_gt_i32 s12, 14
	s_cbranch_scc0 .LBB135_222
; %bb.220:
	s_cmp_eq_u32 s12, 15
	s_cbranch_scc0 .LBB135_225
; %bb.221:
	global_load_ushort v3, v[1:2], off
	s_mov_b64 s[0:1], -1
	s_mov_b64 s[2:3], 0
	s_branch .LBB135_226
.LBB135_222:
	s_mov_b64 s[8:9], -1
                                        ; implicit-def: $vgpr3
	s_branch .LBB135_227
.LBB135_223:
	s_or_saveexec_b64 s[8:9], s[8:9]
	v_mov_b32_e32 v4, 0x7f800001
	s_xor_b64 exec, exec, s[8:9]
	s_cbranch_execz .LBB135_204
.LBB135_224:
	v_cmp_ne_u16_e32 vcc, 0, v3
	s_andn2_b64 s[0:1], s[0:1], exec
	s_and_b64 s[10:11], vcc, exec
	v_mov_b32_e32 v4, 0
	s_or_b64 s[0:1], s[0:1], s[10:11]
	s_or_b64 exec, exec, s[8:9]
	s_and_saveexec_b64 s[8:9], s[0:1]
	s_cbranch_execnz .LBB135_205
	s_branch .LBB135_206
.LBB135_225:
	s_mov_b64 s[2:3], -1
                                        ; implicit-def: $vgpr3
.LBB135_226:
	s_mov_b64 s[8:9], 0
.LBB135_227:
	s_and_b64 vcc, exec, s[8:9]
	s_cbranch_vccz .LBB135_231
; %bb.228:
	s_cmp_eq_u32 s12, 11
	s_cbranch_scc0 .LBB135_230
; %bb.229:
	global_load_ubyte v3, v[1:2], off
	s_mov_b64 s[0:1], -1
	s_mov_b64 s[2:3], 0
	s_waitcnt vmcnt(0)
	v_cmp_ne_u16_e32 vcc, 0, v3
	v_cndmask_b32_e64 v3, 0, 1.0, vcc
	v_lshrrev_b32_e32 v3, 16, v3
	s_branch .LBB135_231
.LBB135_230:
	s_mov_b64 s[2:3], -1
                                        ; implicit-def: $vgpr3
.LBB135_231:
	s_branch .LBB135_24
.LBB135_232:
	s_cmp_lt_i32 s12, 5
	s_cbranch_scc1 .LBB135_237
; %bb.233:
	s_cmp_lt_i32 s12, 8
	s_cbranch_scc1 .LBB135_238
; %bb.234:
	s_cmp_lt_i32 s12, 9
	s_cbranch_scc1 .LBB135_239
; %bb.235:
	s_cmp_gt_i32 s12, 9
	s_cbranch_scc0 .LBB135_240
; %bb.236:
	global_load_dwordx2 v[3:4], v[1:2], off
	s_movk_i32 s0, 0x7fff
	s_waitcnt vmcnt(0)
	v_cvt_f32_f64_e32 v3, v[3:4]
	v_mov_b32_e32 v4, 0x7fc0
	v_bfe_u32 v5, v3, 16, 1
	v_cmp_o_f32_e32 vcc, v3, v3
	v_add3_u32 v3, v3, v5, s0
	v_cndmask_b32_sdwa v3, v4, v3, vcc dst_sel:DWORD dst_unused:UNUSED_PAD src0_sel:DWORD src1_sel:WORD_1
	s_mov_b64 s[0:1], 0
	s_branch .LBB135_241
.LBB135_237:
                                        ; implicit-def: $vgpr3
	s_branch .LBB135_259
.LBB135_238:
	s_mov_b64 s[0:1], -1
                                        ; implicit-def: $vgpr3
	s_branch .LBB135_247
.LBB135_239:
	s_mov_b64 s[0:1], -1
                                        ; implicit-def: $vgpr3
	s_branch .LBB135_244
.LBB135_240:
	s_mov_b64 s[0:1], -1
                                        ; implicit-def: $vgpr3
.LBB135_241:
	s_andn2_b64 vcc, exec, s[0:1]
	s_cbranch_vccnz .LBB135_243
; %bb.242:
	global_load_dword v3, v[1:2], off
	s_movk_i32 s0, 0x7fff
	v_mov_b32_e32 v4, 0x7fc0
	s_waitcnt vmcnt(0)
	v_bfe_u32 v5, v3, 16, 1
	v_cmp_o_f32_e32 vcc, v3, v3
	v_add3_u32 v3, v3, v5, s0
	v_cndmask_b32_sdwa v3, v4, v3, vcc dst_sel:DWORD dst_unused:UNUSED_PAD src0_sel:DWORD src1_sel:WORD_1
.LBB135_243:
	s_mov_b64 s[0:1], 0
.LBB135_244:
	s_andn2_b64 vcc, exec, s[0:1]
	s_cbranch_vccnz .LBB135_246
; %bb.245:
	global_load_dword v3, v[1:2], off
	s_movk_i32 s0, 0x7fff
	v_mov_b32_e32 v5, 0x7fc0
	s_waitcnt vmcnt(0)
	v_cvt_f32_f16_e32 v4, v3
	v_cmp_o_f16_e32 vcc, v3, v3
	v_bfe_u32 v3, v4, 16, 1
	v_add3_u32 v3, v4, v3, s0
	v_cndmask_b32_sdwa v3, v5, v3, vcc dst_sel:DWORD dst_unused:UNUSED_PAD src0_sel:DWORD src1_sel:WORD_1
.LBB135_246:
	s_mov_b64 s[0:1], 0
.LBB135_247:
	s_andn2_b64 vcc, exec, s[0:1]
	s_cbranch_vccnz .LBB135_258
; %bb.248:
	s_cmp_lt_i32 s12, 6
	s_cbranch_scc1 .LBB135_251
; %bb.249:
	s_cmp_gt_i32 s12, 6
	s_cbranch_scc0 .LBB135_252
; %bb.250:
	global_load_dwordx2 v[3:4], v[1:2], off
	s_movk_i32 s0, 0x7fff
	s_waitcnt vmcnt(0)
	v_cvt_f32_f64_e32 v3, v[3:4]
	v_mov_b32_e32 v4, 0x7fc0
	v_bfe_u32 v5, v3, 16, 1
	v_cmp_o_f32_e32 vcc, v3, v3
	v_add3_u32 v3, v3, v5, s0
	v_cndmask_b32_sdwa v3, v4, v3, vcc dst_sel:DWORD dst_unused:UNUSED_PAD src0_sel:DWORD src1_sel:WORD_1
	s_mov_b64 s[0:1], 0
	s_branch .LBB135_253
.LBB135_251:
	s_mov_b64 s[0:1], -1
                                        ; implicit-def: $vgpr3
	s_branch .LBB135_256
.LBB135_252:
	s_mov_b64 s[0:1], -1
                                        ; implicit-def: $vgpr3
.LBB135_253:
	s_andn2_b64 vcc, exec, s[0:1]
	s_cbranch_vccnz .LBB135_255
; %bb.254:
	global_load_dword v3, v[1:2], off
	s_movk_i32 s0, 0x7fff
	v_mov_b32_e32 v4, 0x7fc0
	s_waitcnt vmcnt(0)
	v_bfe_u32 v5, v3, 16, 1
	v_cmp_o_f32_e32 vcc, v3, v3
	v_add3_u32 v3, v3, v5, s0
	v_cndmask_b32_sdwa v3, v4, v3, vcc dst_sel:DWORD dst_unused:UNUSED_PAD src0_sel:DWORD src1_sel:WORD_1
.LBB135_255:
	s_mov_b64 s[0:1], 0
.LBB135_256:
	s_andn2_b64 vcc, exec, s[0:1]
	s_cbranch_vccnz .LBB135_258
; %bb.257:
	global_load_ushort v3, v[1:2], off
	s_movk_i32 s0, 0x7fff
	v_mov_b32_e32 v5, 0x7fc0
	s_waitcnt vmcnt(0)
	v_cvt_f32_f16_e32 v4, v3
	v_cmp_o_f16_e32 vcc, v3, v3
	v_bfe_u32 v3, v4, 16, 1
	v_add3_u32 v3, v4, v3, s0
	v_cndmask_b32_sdwa v3, v5, v3, vcc dst_sel:DWORD dst_unused:UNUSED_PAD src0_sel:DWORD src1_sel:WORD_1
.LBB135_258:
	s_cbranch_execnz .LBB135_278
.LBB135_259:
	s_cmp_lt_i32 s12, 2
	s_cbranch_scc1 .LBB135_263
; %bb.260:
	s_cmp_lt_i32 s12, 3
	s_cbranch_scc1 .LBB135_264
; %bb.261:
	s_cmp_gt_i32 s12, 3
	s_cbranch_scc0 .LBB135_265
; %bb.262:
	global_load_dwordx2 v[3:4], v[1:2], off
	s_movk_i32 s0, 0x7fff
	s_waitcnt vmcnt(0)
	v_xor_b32_e32 v6, v3, v4
	v_ffbh_i32_e32 v5, v4
	v_ashrrev_i32_e32 v6, 31, v6
	v_add_u32_e32 v5, -1, v5
	v_add_u32_e32 v6, 32, v6
	v_min_u32_e32 v5, v5, v6
	v_lshlrev_b64 v[3:4], v5, v[3:4]
	v_min_u32_e32 v3, 1, v3
	v_or_b32_e32 v3, v4, v3
	v_cvt_f32_i32_e32 v3, v3
	v_sub_u32_e32 v4, 32, v5
	v_ldexp_f32 v3, v3, v4
	v_bfe_u32 v4, v3, 16, 1
	v_add3_u32 v3, v3, v4, s0
	v_lshrrev_b32_e32 v3, 16, v3
	s_mov_b64 s[0:1], 0
	s_branch .LBB135_266
.LBB135_263:
	s_mov_b64 s[0:1], -1
                                        ; implicit-def: $vgpr3
	s_branch .LBB135_272
.LBB135_264:
	s_mov_b64 s[0:1], -1
                                        ; implicit-def: $vgpr3
	s_branch .LBB135_269
.LBB135_265:
	s_mov_b64 s[0:1], -1
                                        ; implicit-def: $vgpr3
.LBB135_266:
	s_andn2_b64 vcc, exec, s[0:1]
	s_cbranch_vccnz .LBB135_268
; %bb.267:
	global_load_dword v3, v[1:2], off
	s_movk_i32 s0, 0x7fff
	s_waitcnt vmcnt(0)
	v_cvt_f32_i32_e32 v3, v3
	v_bfe_u32 v4, v3, 16, 1
	v_add3_u32 v3, v3, v4, s0
	v_lshrrev_b32_e32 v3, 16, v3
.LBB135_268:
	s_mov_b64 s[0:1], 0
.LBB135_269:
	s_andn2_b64 vcc, exec, s[0:1]
	s_cbranch_vccnz .LBB135_271
; %bb.270:
	global_load_sshort v3, v[1:2], off
	s_movk_i32 s0, 0x7fff
	s_waitcnt vmcnt(0)
	v_cvt_f32_i32_e32 v3, v3
	v_bfe_u32 v4, v3, 16, 1
	v_add3_u32 v3, v3, v4, s0
	v_lshrrev_b32_e32 v3, 16, v3
.LBB135_271:
	s_mov_b64 s[0:1], 0
.LBB135_272:
	s_andn2_b64 vcc, exec, s[0:1]
	s_cbranch_vccnz .LBB135_278
; %bb.273:
	s_cmp_gt_i32 s12, 0
	s_cbranch_scc0 .LBB135_275
; %bb.274:
	global_load_sbyte v3, v[1:2], off
	s_movk_i32 s0, 0x7fff
	s_waitcnt vmcnt(0)
	v_cvt_f32_i32_e32 v3, v3
	v_bfe_u32 v4, v3, 16, 1
	v_add3_u32 v3, v3, v4, s0
	v_lshrrev_b32_e32 v3, 16, v3
	s_mov_b64 s[0:1], 0
	s_branch .LBB135_276
.LBB135_275:
	s_mov_b64 s[0:1], -1
                                        ; implicit-def: $vgpr3
.LBB135_276:
	s_andn2_b64 vcc, exec, s[0:1]
	s_cbranch_vccnz .LBB135_278
; %bb.277:
	global_load_ubyte v1, v[1:2], off
	s_movk_i32 s0, 0x7fff
	s_waitcnt vmcnt(0)
	v_cvt_f32_ubyte0_e32 v1, v1
	v_bfe_u32 v2, v1, 16, 1
	v_add3_u32 v1, v1, v2, s0
	v_lshrrev_b32_e32 v3, 16, v1
.LBB135_278:
	s_branch .LBB135_25
.LBB135_279:
	s_mov_b64 s[0:1], 0
.LBB135_280:
	s_mov_b64 s[8:9], 0
                                        ; implicit-def: $vgpr8
.LBB135_281:
	s_and_b64 s[54:55], s[0:1], exec
	s_and_b64 s[56:57], s[2:3], exec
	s_orn2_b64 s[2:3], s[8:9], exec
.LBB135_282:
	s_or_b64 exec, exec, s[58:59]
	s_mov_b64 s[10:11], 0
	s_mov_b64 s[0:1], 0
                                        ; implicit-def: $vgpr1_vgpr2
                                        ; implicit-def: $vgpr0
                                        ; implicit-def: $vgpr3
	s_and_saveexec_b64 s[58:59], s[2:3]
	s_cbranch_execz .LBB135_289
; %bb.283:
	v_cmp_gt_i32_e32 vcc, s72, v8
	s_mov_b64 s[0:1], -1
	s_mov_b64 s[60:61], s[56:57]
	s_mov_b64 s[62:63], s[54:55]
	s_and_saveexec_b64 s[64:65], vcc
	s_cbranch_execz .LBB135_574
; %bb.284:
	s_andn2_b64 vcc, exec, s[40:41]
	s_cbranch_vccnz .LBB135_292
; %bb.285:
	s_andn2_b64 vcc, exec, s[52:53]
	s_cbranch_vccnz .LBB135_293
; %bb.286:
	s_add_i32 s67, s77, 1
	s_cmp_eq_u32 s74, 2
	s_cbranch_scc1 .LBB135_294
; %bb.287:
	s_and_b32 s66, s67, 28
	v_mov_b32_e32 v2, 0
	s_mov_b32 s68, 0
	s_mov_b64 s[60:61], s[34:35]
	s_mov_b64 s[62:63], s[50:51]
	v_mov_b32_e32 v0, 0
	v_mov_b32_e32 v1, v8
.LBB135_288:                            ; =>This Inner Loop Header: Depth=1
	s_load_dwordx8 s[16:23], s[60:61], 0x4
	s_load_dwordx4 s[0:3], s[60:61], 0x24
	s_load_dwordx8 s[8:15], s[62:63], 0x0
	s_add_u32 s60, s60, 48
	s_addc_u32 s61, s61, 0
	s_waitcnt vmcnt(0) lgkmcnt(0)
	v_mul_hi_u32 v3, s17, v1
	s_add_i32 s68, s68, 4
	s_add_u32 s62, s62, 32
	s_addc_u32 s63, s63, 0
	v_add_u32_e32 v3, v1, v3
	v_lshrrev_b32_e32 v3, s18, v3
	v_mul_lo_u32 v4, v3, s16
	v_mul_hi_u32 v5, s20, v3
	s_cmp_eq_u32 s66, s68
	v_sub_u32_e32 v1, v1, v4
	v_add_u32_e32 v4, v3, v5
	v_mul_lo_u32 v5, v1, s8
	v_mul_lo_u32 v6, v1, s9
	v_lshrrev_b32_e32 v1, s21, v4
	v_mul_lo_u32 v4, v1, s19
	v_mul_hi_u32 v7, s23, v1
	v_sub_u32_e32 v3, v3, v4
	v_add_u32_e32 v4, v1, v7
	v_lshrrev_b32_e32 v4, s0, v4
	v_mul_hi_u32 v9, s2, v4
	v_mul_lo_u32 v10, v4, s22
	v_mul_lo_u32 v7, v3, s10
	;; [unrolled: 1-line block ×3, first 2 shown]
	v_sub_u32_e32 v10, v1, v10
	v_add_u32_e32 v1, v4, v9
	v_lshrrev_b32_e32 v1, s3, v1
	v_mul_lo_u32 v9, v1, s1
	v_mul_lo_u32 v11, v10, s12
	v_mul_lo_u32 v10, v10, s13
	v_add3_u32 v0, v5, v0, v7
	v_sub_u32_e32 v4, v4, v9
	v_mul_lo_u32 v9, v4, s14
	v_mul_lo_u32 v4, v4, s15
	v_add3_u32 v2, v6, v2, v3
	v_add3_u32 v0, v11, v0, v9
	;; [unrolled: 1-line block ×3, first 2 shown]
	s_cbranch_scc0 .LBB135_288
	s_branch .LBB135_295
.LBB135_289:
	s_or_b64 exec, exec, s[58:59]
	s_mov_b64 s[2:3], 0
	s_and_saveexec_b64 s[8:9], s[56:57]
	s_cbranch_execnz .LBB135_967
.LBB135_290:
	s_or_b64 exec, exec, s[8:9]
	s_and_saveexec_b64 s[8:9], s[62:63]
	s_xor_b64 s[8:9], exec, s[8:9]
	s_cbranch_execz .LBB135_968
.LBB135_291:
	global_load_ubyte v3, v[1:2], off
	s_or_b64 s[0:1], s[0:1], exec
	s_waitcnt vmcnt(0)
	v_cmp_ne_u16_e32 vcc, 0, v3
	v_cndmask_b32_e64 v3, 0, 1.0, vcc
	v_lshrrev_b32_e32 v3, 16, v3
	s_or_b64 exec, exec, s[8:9]
	s_and_saveexec_b64 s[8:9], s[10:11]
	s_cbranch_execz .LBB135_1014
	s_branch .LBB135_969
.LBB135_292:
                                        ; implicit-def: $vgpr0
                                        ; implicit-def: $vgpr2
	s_andn2_b64 vcc, exec, s[0:1]
	s_cbranch_vccz .LBB135_299
	s_branch .LBB135_301
.LBB135_293:
	v_mov_b32_e32 v0, 0
	v_mov_b32_e32 v2, 0
	s_branch .LBB135_298
.LBB135_294:
	s_mov_b32 s66, 0
	v_mov_b32_e32 v0, 0
	v_mov_b32_e32 v2, 0
	;; [unrolled: 1-line block ×3, first 2 shown]
.LBB135_295:
	s_and_b32 s8, s67, 3
	s_cmp_eq_u32 s8, 0
	s_cbranch_scc1 .LBB135_298
; %bb.296:
	s_lshl_b32 s0, s66, 3
	s_add_u32 s0, s34, s0
	s_addc_u32 s1, s35, 0
	s_add_u32 s0, s0, 0xc4
	s_addc_u32 s1, s1, 0
	s_mul_i32 s2, s66, 12
	s_add_u32 s2, s34, s2
	s_addc_u32 s3, s35, 0
.LBB135_297:                            ; =>This Inner Loop Header: Depth=1
	s_load_dwordx2 s[10:11], s[2:3], 0x4
	s_load_dword s9, s[2:3], 0xc
	s_load_dwordx2 s[12:13], s[0:1], 0x0
	s_add_u32 s2, s2, 12
	s_addc_u32 s3, s3, 0
	s_waitcnt vmcnt(0) lgkmcnt(0)
	v_mul_hi_u32 v3, s11, v1
	s_add_u32 s0, s0, 8
	s_addc_u32 s1, s1, 0
	s_add_i32 s8, s8, -1
	v_add_u32_e32 v3, v1, v3
	v_lshrrev_b32_e32 v4, s9, v3
	v_mul_lo_u32 v3, v4, s10
	s_cmp_lg_u32 s8, 0
	v_sub_u32_e32 v3, v1, v3
	v_mad_u64_u32 v[0:1], s[10:11], v3, s12, v[0:1]
	v_mad_u64_u32 v[2:3], s[10:11], v3, s13, v[2:3]
	v_mov_b32_e32 v1, v4
	s_cbranch_scc1 .LBB135_297
.LBB135_298:
	s_cbranch_execnz .LBB135_301
.LBB135_299:
	v_mul_hi_u32 v0, s29, v8
	s_andn2_b64 vcc, exec, s[48:49]
	v_add_u32_e32 v0, v8, v0
	v_lshrrev_b32_e32 v1, s30, v0
	v_mul_lo_u32 v0, v1, s28
	v_sub_u32_e32 v2, v8, v0
	v_mul_lo_u32 v0, v2, s36
	v_mul_lo_u32 v2, v2, s37
	s_cbranch_vccnz .LBB135_301
; %bb.300:
	s_waitcnt vmcnt(0)
	v_mul_hi_u32 v3, s46, v1
	v_add_u32_e32 v3, v1, v3
	v_lshrrev_b32_e32 v3, s47, v3
	v_mul_lo_u32 v3, v3, s31
	v_sub_u32_e32 v3, v1, v3
	v_mad_u64_u32 v[0:1], s[0:1], v3, s38, v[0:1]
	v_mad_u64_u32 v[2:3], s[0:1], v3, s39, v[2:3]
.LBB135_301:
	s_waitcnt vmcnt(0)
	v_mov_b32_e32 v3, s27
	s_and_b32 s12, 0xffff, s76
	v_add_co_u32_e32 v1, vcc, s26, v2
	s_cmp_lt_i32 s12, 11
	v_addc_co_u32_e32 v2, vcc, 0, v3, vcc
	s_cbranch_scc1 .LBB135_308
; %bb.302:
	s_cmp_gt_i32 s12, 25
	s_cbranch_scc0 .LBB135_314
; %bb.303:
	s_cmp_gt_i32 s12, 28
	s_cbranch_scc0 .LBB135_318
	;; [unrolled: 3-line block ×4, first 2 shown]
; %bb.306:
	s_cmp_eq_u32 s12, 46
	s_mov_b64 s[8:9], 0
	s_cbranch_scc0 .LBB135_345
; %bb.307:
	global_load_dword v3, v[1:2], off
	s_mov_b64 s[0:1], -1
	s_mov_b64 s[2:3], 0
	s_branch .LBB135_346
.LBB135_308:
	s_mov_b64 s[0:1], 0
                                        ; implicit-def: $vgpr3
	s_mov_b64 s[2:3], s[56:57]
	s_cbranch_execnz .LBB135_523
.LBB135_309:
	s_andn2_b64 vcc, exec, s[0:1]
	s_cbranch_vccnz .LBB135_571
.LBB135_310:
	s_waitcnt vmcnt(0)
	v_lshlrev_b32_e32 v1, 16, v3
	s_cmp_lt_i32 s44, 1
	s_mov_b64 s[0:1], 0
	s_cbranch_scc1 .LBB135_315
; %bb.311:
	s_cmp_gt_i32 s44, 1
	s_cbranch_scc0 .LBB135_319
; %bb.312:
	s_cmp_eq_u32 s44, 2
	s_cbranch_scc0 .LBB135_321
; %bb.313:
	v_cmp_ge_f32_e64 s[8:9], s45, v1
	s_mov_b64 s[10:11], 0
	s_branch .LBB135_322
.LBB135_314:
	s_mov_b64 s[8:9], -1
	s_mov_b64 s[0:1], 0
	s_mov_b64 s[2:3], s[56:57]
                                        ; implicit-def: $vgpr3
	s_branch .LBB135_487
.LBB135_315:
                                        ; implicit-def: $sgpr8_sgpr9
	s_mov_b64 s[10:11], 0
	s_cbranch_execnz .LBB135_326
.LBB135_316:
	s_andn2_b64 vcc, exec, s[10:11]
	s_cbranch_vccnz .LBB135_327
.LBB135_317:
	v_cmp_gt_f32_e32 vcc, s45, v1
	s_andn2_b64 s[8:9], s[8:9], exec
	s_and_b64 s[10:11], vcc, exec
	s_or_b64 s[8:9], s[8:9], s[10:11]
	s_cbranch_execz .LBB135_328
	s_branch .LBB135_329
.LBB135_318:
	s_mov_b64 s[8:9], -1
	s_mov_b64 s[0:1], 0
	s_mov_b64 s[2:3], s[56:57]
                                        ; implicit-def: $vgpr3
	s_branch .LBB135_468
.LBB135_319:
	s_mov_b64 s[12:13], -1
	s_mov_b64 s[10:11], 0
                                        ; implicit-def: $sgpr8_sgpr9
	s_branch .LBB135_323
.LBB135_320:
	s_mov_b64 s[8:9], -1
	s_mov_b64 s[0:1], 0
	s_mov_b64 s[2:3], s[56:57]
                                        ; implicit-def: $vgpr3
	s_branch .LBB135_463
.LBB135_321:
	s_mov_b64 s[10:11], -1
                                        ; implicit-def: $sgpr8_sgpr9
.LBB135_322:
	s_mov_b64 s[12:13], 0
.LBB135_323:
	s_and_b64 vcc, exec, s[12:13]
	s_cbranch_vccz .LBB135_325
; %bb.324:
	v_cmp_lt_f32_e32 vcc, s45, v1
	s_andn2_b64 s[8:9], s[8:9], exec
	s_and_b64 s[12:13], vcc, exec
	s_or_b64 s[8:9], s[8:9], s[12:13]
.LBB135_325:
	s_branch .LBB135_316
.LBB135_326:
	s_cmp_lg_u32 s44, 0
	s_mov_b64 s[0:1], -1
	s_cselect_b64 s[10:11], -1, 0
	s_andn2_b64 vcc, exec, s[10:11]
	s_cbranch_vccz .LBB135_317
.LBB135_327:
	s_andn2_b64 vcc, exec, s[0:1]
	s_cbranch_vccnz .LBB135_329
.LBB135_328:
	v_cmp_le_f32_e32 vcc, s45, v1
	s_andn2_b64 s[0:1], s[8:9], exec
	s_and_b64 s[8:9], vcc, exec
	s_or_b64 s[8:9], s[0:1], s[8:9]
.LBB135_329:
	v_mov_b32_e32 v1, s25
	s_and_b32 s16, s75, 0xff
	v_add_co_u32_e32 v0, vcc, s24, v0
	s_cmp_lt_i32 s16, 11
	v_addc_co_u32_e32 v1, vcc, 0, v1, vcc
	s_cbranch_scc1 .LBB135_336
; %bb.330:
	s_and_b32 s17, 0xffff, s16
	s_cmp_gt_i32 s17, 25
	s_cbranch_scc0 .LBB135_337
; %bb.331:
	s_cmp_gt_i32 s17, 28
	s_cbranch_scc0 .LBB135_338
; %bb.332:
	;; [unrolled: 3-line block ×4, first 2 shown]
	s_mov_b64 s[12:13], 0
	s_mov_b64 s[0:1], -1
	s_cmp_eq_u32 s17, 46
	s_mov_b64 s[10:11], 0
	s_cbranch_scc0 .LBB135_350
; %bb.335:
	v_cndmask_b32_e64 v2, 0, 1.0, s[8:9]
	v_bfe_u32 v3, v2, 16, 1
	s_movk_i32 s0, 0x7fff
	v_add3_u32 v2, v2, v3, s0
	v_lshrrev_b32_e32 v2, 16, v2
	global_store_dword v[0:1], v2, off
	s_mov_b64 s[10:11], -1
	s_mov_b64 s[0:1], 0
	s_branch .LBB135_350
.LBB135_336:
	s_mov_b64 s[12:13], -1
	s_mov_b64 s[10:11], 0
	s_mov_b64 s[0:1], s[54:55]
	s_branch .LBB135_419
.LBB135_337:
	s_mov_b64 s[12:13], -1
	s_mov_b64 s[10:11], 0
	s_mov_b64 s[0:1], s[54:55]
	s_branch .LBB135_377
.LBB135_338:
	s_mov_b64 s[12:13], -1
	s_mov_b64 s[10:11], 0
	s_mov_b64 s[0:1], s[54:55]
	s_branch .LBB135_360
.LBB135_339:
	s_andn2_saveexec_b64 s[14:15], s[14:15]
	s_cbranch_execz .LBB135_84
.LBB135_340:
	v_add_f32_e32 v2, 0x46000000, v3
	v_and_b32_e32 v2, 0xff, v2
	v_cmp_ne_u32_e32 vcc, 0, v2
	s_andn2_b64 s[12:13], s[12:13], exec
	s_and_b64 s[18:19], vcc, exec
	s_or_b64 s[12:13], s[12:13], s[18:19]
	s_or_b64 exec, exec, s[14:15]
	v_mov_b32_e32 v4, 0
	s_and_saveexec_b64 s[14:15], s[12:13]
	s_cbranch_execnz .LBB135_85
	s_branch .LBB135_86
.LBB135_341:
	s_mov_b64 s[8:9], -1
	s_mov_b64 s[0:1], 0
	s_mov_b64 s[2:3], s[56:57]
                                        ; implicit-def: $vgpr3
	s_branch .LBB135_346
.LBB135_342:
	s_mov_b64 s[12:13], -1
	s_mov_b64 s[10:11], 0
	s_mov_b64 s[0:1], s[54:55]
	s_branch .LBB135_356
.LBB135_343:
	s_andn2_saveexec_b64 s[14:15], s[14:15]
	s_cbranch_execz .LBB135_97
.LBB135_344:
	v_add_f32_e32 v2, 0x42800000, v3
	v_and_b32_e32 v2, 0xff, v2
	v_cmp_ne_u32_e32 vcc, 0, v2
	s_andn2_b64 s[12:13], s[12:13], exec
	s_and_b64 s[18:19], vcc, exec
	s_or_b64 s[12:13], s[12:13], s[18:19]
	s_or_b64 exec, exec, s[14:15]
	v_mov_b32_e32 v4, 0
	s_and_saveexec_b64 s[14:15], s[12:13]
	s_cbranch_execnz .LBB135_98
	s_branch .LBB135_99
.LBB135_345:
	s_mov_b64 s[2:3], -1
                                        ; implicit-def: $vgpr3
	s_mov_b64 s[0:1], 0
.LBB135_346:
	s_and_b64 vcc, exec, s[8:9]
	s_cbranch_vccz .LBB135_462
; %bb.347:
	s_cmp_eq_u32 s12, 44
	s_cbranch_scc0 .LBB135_461
; %bb.348:
	global_load_ubyte v3, v[1:2], off
	s_movk_i32 s2, 0xff
	v_mov_b32_e32 v4, 0x7f800001
	v_mov_b32_e32 v5, 0x400000
	;; [unrolled: 1-line block ×3, first 2 shown]
	s_mov_b64 s[0:1], -1
	s_waitcnt vmcnt(0)
	v_lshlrev_b32_e32 v7, 23, v3
	v_cmp_ne_u32_e32 vcc, s2, v3
	v_cndmask_b32_e32 v4, v4, v7, vcc
	v_cmp_ne_u32_e32 vcc, 0, v3
	v_cndmask_b32_e32 v3, v5, v4, vcc
	v_add_u32_e32 v4, 0x7fff, v3
	v_cmp_o_f32_e32 vcc, v3, v3
	v_cndmask_b32_sdwa v3, v6, v4, vcc dst_sel:DWORD dst_unused:UNUSED_PAD src0_sel:DWORD src1_sel:WORD_1
	s_mov_b64 s[2:3], 0
	s_branch .LBB135_462
.LBB135_349:
	s_mov_b64 s[12:13], -1
	s_mov_b64 s[10:11], 0
	s_mov_b64 s[0:1], s[54:55]
.LBB135_350:
	s_and_b64 vcc, exec, s[12:13]
	s_cbranch_vccz .LBB135_355
; %bb.351:
	s_cmp_eq_u32 s17, 44
	s_mov_b64 s[0:1], -1
	s_cbranch_scc0 .LBB135_355
; %bb.352:
	v_cndmask_b32_e64 v3, 0, 1.0, s[8:9]
	v_lshrrev_b32_e32 v2, 23, v3
	s_movk_i32 s0, 0xff
	v_cmp_ne_u32_e32 vcc, s0, v2
	v_mov_b32_e32 v4, 0xff
	s_and_saveexec_b64 s[10:11], vcc
; %bb.353:
	s_mov_b32 s0, 0x3fffff
	v_and_b32_e32 v4, 0x400000, v3
	v_and_or_b32 v3, v3, s0, v2
	v_cmp_ne_u32_e32 vcc, 0, v4
	v_cmp_ne_u32_e64 s[0:1], 0, v3
	s_and_b64 s[0:1], vcc, s[0:1]
	v_cndmask_b32_e64 v3, 0, 1, s[0:1]
	v_add_u32_e32 v4, v2, v3
; %bb.354:
	s_or_b64 exec, exec, s[10:11]
	s_mov_b64 s[10:11], -1
	s_mov_b64 s[0:1], 0
	global_store_byte v[0:1], v4, off
.LBB135_355:
	s_mov_b64 s[12:13], 0
.LBB135_356:
	s_and_b64 vcc, exec, s[12:13]
	s_cbranch_vccz .LBB135_359
; %bb.357:
	s_cmp_eq_u32 s17, 29
	s_mov_b64 s[0:1], -1
	s_cbranch_scc0 .LBB135_359
; %bb.358:
	s_mov_b32 s0, 0
	v_cndmask_b32_e64 v2, 0, 1, s[8:9]
	v_mov_b32_e32 v3, s0
	global_store_dwordx2 v[0:1], v[2:3], off
	s_mov_b64 s[10:11], -1
	s_mov_b64 s[0:1], 0
.LBB135_359:
	s_mov_b64 s[12:13], 0
.LBB135_360:
	s_and_b64 vcc, exec, s[12:13]
	s_cbranch_vccz .LBB135_376
; %bb.361:
	s_cmp_lt_i32 s17, 27
	s_mov_b64 s[10:11], -1
	s_cbranch_scc1 .LBB135_367
; %bb.362:
	s_cmp_gt_i32 s17, 27
	s_cbranch_scc0 .LBB135_364
; %bb.363:
	v_cndmask_b32_e64 v2, 0, 1, s[8:9]
	s_mov_b64 s[10:11], 0
	global_store_dword v[0:1], v2, off
.LBB135_364:
	s_andn2_b64 vcc, exec, s[10:11]
	s_cbranch_vccnz .LBB135_366
; %bb.365:
	v_cndmask_b32_e64 v2, 0, 1, s[8:9]
	global_store_short v[0:1], v2, off
.LBB135_366:
	s_mov_b64 s[10:11], 0
.LBB135_367:
	s_andn2_b64 vcc, exec, s[10:11]
	s_cbranch_vccnz .LBB135_375
; %bb.368:
	v_cndmask_b32_e64 v3, 0, 1.0, s[8:9]
	s_mov_b32 s10, 0x43800000
	v_cmp_gt_u32_e32 vcc, s10, v3
	v_mov_b32_e32 v4, 0x80
	s_and_saveexec_b64 s[10:11], vcc
	s_cbranch_execz .LBB135_374
; %bb.369:
	s_mov_b32 s12, 0x3bffffff
	v_cmp_lt_u32_e32 vcc, s12, v3
	s_mov_b64 s[12:13], 0
                                        ; implicit-def: $vgpr2
	s_and_saveexec_b64 s[14:15], vcc
	s_xor_b64 s[14:15], exec, s[14:15]
	s_cbranch_execz .LBB135_602
; %bb.370:
	v_bfe_u32 v2, v3, 20, 1
	s_mov_b32 s18, 0x487ffff
	v_add3_u32 v2, v3, v2, s18
	s_mov_b64 s[12:13], exec
	v_lshrrev_b32_e32 v2, 20, v2
                                        ; implicit-def: $vgpr3
	s_andn2_saveexec_b64 s[14:15], s[14:15]
	s_cbranch_execnz .LBB135_603
.LBB135_371:
	s_or_b64 exec, exec, s[14:15]
	v_mov_b32_e32 v4, 0
	s_and_saveexec_b64 s[14:15], s[12:13]
.LBB135_372:
	v_mov_b32_e32 v4, v2
.LBB135_373:
	s_or_b64 exec, exec, s[14:15]
.LBB135_374:
	s_or_b64 exec, exec, s[10:11]
	global_store_byte v[0:1], v4, off
.LBB135_375:
	s_mov_b64 s[10:11], -1
.LBB135_376:
	s_mov_b64 s[12:13], 0
.LBB135_377:
	s_and_b64 vcc, exec, s[12:13]
	s_cbranch_vccz .LBB135_418
; %bb.378:
	s_cmp_gt_i32 s17, 22
	s_mov_b64 s[12:13], -1
	s_cbranch_scc0 .LBB135_410
; %bb.379:
	s_cmp_lt_i32 s17, 24
	s_mov_b64 s[10:11], -1
	s_cbranch_scc1 .LBB135_399
; %bb.380:
	s_cmp_gt_i32 s17, 24
	s_cbranch_scc0 .LBB135_388
; %bb.381:
	v_cndmask_b32_e64 v3, 0, 1.0, s[8:9]
	s_mov_b32 s10, 0x47800000
	v_cmp_gt_u32_e32 vcc, s10, v3
	v_mov_b32_e32 v4, 0x80
	s_and_saveexec_b64 s[10:11], vcc
	s_cbranch_execz .LBB135_387
; %bb.382:
	s_mov_b32 s12, 0x37ffffff
	v_cmp_lt_u32_e32 vcc, s12, v3
	s_mov_b64 s[12:13], 0
                                        ; implicit-def: $vgpr2
	s_and_saveexec_b64 s[14:15], vcc
	s_xor_b64 s[14:15], exec, s[14:15]
	s_cbranch_execz .LBB135_605
; %bb.383:
	v_bfe_u32 v2, v3, 21, 1
	s_mov_b32 s18, 0x88fffff
	v_add3_u32 v2, v3, v2, s18
	s_mov_b64 s[12:13], exec
	v_lshrrev_b32_e32 v2, 21, v2
                                        ; implicit-def: $vgpr3
	s_andn2_saveexec_b64 s[14:15], s[14:15]
	s_cbranch_execnz .LBB135_606
.LBB135_384:
	s_or_b64 exec, exec, s[14:15]
	v_mov_b32_e32 v4, 0
	s_and_saveexec_b64 s[14:15], s[12:13]
.LBB135_385:
	v_mov_b32_e32 v4, v2
.LBB135_386:
	s_or_b64 exec, exec, s[14:15]
.LBB135_387:
	s_or_b64 exec, exec, s[10:11]
	s_mov_b64 s[10:11], 0
	global_store_byte v[0:1], v4, off
.LBB135_388:
	s_and_b64 vcc, exec, s[10:11]
	s_cbranch_vccz .LBB135_398
; %bb.389:
	v_cndmask_b32_e64 v2, 0, 1.0, s[8:9]
	s_mov_b32 s10, 0x43f00000
	v_cmp_gt_u32_e32 vcc, s10, v2
                                        ; implicit-def: $vgpr3
	s_and_saveexec_b64 s[10:11], vcc
	s_xor_b64 s[10:11], exec, s[10:11]
	s_cbranch_execz .LBB135_395
; %bb.390:
	s_mov_b32 s12, 0x3c7fffff
	v_cmp_lt_u32_e32 vcc, s12, v2
                                        ; implicit-def: $vgpr3
	s_and_saveexec_b64 s[12:13], vcc
	s_xor_b64 s[12:13], exec, s[12:13]
; %bb.391:
	v_bfe_u32 v3, v2, 20, 1
	s_mov_b32 s14, 0x407ffff
	v_add3_u32 v2, v2, v3, s14
	v_lshrrev_b32_e32 v3, 20, v2
	v_and_b32_e32 v2, 0xff00000, v2
	s_mov_b32 s14, 0x7f00000
	v_mov_b32_e32 v4, 0x7e
	v_cmp_ne_u32_e32 vcc, s14, v2
	v_cndmask_b32_e32 v3, v4, v3, vcc
                                        ; implicit-def: $vgpr2
; %bb.392:
	s_andn2_saveexec_b64 s[12:13], s[12:13]
; %bb.393:
	v_add_f32_e32 v3, 0x46800000, v2
; %bb.394:
	s_or_b64 exec, exec, s[12:13]
                                        ; implicit-def: $vgpr2
.LBB135_395:
	s_andn2_saveexec_b64 s[10:11], s[10:11]
; %bb.396:
	s_mov_b32 s12, 0x7f800000
	v_mov_b32_e32 v3, 0x7e
	v_mov_b32_e32 v4, 0x7f
	v_cmp_lt_u32_e32 vcc, s12, v2
	v_cndmask_b32_e32 v3, v3, v4, vcc
; %bb.397:
	s_or_b64 exec, exec, s[10:11]
	global_store_byte v[0:1], v3, off
.LBB135_398:
	s_mov_b64 s[10:11], 0
.LBB135_399:
	s_andn2_b64 vcc, exec, s[10:11]
	s_cbranch_vccnz .LBB135_409
; %bb.400:
	v_cndmask_b32_e64 v2, 0, 1.0, s[8:9]
	s_mov_b32 s10, 0x47800000
	v_cmp_gt_u32_e32 vcc, s10, v2
                                        ; implicit-def: $vgpr3
	s_and_saveexec_b64 s[10:11], vcc
	s_xor_b64 s[10:11], exec, s[10:11]
	s_cbranch_execz .LBB135_406
; %bb.401:
	s_mov_b32 s12, 0x387fffff
	v_cmp_lt_u32_e32 vcc, s12, v2
                                        ; implicit-def: $vgpr3
	s_and_saveexec_b64 s[12:13], vcc
	s_xor_b64 s[12:13], exec, s[12:13]
; %bb.402:
	v_bfe_u32 v3, v2, 21, 1
	s_mov_b32 s14, 0x80fffff
	v_add3_u32 v2, v2, v3, s14
	v_lshrrev_b32_e32 v3, 21, v2
                                        ; implicit-def: $vgpr2
; %bb.403:
	s_andn2_saveexec_b64 s[12:13], s[12:13]
; %bb.404:
	v_add_f32_e32 v3, 0x43000000, v2
; %bb.405:
	s_or_b64 exec, exec, s[12:13]
                                        ; implicit-def: $vgpr2
.LBB135_406:
	s_andn2_saveexec_b64 s[10:11], s[10:11]
; %bb.407:
	s_mov_b32 s12, 0x7f800000
	v_mov_b32_e32 v3, 0x7c
	v_mov_b32_e32 v4, 0x7f
	v_cmp_lt_u32_e32 vcc, s12, v2
	v_cndmask_b32_e32 v3, v3, v4, vcc
; %bb.408:
	s_or_b64 exec, exec, s[10:11]
	global_store_byte v[0:1], v3, off
.LBB135_409:
	s_mov_b64 s[12:13], 0
	s_mov_b64 s[10:11], -1
.LBB135_410:
	s_andn2_b64 vcc, exec, s[12:13]
	s_cbranch_vccnz .LBB135_418
; %bb.411:
	s_cmp_gt_i32 s17, 14
	s_mov_b64 s[12:13], -1
	s_cbranch_scc0 .LBB135_415
; %bb.412:
	s_cmp_eq_u32 s17, 15
	s_mov_b64 s[0:1], -1
	s_cbranch_scc0 .LBB135_414
; %bb.413:
	v_cndmask_b32_e64 v2, 0, 1.0, s[8:9]
	v_bfe_u32 v3, v2, 16, 1
	s_movk_i32 s0, 0x7fff
	v_add3_u32 v2, v2, v3, s0
	global_store_short_d16_hi v[0:1], v2, off
	s_mov_b64 s[10:11], -1
	s_mov_b64 s[0:1], 0
.LBB135_414:
	s_mov_b64 s[12:13], 0
.LBB135_415:
	s_and_b64 vcc, exec, s[12:13]
	s_cbranch_vccz .LBB135_418
; %bb.416:
	s_cmp_eq_u32 s17, 11
	s_mov_b64 s[0:1], -1
	s_cbranch_scc0 .LBB135_418
; %bb.417:
	v_cndmask_b32_e64 v2, 0, 1, s[8:9]
	s_mov_b64 s[10:11], -1
	s_mov_b64 s[0:1], 0
	global_store_byte v[0:1], v2, off
.LBB135_418:
	s_mov_b64 s[12:13], 0
.LBB135_419:
	s_and_b64 vcc, exec, s[12:13]
	s_cbranch_vccz .LBB135_458
; %bb.420:
	s_and_b32 s12, 0xffff, s16
	s_cmp_lt_i32 s12, 5
	s_mov_b64 s[10:11], -1
	s_cbranch_scc1 .LBB135_441
; %bb.421:
	s_cmp_lt_i32 s12, 8
	s_cbranch_scc1 .LBB135_431
; %bb.422:
	s_cmp_lt_i32 s12, 9
	s_cbranch_scc1 .LBB135_428
; %bb.423:
	s_cmp_gt_i32 s12, 9
	s_cbranch_scc0 .LBB135_425
; %bb.424:
	v_cndmask_b32_e64 v2, 0, 1, s[8:9]
	v_cvt_f64_u32_e32 v[2:3], v2
	v_mov_b32_e32 v4, 0
	v_mov_b32_e32 v5, v4
	s_mov_b64 s[10:11], 0
	global_store_dwordx4 v[0:1], v[2:5], off
.LBB135_425:
	s_andn2_b64 vcc, exec, s[10:11]
	s_cbranch_vccnz .LBB135_427
; %bb.426:
	v_cndmask_b32_e64 v2, 0, 1.0, s[8:9]
	v_mov_b32_e32 v3, 0
	global_store_dwordx2 v[0:1], v[2:3], off
.LBB135_427:
	s_mov_b64 s[10:11], 0
.LBB135_428:
	s_andn2_b64 vcc, exec, s[10:11]
	s_cbranch_vccnz .LBB135_430
; %bb.429:
	v_cndmask_b32_e64 v2, 0, 1.0, s[8:9]
	v_cvt_f16_f32_e32 v2, v2
	global_store_dword v[0:1], v2, off
.LBB135_430:
	s_mov_b64 s[10:11], 0
.LBB135_431:
	s_andn2_b64 vcc, exec, s[10:11]
	s_cbranch_vccnz .LBB135_440
; %bb.432:
	s_cmp_lt_i32 s12, 6
	s_mov_b64 s[10:11], -1
	s_cbranch_scc1 .LBB135_438
; %bb.433:
	s_cmp_gt_i32 s12, 6
	s_cbranch_scc0 .LBB135_435
; %bb.434:
	v_cndmask_b32_e64 v2, 0, 1, s[8:9]
	v_cvt_f64_u32_e32 v[2:3], v2
	s_mov_b64 s[10:11], 0
	global_store_dwordx2 v[0:1], v[2:3], off
.LBB135_435:
	s_andn2_b64 vcc, exec, s[10:11]
	s_cbranch_vccnz .LBB135_437
; %bb.436:
	v_cndmask_b32_e64 v2, 0, 1.0, s[8:9]
	global_store_dword v[0:1], v2, off
.LBB135_437:
	s_mov_b64 s[10:11], 0
.LBB135_438:
	s_andn2_b64 vcc, exec, s[10:11]
	s_cbranch_vccnz .LBB135_440
; %bb.439:
	v_cndmask_b32_e64 v2, 0, 1.0, s[8:9]
	v_cvt_f16_f32_e32 v2, v2
	global_store_short v[0:1], v2, off
.LBB135_440:
	s_mov_b64 s[10:11], 0
.LBB135_441:
	s_andn2_b64 vcc, exec, s[10:11]
	s_cbranch_vccnz .LBB135_457
; %bb.442:
	s_cmp_lt_i32 s12, 2
	s_mov_b64 s[10:11], -1
	s_cbranch_scc1 .LBB135_452
; %bb.443:
	s_cmp_lt_i32 s12, 3
	s_cbranch_scc1 .LBB135_449
; %bb.444:
	s_cmp_gt_i32 s12, 3
	s_cbranch_scc0 .LBB135_446
; %bb.445:
	s_mov_b32 s10, 0
	v_cndmask_b32_e64 v2, 0, 1, s[8:9]
	v_mov_b32_e32 v3, s10
	s_mov_b64 s[10:11], 0
	global_store_dwordx2 v[0:1], v[2:3], off
.LBB135_446:
	s_andn2_b64 vcc, exec, s[10:11]
	s_cbranch_vccnz .LBB135_448
; %bb.447:
	v_cndmask_b32_e64 v2, 0, 1, s[8:9]
	global_store_dword v[0:1], v2, off
.LBB135_448:
	s_mov_b64 s[10:11], 0
.LBB135_449:
	s_andn2_b64 vcc, exec, s[10:11]
	s_cbranch_vccnz .LBB135_451
; %bb.450:
	v_cndmask_b32_e64 v2, 0, 1, s[8:9]
	global_store_short v[0:1], v2, off
.LBB135_451:
	s_mov_b64 s[10:11], 0
.LBB135_452:
	s_andn2_b64 vcc, exec, s[10:11]
	s_cbranch_vccnz .LBB135_457
; %bb.453:
	s_mov_b64 s[10:11], -1
	s_cmp_gt_i32 s12, 0
	v_cndmask_b32_e64 v2, 0, 1, s[8:9]
	s_cbranch_scc0 .LBB135_455
; %bb.454:
	s_mov_b64 s[10:11], 0
	global_store_byte v[0:1], v2, off
.LBB135_455:
	s_andn2_b64 vcc, exec, s[10:11]
	s_cbranch_vccnz .LBB135_457
; %bb.456:
	global_store_byte v[0:1], v2, off
.LBB135_457:
	s_mov_b64 s[10:11], -1
.LBB135_458:
	s_andn2_b64 vcc, exec, s[10:11]
	s_cbranch_vccnz .LBB135_460
; %bb.459:
	v_add_u32_e32 v8, 0x80, v8
	s_mov_b64 s[8:9], -1
	s_branch .LBB135_573
.LBB135_460:
	s_mov_b64 s[8:9], 0
	s_branch .LBB135_572
.LBB135_461:
	s_mov_b64 s[2:3], -1
                                        ; implicit-def: $vgpr3
.LBB135_462:
	s_mov_b64 s[8:9], 0
.LBB135_463:
	s_and_b64 vcc, exec, s[8:9]
	s_cbranch_vccz .LBB135_467
; %bb.464:
	s_cmp_eq_u32 s12, 29
	s_cbranch_scc0 .LBB135_466
; %bb.465:
	global_load_dwordx2 v[3:4], v[1:2], off
	s_movk_i32 s2, 0x7fff
	s_mov_b64 s[0:1], -1
	s_mov_b64 s[8:9], 0
	s_waitcnt vmcnt(0)
	v_ffbh_u32_e32 v5, v4
	v_min_u32_e32 v5, 32, v5
	v_lshlrev_b64 v[3:4], v5, v[3:4]
	v_min_u32_e32 v3, 1, v3
	v_or_b32_e32 v3, v4, v3
	v_cvt_f32_u32_e32 v3, v3
	v_sub_u32_e32 v4, 32, v5
	v_ldexp_f32 v3, v3, v4
	v_bfe_u32 v4, v3, 16, 1
	v_add3_u32 v3, v3, v4, s2
	v_lshrrev_b32_e32 v3, 16, v3
	s_mov_b64 s[2:3], 0
	s_branch .LBB135_468
.LBB135_466:
	s_mov_b64 s[2:3], -1
                                        ; implicit-def: $vgpr3
.LBB135_467:
	s_mov_b64 s[8:9], 0
.LBB135_468:
	s_and_b64 vcc, exec, s[8:9]
	s_cbranch_vccz .LBB135_486
; %bb.469:
	s_cmp_lt_i32 s12, 27
	s_cbranch_scc1 .LBB135_472
; %bb.470:
	s_cmp_gt_i32 s12, 27
	s_cbranch_scc0 .LBB135_473
; %bb.471:
	global_load_dword v3, v[1:2], off
	s_movk_i32 s0, 0x7fff
	s_waitcnt vmcnt(0)
	v_cvt_f32_u32_e32 v3, v3
	v_bfe_u32 v4, v3, 16, 1
	v_add3_u32 v3, v3, v4, s0
	v_lshrrev_b32_e32 v3, 16, v3
	s_mov_b64 s[0:1], 0
	s_branch .LBB135_474
.LBB135_472:
	s_mov_b64 s[0:1], -1
                                        ; implicit-def: $vgpr3
	s_branch .LBB135_477
.LBB135_473:
	s_mov_b64 s[0:1], -1
                                        ; implicit-def: $vgpr3
.LBB135_474:
	s_andn2_b64 vcc, exec, s[0:1]
	s_cbranch_vccnz .LBB135_476
; %bb.475:
	global_load_ushort v3, v[1:2], off
	s_movk_i32 s0, 0x7fff
	s_waitcnt vmcnt(0)
	v_cvt_f32_u32_e32 v3, v3
	v_bfe_u32 v4, v3, 16, 1
	v_add3_u32 v3, v3, v4, s0
	v_lshrrev_b32_e32 v3, 16, v3
.LBB135_476:
	s_mov_b64 s[0:1], 0
.LBB135_477:
	s_andn2_b64 vcc, exec, s[0:1]
	s_cbranch_vccnz .LBB135_485
; %bb.478:
	global_load_ubyte v3, v[1:2], off
	s_movk_i32 s0, 0x7f
	s_waitcnt vmcnt(0)
	v_cmp_lt_i16_e32 vcc, s0, v3
	s_mov_b64 s[0:1], 0
	s_and_saveexec_b64 s[8:9], vcc
	s_xor_b64 s[8:9], exec, s[8:9]
	s_cbranch_execz .LBB135_499
; %bb.479:
	s_movk_i32 s0, 0x80
	v_cmp_eq_u16_e32 vcc, s0, v3
	s_mov_b64 s[0:1], -1
	s_and_saveexec_b64 s[10:11], vcc
; %bb.480:
	s_xor_b64 s[0:1], exec, -1
; %bb.481:
	s_or_b64 exec, exec, s[10:11]
	s_and_b64 s[0:1], s[0:1], exec
	s_or_saveexec_b64 s[8:9], s[8:9]
	v_mov_b32_e32 v4, 0x7f800001
	s_xor_b64 exec, exec, s[8:9]
	s_cbranch_execnz .LBB135_500
.LBB135_482:
	s_or_b64 exec, exec, s[8:9]
	s_and_saveexec_b64 s[8:9], s[0:1]
	s_cbranch_execz .LBB135_484
.LBB135_483:
	v_lshlrev_b32_e32 v4, 24, v3
	v_and_b32_e32 v3, 0xffff, v3
	v_and_b32_e32 v5, 7, v3
	v_ffbh_u32_e32 v7, v5
	v_min_u32_e32 v7, 32, v7
	v_subrev_u32_e32 v9, 28, v7
	v_bfe_u32 v6, v3, 3, 4
	v_lshlrev_b32_e32 v3, v9, v3
	v_sub_u32_e32 v7, 29, v7
	v_and_b32_e32 v3, 7, v3
	v_cmp_eq_u32_e32 vcc, 0, v6
	v_cndmask_b32_e32 v6, v6, v7, vcc
	v_cndmask_b32_e32 v3, v5, v3, vcc
	v_mov_b32_e32 v5, 0x3b800000
	v_lshlrev_b32_e32 v3, 20, v3
	v_and_b32_e32 v4, 0x80000000, v4
	v_lshl_add_u32 v5, v6, 23, v5
	v_or3_b32 v4, v4, v5, v3
.LBB135_484:
	s_or_b64 exec, exec, s[8:9]
	v_bfe_u32 v3, v4, 16, 1
	s_movk_i32 s0, 0x7fff
	v_add3_u32 v3, v4, v3, s0
	v_cmp_o_f32_e32 vcc, v4, v4
	v_mov_b32_e32 v4, 0x7fc0
	v_cndmask_b32_sdwa v3, v4, v3, vcc dst_sel:DWORD dst_unused:UNUSED_PAD src0_sel:DWORD src1_sel:WORD_1
.LBB135_485:
	s_mov_b64 s[0:1], -1
.LBB135_486:
	s_mov_b64 s[8:9], 0
.LBB135_487:
	s_and_b64 vcc, exec, s[8:9]
	s_cbranch_vccz .LBB135_522
; %bb.488:
	s_cmp_gt_i32 s12, 22
	s_cbranch_scc0 .LBB135_498
; %bb.489:
	s_cmp_lt_i32 s12, 24
	s_cbranch_scc1 .LBB135_501
; %bb.490:
	s_cmp_gt_i32 s12, 24
	s_cbranch_scc0 .LBB135_502
; %bb.491:
	global_load_ubyte v3, v[1:2], off
	s_movk_i32 s0, 0x7f
	s_waitcnt vmcnt(0)
	v_cmp_lt_i16_e32 vcc, s0, v3
	s_mov_b64 s[0:1], 0
	s_and_saveexec_b64 s[8:9], vcc
	s_xor_b64 s[8:9], exec, s[8:9]
	s_cbranch_execz .LBB135_514
; %bb.492:
	s_movk_i32 s0, 0x80
	v_cmp_eq_u16_e32 vcc, s0, v3
	s_mov_b64 s[0:1], -1
	s_and_saveexec_b64 s[10:11], vcc
; %bb.493:
	s_xor_b64 s[0:1], exec, -1
; %bb.494:
	s_or_b64 exec, exec, s[10:11]
	s_and_b64 s[0:1], s[0:1], exec
	s_or_saveexec_b64 s[8:9], s[8:9]
	v_mov_b32_e32 v4, 0x7f800001
	s_xor_b64 exec, exec, s[8:9]
	s_cbranch_execnz .LBB135_515
.LBB135_495:
	s_or_b64 exec, exec, s[8:9]
	s_and_saveexec_b64 s[8:9], s[0:1]
	s_cbranch_execz .LBB135_497
.LBB135_496:
	v_lshlrev_b32_e32 v4, 24, v3
	v_and_b32_e32 v3, 0xffff, v3
	v_and_b32_e32 v5, 3, v3
	v_ffbh_u32_e32 v7, v5
	v_min_u32_e32 v7, 32, v7
	v_subrev_u32_e32 v9, 29, v7
	v_bfe_u32 v6, v3, 2, 5
	v_lshlrev_b32_e32 v3, v9, v3
	v_sub_u32_e32 v7, 30, v7
	v_and_b32_e32 v3, 3, v3
	v_cmp_eq_u32_e32 vcc, 0, v6
	v_cndmask_b32_e32 v6, v6, v7, vcc
	v_cndmask_b32_e32 v3, v5, v3, vcc
	v_mov_b32_e32 v5, 0x37800000
	v_lshlrev_b32_e32 v3, 21, v3
	v_and_b32_e32 v4, 0x80000000, v4
	v_lshl_add_u32 v5, v6, 23, v5
	v_or3_b32 v4, v4, v5, v3
.LBB135_497:
	s_or_b64 exec, exec, s[8:9]
	v_bfe_u32 v3, v4, 16, 1
	s_movk_i32 s0, 0x7fff
	v_add3_u32 v3, v4, v3, s0
	v_cmp_o_f32_e32 vcc, v4, v4
	v_mov_b32_e32 v4, 0x7fc0
	v_cndmask_b32_sdwa v3, v4, v3, vcc dst_sel:DWORD dst_unused:UNUSED_PAD src0_sel:DWORD src1_sel:WORD_1
	s_mov_b64 s[0:1], 0
	s_branch .LBB135_503
.LBB135_498:
	s_mov_b64 s[8:9], -1
                                        ; implicit-def: $vgpr3
	s_branch .LBB135_509
.LBB135_499:
	s_or_saveexec_b64 s[8:9], s[8:9]
	v_mov_b32_e32 v4, 0x7f800001
	s_xor_b64 exec, exec, s[8:9]
	s_cbranch_execz .LBB135_482
.LBB135_500:
	v_cmp_ne_u16_e32 vcc, 0, v3
	s_andn2_b64 s[0:1], s[0:1], exec
	s_and_b64 s[10:11], vcc, exec
	v_mov_b32_e32 v4, 0
	s_or_b64 s[0:1], s[0:1], s[10:11]
	s_or_b64 exec, exec, s[8:9]
	s_and_saveexec_b64 s[8:9], s[0:1]
	s_cbranch_execnz .LBB135_483
	s_branch .LBB135_484
.LBB135_501:
	s_mov_b64 s[0:1], -1
                                        ; implicit-def: $vgpr3
	s_branch .LBB135_506
.LBB135_502:
	s_mov_b64 s[0:1], -1
                                        ; implicit-def: $vgpr3
.LBB135_503:
	s_and_b64 vcc, exec, s[0:1]
	s_cbranch_vccz .LBB135_505
; %bb.504:
	global_load_ubyte v3, v[1:2], off
	s_mov_b32 s0, 0x7f800000
	s_brev_b32 s1, 1
	s_movk_i32 s8, 0x7fff
	s_waitcnt vmcnt(0)
	v_lshlrev_b32_e32 v3, 24, v3
	v_and_b32_e32 v4, 0x7f000000, v3
	v_ffbh_u32_e32 v5, v4
	v_min_u32_e32 v5, 32, v5
	v_sub_u32_e64 v5, v5, 4 clamp
	v_lshlrev_b32_e32 v7, v5, v4
	v_lshlrev_b32_e32 v5, 23, v5
	v_lshrrev_b32_e32 v7, 4, v7
	v_add_u32_e32 v6, 0x1000000, v4
	v_sub_u32_e32 v5, v7, v5
	v_ashrrev_i32_e32 v6, 8, v6
	v_add_u32_e32 v5, 0x3c000000, v5
	v_and_or_b32 v5, v6, s0, v5
	v_cmp_ne_u32_e32 vcc, 0, v4
	v_cndmask_b32_e32 v4, 0, v5, vcc
	v_and_or_b32 v3, v3, s1, v4
	v_bfe_u32 v4, v4, 16, 1
	v_add3_u32 v4, v3, v4, s8
	v_cmp_o_f32_e32 vcc, v3, v3
	v_mov_b32_e32 v3, 0x7fc0
	v_cndmask_b32_sdwa v3, v3, v4, vcc dst_sel:DWORD dst_unused:UNUSED_PAD src0_sel:DWORD src1_sel:WORD_1
.LBB135_505:
	s_mov_b64 s[0:1], 0
.LBB135_506:
	s_andn2_b64 vcc, exec, s[0:1]
	s_cbranch_vccnz .LBB135_508
; %bb.507:
	global_load_ubyte v3, v[1:2], off
	s_movk_i32 s0, 0x7f00
	s_brev_b32 s1, 16
	s_brev_b32 s8, 1
	s_movk_i32 s9, 0x7fff
	s_waitcnt vmcnt(0)
	v_lshlrev_b16_e32 v4, 8, v3
	v_lshlrev_b32_e32 v3, 25, v3
	v_lshrrev_b32_e32 v5, 4, v3
	v_and_or_b32 v6, v4, s0, 0.5
	v_or_b32_e32 v5, 0x70000000, v5
	v_add_f32_e32 v6, -0.5, v6
	v_mul_f32_e32 v5, 0x7800000, v5
	v_cmp_gt_u32_e32 vcc, s1, v3
	v_bfe_i32 v4, v4, 0, 16
	v_cndmask_b32_e32 v3, v5, v6, vcc
	v_and_or_b32 v4, v4, s8, v3
	v_bfe_u32 v3, v3, 16, 1
	v_add3_u32 v3, v4, v3, s9
	v_cmp_o_f32_e32 vcc, v4, v4
	v_mov_b32_e32 v4, 0x7fc0
	v_cndmask_b32_sdwa v3, v4, v3, vcc dst_sel:DWORD dst_unused:UNUSED_PAD src0_sel:DWORD src1_sel:WORD_1
.LBB135_508:
	s_mov_b64 s[8:9], 0
	s_mov_b64 s[0:1], -1
.LBB135_509:
	s_andn2_b64 vcc, exec, s[8:9]
	s_cbranch_vccnz .LBB135_522
; %bb.510:
	s_cmp_gt_i32 s12, 14
	s_cbranch_scc0 .LBB135_513
; %bb.511:
	s_cmp_eq_u32 s12, 15
	s_cbranch_scc0 .LBB135_516
; %bb.512:
	global_load_ushort v3, v[1:2], off
	s_mov_b64 s[0:1], -1
	s_mov_b64 s[2:3], 0
	s_branch .LBB135_517
.LBB135_513:
	s_mov_b64 s[8:9], -1
                                        ; implicit-def: $vgpr3
	s_branch .LBB135_518
.LBB135_514:
	s_or_saveexec_b64 s[8:9], s[8:9]
	v_mov_b32_e32 v4, 0x7f800001
	s_xor_b64 exec, exec, s[8:9]
	s_cbranch_execz .LBB135_495
.LBB135_515:
	v_cmp_ne_u16_e32 vcc, 0, v3
	s_andn2_b64 s[0:1], s[0:1], exec
	s_and_b64 s[10:11], vcc, exec
	v_mov_b32_e32 v4, 0
	s_or_b64 s[0:1], s[0:1], s[10:11]
	s_or_b64 exec, exec, s[8:9]
	s_and_saveexec_b64 s[8:9], s[0:1]
	s_cbranch_execnz .LBB135_496
	s_branch .LBB135_497
.LBB135_516:
	s_mov_b64 s[2:3], -1
                                        ; implicit-def: $vgpr3
.LBB135_517:
	s_mov_b64 s[8:9], 0
.LBB135_518:
	s_and_b64 vcc, exec, s[8:9]
	s_cbranch_vccz .LBB135_522
; %bb.519:
	s_cmp_eq_u32 s12, 11
	s_cbranch_scc0 .LBB135_521
; %bb.520:
	global_load_ubyte v3, v[1:2], off
	s_mov_b64 s[0:1], -1
	s_mov_b64 s[2:3], 0
	s_waitcnt vmcnt(0)
	v_cmp_ne_u16_e32 vcc, 0, v3
	v_cndmask_b32_e64 v3, 0, 1.0, vcc
	v_lshrrev_b32_e32 v3, 16, v3
	s_branch .LBB135_522
.LBB135_521:
	s_mov_b64 s[2:3], -1
                                        ; implicit-def: $vgpr3
.LBB135_522:
	s_branch .LBB135_309
.LBB135_523:
	s_cmp_lt_i32 s12, 5
	s_cbranch_scc1 .LBB135_528
; %bb.524:
	s_cmp_lt_i32 s12, 8
	s_cbranch_scc1 .LBB135_529
; %bb.525:
	;; [unrolled: 3-line block ×3, first 2 shown]
	s_cmp_gt_i32 s12, 9
	s_cbranch_scc0 .LBB135_531
; %bb.527:
	global_load_dwordx2 v[3:4], v[1:2], off
	s_movk_i32 s0, 0x7fff
	s_waitcnt vmcnt(0)
	v_cvt_f32_f64_e32 v3, v[3:4]
	v_mov_b32_e32 v4, 0x7fc0
	v_bfe_u32 v5, v3, 16, 1
	v_cmp_o_f32_e32 vcc, v3, v3
	v_add3_u32 v3, v3, v5, s0
	v_cndmask_b32_sdwa v3, v4, v3, vcc dst_sel:DWORD dst_unused:UNUSED_PAD src0_sel:DWORD src1_sel:WORD_1
	s_mov_b64 s[0:1], 0
	s_branch .LBB135_532
.LBB135_528:
	s_mov_b64 s[0:1], -1
                                        ; implicit-def: $vgpr3
	s_branch .LBB135_550
.LBB135_529:
	s_mov_b64 s[0:1], -1
                                        ; implicit-def: $vgpr3
	s_branch .LBB135_538
.LBB135_530:
	s_mov_b64 s[0:1], -1
                                        ; implicit-def: $vgpr3
	s_branch .LBB135_535
.LBB135_531:
	s_mov_b64 s[0:1], -1
                                        ; implicit-def: $vgpr3
.LBB135_532:
	s_andn2_b64 vcc, exec, s[0:1]
	s_cbranch_vccnz .LBB135_534
; %bb.533:
	global_load_dword v3, v[1:2], off
	s_movk_i32 s0, 0x7fff
	v_mov_b32_e32 v4, 0x7fc0
	s_waitcnt vmcnt(0)
	v_bfe_u32 v5, v3, 16, 1
	v_cmp_o_f32_e32 vcc, v3, v3
	v_add3_u32 v3, v3, v5, s0
	v_cndmask_b32_sdwa v3, v4, v3, vcc dst_sel:DWORD dst_unused:UNUSED_PAD src0_sel:DWORD src1_sel:WORD_1
.LBB135_534:
	s_mov_b64 s[0:1], 0
.LBB135_535:
	s_andn2_b64 vcc, exec, s[0:1]
	s_cbranch_vccnz .LBB135_537
; %bb.536:
	global_load_dword v3, v[1:2], off
	s_movk_i32 s0, 0x7fff
	v_mov_b32_e32 v5, 0x7fc0
	s_waitcnt vmcnt(0)
	v_cvt_f32_f16_e32 v4, v3
	v_cmp_o_f16_e32 vcc, v3, v3
	v_bfe_u32 v3, v4, 16, 1
	v_add3_u32 v3, v4, v3, s0
	v_cndmask_b32_sdwa v3, v5, v3, vcc dst_sel:DWORD dst_unused:UNUSED_PAD src0_sel:DWORD src1_sel:WORD_1
.LBB135_537:
	s_mov_b64 s[0:1], 0
.LBB135_538:
	s_andn2_b64 vcc, exec, s[0:1]
	s_cbranch_vccnz .LBB135_549
; %bb.539:
	s_cmp_lt_i32 s12, 6
	s_cbranch_scc1 .LBB135_542
; %bb.540:
	s_cmp_gt_i32 s12, 6
	s_cbranch_scc0 .LBB135_543
; %bb.541:
	global_load_dwordx2 v[3:4], v[1:2], off
	s_movk_i32 s0, 0x7fff
	s_waitcnt vmcnt(0)
	v_cvt_f32_f64_e32 v3, v[3:4]
	v_mov_b32_e32 v4, 0x7fc0
	v_bfe_u32 v5, v3, 16, 1
	v_cmp_o_f32_e32 vcc, v3, v3
	v_add3_u32 v3, v3, v5, s0
	v_cndmask_b32_sdwa v3, v4, v3, vcc dst_sel:DWORD dst_unused:UNUSED_PAD src0_sel:DWORD src1_sel:WORD_1
	s_mov_b64 s[0:1], 0
	s_branch .LBB135_544
.LBB135_542:
	s_mov_b64 s[0:1], -1
                                        ; implicit-def: $vgpr3
	s_branch .LBB135_547
.LBB135_543:
	s_mov_b64 s[0:1], -1
                                        ; implicit-def: $vgpr3
.LBB135_544:
	s_andn2_b64 vcc, exec, s[0:1]
	s_cbranch_vccnz .LBB135_546
; %bb.545:
	global_load_dword v3, v[1:2], off
	s_movk_i32 s0, 0x7fff
	v_mov_b32_e32 v4, 0x7fc0
	s_waitcnt vmcnt(0)
	v_bfe_u32 v5, v3, 16, 1
	v_cmp_o_f32_e32 vcc, v3, v3
	v_add3_u32 v3, v3, v5, s0
	v_cndmask_b32_sdwa v3, v4, v3, vcc dst_sel:DWORD dst_unused:UNUSED_PAD src0_sel:DWORD src1_sel:WORD_1
.LBB135_546:
	s_mov_b64 s[0:1], 0
.LBB135_547:
	s_andn2_b64 vcc, exec, s[0:1]
	s_cbranch_vccnz .LBB135_549
; %bb.548:
	global_load_ushort v3, v[1:2], off
	s_movk_i32 s0, 0x7fff
	v_mov_b32_e32 v5, 0x7fc0
	s_waitcnt vmcnt(0)
	v_cvt_f32_f16_e32 v4, v3
	v_cmp_o_f16_e32 vcc, v3, v3
	v_bfe_u32 v3, v4, 16, 1
	v_add3_u32 v3, v4, v3, s0
	v_cndmask_b32_sdwa v3, v5, v3, vcc dst_sel:DWORD dst_unused:UNUSED_PAD src0_sel:DWORD src1_sel:WORD_1
.LBB135_549:
	s_mov_b64 s[0:1], 0
.LBB135_550:
	s_andn2_b64 vcc, exec, s[0:1]
	s_cbranch_vccnz .LBB135_570
; %bb.551:
	s_cmp_lt_i32 s12, 2
	s_cbranch_scc1 .LBB135_555
; %bb.552:
	s_cmp_lt_i32 s12, 3
	s_cbranch_scc1 .LBB135_556
; %bb.553:
	s_cmp_gt_i32 s12, 3
	s_cbranch_scc0 .LBB135_557
; %bb.554:
	global_load_dwordx2 v[3:4], v[1:2], off
	s_movk_i32 s0, 0x7fff
	s_waitcnt vmcnt(0)
	v_xor_b32_e32 v6, v3, v4
	v_ffbh_i32_e32 v5, v4
	v_ashrrev_i32_e32 v6, 31, v6
	v_add_u32_e32 v5, -1, v5
	v_add_u32_e32 v6, 32, v6
	v_min_u32_e32 v5, v5, v6
	v_lshlrev_b64 v[3:4], v5, v[3:4]
	v_min_u32_e32 v3, 1, v3
	v_or_b32_e32 v3, v4, v3
	v_cvt_f32_i32_e32 v3, v3
	v_sub_u32_e32 v4, 32, v5
	v_ldexp_f32 v3, v3, v4
	v_bfe_u32 v4, v3, 16, 1
	v_add3_u32 v3, v3, v4, s0
	v_lshrrev_b32_e32 v3, 16, v3
	s_mov_b64 s[0:1], 0
	s_branch .LBB135_558
.LBB135_555:
	s_mov_b64 s[0:1], -1
                                        ; implicit-def: $vgpr3
	s_branch .LBB135_564
.LBB135_556:
	s_mov_b64 s[0:1], -1
                                        ; implicit-def: $vgpr3
	s_branch .LBB135_561
.LBB135_557:
	s_mov_b64 s[0:1], -1
                                        ; implicit-def: $vgpr3
.LBB135_558:
	s_andn2_b64 vcc, exec, s[0:1]
	s_cbranch_vccnz .LBB135_560
; %bb.559:
	global_load_dword v3, v[1:2], off
	s_movk_i32 s0, 0x7fff
	s_waitcnt vmcnt(0)
	v_cvt_f32_i32_e32 v3, v3
	v_bfe_u32 v4, v3, 16, 1
	v_add3_u32 v3, v3, v4, s0
	v_lshrrev_b32_e32 v3, 16, v3
.LBB135_560:
	s_mov_b64 s[0:1], 0
.LBB135_561:
	s_andn2_b64 vcc, exec, s[0:1]
	s_cbranch_vccnz .LBB135_563
; %bb.562:
	global_load_sshort v3, v[1:2], off
	s_movk_i32 s0, 0x7fff
	s_waitcnt vmcnt(0)
	v_cvt_f32_i32_e32 v3, v3
	v_bfe_u32 v4, v3, 16, 1
	v_add3_u32 v3, v3, v4, s0
	v_lshrrev_b32_e32 v3, 16, v3
.LBB135_563:
	s_mov_b64 s[0:1], 0
.LBB135_564:
	s_andn2_b64 vcc, exec, s[0:1]
	s_cbranch_vccnz .LBB135_570
; %bb.565:
	s_cmp_gt_i32 s12, 0
	s_cbranch_scc0 .LBB135_567
; %bb.566:
	global_load_sbyte v3, v[1:2], off
	s_movk_i32 s0, 0x7fff
	s_waitcnt vmcnt(0)
	v_cvt_f32_i32_e32 v3, v3
	v_bfe_u32 v4, v3, 16, 1
	v_add3_u32 v3, v3, v4, s0
	v_lshrrev_b32_e32 v3, 16, v3
	s_mov_b64 s[0:1], 0
	s_branch .LBB135_568
.LBB135_567:
	s_mov_b64 s[0:1], -1
                                        ; implicit-def: $vgpr3
.LBB135_568:
	s_andn2_b64 vcc, exec, s[0:1]
	s_cbranch_vccnz .LBB135_570
; %bb.569:
	global_load_ubyte v1, v[1:2], off
	s_movk_i32 s0, 0x7fff
	s_waitcnt vmcnt(0)
	v_cvt_f32_ubyte0_e32 v1, v1
	v_bfe_u32 v2, v1, 16, 1
	v_add3_u32 v1, v1, v2, s0
	v_lshrrev_b32_e32 v3, 16, v1
.LBB135_570:
	s_branch .LBB135_310
.LBB135_571:
	s_mov_b64 s[8:9], 0
	s_mov_b64 s[0:1], s[54:55]
.LBB135_572:
                                        ; implicit-def: $vgpr8
.LBB135_573:
	s_andn2_b64 s[10:11], s[54:55], exec
	s_and_b64 s[0:1], s[0:1], exec
	s_or_b64 s[62:63], s[10:11], s[0:1]
	s_andn2_b64 s[0:1], s[56:57], exec
	s_and_b64 s[2:3], s[2:3], exec
	s_or_b64 s[60:61], s[0:1], s[2:3]
	s_orn2_b64 s[0:1], s[8:9], exec
.LBB135_574:
	s_or_b64 exec, exec, s[64:65]
	s_mov_b64 s[2:3], 0
	s_mov_b64 s[8:9], 0
	;; [unrolled: 1-line block ×3, first 2 shown]
                                        ; implicit-def: $vgpr1_vgpr2
                                        ; implicit-def: $vgpr0
                                        ; implicit-def: $vgpr3
	s_and_saveexec_b64 s[64:65], s[0:1]
	s_cbranch_execz .LBB135_966
; %bb.575:
	v_cmp_gt_i32_e32 vcc, s72, v8
	s_mov_b64 s[2:3], -1
	s_mov_b64 s[68:69], s[60:61]
	s_mov_b64 s[70:71], s[62:63]
	s_and_saveexec_b64 s[66:67], vcc
	s_cbranch_execz .LBB135_866
; %bb.576:
	s_andn2_b64 vcc, exec, s[40:41]
	s_cbranch_vccnz .LBB135_581
; %bb.577:
	s_andn2_b64 vcc, exec, s[52:53]
	s_cbranch_vccnz .LBB135_582
; %bb.578:
	s_add_i32 s78, s77, 1
	s_cmp_eq_u32 s74, 2
	s_cbranch_scc1 .LBB135_583
; %bb.579:
	s_and_b32 s73, s78, 28
	v_mov_b32_e32 v2, 0
	s_mov_b32 s79, 0
	s_mov_b64 s[68:69], s[34:35]
	s_mov_b64 s[70:71], s[50:51]
	v_mov_b32_e32 v0, 0
	v_mov_b32_e32 v1, v8
.LBB135_580:                            ; =>This Inner Loop Header: Depth=1
	s_load_dwordx8 s[16:23], s[68:69], 0x4
	s_load_dwordx4 s[0:3], s[68:69], 0x24
	s_load_dwordx8 s[8:15], s[70:71], 0x0
	s_add_u32 s68, s68, 48
	s_addc_u32 s69, s69, 0
	s_waitcnt vmcnt(0) lgkmcnt(0)
	v_mul_hi_u32 v3, s17, v1
	s_add_i32 s79, s79, 4
	s_add_u32 s70, s70, 32
	s_addc_u32 s71, s71, 0
	v_add_u32_e32 v3, v1, v3
	v_lshrrev_b32_e32 v3, s18, v3
	v_mul_lo_u32 v4, v3, s16
	v_mul_hi_u32 v5, s20, v3
	s_cmp_eq_u32 s73, s79
	v_sub_u32_e32 v1, v1, v4
	v_add_u32_e32 v4, v3, v5
	v_mul_lo_u32 v5, v1, s8
	v_mul_lo_u32 v6, v1, s9
	v_lshrrev_b32_e32 v1, s21, v4
	v_mul_lo_u32 v4, v1, s19
	v_mul_hi_u32 v7, s23, v1
	v_sub_u32_e32 v3, v3, v4
	v_add_u32_e32 v4, v1, v7
	v_lshrrev_b32_e32 v4, s0, v4
	v_mul_hi_u32 v9, s2, v4
	v_mul_lo_u32 v10, v4, s22
	v_mul_lo_u32 v7, v3, s10
	v_mul_lo_u32 v3, v3, s11
	v_sub_u32_e32 v10, v1, v10
	v_add_u32_e32 v1, v4, v9
	v_lshrrev_b32_e32 v1, s3, v1
	v_mul_lo_u32 v9, v1, s1
	v_mul_lo_u32 v11, v10, s12
	;; [unrolled: 1-line block ×3, first 2 shown]
	v_add3_u32 v0, v5, v0, v7
	v_sub_u32_e32 v4, v4, v9
	v_mul_lo_u32 v9, v4, s14
	v_mul_lo_u32 v4, v4, s15
	v_add3_u32 v2, v6, v2, v3
	v_add3_u32 v0, v11, v0, v9
	;; [unrolled: 1-line block ×3, first 2 shown]
	s_cbranch_scc0 .LBB135_580
	s_branch .LBB135_584
.LBB135_581:
	s_mov_b64 s[0:1], -1
                                        ; implicit-def: $vgpr0
                                        ; implicit-def: $vgpr2
	s_branch .LBB135_588
.LBB135_582:
	v_mov_b32_e32 v0, 0
	v_mov_b32_e32 v2, 0
	s_branch .LBB135_587
.LBB135_583:
	s_mov_b32 s73, 0
	v_mov_b32_e32 v0, 0
	v_mov_b32_e32 v2, 0
	;; [unrolled: 1-line block ×3, first 2 shown]
.LBB135_584:
	s_and_b32 s8, s78, 3
	s_cmp_eq_u32 s8, 0
	s_cbranch_scc1 .LBB135_587
; %bb.585:
	s_lshl_b32 s0, s73, 3
	s_add_u32 s0, s34, s0
	s_addc_u32 s1, s35, 0
	s_add_u32 s0, s0, 0xc4
	s_addc_u32 s1, s1, 0
	s_mul_i32 s2, s73, 12
	s_add_u32 s2, s34, s2
	s_addc_u32 s3, s35, 0
.LBB135_586:                            ; =>This Inner Loop Header: Depth=1
	s_load_dwordx2 s[10:11], s[2:3], 0x4
	s_load_dword s9, s[2:3], 0xc
	s_load_dwordx2 s[12:13], s[0:1], 0x0
	s_add_u32 s2, s2, 12
	s_addc_u32 s3, s3, 0
	s_waitcnt vmcnt(0) lgkmcnt(0)
	v_mul_hi_u32 v3, s11, v1
	s_add_u32 s0, s0, 8
	s_addc_u32 s1, s1, 0
	s_add_i32 s8, s8, -1
	v_add_u32_e32 v3, v1, v3
	v_lshrrev_b32_e32 v4, s9, v3
	v_mul_lo_u32 v3, v4, s10
	s_cmp_lg_u32 s8, 0
	v_sub_u32_e32 v3, v1, v3
	v_mad_u64_u32 v[0:1], s[10:11], v3, s12, v[0:1]
	v_mad_u64_u32 v[2:3], s[10:11], v3, s13, v[2:3]
	v_mov_b32_e32 v1, v4
	s_cbranch_scc1 .LBB135_586
.LBB135_587:
	s_mov_b64 s[0:1], 0
.LBB135_588:
	s_andn2_b64 vcc, exec, s[0:1]
	s_cbranch_vccnz .LBB135_591
; %bb.589:
	v_mul_hi_u32 v0, s29, v8
	s_andn2_b64 vcc, exec, s[48:49]
	v_add_u32_e32 v0, v8, v0
	v_lshrrev_b32_e32 v1, s30, v0
	v_mul_lo_u32 v0, v1, s28
	v_sub_u32_e32 v2, v8, v0
	v_mul_lo_u32 v0, v2, s36
	v_mul_lo_u32 v2, v2, s37
	s_cbranch_vccnz .LBB135_591
; %bb.590:
	s_waitcnt vmcnt(0)
	v_mul_hi_u32 v3, s46, v1
	v_add_u32_e32 v3, v1, v3
	v_lshrrev_b32_e32 v3, s47, v3
	v_mul_lo_u32 v3, v3, s31
	v_sub_u32_e32 v3, v1, v3
	v_mad_u64_u32 v[0:1], s[0:1], v3, s38, v[0:1]
	v_mad_u64_u32 v[2:3], s[0:1], v3, s39, v[2:3]
.LBB135_591:
	s_waitcnt vmcnt(0)
	v_mov_b32_e32 v3, s27
	s_and_b32 s12, 0xffff, s76
	v_add_co_u32_e32 v1, vcc, s26, v2
	s_cmp_lt_i32 s12, 11
	v_addc_co_u32_e32 v2, vcc, 0, v3, vcc
	s_cbranch_scc1 .LBB135_598
; %bb.592:
	s_cmp_gt_i32 s12, 25
	s_cbranch_scc0 .LBB135_599
; %bb.593:
	s_cmp_gt_i32 s12, 28
	s_cbranch_scc0 .LBB135_600
	;; [unrolled: 3-line block ×4, first 2 shown]
; %bb.596:
	s_cmp_eq_u32 s12, 46
	s_mov_b64 s[8:9], 0
	s_cbranch_scc0 .LBB135_607
; %bb.597:
	global_load_dword v3, v[1:2], off
	s_mov_b64 s[0:1], -1
	s_mov_b64 s[2:3], 0
	s_branch .LBB135_608
.LBB135_598:
	s_mov_b64 s[8:9], -1
	s_mov_b64 s[0:1], 0
                                        ; implicit-def: $vgpr3
	s_mov_b64 s[2:3], s[60:61]
	s_branch .LBB135_673
.LBB135_599:
	s_mov_b64 s[8:9], -1
	s_mov_b64 s[0:1], 0
	s_mov_b64 s[2:3], s[60:61]
                                        ; implicit-def: $vgpr3
	s_branch .LBB135_637
.LBB135_600:
	s_mov_b64 s[8:9], -1
	s_mov_b64 s[0:1], 0
	s_mov_b64 s[2:3], s[60:61]
                                        ; implicit-def: $vgpr3
	s_branch .LBB135_618
.LBB135_601:
	s_mov_b64 s[8:9], -1
	s_mov_b64 s[0:1], 0
	s_mov_b64 s[2:3], s[60:61]
                                        ; implicit-def: $vgpr3
	s_branch .LBB135_613
.LBB135_602:
	s_andn2_saveexec_b64 s[14:15], s[14:15]
	s_cbranch_execz .LBB135_371
.LBB135_603:
	v_add_f32_e32 v2, 0x46000000, v3
	v_and_b32_e32 v2, 0xff, v2
	v_cmp_ne_u32_e32 vcc, 0, v2
	s_andn2_b64 s[12:13], s[12:13], exec
	s_and_b64 s[18:19], vcc, exec
	s_or_b64 s[12:13], s[12:13], s[18:19]
	s_or_b64 exec, exec, s[14:15]
	v_mov_b32_e32 v4, 0
	s_and_saveexec_b64 s[14:15], s[12:13]
	s_cbranch_execnz .LBB135_372
	s_branch .LBB135_373
.LBB135_604:
	s_mov_b64 s[8:9], -1
	s_mov_b64 s[0:1], 0
	s_mov_b64 s[2:3], s[60:61]
                                        ; implicit-def: $vgpr3
	s_branch .LBB135_608
.LBB135_605:
	s_andn2_saveexec_b64 s[14:15], s[14:15]
	s_cbranch_execz .LBB135_384
.LBB135_606:
	v_add_f32_e32 v2, 0x42800000, v3
	v_and_b32_e32 v2, 0xff, v2
	v_cmp_ne_u32_e32 vcc, 0, v2
	s_andn2_b64 s[12:13], s[12:13], exec
	s_and_b64 s[18:19], vcc, exec
	s_or_b64 s[12:13], s[12:13], s[18:19]
	s_or_b64 exec, exec, s[14:15]
	v_mov_b32_e32 v4, 0
	s_and_saveexec_b64 s[14:15], s[12:13]
	s_cbranch_execnz .LBB135_385
	s_branch .LBB135_386
.LBB135_607:
	s_mov_b64 s[2:3], -1
                                        ; implicit-def: $vgpr3
	s_mov_b64 s[0:1], 0
.LBB135_608:
	s_and_b64 vcc, exec, s[8:9]
	s_cbranch_vccz .LBB135_612
; %bb.609:
	s_cmp_eq_u32 s12, 44
	s_cbranch_scc0 .LBB135_611
; %bb.610:
	global_load_ubyte v3, v[1:2], off
	s_movk_i32 s2, 0xff
	v_mov_b32_e32 v4, 0x7f800001
	v_mov_b32_e32 v5, 0x400000
	;; [unrolled: 1-line block ×3, first 2 shown]
	s_mov_b64 s[0:1], -1
	s_waitcnt vmcnt(0)
	v_lshlrev_b32_e32 v7, 23, v3
	v_cmp_ne_u32_e32 vcc, s2, v3
	v_cndmask_b32_e32 v4, v4, v7, vcc
	v_cmp_ne_u32_e32 vcc, 0, v3
	v_cndmask_b32_e32 v3, v5, v4, vcc
	v_add_u32_e32 v4, 0x7fff, v3
	v_cmp_o_f32_e32 vcc, v3, v3
	v_cndmask_b32_sdwa v3, v6, v4, vcc dst_sel:DWORD dst_unused:UNUSED_PAD src0_sel:DWORD src1_sel:WORD_1
	s_mov_b64 s[2:3], 0
	s_branch .LBB135_612
.LBB135_611:
	s_mov_b64 s[2:3], -1
                                        ; implicit-def: $vgpr3
.LBB135_612:
	s_mov_b64 s[8:9], 0
.LBB135_613:
	s_and_b64 vcc, exec, s[8:9]
	s_cbranch_vccz .LBB135_617
; %bb.614:
	s_cmp_eq_u32 s12, 29
	s_cbranch_scc0 .LBB135_616
; %bb.615:
	global_load_dwordx2 v[3:4], v[1:2], off
	s_movk_i32 s2, 0x7fff
	s_mov_b64 s[0:1], -1
	s_mov_b64 s[8:9], 0
	s_waitcnt vmcnt(0)
	v_ffbh_u32_e32 v5, v4
	v_min_u32_e32 v5, 32, v5
	v_lshlrev_b64 v[3:4], v5, v[3:4]
	v_min_u32_e32 v3, 1, v3
	v_or_b32_e32 v3, v4, v3
	v_cvt_f32_u32_e32 v3, v3
	v_sub_u32_e32 v4, 32, v5
	v_ldexp_f32 v3, v3, v4
	v_bfe_u32 v4, v3, 16, 1
	v_add3_u32 v3, v3, v4, s2
	v_lshrrev_b32_e32 v3, 16, v3
	s_mov_b64 s[2:3], 0
	s_branch .LBB135_618
.LBB135_616:
	s_mov_b64 s[2:3], -1
                                        ; implicit-def: $vgpr3
.LBB135_617:
	s_mov_b64 s[8:9], 0
.LBB135_618:
	s_and_b64 vcc, exec, s[8:9]
	s_cbranch_vccz .LBB135_636
; %bb.619:
	s_cmp_lt_i32 s12, 27
	s_cbranch_scc1 .LBB135_622
; %bb.620:
	s_cmp_gt_i32 s12, 27
	s_cbranch_scc0 .LBB135_623
; %bb.621:
	global_load_dword v3, v[1:2], off
	s_movk_i32 s0, 0x7fff
	s_waitcnt vmcnt(0)
	v_cvt_f32_u32_e32 v3, v3
	v_bfe_u32 v4, v3, 16, 1
	v_add3_u32 v3, v3, v4, s0
	v_lshrrev_b32_e32 v3, 16, v3
	s_mov_b64 s[0:1], 0
	s_branch .LBB135_624
.LBB135_622:
	s_mov_b64 s[0:1], -1
                                        ; implicit-def: $vgpr3
	s_branch .LBB135_627
.LBB135_623:
	s_mov_b64 s[0:1], -1
                                        ; implicit-def: $vgpr3
.LBB135_624:
	s_andn2_b64 vcc, exec, s[0:1]
	s_cbranch_vccnz .LBB135_626
; %bb.625:
	global_load_ushort v3, v[1:2], off
	s_movk_i32 s0, 0x7fff
	s_waitcnt vmcnt(0)
	v_cvt_f32_u32_e32 v3, v3
	v_bfe_u32 v4, v3, 16, 1
	v_add3_u32 v3, v3, v4, s0
	v_lshrrev_b32_e32 v3, 16, v3
.LBB135_626:
	s_mov_b64 s[0:1], 0
.LBB135_627:
	s_andn2_b64 vcc, exec, s[0:1]
	s_cbranch_vccnz .LBB135_635
; %bb.628:
	global_load_ubyte v3, v[1:2], off
	s_movk_i32 s0, 0x7f
	s_waitcnt vmcnt(0)
	v_cmp_lt_i16_e32 vcc, s0, v3
	s_mov_b64 s[0:1], 0
	s_and_saveexec_b64 s[8:9], vcc
	s_xor_b64 s[8:9], exec, s[8:9]
	s_cbranch_execz .LBB135_649
; %bb.629:
	s_movk_i32 s0, 0x80
	v_cmp_eq_u16_e32 vcc, s0, v3
	s_mov_b64 s[0:1], -1
	s_and_saveexec_b64 s[10:11], vcc
; %bb.630:
	s_xor_b64 s[0:1], exec, -1
; %bb.631:
	s_or_b64 exec, exec, s[10:11]
	s_and_b64 s[0:1], s[0:1], exec
	s_or_saveexec_b64 s[8:9], s[8:9]
	v_mov_b32_e32 v4, 0x7f800001
	s_xor_b64 exec, exec, s[8:9]
	s_cbranch_execnz .LBB135_650
.LBB135_632:
	s_or_b64 exec, exec, s[8:9]
	s_and_saveexec_b64 s[8:9], s[0:1]
	s_cbranch_execz .LBB135_634
.LBB135_633:
	v_lshlrev_b32_e32 v4, 24, v3
	v_and_b32_e32 v3, 0xffff, v3
	v_and_b32_e32 v5, 7, v3
	v_ffbh_u32_e32 v7, v5
	v_min_u32_e32 v7, 32, v7
	v_subrev_u32_e32 v9, 28, v7
	v_bfe_u32 v6, v3, 3, 4
	v_lshlrev_b32_e32 v3, v9, v3
	v_sub_u32_e32 v7, 29, v7
	v_and_b32_e32 v3, 7, v3
	v_cmp_eq_u32_e32 vcc, 0, v6
	v_cndmask_b32_e32 v6, v6, v7, vcc
	v_cndmask_b32_e32 v3, v5, v3, vcc
	v_mov_b32_e32 v5, 0x3b800000
	v_lshlrev_b32_e32 v3, 20, v3
	v_and_b32_e32 v4, 0x80000000, v4
	v_lshl_add_u32 v5, v6, 23, v5
	v_or3_b32 v4, v4, v5, v3
.LBB135_634:
	s_or_b64 exec, exec, s[8:9]
	v_bfe_u32 v3, v4, 16, 1
	s_movk_i32 s0, 0x7fff
	v_add3_u32 v3, v4, v3, s0
	v_cmp_o_f32_e32 vcc, v4, v4
	v_mov_b32_e32 v4, 0x7fc0
	v_cndmask_b32_sdwa v3, v4, v3, vcc dst_sel:DWORD dst_unused:UNUSED_PAD src0_sel:DWORD src1_sel:WORD_1
.LBB135_635:
	s_mov_b64 s[0:1], -1
.LBB135_636:
	s_mov_b64 s[8:9], 0
.LBB135_637:
	s_and_b64 vcc, exec, s[8:9]
	s_cbranch_vccz .LBB135_672
; %bb.638:
	s_cmp_gt_i32 s12, 22
	s_cbranch_scc0 .LBB135_648
; %bb.639:
	s_cmp_lt_i32 s12, 24
	s_cbranch_scc1 .LBB135_651
; %bb.640:
	s_cmp_gt_i32 s12, 24
	s_cbranch_scc0 .LBB135_652
; %bb.641:
	global_load_ubyte v3, v[1:2], off
	s_movk_i32 s0, 0x7f
	s_waitcnt vmcnt(0)
	v_cmp_lt_i16_e32 vcc, s0, v3
	s_mov_b64 s[0:1], 0
	s_and_saveexec_b64 s[8:9], vcc
	s_xor_b64 s[8:9], exec, s[8:9]
	s_cbranch_execz .LBB135_664
; %bb.642:
	s_movk_i32 s0, 0x80
	v_cmp_eq_u16_e32 vcc, s0, v3
	s_mov_b64 s[0:1], -1
	s_and_saveexec_b64 s[10:11], vcc
; %bb.643:
	s_xor_b64 s[0:1], exec, -1
; %bb.644:
	s_or_b64 exec, exec, s[10:11]
	s_and_b64 s[0:1], s[0:1], exec
	s_or_saveexec_b64 s[8:9], s[8:9]
	v_mov_b32_e32 v4, 0x7f800001
	s_xor_b64 exec, exec, s[8:9]
	s_cbranch_execnz .LBB135_665
.LBB135_645:
	s_or_b64 exec, exec, s[8:9]
	s_and_saveexec_b64 s[8:9], s[0:1]
	s_cbranch_execz .LBB135_647
.LBB135_646:
	v_lshlrev_b32_e32 v4, 24, v3
	v_and_b32_e32 v3, 0xffff, v3
	v_and_b32_e32 v5, 3, v3
	v_ffbh_u32_e32 v7, v5
	v_min_u32_e32 v7, 32, v7
	v_subrev_u32_e32 v9, 29, v7
	v_bfe_u32 v6, v3, 2, 5
	v_lshlrev_b32_e32 v3, v9, v3
	v_sub_u32_e32 v7, 30, v7
	v_and_b32_e32 v3, 3, v3
	v_cmp_eq_u32_e32 vcc, 0, v6
	v_cndmask_b32_e32 v6, v6, v7, vcc
	v_cndmask_b32_e32 v3, v5, v3, vcc
	v_mov_b32_e32 v5, 0x37800000
	v_lshlrev_b32_e32 v3, 21, v3
	v_and_b32_e32 v4, 0x80000000, v4
	v_lshl_add_u32 v5, v6, 23, v5
	v_or3_b32 v4, v4, v5, v3
.LBB135_647:
	s_or_b64 exec, exec, s[8:9]
	v_bfe_u32 v3, v4, 16, 1
	s_movk_i32 s0, 0x7fff
	v_add3_u32 v3, v4, v3, s0
	v_cmp_o_f32_e32 vcc, v4, v4
	v_mov_b32_e32 v4, 0x7fc0
	v_cndmask_b32_sdwa v3, v4, v3, vcc dst_sel:DWORD dst_unused:UNUSED_PAD src0_sel:DWORD src1_sel:WORD_1
	s_mov_b64 s[0:1], 0
	s_branch .LBB135_653
.LBB135_648:
	s_mov_b64 s[8:9], -1
                                        ; implicit-def: $vgpr3
	s_branch .LBB135_659
.LBB135_649:
	s_or_saveexec_b64 s[8:9], s[8:9]
	v_mov_b32_e32 v4, 0x7f800001
	s_xor_b64 exec, exec, s[8:9]
	s_cbranch_execz .LBB135_632
.LBB135_650:
	v_cmp_ne_u16_e32 vcc, 0, v3
	s_andn2_b64 s[0:1], s[0:1], exec
	s_and_b64 s[10:11], vcc, exec
	v_mov_b32_e32 v4, 0
	s_or_b64 s[0:1], s[0:1], s[10:11]
	s_or_b64 exec, exec, s[8:9]
	s_and_saveexec_b64 s[8:9], s[0:1]
	s_cbranch_execnz .LBB135_633
	s_branch .LBB135_634
.LBB135_651:
	s_mov_b64 s[0:1], -1
                                        ; implicit-def: $vgpr3
	s_branch .LBB135_656
.LBB135_652:
	s_mov_b64 s[0:1], -1
                                        ; implicit-def: $vgpr3
.LBB135_653:
	s_and_b64 vcc, exec, s[0:1]
	s_cbranch_vccz .LBB135_655
; %bb.654:
	global_load_ubyte v3, v[1:2], off
	s_mov_b32 s0, 0x7f800000
	s_brev_b32 s1, 1
	s_movk_i32 s8, 0x7fff
	s_waitcnt vmcnt(0)
	v_lshlrev_b32_e32 v3, 24, v3
	v_and_b32_e32 v4, 0x7f000000, v3
	v_ffbh_u32_e32 v5, v4
	v_min_u32_e32 v5, 32, v5
	v_sub_u32_e64 v5, v5, 4 clamp
	v_lshlrev_b32_e32 v7, v5, v4
	v_lshlrev_b32_e32 v5, 23, v5
	v_lshrrev_b32_e32 v7, 4, v7
	v_add_u32_e32 v6, 0x1000000, v4
	v_sub_u32_e32 v5, v7, v5
	v_ashrrev_i32_e32 v6, 8, v6
	v_add_u32_e32 v5, 0x3c000000, v5
	v_and_or_b32 v5, v6, s0, v5
	v_cmp_ne_u32_e32 vcc, 0, v4
	v_cndmask_b32_e32 v4, 0, v5, vcc
	v_and_or_b32 v3, v3, s1, v4
	v_bfe_u32 v4, v4, 16, 1
	v_add3_u32 v4, v3, v4, s8
	v_cmp_o_f32_e32 vcc, v3, v3
	v_mov_b32_e32 v3, 0x7fc0
	v_cndmask_b32_sdwa v3, v3, v4, vcc dst_sel:DWORD dst_unused:UNUSED_PAD src0_sel:DWORD src1_sel:WORD_1
.LBB135_655:
	s_mov_b64 s[0:1], 0
.LBB135_656:
	s_andn2_b64 vcc, exec, s[0:1]
	s_cbranch_vccnz .LBB135_658
; %bb.657:
	global_load_ubyte v3, v[1:2], off
	s_movk_i32 s0, 0x7f00
	s_brev_b32 s1, 16
	s_brev_b32 s8, 1
	s_movk_i32 s9, 0x7fff
	s_waitcnt vmcnt(0)
	v_lshlrev_b16_e32 v4, 8, v3
	v_lshlrev_b32_e32 v3, 25, v3
	v_lshrrev_b32_e32 v5, 4, v3
	v_and_or_b32 v6, v4, s0, 0.5
	v_or_b32_e32 v5, 0x70000000, v5
	v_add_f32_e32 v6, -0.5, v6
	v_mul_f32_e32 v5, 0x7800000, v5
	v_cmp_gt_u32_e32 vcc, s1, v3
	v_bfe_i32 v4, v4, 0, 16
	v_cndmask_b32_e32 v3, v5, v6, vcc
	v_and_or_b32 v4, v4, s8, v3
	v_bfe_u32 v3, v3, 16, 1
	v_add3_u32 v3, v4, v3, s9
	v_cmp_o_f32_e32 vcc, v4, v4
	v_mov_b32_e32 v4, 0x7fc0
	v_cndmask_b32_sdwa v3, v4, v3, vcc dst_sel:DWORD dst_unused:UNUSED_PAD src0_sel:DWORD src1_sel:WORD_1
.LBB135_658:
	s_mov_b64 s[8:9], 0
	s_mov_b64 s[0:1], -1
.LBB135_659:
	s_andn2_b64 vcc, exec, s[8:9]
	s_cbranch_vccnz .LBB135_672
; %bb.660:
	s_cmp_gt_i32 s12, 14
	s_cbranch_scc0 .LBB135_663
; %bb.661:
	s_cmp_eq_u32 s12, 15
	s_cbranch_scc0 .LBB135_666
; %bb.662:
	global_load_ushort v3, v[1:2], off
	s_mov_b64 s[0:1], -1
	s_mov_b64 s[2:3], 0
	s_branch .LBB135_667
.LBB135_663:
	s_mov_b64 s[8:9], -1
                                        ; implicit-def: $vgpr3
	s_branch .LBB135_668
.LBB135_664:
	s_or_saveexec_b64 s[8:9], s[8:9]
	v_mov_b32_e32 v4, 0x7f800001
	s_xor_b64 exec, exec, s[8:9]
	s_cbranch_execz .LBB135_645
.LBB135_665:
	v_cmp_ne_u16_e32 vcc, 0, v3
	s_andn2_b64 s[0:1], s[0:1], exec
	s_and_b64 s[10:11], vcc, exec
	v_mov_b32_e32 v4, 0
	s_or_b64 s[0:1], s[0:1], s[10:11]
	s_or_b64 exec, exec, s[8:9]
	s_and_saveexec_b64 s[8:9], s[0:1]
	s_cbranch_execnz .LBB135_646
	s_branch .LBB135_647
.LBB135_666:
	s_mov_b64 s[2:3], -1
                                        ; implicit-def: $vgpr3
.LBB135_667:
	s_mov_b64 s[8:9], 0
.LBB135_668:
	s_and_b64 vcc, exec, s[8:9]
	s_cbranch_vccz .LBB135_672
; %bb.669:
	s_cmp_eq_u32 s12, 11
	s_cbranch_scc0 .LBB135_671
; %bb.670:
	global_load_ubyte v3, v[1:2], off
	s_mov_b64 s[0:1], -1
	s_mov_b64 s[2:3], 0
	s_waitcnt vmcnt(0)
	v_cmp_ne_u16_e32 vcc, 0, v3
	v_cndmask_b32_e64 v3, 0, 1.0, vcc
	v_lshrrev_b32_e32 v3, 16, v3
	s_branch .LBB135_672
.LBB135_671:
	s_mov_b64 s[2:3], -1
                                        ; implicit-def: $vgpr3
.LBB135_672:
	s_mov_b64 s[8:9], 0
.LBB135_673:
	s_and_b64 vcc, exec, s[8:9]
	s_cbranch_vccz .LBB135_722
; %bb.674:
	s_cmp_lt_i32 s12, 5
	s_cbranch_scc1 .LBB135_679
; %bb.675:
	s_cmp_lt_i32 s12, 8
	s_cbranch_scc1 .LBB135_680
	;; [unrolled: 3-line block ×3, first 2 shown]
; %bb.677:
	s_cmp_gt_i32 s12, 9
	s_cbranch_scc0 .LBB135_682
; %bb.678:
	global_load_dwordx2 v[3:4], v[1:2], off
	s_movk_i32 s0, 0x7fff
	s_waitcnt vmcnt(0)
	v_cvt_f32_f64_e32 v3, v[3:4]
	v_mov_b32_e32 v4, 0x7fc0
	v_bfe_u32 v5, v3, 16, 1
	v_cmp_o_f32_e32 vcc, v3, v3
	v_add3_u32 v3, v3, v5, s0
	v_cndmask_b32_sdwa v3, v4, v3, vcc dst_sel:DWORD dst_unused:UNUSED_PAD src0_sel:DWORD src1_sel:WORD_1
	s_mov_b64 s[0:1], 0
	s_branch .LBB135_683
.LBB135_679:
	s_mov_b64 s[0:1], -1
                                        ; implicit-def: $vgpr3
	s_branch .LBB135_701
.LBB135_680:
	s_mov_b64 s[0:1], -1
                                        ; implicit-def: $vgpr3
	s_branch .LBB135_689
.LBB135_681:
	s_mov_b64 s[0:1], -1
                                        ; implicit-def: $vgpr3
	s_branch .LBB135_686
.LBB135_682:
	s_mov_b64 s[0:1], -1
                                        ; implicit-def: $vgpr3
.LBB135_683:
	s_andn2_b64 vcc, exec, s[0:1]
	s_cbranch_vccnz .LBB135_685
; %bb.684:
	global_load_dword v3, v[1:2], off
	s_movk_i32 s0, 0x7fff
	v_mov_b32_e32 v4, 0x7fc0
	s_waitcnt vmcnt(0)
	v_bfe_u32 v5, v3, 16, 1
	v_cmp_o_f32_e32 vcc, v3, v3
	v_add3_u32 v3, v3, v5, s0
	v_cndmask_b32_sdwa v3, v4, v3, vcc dst_sel:DWORD dst_unused:UNUSED_PAD src0_sel:DWORD src1_sel:WORD_1
.LBB135_685:
	s_mov_b64 s[0:1], 0
.LBB135_686:
	s_andn2_b64 vcc, exec, s[0:1]
	s_cbranch_vccnz .LBB135_688
; %bb.687:
	global_load_dword v3, v[1:2], off
	s_movk_i32 s0, 0x7fff
	v_mov_b32_e32 v5, 0x7fc0
	s_waitcnt vmcnt(0)
	v_cvt_f32_f16_e32 v4, v3
	v_cmp_o_f16_e32 vcc, v3, v3
	v_bfe_u32 v3, v4, 16, 1
	v_add3_u32 v3, v4, v3, s0
	v_cndmask_b32_sdwa v3, v5, v3, vcc dst_sel:DWORD dst_unused:UNUSED_PAD src0_sel:DWORD src1_sel:WORD_1
.LBB135_688:
	s_mov_b64 s[0:1], 0
.LBB135_689:
	s_andn2_b64 vcc, exec, s[0:1]
	s_cbranch_vccnz .LBB135_700
; %bb.690:
	s_cmp_lt_i32 s12, 6
	s_cbranch_scc1 .LBB135_693
; %bb.691:
	s_cmp_gt_i32 s12, 6
	s_cbranch_scc0 .LBB135_694
; %bb.692:
	global_load_dwordx2 v[3:4], v[1:2], off
	s_movk_i32 s0, 0x7fff
	s_waitcnt vmcnt(0)
	v_cvt_f32_f64_e32 v3, v[3:4]
	v_mov_b32_e32 v4, 0x7fc0
	v_bfe_u32 v5, v3, 16, 1
	v_cmp_o_f32_e32 vcc, v3, v3
	v_add3_u32 v3, v3, v5, s0
	v_cndmask_b32_sdwa v3, v4, v3, vcc dst_sel:DWORD dst_unused:UNUSED_PAD src0_sel:DWORD src1_sel:WORD_1
	s_mov_b64 s[0:1], 0
	s_branch .LBB135_695
.LBB135_693:
	s_mov_b64 s[0:1], -1
                                        ; implicit-def: $vgpr3
	s_branch .LBB135_698
.LBB135_694:
	s_mov_b64 s[0:1], -1
                                        ; implicit-def: $vgpr3
.LBB135_695:
	s_andn2_b64 vcc, exec, s[0:1]
	s_cbranch_vccnz .LBB135_697
; %bb.696:
	global_load_dword v3, v[1:2], off
	s_movk_i32 s0, 0x7fff
	v_mov_b32_e32 v4, 0x7fc0
	s_waitcnt vmcnt(0)
	v_bfe_u32 v5, v3, 16, 1
	v_cmp_o_f32_e32 vcc, v3, v3
	v_add3_u32 v3, v3, v5, s0
	v_cndmask_b32_sdwa v3, v4, v3, vcc dst_sel:DWORD dst_unused:UNUSED_PAD src0_sel:DWORD src1_sel:WORD_1
.LBB135_697:
	s_mov_b64 s[0:1], 0
.LBB135_698:
	s_andn2_b64 vcc, exec, s[0:1]
	s_cbranch_vccnz .LBB135_700
; %bb.699:
	global_load_ushort v3, v[1:2], off
	s_movk_i32 s0, 0x7fff
	v_mov_b32_e32 v5, 0x7fc0
	s_waitcnt vmcnt(0)
	v_cvt_f32_f16_e32 v4, v3
	v_cmp_o_f16_e32 vcc, v3, v3
	v_bfe_u32 v3, v4, 16, 1
	v_add3_u32 v3, v4, v3, s0
	v_cndmask_b32_sdwa v3, v5, v3, vcc dst_sel:DWORD dst_unused:UNUSED_PAD src0_sel:DWORD src1_sel:WORD_1
.LBB135_700:
	s_mov_b64 s[0:1], 0
.LBB135_701:
	s_andn2_b64 vcc, exec, s[0:1]
	s_cbranch_vccnz .LBB135_721
; %bb.702:
	s_cmp_lt_i32 s12, 2
	s_cbranch_scc1 .LBB135_706
; %bb.703:
	s_cmp_lt_i32 s12, 3
	s_cbranch_scc1 .LBB135_707
; %bb.704:
	s_cmp_gt_i32 s12, 3
	s_cbranch_scc0 .LBB135_708
; %bb.705:
	global_load_dwordx2 v[3:4], v[1:2], off
	s_movk_i32 s0, 0x7fff
	s_waitcnt vmcnt(0)
	v_xor_b32_e32 v6, v3, v4
	v_ffbh_i32_e32 v5, v4
	v_ashrrev_i32_e32 v6, 31, v6
	v_add_u32_e32 v5, -1, v5
	v_add_u32_e32 v6, 32, v6
	v_min_u32_e32 v5, v5, v6
	v_lshlrev_b64 v[3:4], v5, v[3:4]
	v_min_u32_e32 v3, 1, v3
	v_or_b32_e32 v3, v4, v3
	v_cvt_f32_i32_e32 v3, v3
	v_sub_u32_e32 v4, 32, v5
	v_ldexp_f32 v3, v3, v4
	v_bfe_u32 v4, v3, 16, 1
	v_add3_u32 v3, v3, v4, s0
	v_lshrrev_b32_e32 v3, 16, v3
	s_mov_b64 s[0:1], 0
	s_branch .LBB135_709
.LBB135_706:
	s_mov_b64 s[0:1], -1
                                        ; implicit-def: $vgpr3
	s_branch .LBB135_715
.LBB135_707:
	s_mov_b64 s[0:1], -1
                                        ; implicit-def: $vgpr3
	s_branch .LBB135_712
.LBB135_708:
	s_mov_b64 s[0:1], -1
                                        ; implicit-def: $vgpr3
.LBB135_709:
	s_andn2_b64 vcc, exec, s[0:1]
	s_cbranch_vccnz .LBB135_711
; %bb.710:
	global_load_dword v3, v[1:2], off
	s_movk_i32 s0, 0x7fff
	s_waitcnt vmcnt(0)
	v_cvt_f32_i32_e32 v3, v3
	v_bfe_u32 v4, v3, 16, 1
	v_add3_u32 v3, v3, v4, s0
	v_lshrrev_b32_e32 v3, 16, v3
.LBB135_711:
	s_mov_b64 s[0:1], 0
.LBB135_712:
	s_andn2_b64 vcc, exec, s[0:1]
	s_cbranch_vccnz .LBB135_714
; %bb.713:
	global_load_sshort v3, v[1:2], off
	s_movk_i32 s0, 0x7fff
	s_waitcnt vmcnt(0)
	v_cvt_f32_i32_e32 v3, v3
	v_bfe_u32 v4, v3, 16, 1
	v_add3_u32 v3, v3, v4, s0
	v_lshrrev_b32_e32 v3, 16, v3
.LBB135_714:
	s_mov_b64 s[0:1], 0
.LBB135_715:
	s_andn2_b64 vcc, exec, s[0:1]
	s_cbranch_vccnz .LBB135_721
; %bb.716:
	s_cmp_gt_i32 s12, 0
	s_cbranch_scc0 .LBB135_718
; %bb.717:
	global_load_sbyte v3, v[1:2], off
	s_movk_i32 s0, 0x7fff
	s_waitcnt vmcnt(0)
	v_cvt_f32_i32_e32 v3, v3
	v_bfe_u32 v4, v3, 16, 1
	v_add3_u32 v3, v3, v4, s0
	v_lshrrev_b32_e32 v3, 16, v3
	s_mov_b64 s[0:1], 0
	s_branch .LBB135_719
.LBB135_718:
	s_mov_b64 s[0:1], -1
                                        ; implicit-def: $vgpr3
.LBB135_719:
	s_andn2_b64 vcc, exec, s[0:1]
	s_cbranch_vccnz .LBB135_721
; %bb.720:
	global_load_ubyte v1, v[1:2], off
	s_movk_i32 s0, 0x7fff
	s_waitcnt vmcnt(0)
	v_cvt_f32_ubyte0_e32 v1, v1
	v_bfe_u32 v2, v1, 16, 1
	v_add3_u32 v1, v1, v2, s0
	v_lshrrev_b32_e32 v3, 16, v1
.LBB135_721:
	s_mov_b64 s[0:1], -1
.LBB135_722:
	s_andn2_b64 vcc, exec, s[0:1]
	s_cbranch_vccnz .LBB135_727
; %bb.723:
	s_waitcnt vmcnt(0)
	v_lshlrev_b32_e32 v1, 16, v3
	s_cmp_lt_i32 s44, 1
	s_mov_b64 s[0:1], 0
	s_cbranch_scc1 .LBB135_728
; %bb.724:
	s_cmp_gt_i32 s44, 1
	s_cbranch_scc0 .LBB135_729
; %bb.725:
	s_cmp_eq_u32 s44, 2
	s_cbranch_scc0 .LBB135_730
; %bb.726:
	v_cmp_ge_f32_e64 s[8:9], s45, v1
	s_mov_b64 s[10:11], 0
	s_branch .LBB135_731
.LBB135_727:
	s_mov_b64 s[8:9], 0
	s_mov_b64 s[0:1], s[62:63]
	s_branch .LBB135_864
.LBB135_728:
	s_mov_b64 s[12:13], -1
                                        ; implicit-def: $sgpr8_sgpr9
	s_mov_b64 s[10:11], 0
	s_branch .LBB135_735
.LBB135_729:
	s_mov_b64 s[12:13], -1
	s_mov_b64 s[10:11], 0
                                        ; implicit-def: $sgpr8_sgpr9
	s_branch .LBB135_732
.LBB135_730:
	s_mov_b64 s[10:11], -1
                                        ; implicit-def: $sgpr8_sgpr9
.LBB135_731:
	s_mov_b64 s[12:13], 0
.LBB135_732:
	s_and_b64 vcc, exec, s[12:13]
	s_cbranch_vccz .LBB135_734
; %bb.733:
	v_cmp_lt_f32_e32 vcc, s45, v1
	s_andn2_b64 s[8:9], s[8:9], exec
	s_and_b64 s[12:13], vcc, exec
	s_or_b64 s[8:9], s[8:9], s[12:13]
.LBB135_734:
	s_mov_b64 s[12:13], 0
.LBB135_735:
	s_and_b64 vcc, exec, s[12:13]
	s_cbranch_vccz .LBB135_746
; %bb.736:
	s_cmp_lg_u32 s44, 0
	s_mov_b64 s[0:1], -1
	s_cselect_b64 s[10:11], -1, 0
	s_andn2_b64 vcc, exec, s[10:11]
	s_cbranch_vccz .LBB135_747
.LBB135_737:
	s_andn2_b64 vcc, exec, s[0:1]
	s_cbranch_vccnz .LBB135_739
.LBB135_738:
	v_cmp_le_f32_e32 vcc, s45, v1
	s_andn2_b64 s[0:1], s[8:9], exec
	s_and_b64 s[8:9], vcc, exec
	s_or_b64 s[8:9], s[0:1], s[8:9]
.LBB135_739:
	v_mov_b32_e32 v1, s25
	s_and_b32 s16, s75, 0xff
	v_add_co_u32_e32 v0, vcc, s24, v0
	s_cmp_lt_i32 s16, 11
	v_addc_co_u32_e32 v1, vcc, 0, v1, vcc
	s_cbranch_scc1 .LBB135_748
; %bb.740:
	s_and_b32 s17, 0xffff, s16
	s_cmp_gt_i32 s17, 25
	s_cbranch_scc0 .LBB135_749
; %bb.741:
	s_cmp_gt_i32 s17, 28
	s_cbranch_scc0 .LBB135_750
; %bb.742:
	;; [unrolled: 3-line block ×4, first 2 shown]
	s_mov_b64 s[12:13], 0
	s_mov_b64 s[0:1], -1
	s_cmp_eq_u32 s17, 46
	s_mov_b64 s[10:11], 0
	s_cbranch_scc0 .LBB135_753
; %bb.745:
	v_cndmask_b32_e64 v2, 0, 1.0, s[8:9]
	v_bfe_u32 v3, v2, 16, 1
	s_movk_i32 s0, 0x7fff
	v_add3_u32 v2, v2, v3, s0
	v_lshrrev_b32_e32 v2, 16, v2
	global_store_dword v[0:1], v2, off
	s_mov_b64 s[10:11], -1
	s_mov_b64 s[0:1], 0
	s_branch .LBB135_753
.LBB135_746:
	s_andn2_b64 vcc, exec, s[10:11]
	s_cbranch_vccnz .LBB135_737
.LBB135_747:
	v_cmp_gt_f32_e32 vcc, s45, v1
	s_andn2_b64 s[8:9], s[8:9], exec
	s_and_b64 s[10:11], vcc, exec
	s_or_b64 s[8:9], s[8:9], s[10:11]
	s_cbranch_execz .LBB135_738
	s_branch .LBB135_739
.LBB135_748:
	s_mov_b64 s[12:13], -1
	s_mov_b64 s[10:11], 0
	s_mov_b64 s[0:1], s[62:63]
	s_branch .LBB135_822
.LBB135_749:
	s_mov_b64 s[12:13], -1
	s_mov_b64 s[10:11], 0
	s_mov_b64 s[0:1], s[62:63]
	s_branch .LBB135_780
.LBB135_750:
	s_mov_b64 s[12:13], -1
	s_mov_b64 s[10:11], 0
	s_mov_b64 s[0:1], s[62:63]
	s_branch .LBB135_763
.LBB135_751:
	s_mov_b64 s[12:13], -1
	s_mov_b64 s[10:11], 0
	s_mov_b64 s[0:1], s[62:63]
	s_branch .LBB135_759
.LBB135_752:
	s_mov_b64 s[12:13], -1
	s_mov_b64 s[10:11], 0
	s_mov_b64 s[0:1], s[62:63]
.LBB135_753:
	s_and_b64 vcc, exec, s[12:13]
	s_cbranch_vccz .LBB135_758
; %bb.754:
	s_cmp_eq_u32 s17, 44
	s_mov_b64 s[0:1], -1
	s_cbranch_scc0 .LBB135_758
; %bb.755:
	v_cndmask_b32_e64 v3, 0, 1.0, s[8:9]
	v_lshrrev_b32_e32 v2, 23, v3
	s_movk_i32 s0, 0xff
	v_cmp_ne_u32_e32 vcc, s0, v2
	v_mov_b32_e32 v4, 0xff
	s_and_saveexec_b64 s[10:11], vcc
; %bb.756:
	s_mov_b32 s0, 0x3fffff
	v_and_b32_e32 v4, 0x400000, v3
	v_and_or_b32 v3, v3, s0, v2
	v_cmp_ne_u32_e32 vcc, 0, v4
	v_cmp_ne_u32_e64 s[0:1], 0, v3
	s_and_b64 s[0:1], vcc, s[0:1]
	v_cndmask_b32_e64 v3, 0, 1, s[0:1]
	v_add_u32_e32 v4, v2, v3
; %bb.757:
	s_or_b64 exec, exec, s[10:11]
	s_mov_b64 s[10:11], -1
	s_mov_b64 s[0:1], 0
	global_store_byte v[0:1], v4, off
.LBB135_758:
	s_mov_b64 s[12:13], 0
.LBB135_759:
	s_and_b64 vcc, exec, s[12:13]
	s_cbranch_vccz .LBB135_762
; %bb.760:
	s_cmp_eq_u32 s17, 29
	s_mov_b64 s[0:1], -1
	s_cbranch_scc0 .LBB135_762
; %bb.761:
	s_mov_b32 s0, 0
	v_cndmask_b32_e64 v2, 0, 1, s[8:9]
	v_mov_b32_e32 v3, s0
	global_store_dwordx2 v[0:1], v[2:3], off
	s_mov_b64 s[10:11], -1
	s_mov_b64 s[0:1], 0
.LBB135_762:
	s_mov_b64 s[12:13], 0
.LBB135_763:
	s_and_b64 vcc, exec, s[12:13]
	s_cbranch_vccz .LBB135_779
; %bb.764:
	s_cmp_lt_i32 s17, 27
	s_mov_b64 s[10:11], -1
	s_cbranch_scc1 .LBB135_770
; %bb.765:
	s_cmp_gt_i32 s17, 27
	s_cbranch_scc0 .LBB135_767
; %bb.766:
	v_cndmask_b32_e64 v2, 0, 1, s[8:9]
	s_mov_b64 s[10:11], 0
	global_store_dword v[0:1], v2, off
.LBB135_767:
	s_andn2_b64 vcc, exec, s[10:11]
	s_cbranch_vccnz .LBB135_769
; %bb.768:
	v_cndmask_b32_e64 v2, 0, 1, s[8:9]
	global_store_short v[0:1], v2, off
.LBB135_769:
	s_mov_b64 s[10:11], 0
.LBB135_770:
	s_andn2_b64 vcc, exec, s[10:11]
	s_cbranch_vccnz .LBB135_778
; %bb.771:
	v_cndmask_b32_e64 v3, 0, 1.0, s[8:9]
	s_mov_b32 s10, 0x43800000
	v_cmp_gt_u32_e32 vcc, s10, v3
	v_mov_b32_e32 v4, 0x80
	s_and_saveexec_b64 s[10:11], vcc
	s_cbranch_execz .LBB135_777
; %bb.772:
	s_mov_b32 s12, 0x3bffffff
	v_cmp_lt_u32_e32 vcc, s12, v3
	s_mov_b64 s[12:13], 0
                                        ; implicit-def: $vgpr2
	s_and_saveexec_b64 s[14:15], vcc
	s_xor_b64 s[14:15], exec, s[14:15]
	s_cbranch_execz .LBB135_894
; %bb.773:
	v_bfe_u32 v2, v3, 20, 1
	s_mov_b32 s18, 0x487ffff
	v_add3_u32 v2, v3, v2, s18
	s_mov_b64 s[12:13], exec
	v_lshrrev_b32_e32 v2, 20, v2
                                        ; implicit-def: $vgpr3
	s_andn2_saveexec_b64 s[14:15], s[14:15]
	s_cbranch_execnz .LBB135_895
.LBB135_774:
	s_or_b64 exec, exec, s[14:15]
	v_mov_b32_e32 v4, 0
	s_and_saveexec_b64 s[14:15], s[12:13]
.LBB135_775:
	v_mov_b32_e32 v4, v2
.LBB135_776:
	s_or_b64 exec, exec, s[14:15]
.LBB135_777:
	s_or_b64 exec, exec, s[10:11]
	global_store_byte v[0:1], v4, off
.LBB135_778:
	s_mov_b64 s[10:11], -1
.LBB135_779:
	s_mov_b64 s[12:13], 0
.LBB135_780:
	s_and_b64 vcc, exec, s[12:13]
	s_cbranch_vccz .LBB135_821
; %bb.781:
	s_cmp_gt_i32 s17, 22
	s_mov_b64 s[12:13], -1
	s_cbranch_scc0 .LBB135_813
; %bb.782:
	s_cmp_lt_i32 s17, 24
	s_mov_b64 s[10:11], -1
	s_cbranch_scc1 .LBB135_802
; %bb.783:
	s_cmp_gt_i32 s17, 24
	s_cbranch_scc0 .LBB135_791
; %bb.784:
	v_cndmask_b32_e64 v3, 0, 1.0, s[8:9]
	s_mov_b32 s10, 0x47800000
	v_cmp_gt_u32_e32 vcc, s10, v3
	v_mov_b32_e32 v4, 0x80
	s_and_saveexec_b64 s[10:11], vcc
	s_cbranch_execz .LBB135_790
; %bb.785:
	s_mov_b32 s12, 0x37ffffff
	v_cmp_lt_u32_e32 vcc, s12, v3
	s_mov_b64 s[12:13], 0
                                        ; implicit-def: $vgpr2
	s_and_saveexec_b64 s[14:15], vcc
	s_xor_b64 s[14:15], exec, s[14:15]
	s_cbranch_execz .LBB135_897
; %bb.786:
	v_bfe_u32 v2, v3, 21, 1
	s_mov_b32 s18, 0x88fffff
	v_add3_u32 v2, v3, v2, s18
	s_mov_b64 s[12:13], exec
	v_lshrrev_b32_e32 v2, 21, v2
                                        ; implicit-def: $vgpr3
	s_andn2_saveexec_b64 s[14:15], s[14:15]
	s_cbranch_execnz .LBB135_898
.LBB135_787:
	s_or_b64 exec, exec, s[14:15]
	v_mov_b32_e32 v4, 0
	s_and_saveexec_b64 s[14:15], s[12:13]
.LBB135_788:
	v_mov_b32_e32 v4, v2
.LBB135_789:
	s_or_b64 exec, exec, s[14:15]
.LBB135_790:
	s_or_b64 exec, exec, s[10:11]
	s_mov_b64 s[10:11], 0
	global_store_byte v[0:1], v4, off
.LBB135_791:
	s_and_b64 vcc, exec, s[10:11]
	s_cbranch_vccz .LBB135_801
; %bb.792:
	v_cndmask_b32_e64 v2, 0, 1.0, s[8:9]
	s_mov_b32 s10, 0x43f00000
	v_cmp_gt_u32_e32 vcc, s10, v2
                                        ; implicit-def: $vgpr3
	s_and_saveexec_b64 s[10:11], vcc
	s_xor_b64 s[10:11], exec, s[10:11]
	s_cbranch_execz .LBB135_798
; %bb.793:
	s_mov_b32 s12, 0x3c7fffff
	v_cmp_lt_u32_e32 vcc, s12, v2
                                        ; implicit-def: $vgpr3
	s_and_saveexec_b64 s[12:13], vcc
	s_xor_b64 s[12:13], exec, s[12:13]
; %bb.794:
	v_bfe_u32 v3, v2, 20, 1
	s_mov_b32 s14, 0x407ffff
	v_add3_u32 v2, v2, v3, s14
	v_lshrrev_b32_e32 v3, 20, v2
	v_and_b32_e32 v2, 0xff00000, v2
	s_mov_b32 s14, 0x7f00000
	v_mov_b32_e32 v4, 0x7e
	v_cmp_ne_u32_e32 vcc, s14, v2
	v_cndmask_b32_e32 v3, v4, v3, vcc
                                        ; implicit-def: $vgpr2
; %bb.795:
	s_andn2_saveexec_b64 s[12:13], s[12:13]
; %bb.796:
	v_add_f32_e32 v3, 0x46800000, v2
; %bb.797:
	s_or_b64 exec, exec, s[12:13]
                                        ; implicit-def: $vgpr2
.LBB135_798:
	s_andn2_saveexec_b64 s[10:11], s[10:11]
; %bb.799:
	s_mov_b32 s12, 0x7f800000
	v_mov_b32_e32 v3, 0x7e
	v_mov_b32_e32 v4, 0x7f
	v_cmp_lt_u32_e32 vcc, s12, v2
	v_cndmask_b32_e32 v3, v3, v4, vcc
; %bb.800:
	s_or_b64 exec, exec, s[10:11]
	global_store_byte v[0:1], v3, off
.LBB135_801:
	s_mov_b64 s[10:11], 0
.LBB135_802:
	s_andn2_b64 vcc, exec, s[10:11]
	s_cbranch_vccnz .LBB135_812
; %bb.803:
	v_cndmask_b32_e64 v2, 0, 1.0, s[8:9]
	s_mov_b32 s10, 0x47800000
	v_cmp_gt_u32_e32 vcc, s10, v2
                                        ; implicit-def: $vgpr3
	s_and_saveexec_b64 s[10:11], vcc
	s_xor_b64 s[10:11], exec, s[10:11]
	s_cbranch_execz .LBB135_809
; %bb.804:
	s_mov_b32 s12, 0x387fffff
	v_cmp_lt_u32_e32 vcc, s12, v2
                                        ; implicit-def: $vgpr3
	s_and_saveexec_b64 s[12:13], vcc
	s_xor_b64 s[12:13], exec, s[12:13]
; %bb.805:
	v_bfe_u32 v3, v2, 21, 1
	s_mov_b32 s14, 0x80fffff
	v_add3_u32 v2, v2, v3, s14
	v_lshrrev_b32_e32 v3, 21, v2
                                        ; implicit-def: $vgpr2
; %bb.806:
	s_andn2_saveexec_b64 s[12:13], s[12:13]
; %bb.807:
	v_add_f32_e32 v3, 0x43000000, v2
; %bb.808:
	s_or_b64 exec, exec, s[12:13]
                                        ; implicit-def: $vgpr2
.LBB135_809:
	s_andn2_saveexec_b64 s[10:11], s[10:11]
; %bb.810:
	s_mov_b32 s12, 0x7f800000
	v_mov_b32_e32 v3, 0x7c
	v_mov_b32_e32 v4, 0x7f
	v_cmp_lt_u32_e32 vcc, s12, v2
	v_cndmask_b32_e32 v3, v3, v4, vcc
; %bb.811:
	s_or_b64 exec, exec, s[10:11]
	global_store_byte v[0:1], v3, off
.LBB135_812:
	s_mov_b64 s[12:13], 0
	s_mov_b64 s[10:11], -1
.LBB135_813:
	s_andn2_b64 vcc, exec, s[12:13]
	s_cbranch_vccnz .LBB135_821
; %bb.814:
	s_cmp_gt_i32 s17, 14
	s_mov_b64 s[12:13], -1
	s_cbranch_scc0 .LBB135_818
; %bb.815:
	s_cmp_eq_u32 s17, 15
	s_mov_b64 s[0:1], -1
	s_cbranch_scc0 .LBB135_817
; %bb.816:
	v_cndmask_b32_e64 v2, 0, 1.0, s[8:9]
	v_bfe_u32 v3, v2, 16, 1
	s_movk_i32 s0, 0x7fff
	v_add3_u32 v2, v2, v3, s0
	global_store_short_d16_hi v[0:1], v2, off
	s_mov_b64 s[10:11], -1
	s_mov_b64 s[0:1], 0
.LBB135_817:
	s_mov_b64 s[12:13], 0
.LBB135_818:
	s_and_b64 vcc, exec, s[12:13]
	s_cbranch_vccz .LBB135_821
; %bb.819:
	s_cmp_eq_u32 s17, 11
	s_mov_b64 s[0:1], -1
	s_cbranch_scc0 .LBB135_821
; %bb.820:
	v_cndmask_b32_e64 v2, 0, 1, s[8:9]
	s_mov_b64 s[10:11], -1
	s_mov_b64 s[0:1], 0
	global_store_byte v[0:1], v2, off
.LBB135_821:
	s_mov_b64 s[12:13], 0
.LBB135_822:
	s_and_b64 vcc, exec, s[12:13]
	s_cbranch_vccz .LBB135_861
; %bb.823:
	s_and_b32 s12, 0xffff, s16
	s_cmp_lt_i32 s12, 5
	s_mov_b64 s[10:11], -1
	s_cbranch_scc1 .LBB135_844
; %bb.824:
	s_cmp_lt_i32 s12, 8
	s_cbranch_scc1 .LBB135_834
; %bb.825:
	s_cmp_lt_i32 s12, 9
	s_cbranch_scc1 .LBB135_831
; %bb.826:
	s_cmp_gt_i32 s12, 9
	s_cbranch_scc0 .LBB135_828
; %bb.827:
	v_cndmask_b32_e64 v2, 0, 1, s[8:9]
	v_cvt_f64_u32_e32 v[2:3], v2
	v_mov_b32_e32 v4, 0
	v_mov_b32_e32 v5, v4
	s_mov_b64 s[10:11], 0
	global_store_dwordx4 v[0:1], v[2:5], off
.LBB135_828:
	s_andn2_b64 vcc, exec, s[10:11]
	s_cbranch_vccnz .LBB135_830
; %bb.829:
	v_cndmask_b32_e64 v2, 0, 1.0, s[8:9]
	v_mov_b32_e32 v3, 0
	global_store_dwordx2 v[0:1], v[2:3], off
.LBB135_830:
	s_mov_b64 s[10:11], 0
.LBB135_831:
	s_andn2_b64 vcc, exec, s[10:11]
	s_cbranch_vccnz .LBB135_833
; %bb.832:
	v_cndmask_b32_e64 v2, 0, 1.0, s[8:9]
	v_cvt_f16_f32_e32 v2, v2
	global_store_dword v[0:1], v2, off
.LBB135_833:
	s_mov_b64 s[10:11], 0
.LBB135_834:
	s_andn2_b64 vcc, exec, s[10:11]
	s_cbranch_vccnz .LBB135_843
; %bb.835:
	s_cmp_lt_i32 s12, 6
	s_mov_b64 s[10:11], -1
	s_cbranch_scc1 .LBB135_841
; %bb.836:
	s_cmp_gt_i32 s12, 6
	s_cbranch_scc0 .LBB135_838
; %bb.837:
	v_cndmask_b32_e64 v2, 0, 1, s[8:9]
	v_cvt_f64_u32_e32 v[2:3], v2
	s_mov_b64 s[10:11], 0
	global_store_dwordx2 v[0:1], v[2:3], off
.LBB135_838:
	s_andn2_b64 vcc, exec, s[10:11]
	s_cbranch_vccnz .LBB135_840
; %bb.839:
	v_cndmask_b32_e64 v2, 0, 1.0, s[8:9]
	global_store_dword v[0:1], v2, off
.LBB135_840:
	s_mov_b64 s[10:11], 0
.LBB135_841:
	s_andn2_b64 vcc, exec, s[10:11]
	s_cbranch_vccnz .LBB135_843
; %bb.842:
	v_cndmask_b32_e64 v2, 0, 1.0, s[8:9]
	v_cvt_f16_f32_e32 v2, v2
	global_store_short v[0:1], v2, off
.LBB135_843:
	s_mov_b64 s[10:11], 0
.LBB135_844:
	s_andn2_b64 vcc, exec, s[10:11]
	s_cbranch_vccnz .LBB135_860
; %bb.845:
	s_cmp_lt_i32 s12, 2
	s_mov_b64 s[10:11], -1
	s_cbranch_scc1 .LBB135_855
; %bb.846:
	s_cmp_lt_i32 s12, 3
	s_cbranch_scc1 .LBB135_852
; %bb.847:
	s_cmp_gt_i32 s12, 3
	s_cbranch_scc0 .LBB135_849
; %bb.848:
	s_mov_b32 s10, 0
	v_cndmask_b32_e64 v2, 0, 1, s[8:9]
	v_mov_b32_e32 v3, s10
	s_mov_b64 s[10:11], 0
	global_store_dwordx2 v[0:1], v[2:3], off
.LBB135_849:
	s_andn2_b64 vcc, exec, s[10:11]
	s_cbranch_vccnz .LBB135_851
; %bb.850:
	v_cndmask_b32_e64 v2, 0, 1, s[8:9]
	global_store_dword v[0:1], v2, off
.LBB135_851:
	s_mov_b64 s[10:11], 0
.LBB135_852:
	s_andn2_b64 vcc, exec, s[10:11]
	s_cbranch_vccnz .LBB135_854
; %bb.853:
	v_cndmask_b32_e64 v2, 0, 1, s[8:9]
	global_store_short v[0:1], v2, off
.LBB135_854:
	s_mov_b64 s[10:11], 0
.LBB135_855:
	s_andn2_b64 vcc, exec, s[10:11]
	s_cbranch_vccnz .LBB135_860
; %bb.856:
	s_mov_b64 s[10:11], -1
	s_cmp_gt_i32 s12, 0
	v_cndmask_b32_e64 v2, 0, 1, s[8:9]
	s_cbranch_scc0 .LBB135_858
; %bb.857:
	s_mov_b64 s[10:11], 0
	global_store_byte v[0:1], v2, off
.LBB135_858:
	s_andn2_b64 vcc, exec, s[10:11]
	s_cbranch_vccnz .LBB135_860
; %bb.859:
	global_store_byte v[0:1], v2, off
.LBB135_860:
	s_mov_b64 s[10:11], -1
.LBB135_861:
	s_andn2_b64 vcc, exec, s[10:11]
	s_cbranch_vccnz .LBB135_863
; %bb.862:
	v_add_u32_e32 v8, 0x80, v8
	s_mov_b64 s[8:9], -1
	s_branch .LBB135_865
.LBB135_863:
	s_mov_b64 s[8:9], 0
.LBB135_864:
                                        ; implicit-def: $vgpr8
.LBB135_865:
	s_andn2_b64 s[10:11], s[62:63], exec
	s_and_b64 s[0:1], s[0:1], exec
	s_or_b64 s[70:71], s[10:11], s[0:1]
	s_andn2_b64 s[0:1], s[60:61], exec
	s_and_b64 s[2:3], s[2:3], exec
	s_or_b64 s[68:69], s[0:1], s[2:3]
	s_orn2_b64 s[2:3], s[8:9], exec
.LBB135_866:
	s_or_b64 exec, exec, s[66:67]
	s_mov_b64 s[0:1], 0
	s_mov_b64 s[8:9], 0
	;; [unrolled: 1-line block ×3, first 2 shown]
                                        ; implicit-def: $vgpr1_vgpr2
                                        ; implicit-def: $vgpr0
                                        ; implicit-def: $vgpr3
	s_and_saveexec_b64 s[66:67], s[2:3]
	s_cbranch_execz .LBB135_965
; %bb.867:
	v_cmp_gt_i32_e32 vcc, s72, v8
	s_mov_b64 s[2:3], 0
	s_mov_b64 s[12:13], s[68:69]
                                        ; implicit-def: $vgpr1_vgpr2
                                        ; implicit-def: $vgpr0
                                        ; implicit-def: $vgpr3
	s_and_saveexec_b64 s[72:73], vcc
	s_cbranch_execz .LBB135_964
; %bb.868:
	s_andn2_b64 vcc, exec, s[40:41]
	s_cbranch_vccnz .LBB135_873
; %bb.869:
	s_andn2_b64 vcc, exec, s[52:53]
	s_cbranch_vccnz .LBB135_874
; %bb.870:
	s_add_i32 s78, s77, 1
	s_cmp_eq_u32 s74, 2
	s_cbranch_scc1 .LBB135_875
; %bb.871:
	s_and_b32 s77, s78, 28
	v_mov_b32_e32 v2, 0
	s_mov_b32 s79, 0
	s_mov_b64 s[52:53], s[34:35]
	v_mov_b32_e32 v0, 0
	v_mov_b32_e32 v1, v8
.LBB135_872:                            ; =>This Inner Loop Header: Depth=1
	s_load_dwordx8 s[16:23], s[52:53], 0x4
	s_load_dwordx4 s[0:3], s[52:53], 0x24
	s_load_dwordx8 s[8:15], s[50:51], 0x0
	s_add_u32 s52, s52, 48
	s_addc_u32 s53, s53, 0
	s_waitcnt vmcnt(0) lgkmcnt(0)
	v_mul_hi_u32 v3, s17, v1
	s_add_i32 s79, s79, 4
	s_add_u32 s50, s50, 32
	s_addc_u32 s51, s51, 0
	v_add_u32_e32 v3, v1, v3
	v_lshrrev_b32_e32 v3, s18, v3
	v_mul_lo_u32 v4, v3, s16
	v_mul_hi_u32 v5, s20, v3
	s_cmp_eq_u32 s77, s79
	v_sub_u32_e32 v1, v1, v4
	v_add_u32_e32 v4, v3, v5
	v_mul_lo_u32 v5, v1, s8
	v_mul_lo_u32 v6, v1, s9
	v_lshrrev_b32_e32 v1, s21, v4
	v_mul_lo_u32 v4, v1, s19
	v_mul_hi_u32 v7, s23, v1
	v_sub_u32_e32 v3, v3, v4
	v_add_u32_e32 v4, v1, v7
	v_lshrrev_b32_e32 v4, s0, v4
	v_mul_hi_u32 v9, s2, v4
	v_mul_lo_u32 v10, v4, s22
	v_mul_lo_u32 v7, v3, s10
	;; [unrolled: 1-line block ×3, first 2 shown]
	v_sub_u32_e32 v10, v1, v10
	v_add_u32_e32 v1, v4, v9
	v_lshrrev_b32_e32 v1, s3, v1
	v_mul_lo_u32 v9, v1, s1
	v_mul_lo_u32 v11, v10, s12
	;; [unrolled: 1-line block ×3, first 2 shown]
	v_add3_u32 v0, v5, v0, v7
	v_sub_u32_e32 v4, v4, v9
	v_mul_lo_u32 v9, v4, s14
	v_mul_lo_u32 v4, v4, s15
	v_add3_u32 v2, v6, v2, v3
	v_add3_u32 v0, v11, v0, v9
	;; [unrolled: 1-line block ×3, first 2 shown]
	s_cbranch_scc0 .LBB135_872
	s_branch .LBB135_876
.LBB135_873:
	s_mov_b64 s[0:1], -1
                                        ; implicit-def: $vgpr0
                                        ; implicit-def: $vgpr2
	s_branch .LBB135_880
.LBB135_874:
	v_mov_b32_e32 v0, 0
	v_mov_b32_e32 v2, 0
	s_branch .LBB135_879
.LBB135_875:
	s_mov_b32 s77, 0
	v_mov_b32_e32 v0, 0
	v_mov_b32_e32 v2, 0
	;; [unrolled: 1-line block ×3, first 2 shown]
.LBB135_876:
	s_and_b32 s8, s78, 3
	s_cmp_eq_u32 s8, 0
	s_cbranch_scc1 .LBB135_879
; %bb.877:
	s_lshl_b32 s0, s77, 3
	s_add_u32 s0, s34, s0
	s_addc_u32 s1, s35, 0
	s_add_u32 s0, s0, 0xc4
	s_addc_u32 s1, s1, 0
	s_mul_i32 s2, s77, 12
	s_add_u32 s2, s34, s2
	s_addc_u32 s3, s35, 0
.LBB135_878:                            ; =>This Inner Loop Header: Depth=1
	s_load_dwordx2 s[10:11], s[2:3], 0x4
	s_load_dword s9, s[2:3], 0xc
	s_load_dwordx2 s[12:13], s[0:1], 0x0
	s_add_u32 s2, s2, 12
	s_addc_u32 s3, s3, 0
	s_waitcnt vmcnt(0) lgkmcnt(0)
	v_mul_hi_u32 v3, s11, v1
	s_add_u32 s0, s0, 8
	s_addc_u32 s1, s1, 0
	s_add_i32 s8, s8, -1
	v_add_u32_e32 v3, v1, v3
	v_lshrrev_b32_e32 v4, s9, v3
	v_mul_lo_u32 v3, v4, s10
	s_cmp_lg_u32 s8, 0
	v_sub_u32_e32 v3, v1, v3
	v_mad_u64_u32 v[0:1], s[10:11], v3, s12, v[0:1]
	v_mad_u64_u32 v[2:3], s[10:11], v3, s13, v[2:3]
	v_mov_b32_e32 v1, v4
	s_cbranch_scc1 .LBB135_878
.LBB135_879:
	s_mov_b64 s[0:1], 0
.LBB135_880:
	s_andn2_b64 vcc, exec, s[0:1]
	s_cbranch_vccnz .LBB135_883
; %bb.881:
	v_mul_hi_u32 v0, s29, v8
	s_andn2_b64 vcc, exec, s[48:49]
	v_add_u32_e32 v0, v8, v0
	v_lshrrev_b32_e32 v1, s30, v0
	v_mul_lo_u32 v0, v1, s28
	v_sub_u32_e32 v2, v8, v0
	v_mul_lo_u32 v0, v2, s36
	v_mul_lo_u32 v2, v2, s37
	s_cbranch_vccnz .LBB135_883
; %bb.882:
	s_waitcnt vmcnt(0)
	v_mul_hi_u32 v3, s46, v1
	v_add_u32_e32 v3, v1, v3
	v_lshrrev_b32_e32 v3, s47, v3
	v_mul_lo_u32 v3, v3, s31
	v_sub_u32_e32 v3, v1, v3
	v_mad_u64_u32 v[0:1], s[0:1], v3, s38, v[0:1]
	v_mad_u64_u32 v[2:3], s[0:1], v3, s39, v[2:3]
.LBB135_883:
	s_waitcnt vmcnt(0)
	v_mov_b32_e32 v3, s27
	s_and_b32 s14, 0xffff, s76
	v_add_co_u32_e32 v1, vcc, s26, v2
	s_cmp_lt_i32 s14, 11
	v_addc_co_u32_e32 v2, vcc, 0, v3, vcc
	s_cbranch_scc1 .LBB135_890
; %bb.884:
	s_cmp_gt_i32 s14, 25
	s_mov_b64 s[2:3], 0
	s_cbranch_scc0 .LBB135_891
; %bb.885:
	s_cmp_gt_i32 s14, 28
	s_cbranch_scc0 .LBB135_892
; %bb.886:
	s_cmp_gt_i32 s14, 43
	s_cbranch_scc0 .LBB135_893
; %bb.887:
	s_cmp_gt_i32 s14, 45
	s_cbranch_scc0 .LBB135_896
; %bb.888:
	s_cmp_eq_u32 s14, 46
	s_mov_b64 s[10:11], 0
	s_cbranch_scc0 .LBB135_899
; %bb.889:
	global_load_dword v3, v[1:2], off
	s_mov_b64 s[0:1], 0
	s_mov_b64 s[8:9], -1
	s_branch .LBB135_900
.LBB135_890:
	s_mov_b64 s[12:13], -1
	s_mov_b64 s[8:9], 0
	s_mov_b64 s[2:3], 0
	;; [unrolled: 1-line block ×3, first 2 shown]
                                        ; implicit-def: $vgpr3
	s_branch .LBB135_963
.LBB135_891:
	s_mov_b64 s[10:11], -1
	s_mov_b64 s[8:9], 0
	s_mov_b64 s[0:1], s[68:69]
                                        ; implicit-def: $vgpr3
	s_branch .LBB135_929
.LBB135_892:
	s_mov_b64 s[10:11], -1
	s_mov_b64 s[8:9], 0
	s_mov_b64 s[0:1], s[68:69]
                                        ; implicit-def: $vgpr3
	s_branch .LBB135_910
.LBB135_893:
	s_mov_b64 s[10:11], -1
	s_mov_b64 s[8:9], 0
	s_mov_b64 s[0:1], s[68:69]
                                        ; implicit-def: $vgpr3
	s_branch .LBB135_905
.LBB135_894:
	s_andn2_saveexec_b64 s[14:15], s[14:15]
	s_cbranch_execz .LBB135_774
.LBB135_895:
	v_add_f32_e32 v2, 0x46000000, v3
	v_and_b32_e32 v2, 0xff, v2
	v_cmp_ne_u32_e32 vcc, 0, v2
	s_andn2_b64 s[12:13], s[12:13], exec
	s_and_b64 s[18:19], vcc, exec
	s_or_b64 s[12:13], s[12:13], s[18:19]
	s_or_b64 exec, exec, s[14:15]
	v_mov_b32_e32 v4, 0
	s_and_saveexec_b64 s[14:15], s[12:13]
	s_cbranch_execnz .LBB135_775
	s_branch .LBB135_776
.LBB135_896:
	s_mov_b64 s[10:11], -1
	s_mov_b64 s[8:9], 0
	s_mov_b64 s[0:1], s[68:69]
                                        ; implicit-def: $vgpr3
	s_branch .LBB135_900
.LBB135_897:
	s_andn2_saveexec_b64 s[14:15], s[14:15]
	s_cbranch_execz .LBB135_787
.LBB135_898:
	v_add_f32_e32 v2, 0x42800000, v3
	v_and_b32_e32 v2, 0xff, v2
	v_cmp_ne_u32_e32 vcc, 0, v2
	s_andn2_b64 s[12:13], s[12:13], exec
	s_and_b64 s[18:19], vcc, exec
	s_or_b64 s[12:13], s[12:13], s[18:19]
	s_or_b64 exec, exec, s[14:15]
	v_mov_b32_e32 v4, 0
	s_and_saveexec_b64 s[14:15], s[12:13]
	s_cbranch_execnz .LBB135_788
	s_branch .LBB135_789
.LBB135_899:
	s_mov_b64 s[0:1], -1
                                        ; implicit-def: $vgpr3
	s_mov_b64 s[8:9], 0
.LBB135_900:
	s_and_b64 vcc, exec, s[10:11]
	s_cbranch_vccz .LBB135_904
; %bb.901:
	s_cmp_eq_u32 s14, 44
	s_cbranch_scc0 .LBB135_903
; %bb.902:
	global_load_ubyte v3, v[1:2], off
	s_movk_i32 s8, 0xff
	v_mov_b32_e32 v4, 0x7f800001
	v_mov_b32_e32 v5, 0x400000
	;; [unrolled: 1-line block ×3, first 2 shown]
	s_mov_b64 s[0:1], 0
	s_waitcnt vmcnt(0)
	v_lshlrev_b32_e32 v7, 23, v3
	v_cmp_ne_u32_e32 vcc, s8, v3
	v_cndmask_b32_e32 v4, v4, v7, vcc
	v_cmp_ne_u32_e32 vcc, 0, v3
	v_cndmask_b32_e32 v3, v5, v4, vcc
	v_add_u32_e32 v4, 0x7fff, v3
	v_cmp_o_f32_e32 vcc, v3, v3
	v_cndmask_b32_sdwa v3, v6, v4, vcc dst_sel:DWORD dst_unused:UNUSED_PAD src0_sel:DWORD src1_sel:WORD_1
	s_mov_b64 s[8:9], -1
	s_branch .LBB135_904
.LBB135_903:
	s_mov_b64 s[0:1], -1
                                        ; implicit-def: $vgpr3
.LBB135_904:
	s_mov_b64 s[10:11], 0
.LBB135_905:
	s_and_b64 vcc, exec, s[10:11]
	s_cbranch_vccz .LBB135_909
; %bb.906:
	s_cmp_eq_u32 s14, 29
	s_cbranch_scc0 .LBB135_908
; %bb.907:
	global_load_dwordx2 v[3:4], v[1:2], off
	s_movk_i32 s8, 0x7fff
	s_mov_b64 s[0:1], 0
	s_mov_b64 s[10:11], 0
	s_waitcnt vmcnt(0)
	v_ffbh_u32_e32 v5, v4
	v_min_u32_e32 v5, 32, v5
	v_lshlrev_b64 v[3:4], v5, v[3:4]
	v_min_u32_e32 v3, 1, v3
	v_or_b32_e32 v3, v4, v3
	v_cvt_f32_u32_e32 v3, v3
	v_sub_u32_e32 v4, 32, v5
	v_ldexp_f32 v3, v3, v4
	v_bfe_u32 v4, v3, 16, 1
	v_add3_u32 v3, v3, v4, s8
	v_lshrrev_b32_e32 v3, 16, v3
	s_mov_b64 s[8:9], -1
	s_branch .LBB135_910
.LBB135_908:
	s_mov_b64 s[0:1], -1
                                        ; implicit-def: $vgpr3
.LBB135_909:
	s_mov_b64 s[10:11], 0
.LBB135_910:
	s_and_b64 vcc, exec, s[10:11]
	s_cbranch_vccz .LBB135_928
; %bb.911:
	s_cmp_lt_i32 s14, 27
	s_cbranch_scc1 .LBB135_914
; %bb.912:
	s_cmp_gt_i32 s14, 27
	s_cbranch_scc0 .LBB135_915
; %bb.913:
	global_load_dword v3, v[1:2], off
	s_movk_i32 s8, 0x7fff
	s_waitcnt vmcnt(0)
	v_cvt_f32_u32_e32 v3, v3
	v_bfe_u32 v4, v3, 16, 1
	v_add3_u32 v3, v3, v4, s8
	v_lshrrev_b32_e32 v3, 16, v3
	s_mov_b64 s[8:9], 0
	s_branch .LBB135_916
.LBB135_914:
	s_mov_b64 s[8:9], -1
                                        ; implicit-def: $vgpr3
	s_branch .LBB135_919
.LBB135_915:
	s_mov_b64 s[8:9], -1
                                        ; implicit-def: $vgpr3
.LBB135_916:
	s_andn2_b64 vcc, exec, s[8:9]
	s_cbranch_vccnz .LBB135_918
; %bb.917:
	global_load_ushort v3, v[1:2], off
	s_movk_i32 s8, 0x7fff
	s_waitcnt vmcnt(0)
	v_cvt_f32_u32_e32 v3, v3
	v_bfe_u32 v4, v3, 16, 1
	v_add3_u32 v3, v3, v4, s8
	v_lshrrev_b32_e32 v3, 16, v3
.LBB135_918:
	s_mov_b64 s[8:9], 0
.LBB135_919:
	s_andn2_b64 vcc, exec, s[8:9]
	s_cbranch_vccnz .LBB135_927
; %bb.920:
	global_load_ubyte v3, v[1:2], off
	s_movk_i32 s8, 0x7f
	s_waitcnt vmcnt(0)
	v_cmp_lt_i16_e32 vcc, s8, v3
	s_mov_b64 s[8:9], 0
	s_and_saveexec_b64 s[10:11], vcc
	s_xor_b64 s[10:11], exec, s[10:11]
	s_cbranch_execz .LBB135_941
; %bb.921:
	s_movk_i32 s8, 0x80
	v_cmp_eq_u16_e32 vcc, s8, v3
	s_mov_b64 s[8:9], -1
	s_and_saveexec_b64 s[12:13], vcc
; %bb.922:
	s_xor_b64 s[8:9], exec, -1
; %bb.923:
	s_or_b64 exec, exec, s[12:13]
	s_and_b64 s[8:9], s[8:9], exec
	s_or_saveexec_b64 s[10:11], s[10:11]
	v_mov_b32_e32 v4, 0x7f800001
	s_xor_b64 exec, exec, s[10:11]
	s_cbranch_execnz .LBB135_942
.LBB135_924:
	s_or_b64 exec, exec, s[10:11]
	s_and_saveexec_b64 s[10:11], s[8:9]
	s_cbranch_execz .LBB135_926
.LBB135_925:
	v_lshlrev_b32_e32 v4, 24, v3
	v_and_b32_e32 v3, 0xffff, v3
	v_and_b32_e32 v5, 7, v3
	v_ffbh_u32_e32 v7, v5
	v_min_u32_e32 v7, 32, v7
	v_subrev_u32_e32 v8, 28, v7
	v_bfe_u32 v6, v3, 3, 4
	v_lshlrev_b32_e32 v3, v8, v3
	v_sub_u32_e32 v7, 29, v7
	v_and_b32_e32 v3, 7, v3
	v_cmp_eq_u32_e32 vcc, 0, v6
	v_cndmask_b32_e32 v6, v6, v7, vcc
	v_cndmask_b32_e32 v3, v5, v3, vcc
	v_mov_b32_e32 v5, 0x3b800000
	v_lshlrev_b32_e32 v3, 20, v3
	v_and_b32_e32 v4, 0x80000000, v4
	v_lshl_add_u32 v5, v6, 23, v5
	v_or3_b32 v4, v4, v5, v3
.LBB135_926:
	s_or_b64 exec, exec, s[10:11]
	v_bfe_u32 v3, v4, 16, 1
	s_movk_i32 s8, 0x7fff
	v_add3_u32 v3, v4, v3, s8
	v_cmp_o_f32_e32 vcc, v4, v4
	v_mov_b32_e32 v4, 0x7fc0
	v_cndmask_b32_sdwa v3, v4, v3, vcc dst_sel:DWORD dst_unused:UNUSED_PAD src0_sel:DWORD src1_sel:WORD_1
.LBB135_927:
	s_mov_b64 s[8:9], -1
.LBB135_928:
	s_mov_b64 s[10:11], 0
.LBB135_929:
	s_and_b64 vcc, exec, s[10:11]
	s_cbranch_vccz .LBB135_962
; %bb.930:
	s_cmp_gt_i32 s14, 22
	s_cbranch_scc0 .LBB135_940
; %bb.931:
	s_cmp_lt_i32 s14, 24
	s_cbranch_scc1 .LBB135_943
; %bb.932:
	s_cmp_gt_i32 s14, 24
	s_cbranch_scc0 .LBB135_944
; %bb.933:
	global_load_ubyte v3, v[1:2], off
	s_movk_i32 s2, 0x7f
	s_waitcnt vmcnt(0)
	v_cmp_lt_i16_e32 vcc, s2, v3
	s_mov_b64 s[2:3], 0
	s_and_saveexec_b64 s[8:9], vcc
	s_xor_b64 s[8:9], exec, s[8:9]
	s_cbranch_execz .LBB135_956
; %bb.934:
	s_movk_i32 s2, 0x80
	v_cmp_eq_u16_e32 vcc, s2, v3
	s_mov_b64 s[2:3], -1
	s_and_saveexec_b64 s[10:11], vcc
; %bb.935:
	s_xor_b64 s[2:3], exec, -1
; %bb.936:
	s_or_b64 exec, exec, s[10:11]
	s_and_b64 s[2:3], s[2:3], exec
	s_or_saveexec_b64 s[8:9], s[8:9]
	v_mov_b32_e32 v4, 0x7f800001
	s_xor_b64 exec, exec, s[8:9]
	s_cbranch_execnz .LBB135_957
.LBB135_937:
	s_or_b64 exec, exec, s[8:9]
	s_and_saveexec_b64 s[8:9], s[2:3]
	s_cbranch_execz .LBB135_939
.LBB135_938:
	v_lshlrev_b32_e32 v4, 24, v3
	v_and_b32_e32 v3, 0xffff, v3
	v_and_b32_e32 v5, 3, v3
	v_ffbh_u32_e32 v7, v5
	v_min_u32_e32 v7, 32, v7
	v_subrev_u32_e32 v8, 29, v7
	v_bfe_u32 v6, v3, 2, 5
	v_lshlrev_b32_e32 v3, v8, v3
	v_sub_u32_e32 v7, 30, v7
	v_and_b32_e32 v3, 3, v3
	v_cmp_eq_u32_e32 vcc, 0, v6
	v_cndmask_b32_e32 v6, v6, v7, vcc
	v_cndmask_b32_e32 v3, v5, v3, vcc
	v_mov_b32_e32 v5, 0x37800000
	v_lshlrev_b32_e32 v3, 21, v3
	v_and_b32_e32 v4, 0x80000000, v4
	v_lshl_add_u32 v5, v6, 23, v5
	v_or3_b32 v4, v4, v5, v3
.LBB135_939:
	s_or_b64 exec, exec, s[8:9]
	v_bfe_u32 v3, v4, 16, 1
	s_movk_i32 s2, 0x7fff
	v_add3_u32 v3, v4, v3, s2
	v_cmp_o_f32_e32 vcc, v4, v4
	v_mov_b32_e32 v4, 0x7fc0
	v_cndmask_b32_sdwa v3, v4, v3, vcc dst_sel:DWORD dst_unused:UNUSED_PAD src0_sel:DWORD src1_sel:WORD_1
	s_mov_b64 s[2:3], 0
	s_branch .LBB135_945
.LBB135_940:
	s_mov_b64 s[2:3], -1
                                        ; implicit-def: $vgpr3
	s_branch .LBB135_951
.LBB135_941:
	s_or_saveexec_b64 s[10:11], s[10:11]
	v_mov_b32_e32 v4, 0x7f800001
	s_xor_b64 exec, exec, s[10:11]
	s_cbranch_execz .LBB135_924
.LBB135_942:
	v_cmp_ne_u16_e32 vcc, 0, v3
	s_andn2_b64 s[8:9], s[8:9], exec
	s_and_b64 s[12:13], vcc, exec
	v_mov_b32_e32 v4, 0
	s_or_b64 s[8:9], s[8:9], s[12:13]
	s_or_b64 exec, exec, s[10:11]
	s_and_saveexec_b64 s[10:11], s[8:9]
	s_cbranch_execnz .LBB135_925
	s_branch .LBB135_926
.LBB135_943:
	s_mov_b64 s[2:3], -1
                                        ; implicit-def: $vgpr3
	s_branch .LBB135_948
.LBB135_944:
	s_mov_b64 s[2:3], -1
                                        ; implicit-def: $vgpr3
.LBB135_945:
	s_and_b64 vcc, exec, s[2:3]
	s_cbranch_vccz .LBB135_947
; %bb.946:
	global_load_ubyte v3, v[1:2], off
	s_mov_b32 s2, 0x7f800000
	s_brev_b32 s3, 1
	s_movk_i32 s8, 0x7fff
	s_waitcnt vmcnt(0)
	v_lshlrev_b32_e32 v3, 24, v3
	v_and_b32_e32 v4, 0x7f000000, v3
	v_ffbh_u32_e32 v5, v4
	v_min_u32_e32 v5, 32, v5
	v_sub_u32_e64 v5, v5, 4 clamp
	v_lshlrev_b32_e32 v7, v5, v4
	v_lshlrev_b32_e32 v5, 23, v5
	v_lshrrev_b32_e32 v7, 4, v7
	v_add_u32_e32 v6, 0x1000000, v4
	v_sub_u32_e32 v5, v7, v5
	v_ashrrev_i32_e32 v6, 8, v6
	v_add_u32_e32 v5, 0x3c000000, v5
	v_and_or_b32 v5, v6, s2, v5
	v_cmp_ne_u32_e32 vcc, 0, v4
	v_cndmask_b32_e32 v4, 0, v5, vcc
	v_and_or_b32 v3, v3, s3, v4
	v_bfe_u32 v4, v4, 16, 1
	v_add3_u32 v4, v3, v4, s8
	v_cmp_o_f32_e32 vcc, v3, v3
	v_mov_b32_e32 v3, 0x7fc0
	v_cndmask_b32_sdwa v3, v3, v4, vcc dst_sel:DWORD dst_unused:UNUSED_PAD src0_sel:DWORD src1_sel:WORD_1
.LBB135_947:
	s_mov_b64 s[2:3], 0
.LBB135_948:
	s_andn2_b64 vcc, exec, s[2:3]
	s_cbranch_vccnz .LBB135_950
; %bb.949:
	global_load_ubyte v3, v[1:2], off
	s_movk_i32 s2, 0x7f00
	s_brev_b32 s3, 16
	s_brev_b32 s8, 1
	s_movk_i32 s9, 0x7fff
	s_waitcnt vmcnt(0)
	v_lshlrev_b16_e32 v4, 8, v3
	v_lshlrev_b32_e32 v3, 25, v3
	v_lshrrev_b32_e32 v5, 4, v3
	v_and_or_b32 v6, v4, s2, 0.5
	v_or_b32_e32 v5, 0x70000000, v5
	v_add_f32_e32 v6, -0.5, v6
	v_mul_f32_e32 v5, 0x7800000, v5
	v_cmp_gt_u32_e32 vcc, s3, v3
	v_bfe_i32 v4, v4, 0, 16
	v_cndmask_b32_e32 v3, v5, v6, vcc
	v_and_or_b32 v4, v4, s8, v3
	v_bfe_u32 v3, v3, 16, 1
	v_add3_u32 v3, v4, v3, s9
	v_cmp_o_f32_e32 vcc, v4, v4
	v_mov_b32_e32 v4, 0x7fc0
	v_cndmask_b32_sdwa v3, v4, v3, vcc dst_sel:DWORD dst_unused:UNUSED_PAD src0_sel:DWORD src1_sel:WORD_1
.LBB135_950:
	s_mov_b64 s[2:3], 0
	s_mov_b64 s[8:9], -1
.LBB135_951:
	s_andn2_b64 vcc, exec, s[2:3]
	s_mov_b64 s[2:3], 0
	s_cbranch_vccnz .LBB135_962
; %bb.952:
	s_cmp_gt_i32 s14, 14
	s_cbranch_scc0 .LBB135_955
; %bb.953:
	s_cmp_eq_u32 s14, 15
	s_cbranch_scc0 .LBB135_958
; %bb.954:
	global_load_ushort v3, v[1:2], off
	s_mov_b64 s[0:1], 0
	s_mov_b64 s[8:9], -1
	s_branch .LBB135_959
.LBB135_955:
	s_mov_b64 s[10:11], -1
                                        ; implicit-def: $vgpr3
	s_branch .LBB135_960
.LBB135_956:
	s_or_saveexec_b64 s[8:9], s[8:9]
	v_mov_b32_e32 v4, 0x7f800001
	s_xor_b64 exec, exec, s[8:9]
	s_cbranch_execz .LBB135_937
.LBB135_957:
	v_cmp_ne_u16_e32 vcc, 0, v3
	s_andn2_b64 s[2:3], s[2:3], exec
	s_and_b64 s[10:11], vcc, exec
	v_mov_b32_e32 v4, 0
	s_or_b64 s[2:3], s[2:3], s[10:11]
	s_or_b64 exec, exec, s[8:9]
	s_and_saveexec_b64 s[8:9], s[2:3]
	s_cbranch_execnz .LBB135_938
	s_branch .LBB135_939
.LBB135_958:
	s_mov_b64 s[0:1], -1
                                        ; implicit-def: $vgpr3
.LBB135_959:
	s_mov_b64 s[10:11], 0
.LBB135_960:
	s_and_b64 vcc, exec, s[10:11]
	s_cbranch_vccz .LBB135_962
; %bb.961:
	s_cmp_lg_u32 s14, 11
	s_cselect_b64 s[10:11], -1, 0
	s_andn2_b64 s[0:1], s[0:1], exec
	s_and_b64 s[10:11], s[10:11], exec
	s_mov_b64 s[2:3], -1
	s_or_b64 s[0:1], s[0:1], s[10:11]
.LBB135_962:
	s_mov_b64 s[12:13], 0
.LBB135_963:
	s_and_b64 s[10:11], s[8:9], exec
	s_and_b64 s[8:9], s[12:13], exec
	s_andn2_b64 s[12:13], s[68:69], exec
	s_and_b64 s[0:1], s[0:1], exec
	s_and_b64 s[2:3], s[2:3], exec
	s_or_b64 s[12:13], s[12:13], s[0:1]
.LBB135_964:
	s_or_b64 exec, exec, s[72:73]
	s_and_b64 s[0:1], s[2:3], exec
	s_andn2_b64 s[2:3], s[68:69], exec
	s_and_b64 s[12:13], s[12:13], exec
	s_and_b64 s[10:11], s[10:11], exec
	;; [unrolled: 1-line block ×3, first 2 shown]
	s_or_b64 s[68:69], s[2:3], s[12:13]
.LBB135_965:
	s_or_b64 exec, exec, s[66:67]
	s_andn2_b64 s[2:3], s[62:63], exec
	s_and_b64 s[12:13], s[70:71], exec
	s_or_b64 s[62:63], s[2:3], s[12:13]
	s_and_b64 s[2:3], s[0:1], exec
	s_andn2_b64 s[0:1], s[60:61], exec
	s_and_b64 s[12:13], s[68:69], exec
	s_and_b64 s[10:11], s[10:11], exec
	;; [unrolled: 1-line block ×3, first 2 shown]
	s_or_b64 s[60:61], s[0:1], s[12:13]
.LBB135_966:
	s_or_b64 exec, exec, s[64:65]
	s_andn2_b64 s[0:1], s[54:55], exec
	s_and_b64 s[12:13], s[62:63], exec
	s_or_b64 s[54:55], s[0:1], s[12:13]
	s_and_b64 s[0:1], s[10:11], exec
	s_and_b64 s[10:11], s[8:9], exec
	;; [unrolled: 1-line block ×3, first 2 shown]
	s_andn2_b64 s[2:3], s[56:57], exec
	s_and_b64 s[8:9], s[60:61], exec
	s_or_b64 s[56:57], s[2:3], s[8:9]
	s_or_b64 exec, exec, s[58:59]
	s_mov_b64 s[2:3], 0
	s_and_saveexec_b64 s[8:9], s[56:57]
	s_cbranch_execz .LBB135_290
.LBB135_967:
	s_mov_b64 s[2:3], exec
	s_andn2_b64 s[62:63], s[62:63], exec
	s_trap 2
	s_or_b64 exec, exec, s[8:9]
	s_and_saveexec_b64 s[8:9], s[62:63]
	s_xor_b64 s[8:9], exec, s[8:9]
	s_cbranch_execnz .LBB135_291
.LBB135_968:
	s_or_b64 exec, exec, s[8:9]
	s_and_saveexec_b64 s[8:9], s[10:11]
	s_cbranch_execz .LBB135_1014
.LBB135_969:
	s_sext_i32_i16 s10, s76
	s_cmp_lt_i32 s10, 5
	s_cbranch_scc1 .LBB135_974
; %bb.970:
	s_cmp_lt_i32 s10, 8
	s_cbranch_scc1 .LBB135_975
; %bb.971:
	;; [unrolled: 3-line block ×3, first 2 shown]
	s_cmp_gt_i32 s10, 9
	s_cbranch_scc0 .LBB135_977
; %bb.973:
	global_load_dwordx2 v[3:4], v[1:2], off
	s_movk_i32 s10, 0x7fff
	s_waitcnt vmcnt(0)
	v_cvt_f32_f64_e32 v3, v[3:4]
	v_mov_b32_e32 v4, 0x7fc0
	v_bfe_u32 v5, v3, 16, 1
	v_cmp_o_f32_e32 vcc, v3, v3
	v_add3_u32 v3, v3, v5, s10
	v_cndmask_b32_sdwa v3, v4, v3, vcc dst_sel:DWORD dst_unused:UNUSED_PAD src0_sel:DWORD src1_sel:WORD_1
	s_mov_b64 s[10:11], 0
	s_branch .LBB135_978
.LBB135_974:
                                        ; implicit-def: $vgpr3
	s_branch .LBB135_995
.LBB135_975:
                                        ; implicit-def: $vgpr3
	s_branch .LBB135_984
.LBB135_976:
	s_mov_b64 s[10:11], -1
                                        ; implicit-def: $vgpr3
	s_branch .LBB135_981
.LBB135_977:
	s_mov_b64 s[10:11], -1
                                        ; implicit-def: $vgpr3
.LBB135_978:
	s_andn2_b64 vcc, exec, s[10:11]
	s_cbranch_vccnz .LBB135_980
; %bb.979:
	global_load_dword v3, v[1:2], off
	s_movk_i32 s10, 0x7fff
	v_mov_b32_e32 v4, 0x7fc0
	s_waitcnt vmcnt(0)
	v_bfe_u32 v5, v3, 16, 1
	v_cmp_o_f32_e32 vcc, v3, v3
	v_add3_u32 v3, v3, v5, s10
	v_cndmask_b32_sdwa v3, v4, v3, vcc dst_sel:DWORD dst_unused:UNUSED_PAD src0_sel:DWORD src1_sel:WORD_1
.LBB135_980:
	s_mov_b64 s[10:11], 0
.LBB135_981:
	s_andn2_b64 vcc, exec, s[10:11]
	s_cbranch_vccnz .LBB135_983
; %bb.982:
	global_load_dword v3, v[1:2], off
	s_movk_i32 s10, 0x7fff
	v_mov_b32_e32 v5, 0x7fc0
	s_waitcnt vmcnt(0)
	v_cvt_f32_f16_e32 v4, v3
	v_cmp_o_f16_e32 vcc, v3, v3
	v_bfe_u32 v3, v4, 16, 1
	v_add3_u32 v3, v4, v3, s10
	v_cndmask_b32_sdwa v3, v5, v3, vcc dst_sel:DWORD dst_unused:UNUSED_PAD src0_sel:DWORD src1_sel:WORD_1
.LBB135_983:
	s_cbranch_execnz .LBB135_994
.LBB135_984:
	s_sext_i32_i16 s10, s76
	s_cmp_lt_i32 s10, 6
	s_cbranch_scc1 .LBB135_987
; %bb.985:
	s_cmp_gt_i32 s10, 6
	s_cbranch_scc0 .LBB135_988
; %bb.986:
	global_load_dwordx2 v[3:4], v[1:2], off
	s_movk_i32 s10, 0x7fff
	s_waitcnt vmcnt(0)
	v_cvt_f32_f64_e32 v3, v[3:4]
	v_mov_b32_e32 v4, 0x7fc0
	v_bfe_u32 v5, v3, 16, 1
	v_cmp_o_f32_e32 vcc, v3, v3
	v_add3_u32 v3, v3, v5, s10
	v_cndmask_b32_sdwa v3, v4, v3, vcc dst_sel:DWORD dst_unused:UNUSED_PAD src0_sel:DWORD src1_sel:WORD_1
	s_mov_b64 s[10:11], 0
	s_branch .LBB135_989
.LBB135_987:
	s_mov_b64 s[10:11], -1
                                        ; implicit-def: $vgpr3
	s_branch .LBB135_992
.LBB135_988:
	s_mov_b64 s[10:11], -1
                                        ; implicit-def: $vgpr3
.LBB135_989:
	s_andn2_b64 vcc, exec, s[10:11]
	s_cbranch_vccnz .LBB135_991
; %bb.990:
	global_load_dword v3, v[1:2], off
	s_movk_i32 s10, 0x7fff
	v_mov_b32_e32 v4, 0x7fc0
	s_waitcnt vmcnt(0)
	v_bfe_u32 v5, v3, 16, 1
	v_cmp_o_f32_e32 vcc, v3, v3
	v_add3_u32 v3, v3, v5, s10
	v_cndmask_b32_sdwa v3, v4, v3, vcc dst_sel:DWORD dst_unused:UNUSED_PAD src0_sel:DWORD src1_sel:WORD_1
.LBB135_991:
	s_mov_b64 s[10:11], 0
.LBB135_992:
	s_andn2_b64 vcc, exec, s[10:11]
	s_cbranch_vccnz .LBB135_994
; %bb.993:
	global_load_ushort v3, v[1:2], off
	s_movk_i32 s10, 0x7fff
	v_mov_b32_e32 v5, 0x7fc0
	s_waitcnt vmcnt(0)
	v_cvt_f32_f16_e32 v4, v3
	v_cmp_o_f16_e32 vcc, v3, v3
	v_bfe_u32 v3, v4, 16, 1
	v_add3_u32 v3, v4, v3, s10
	v_cndmask_b32_sdwa v3, v5, v3, vcc dst_sel:DWORD dst_unused:UNUSED_PAD src0_sel:DWORD src1_sel:WORD_1
.LBB135_994:
	s_cbranch_execnz .LBB135_1013
.LBB135_995:
	s_sext_i32_i16 s10, s76
	s_cmp_lt_i32 s10, 2
	s_cbranch_scc1 .LBB135_999
; %bb.996:
	s_cmp_lt_i32 s10, 3
	s_cbranch_scc1 .LBB135_1000
; %bb.997:
	s_cmp_gt_i32 s10, 3
	s_cbranch_scc0 .LBB135_1001
; %bb.998:
	global_load_dwordx2 v[3:4], v[1:2], off
	s_movk_i32 s10, 0x7fff
	s_waitcnt vmcnt(0)
	v_xor_b32_e32 v6, v3, v4
	v_ffbh_i32_e32 v5, v4
	v_ashrrev_i32_e32 v6, 31, v6
	v_add_u32_e32 v5, -1, v5
	v_add_u32_e32 v6, 32, v6
	v_min_u32_e32 v5, v5, v6
	v_lshlrev_b64 v[3:4], v5, v[3:4]
	v_min_u32_e32 v3, 1, v3
	v_or_b32_e32 v3, v4, v3
	v_cvt_f32_i32_e32 v3, v3
	v_sub_u32_e32 v4, 32, v5
	v_ldexp_f32 v3, v3, v4
	v_bfe_u32 v4, v3, 16, 1
	v_add3_u32 v3, v3, v4, s10
	v_lshrrev_b32_e32 v3, 16, v3
	s_mov_b64 s[10:11], 0
	s_branch .LBB135_1002
.LBB135_999:
                                        ; implicit-def: $vgpr3
	s_branch .LBB135_1008
.LBB135_1000:
	s_mov_b64 s[10:11], -1
                                        ; implicit-def: $vgpr3
	s_branch .LBB135_1005
.LBB135_1001:
	s_mov_b64 s[10:11], -1
                                        ; implicit-def: $vgpr3
.LBB135_1002:
	s_andn2_b64 vcc, exec, s[10:11]
	s_cbranch_vccnz .LBB135_1004
; %bb.1003:
	global_load_dword v3, v[1:2], off
	s_movk_i32 s10, 0x7fff
	s_waitcnt vmcnt(0)
	v_cvt_f32_i32_e32 v3, v3
	v_bfe_u32 v4, v3, 16, 1
	v_add3_u32 v3, v3, v4, s10
	v_lshrrev_b32_e32 v3, 16, v3
.LBB135_1004:
	s_mov_b64 s[10:11], 0
.LBB135_1005:
	s_andn2_b64 vcc, exec, s[10:11]
	s_cbranch_vccnz .LBB135_1007
; %bb.1006:
	global_load_sshort v3, v[1:2], off
	s_movk_i32 s10, 0x7fff
	s_waitcnt vmcnt(0)
	v_cvt_f32_i32_e32 v3, v3
	v_bfe_u32 v4, v3, 16, 1
	v_add3_u32 v3, v3, v4, s10
	v_lshrrev_b32_e32 v3, 16, v3
.LBB135_1007:
	s_cbranch_execnz .LBB135_1013
.LBB135_1008:
	s_sext_i32_i16 s10, s76
	s_cmp_gt_i32 s10, 0
	s_cbranch_scc0 .LBB135_1010
; %bb.1009:
	global_load_sbyte v3, v[1:2], off
	s_movk_i32 s10, 0x7fff
	s_waitcnt vmcnt(0)
	v_cvt_f32_i32_e32 v3, v3
	v_bfe_u32 v4, v3, 16, 1
	v_add3_u32 v3, v3, v4, s10
	v_lshrrev_b32_e32 v3, 16, v3
	s_mov_b64 s[10:11], 0
	s_branch .LBB135_1011
.LBB135_1010:
	s_mov_b64 s[10:11], -1
                                        ; implicit-def: $vgpr3
.LBB135_1011:
	s_andn2_b64 vcc, exec, s[10:11]
	s_cbranch_vccnz .LBB135_1013
; %bb.1012:
	global_load_ubyte v1, v[1:2], off
	s_movk_i32 s10, 0x7fff
	s_waitcnt vmcnt(0)
	v_cvt_f32_ubyte0_e32 v1, v1
	v_bfe_u32 v2, v1, 16, 1
	v_add3_u32 v1, v1, v2, s10
	v_lshrrev_b32_e32 v3, 16, v1
.LBB135_1013:
	s_or_b64 s[0:1], s[0:1], exec
.LBB135_1014:
	s_or_b64 exec, exec, s[8:9]
	s_mov_b64 s[14:15], 0
	s_mov_b64 s[12:13], 0
                                        ; implicit-def: $sgpr8_sgpr9
                                        ; implicit-def: $sgpr20
                                        ; implicit-def: $vgpr1_vgpr2
	s_and_saveexec_b64 s[10:11], s[0:1]
	s_cbranch_execz .LBB135_1019
; %bb.1015:
	s_waitcnt vmcnt(0)
	v_lshlrev_b32_e32 v1, 16, v3
	s_cmp_lt_i32 s44, 1
	s_mov_b64 s[0:1], 0
	s_cbranch_scc1 .LBB135_1022
; %bb.1016:
	s_cmp_gt_i32 s44, 1
	s_cbranch_scc0 .LBB135_1023
; %bb.1017:
	s_cmp_eq_u32 s44, 2
	s_cbranch_scc0 .LBB135_1024
; %bb.1018:
	v_cmp_ge_f32_e64 s[8:9], s45, v1
	s_branch .LBB135_1026
.LBB135_1019:
	s_or_b64 exec, exec, s[10:11]
	s_and_saveexec_b64 s[0:1], s[54:55]
	s_cbranch_execnz .LBB135_1111
.LBB135_1020:
	s_or_b64 exec, exec, s[0:1]
	s_and_saveexec_b64 s[0:1], s[14:15]
	s_xor_b64 s[0:1], exec, s[0:1]
	s_cbranch_execz .LBB135_1112
.LBB135_1021:
	v_cndmask_b32_e64 v0, 0, 1, s[8:9]
	global_store_byte v[1:2], v0, off
	s_or_b64 exec, exec, s[0:1]
	s_and_saveexec_b64 s[0:1], s[12:13]
	s_xor_b64 s[0:1], exec, s[0:1]
	s_cbranch_execz .LBB135_1150
	s_branch .LBB135_1113
.LBB135_1022:
                                        ; implicit-def: $sgpr8_sgpr9
	s_cbranch_execnz .LBB135_1029
	s_branch .LBB135_1030
.LBB135_1023:
	s_mov_b64 s[14:15], -1
	s_branch .LBB135_1025
.LBB135_1024:
	s_mov_b64 s[12:13], -1
.LBB135_1025:
                                        ; implicit-def: $sgpr8_sgpr9
.LBB135_1026:
	s_and_b64 vcc, exec, s[14:15]
	s_cbranch_vccz .LBB135_1028
; %bb.1027:
	v_cmp_lt_f32_e32 vcc, s45, v1
	s_andn2_b64 s[8:9], s[8:9], exec
	s_and_b64 s[14:15], vcc, exec
	s_or_b64 s[8:9], s[8:9], s[14:15]
.LBB135_1028:
	s_branch .LBB135_1030
.LBB135_1029:
	s_cmp_lg_u32 s44, 0
	s_mov_b64 s[0:1], -1
	s_cselect_b64 s[12:13], -1, 0
.LBB135_1030:
	s_andn2_b64 vcc, exec, s[12:13]
	s_cbranch_vccnz .LBB135_1032
; %bb.1031:
	v_cmp_gt_f32_e32 vcc, s45, v1
	s_andn2_b64 s[8:9], s[8:9], exec
	s_and_b64 s[12:13], vcc, exec
	s_or_b64 s[8:9], s[8:9], s[12:13]
	s_cbranch_execz .LBB135_1033
	s_branch .LBB135_1034
.LBB135_1032:
	s_andn2_b64 vcc, exec, s[0:1]
	s_cbranch_vccnz .LBB135_1034
.LBB135_1033:
	v_cmp_le_f32_e32 vcc, s45, v1
	s_andn2_b64 s[0:1], s[8:9], exec
	s_and_b64 s[8:9], vcc, exec
	s_or_b64 s[8:9], s[0:1], s[8:9]
.LBB135_1034:
	v_mov_b32_e32 v2, s25
	s_and_b32 s20, s75, 0xff
	v_add_co_u32_e32 v1, vcc, s24, v0
	s_cmp_lt_i32 s20, 11
	v_addc_co_u32_e32 v2, vcc, 0, v2, vcc
	s_cbranch_scc1 .LBB135_1108
; %bb.1035:
	s_and_b32 s21, 0xffff, s20
	s_mov_b64 s[14:15], -1
	s_cmp_gt_i32 s21, 25
	s_mov_b64 s[0:1], s[54:55]
	s_cbranch_scc0 .LBB135_1068
; %bb.1036:
	s_mov_b64 s[12:13], -1
	s_cmp_gt_i32 s21, 28
	s_mov_b64 s[0:1], s[54:55]
	s_cbranch_scc0 .LBB135_1052
; %bb.1037:
	s_cmp_gt_i32 s21, 43
	s_mov_b64 s[0:1], s[54:55]
	s_cbranch_scc0 .LBB135_1048
; %bb.1038:
	;; [unrolled: 4-line block ×3, first 2 shown]
	s_cmp_eq_u32 s21, 46
	s_mov_b64 s[0:1], -1
	s_cbranch_scc0 .LBB135_1041
; %bb.1040:
	v_cndmask_b32_e64 v0, 0, 1.0, s[8:9]
	v_bfe_u32 v3, v0, 16, 1
	s_movk_i32 s0, 0x7fff
	v_add3_u32 v0, v0, v3, s0
	v_lshrrev_b32_e32 v0, 16, v0
	global_store_dword v[1:2], v0, off
	s_mov_b64 s[0:1], 0
.LBB135_1041:
	s_mov_b64 s[12:13], 0
.LBB135_1042:
	s_and_b64 vcc, exec, s[12:13]
	s_cbranch_vccz .LBB135_1047
; %bb.1043:
	s_cmp_eq_u32 s21, 44
	s_mov_b64 s[0:1], -1
	s_cbranch_scc0 .LBB135_1047
; %bb.1044:
	v_cndmask_b32_e64 v3, 0, 1.0, s[8:9]
	v_lshrrev_b32_e32 v0, 23, v3
	s_movk_i32 s0, 0xff
	v_cmp_ne_u32_e32 vcc, s0, v0
	v_mov_b32_e32 v4, 0xff
	s_and_saveexec_b64 s[12:13], vcc
; %bb.1045:
	s_mov_b32 s0, 0x3fffff
	v_and_b32_e32 v4, 0x400000, v3
	v_and_or_b32 v3, v3, s0, v0
	v_cmp_ne_u32_e32 vcc, 0, v4
	v_cmp_ne_u32_e64 s[0:1], 0, v3
	s_and_b64 s[0:1], vcc, s[0:1]
	v_cndmask_b32_e64 v3, 0, 1, s[0:1]
	v_add_u32_e32 v4, v0, v3
; %bb.1046:
	s_or_b64 exec, exec, s[12:13]
	s_mov_b64 s[0:1], 0
	global_store_byte v[1:2], v4, off
.LBB135_1047:
	s_mov_b64 s[12:13], 0
.LBB135_1048:
	s_and_b64 vcc, exec, s[12:13]
	s_cbranch_vccz .LBB135_1051
; %bb.1049:
	s_cmp_eq_u32 s21, 29
	s_mov_b64 s[0:1], -1
	s_cbranch_scc0 .LBB135_1051
; %bb.1050:
	s_mov_b32 s0, 0
	v_cndmask_b32_e64 v3, 0, 1, s[8:9]
	v_mov_b32_e32 v4, s0
	global_store_dwordx2 v[1:2], v[3:4], off
	s_mov_b64 s[0:1], 0
.LBB135_1051:
	s_mov_b64 s[12:13], 0
.LBB135_1052:
	s_and_b64 vcc, exec, s[12:13]
	s_cbranch_vccz .LBB135_1067
; %bb.1053:
	s_cmp_lt_i32 s21, 27
	s_mov_b64 s[12:13], -1
	s_cbranch_scc1 .LBB135_1059
; %bb.1054:
	s_cmp_gt_i32 s21, 27
	s_cbranch_scc0 .LBB135_1056
; %bb.1055:
	v_cndmask_b32_e64 v0, 0, 1, s[8:9]
	s_mov_b64 s[12:13], 0
	global_store_dword v[1:2], v0, off
.LBB135_1056:
	s_andn2_b64 vcc, exec, s[12:13]
	s_cbranch_vccnz .LBB135_1058
; %bb.1057:
	v_cndmask_b32_e64 v0, 0, 1, s[8:9]
	global_store_short v[1:2], v0, off
.LBB135_1058:
	s_mov_b64 s[12:13], 0
.LBB135_1059:
	s_andn2_b64 vcc, exec, s[12:13]
	s_cbranch_vccnz .LBB135_1067
; %bb.1060:
	v_cndmask_b32_e64 v3, 0, 1.0, s[8:9]
	s_mov_b32 s12, 0x43800000
	v_cmp_gt_u32_e32 vcc, s12, v3
	v_mov_b32_e32 v4, 0x80
	s_and_saveexec_b64 s[12:13], vcc
	s_cbranch_execz .LBB135_1066
; %bb.1061:
	s_mov_b32 s14, 0x3bffffff
	v_cmp_lt_u32_e32 vcc, s14, v3
	s_mov_b64 s[14:15], 0
                                        ; implicit-def: $vgpr0
	s_and_saveexec_b64 s[16:17], vcc
	s_xor_b64 s[16:17], exec, s[16:17]
	s_cbranch_execz .LBB135_1221
; %bb.1062:
	v_bfe_u32 v0, v3, 20, 1
	s_mov_b32 s18, 0x487ffff
	v_add3_u32 v0, v3, v0, s18
	s_mov_b64 s[14:15], exec
	v_lshrrev_b32_e32 v0, 20, v0
                                        ; implicit-def: $vgpr3
	s_andn2_saveexec_b64 s[16:17], s[16:17]
	s_cbranch_execnz .LBB135_1222
.LBB135_1063:
	s_or_b64 exec, exec, s[16:17]
	v_mov_b32_e32 v4, 0
	s_and_saveexec_b64 s[16:17], s[14:15]
.LBB135_1064:
	v_mov_b32_e32 v4, v0
.LBB135_1065:
	s_or_b64 exec, exec, s[16:17]
.LBB135_1066:
	s_or_b64 exec, exec, s[12:13]
	global_store_byte v[1:2], v4, off
.LBB135_1067:
	s_mov_b64 s[14:15], 0
.LBB135_1068:
	s_mov_b64 s[12:13], 0
	s_and_b64 vcc, exec, s[14:15]
	s_cbranch_vccz .LBB135_1109
; %bb.1069:
	s_cmp_gt_i32 s21, 22
	s_mov_b64 s[14:15], -1
	s_cbranch_scc0 .LBB135_1101
; %bb.1070:
	s_cmp_lt_i32 s21, 24
	s_cbranch_scc1 .LBB135_1090
; %bb.1071:
	s_cmp_gt_i32 s21, 24
	s_cbranch_scc0 .LBB135_1079
; %bb.1072:
	v_cndmask_b32_e64 v3, 0, 1.0, s[8:9]
	s_mov_b32 s14, 0x47800000
	v_cmp_gt_u32_e32 vcc, s14, v3
	v_mov_b32_e32 v4, 0x80
	s_and_saveexec_b64 s[14:15], vcc
	s_cbranch_execz .LBB135_1078
; %bb.1073:
	s_mov_b32 s16, 0x37ffffff
	v_cmp_lt_u32_e32 vcc, s16, v3
	s_mov_b64 s[16:17], 0
                                        ; implicit-def: $vgpr0
	s_and_saveexec_b64 s[18:19], vcc
	s_xor_b64 s[18:19], exec, s[18:19]
	s_cbranch_execz .LBB135_1360
; %bb.1074:
	v_bfe_u32 v0, v3, 21, 1
	s_mov_b32 s22, 0x88fffff
	v_add3_u32 v0, v3, v0, s22
	s_mov_b64 s[16:17], exec
	v_lshrrev_b32_e32 v0, 21, v0
                                        ; implicit-def: $vgpr3
	s_andn2_saveexec_b64 s[18:19], s[18:19]
	s_cbranch_execnz .LBB135_1361
.LBB135_1075:
	s_or_b64 exec, exec, s[18:19]
	v_mov_b32_e32 v4, 0
	s_and_saveexec_b64 s[18:19], s[16:17]
.LBB135_1076:
	v_mov_b32_e32 v4, v0
.LBB135_1077:
	s_or_b64 exec, exec, s[18:19]
.LBB135_1078:
	s_or_b64 exec, exec, s[14:15]
	s_mov_b64 s[14:15], 0
	global_store_byte v[1:2], v4, off
.LBB135_1079:
	s_and_b64 vcc, exec, s[14:15]
	s_cbranch_vccz .LBB135_1089
; %bb.1080:
	v_cndmask_b32_e64 v0, 0, 1.0, s[8:9]
	s_mov_b32 s14, 0x43f00000
	v_cmp_gt_u32_e32 vcc, s14, v0
                                        ; implicit-def: $vgpr3
	s_and_saveexec_b64 s[14:15], vcc
	s_xor_b64 s[14:15], exec, s[14:15]
	s_cbranch_execz .LBB135_1086
; %bb.1081:
	s_mov_b32 s16, 0x3c7fffff
	v_cmp_lt_u32_e32 vcc, s16, v0
                                        ; implicit-def: $vgpr3
	s_and_saveexec_b64 s[16:17], vcc
	s_xor_b64 s[16:17], exec, s[16:17]
; %bb.1082:
	v_bfe_u32 v3, v0, 20, 1
	s_mov_b32 s18, 0x407ffff
	v_add3_u32 v0, v0, v3, s18
	v_lshrrev_b32_e32 v3, 20, v0
	v_and_b32_e32 v0, 0xff00000, v0
	s_mov_b32 s18, 0x7f00000
	v_mov_b32_e32 v4, 0x7e
	v_cmp_ne_u32_e32 vcc, s18, v0
	v_cndmask_b32_e32 v3, v4, v3, vcc
                                        ; implicit-def: $vgpr0
; %bb.1083:
	s_andn2_saveexec_b64 s[16:17], s[16:17]
; %bb.1084:
	v_add_f32_e32 v3, 0x46800000, v0
; %bb.1085:
	s_or_b64 exec, exec, s[16:17]
                                        ; implicit-def: $vgpr0
.LBB135_1086:
	s_andn2_saveexec_b64 s[14:15], s[14:15]
; %bb.1087:
	s_mov_b32 s16, 0x7f800000
	v_mov_b32_e32 v3, 0x7e
	v_mov_b32_e32 v4, 0x7f
	v_cmp_lt_u32_e32 vcc, s16, v0
	v_cndmask_b32_e32 v3, v3, v4, vcc
; %bb.1088:
	s_or_b64 exec, exec, s[14:15]
	global_store_byte v[1:2], v3, off
.LBB135_1089:
	s_mov_b64 s[14:15], 0
.LBB135_1090:
	s_andn2_b64 vcc, exec, s[14:15]
	s_cbranch_vccnz .LBB135_1100
; %bb.1091:
	v_cndmask_b32_e64 v0, 0, 1.0, s[8:9]
	s_mov_b32 s14, 0x47800000
	v_cmp_gt_u32_e32 vcc, s14, v0
                                        ; implicit-def: $vgpr3
	s_and_saveexec_b64 s[14:15], vcc
	s_xor_b64 s[14:15], exec, s[14:15]
	s_cbranch_execz .LBB135_1097
; %bb.1092:
	s_mov_b32 s16, 0x387fffff
	v_cmp_lt_u32_e32 vcc, s16, v0
                                        ; implicit-def: $vgpr3
	s_and_saveexec_b64 s[16:17], vcc
	s_xor_b64 s[16:17], exec, s[16:17]
; %bb.1093:
	v_bfe_u32 v3, v0, 21, 1
	s_mov_b32 s18, 0x80fffff
	v_add3_u32 v0, v0, v3, s18
	v_lshrrev_b32_e32 v3, 21, v0
                                        ; implicit-def: $vgpr0
; %bb.1094:
	s_andn2_saveexec_b64 s[16:17], s[16:17]
; %bb.1095:
	v_add_f32_e32 v3, 0x43000000, v0
; %bb.1096:
	s_or_b64 exec, exec, s[16:17]
                                        ; implicit-def: $vgpr0
.LBB135_1097:
	s_andn2_saveexec_b64 s[14:15], s[14:15]
; %bb.1098:
	s_mov_b32 s16, 0x7f800000
	v_mov_b32_e32 v3, 0x7c
	v_mov_b32_e32 v4, 0x7f
	v_cmp_lt_u32_e32 vcc, s16, v0
	v_cndmask_b32_e32 v3, v3, v4, vcc
; %bb.1099:
	s_or_b64 exec, exec, s[14:15]
	global_store_byte v[1:2], v3, off
.LBB135_1100:
	s_mov_b64 s[14:15], 0
.LBB135_1101:
	s_andn2_b64 vcc, exec, s[14:15]
	s_mov_b64 s[14:15], 0
	s_cbranch_vccnz .LBB135_1110
; %bb.1102:
	s_cmp_gt_i32 s21, 14
	s_mov_b64 s[16:17], -1
	s_cbranch_scc0 .LBB135_1106
; %bb.1103:
	s_cmp_eq_u32 s21, 15
	s_mov_b64 s[0:1], -1
	s_cbranch_scc0 .LBB135_1105
; %bb.1104:
	v_cndmask_b32_e64 v0, 0, 1.0, s[8:9]
	v_bfe_u32 v3, v0, 16, 1
	s_movk_i32 s0, 0x7fff
	v_add3_u32 v0, v0, v3, s0
	global_store_short_d16_hi v[1:2], v0, off
	s_mov_b64 s[0:1], 0
.LBB135_1105:
	s_mov_b64 s[16:17], 0
.LBB135_1106:
	s_and_b64 vcc, exec, s[16:17]
	s_cbranch_vccz .LBB135_1110
; %bb.1107:
	s_cmp_lg_u32 s21, 11
	s_cselect_b64 s[16:17], -1, 0
	s_andn2_b64 s[0:1], s[0:1], exec
	s_and_b64 s[16:17], s[16:17], exec
	s_mov_b64 s[14:15], -1
	s_or_b64 s[0:1], s[0:1], s[16:17]
	s_branch .LBB135_1110
.LBB135_1108:
	s_mov_b64 s[14:15], 0
	s_mov_b64 s[12:13], -1
	s_mov_b64 s[0:1], s[54:55]
	s_branch .LBB135_1110
.LBB135_1109:
	s_mov_b64 s[14:15], 0
.LBB135_1110:
	s_andn2_b64 s[16:17], s[54:55], exec
	s_and_b64 s[0:1], s[0:1], exec
	s_and_b64 s[12:13], s[12:13], exec
	;; [unrolled: 1-line block ×3, first 2 shown]
	s_or_b64 s[54:55], s[16:17], s[0:1]
	s_or_b64 exec, exec, s[10:11]
	s_and_saveexec_b64 s[0:1], s[54:55]
	s_cbranch_execz .LBB135_1020
.LBB135_1111:
	s_or_b64 s[2:3], s[2:3], exec
	s_andn2_b64 s[14:15], s[14:15], exec
	s_trap 2
	s_or_b64 exec, exec, s[0:1]
	s_and_saveexec_b64 s[0:1], s[14:15]
	s_xor_b64 s[0:1], exec, s[0:1]
	s_cbranch_execnz .LBB135_1021
.LBB135_1112:
	s_or_b64 exec, exec, s[0:1]
	s_and_saveexec_b64 s[0:1], s[12:13]
	s_xor_b64 s[0:1], exec, s[0:1]
	s_cbranch_execz .LBB135_1150
.LBB135_1113:
	s_sext_i32_i16 s12, s20
	s_cmp_lt_i32 s12, 5
	s_mov_b64 s[10:11], -1
	s_cbranch_scc1 .LBB135_1134
; %bb.1114:
	s_cmp_lt_i32 s12, 8
	s_cbranch_scc1 .LBB135_1124
; %bb.1115:
	s_cmp_lt_i32 s12, 9
	s_cbranch_scc1 .LBB135_1121
; %bb.1116:
	s_cmp_gt_i32 s12, 9
	s_cbranch_scc0 .LBB135_1118
; %bb.1117:
	v_cndmask_b32_e64 v0, 0, 1, s[8:9]
	s_waitcnt vmcnt(0)
	v_cvt_f64_u32_e32 v[3:4], v0
	v_mov_b32_e32 v5, 0
	v_mov_b32_e32 v6, v5
	s_mov_b64 s[10:11], 0
	global_store_dwordx4 v[1:2], v[3:6], off
.LBB135_1118:
	s_andn2_b64 vcc, exec, s[10:11]
	s_cbranch_vccnz .LBB135_1120
; %bb.1119:
	s_waitcnt vmcnt(0)
	v_cndmask_b32_e64 v3, 0, 1.0, s[8:9]
	v_mov_b32_e32 v4, 0
	global_store_dwordx2 v[1:2], v[3:4], off
.LBB135_1120:
	s_mov_b64 s[10:11], 0
.LBB135_1121:
	s_andn2_b64 vcc, exec, s[10:11]
	s_cbranch_vccnz .LBB135_1123
; %bb.1122:
	v_cndmask_b32_e64 v0, 0, 1.0, s[8:9]
	v_cvt_f16_f32_e32 v0, v0
	global_store_dword v[1:2], v0, off
.LBB135_1123:
	s_mov_b64 s[10:11], 0
.LBB135_1124:
	s_andn2_b64 vcc, exec, s[10:11]
	s_cbranch_vccnz .LBB135_1133
; %bb.1125:
	s_sext_i32_i16 s12, s20
	s_cmp_lt_i32 s12, 6
	s_mov_b64 s[10:11], -1
	s_cbranch_scc1 .LBB135_1131
; %bb.1126:
	s_cmp_gt_i32 s12, 6
	s_cbranch_scc0 .LBB135_1128
; %bb.1127:
	v_cndmask_b32_e64 v0, 0, 1, s[8:9]
	s_waitcnt vmcnt(0)
	v_cvt_f64_u32_e32 v[3:4], v0
	s_mov_b64 s[10:11], 0
	global_store_dwordx2 v[1:2], v[3:4], off
.LBB135_1128:
	s_andn2_b64 vcc, exec, s[10:11]
	s_cbranch_vccnz .LBB135_1130
; %bb.1129:
	v_cndmask_b32_e64 v0, 0, 1.0, s[8:9]
	global_store_dword v[1:2], v0, off
.LBB135_1130:
	s_mov_b64 s[10:11], 0
.LBB135_1131:
	s_andn2_b64 vcc, exec, s[10:11]
	s_cbranch_vccnz .LBB135_1133
; %bb.1132:
	v_cndmask_b32_e64 v0, 0, 1.0, s[8:9]
	v_cvt_f16_f32_e32 v0, v0
	global_store_short v[1:2], v0, off
.LBB135_1133:
	s_mov_b64 s[10:11], 0
.LBB135_1134:
	s_andn2_b64 vcc, exec, s[10:11]
	s_cbranch_vccnz .LBB135_1150
; %bb.1135:
	s_sext_i32_i16 s12, s20
	s_cmp_lt_i32 s12, 2
	s_mov_b64 s[10:11], -1
	s_cbranch_scc1 .LBB135_1145
; %bb.1136:
	s_cmp_lt_i32 s12, 3
	s_cbranch_scc1 .LBB135_1142
; %bb.1137:
	s_cmp_gt_i32 s12, 3
	s_cbranch_scc0 .LBB135_1139
; %bb.1138:
	s_mov_b32 s10, 0
	s_waitcnt vmcnt(0)
	v_cndmask_b32_e64 v3, 0, 1, s[8:9]
	v_mov_b32_e32 v4, s10
	s_mov_b64 s[10:11], 0
	global_store_dwordx2 v[1:2], v[3:4], off
.LBB135_1139:
	s_andn2_b64 vcc, exec, s[10:11]
	s_cbranch_vccnz .LBB135_1141
; %bb.1140:
	v_cndmask_b32_e64 v0, 0, 1, s[8:9]
	global_store_dword v[1:2], v0, off
.LBB135_1141:
	s_mov_b64 s[10:11], 0
.LBB135_1142:
	s_andn2_b64 vcc, exec, s[10:11]
	s_cbranch_vccnz .LBB135_1144
; %bb.1143:
	v_cndmask_b32_e64 v0, 0, 1, s[8:9]
	global_store_short v[1:2], v0, off
.LBB135_1144:
	s_mov_b64 s[10:11], 0
.LBB135_1145:
	s_andn2_b64 vcc, exec, s[10:11]
	s_cbranch_vccnz .LBB135_1150
; %bb.1146:
	s_sext_i32_i16 s10, s20
	s_cmp_gt_i32 s10, 0
	s_mov_b64 s[10:11], -1
	s_cbranch_scc0 .LBB135_1148
; %bb.1147:
	v_cndmask_b32_e64 v0, 0, 1, s[8:9]
	s_mov_b64 s[10:11], 0
	global_store_byte v[1:2], v0, off
.LBB135_1148:
	s_andn2_b64 vcc, exec, s[10:11]
	s_cbranch_vccnz .LBB135_1150
; %bb.1149:
	v_cndmask_b32_e64 v0, 0, 1, s[8:9]
	global_store_byte v[1:2], v0, off
.LBB135_1150:
	s_or_b64 exec, exec, s[0:1]
	s_and_b64 s[28:29], s[2:3], exec
                                        ; implicit-def: $vgpr15
                                        ; implicit-def: $vgpr8
.LBB135_1151:
	s_or_saveexec_b64 s[30:31], s[42:43]
	s_mov_b64 s[0:1], 0
                                        ; implicit-def: $sgpr10_sgpr11
                                        ; implicit-def: $vgpr0_vgpr1
                                        ; implicit-def: $sgpr22
	s_xor_b64 exec, exec, s[30:31]
	s_cbranch_execz .LBB135_1773
; %bb.1152:
	v_cndmask_b32_e64 v0, 0, 1, s[40:41]
	v_cmp_ne_u32_e64 s[0:1], 1, v0
	s_andn2_b64 vcc, exec, s[40:41]
	s_cbranch_vccnz .LBB135_1158
; %bb.1153:
	s_cmp_lg_u32 s33, 0
	s_mov_b32 s36, 0
	s_cbranch_scc0 .LBB135_1159
; %bb.1154:
	s_min_u32 s37, s74, 15
	s_add_i32 s37, s37, 1
	s_cmp_eq_u32 s74, 2
	s_cbranch_scc1 .LBB135_1160
; %bb.1155:
	s_and_b32 s36, s37, 28
	s_add_u32 s2, s34, 0xc4
	s_addc_u32 s3, s35, 0
	v_mov_b32_e32 v13, 0
	s_mov_b32 s38, 0
	s_mov_b64 s[6:7], s[34:35]
	v_mov_b32_e32 v6, 0
	v_mov_b32_e32 v0, v8
.LBB135_1156:                           ; =>This Inner Loop Header: Depth=1
	s_load_dwordx8 s[16:23], s[6:7], 0x4
	s_load_dwordx4 s[24:27], s[6:7], 0x24
	s_load_dwordx8 s[8:15], s[2:3], 0x0
	s_add_u32 s6, s6, 48
	s_addc_u32 s7, s7, 0
	s_waitcnt lgkmcnt(0)
	v_mul_hi_u32 v1, s17, v0
	s_add_i32 s38, s38, 4
	s_add_u32 s2, s2, 32
	s_addc_u32 s3, s3, 0
	v_add_u32_e32 v1, v0, v1
	v_lshrrev_b32_e32 v1, s18, v1
	v_mul_lo_u32 v2, v1, s16
	s_waitcnt vmcnt(0)
	v_mul_hi_u32 v3, s20, v1
	s_cmp_lg_u32 s36, s38
	v_sub_u32_e32 v0, v0, v2
	v_add_u32_e32 v2, v1, v3
	v_mul_lo_u32 v3, v0, s8
	v_mul_lo_u32 v4, v0, s9
	v_lshrrev_b32_e32 v0, s21, v2
	v_mul_lo_u32 v2, v0, s19
	v_mul_hi_u32 v5, s23, v0
	v_sub_u32_e32 v1, v1, v2
	v_add_u32_e32 v2, v0, v5
	v_lshrrev_b32_e32 v2, s24, v2
	v_mul_hi_u32 v7, s26, v2
	v_mul_lo_u32 v9, v2, s22
	v_mul_lo_u32 v5, v1, s10
	;; [unrolled: 1-line block ×3, first 2 shown]
	v_sub_u32_e32 v9, v0, v9
	v_add_u32_e32 v0, v2, v7
	v_lshrrev_b32_e32 v0, s27, v0
	v_mul_lo_u32 v7, v0, s25
	v_mul_lo_u32 v10, v9, s12
	;; [unrolled: 1-line block ×3, first 2 shown]
	v_add3_u32 v3, v3, v6, v5
	v_sub_u32_e32 v2, v2, v7
	v_mul_lo_u32 v7, v2, s14
	v_mul_lo_u32 v2, v2, s15
	v_add3_u32 v1, v4, v13, v1
	v_add3_u32 v6, v10, v3, v7
	;; [unrolled: 1-line block ×3, first 2 shown]
	s_cbranch_scc1 .LBB135_1156
; %bb.1157:
	s_and_b32 s8, s37, 3
	s_cmp_eq_u32 s8, 0
	s_cbranch_scc0 .LBB135_1161
	s_branch .LBB135_1163
.LBB135_1158:
                                        ; implicit-def: $vgpr6
                                        ; implicit-def: $vgpr13
	s_branch .LBB135_1164
.LBB135_1159:
	v_mov_b32_e32 v6, 0
	v_mov_b32_e32 v13, 0
	s_branch .LBB135_1163
.LBB135_1160:
	v_mov_b32_e32 v6, 0
	v_mov_b32_e32 v13, 0
	;; [unrolled: 1-line block ×3, first 2 shown]
	s_and_b32 s8, s37, 3
	s_cmp_eq_u32 s8, 0
	s_cbranch_scc1 .LBB135_1163
.LBB135_1161:
	s_lshl_b32 s2, s36, 3
	s_add_u32 s2, s34, s2
	s_addc_u32 s3, s35, 0
	s_add_u32 s2, s2, 0xc4
	s_addc_u32 s3, s3, 0
	s_mul_i32 s6, s36, 12
	s_add_u32 s6, s34, s6
	s_addc_u32 s7, s35, 0
.LBB135_1162:                           ; =>This Inner Loop Header: Depth=1
	s_load_dwordx2 s[10:11], s[6:7], 0x4
	s_load_dword s9, s[6:7], 0xc
	s_load_dwordx2 s[12:13], s[2:3], 0x0
	s_add_u32 s6, s6, 12
	s_addc_u32 s7, s7, 0
	s_waitcnt lgkmcnt(0)
	v_mul_hi_u32 v1, s11, v0
	s_add_u32 s2, s2, 8
	s_addc_u32 s3, s3, 0
	s_add_i32 s8, s8, -1
	v_add_u32_e32 v1, v0, v1
	v_lshrrev_b32_e32 v1, s9, v1
	v_mul_lo_u32 v2, v1, s10
	s_cmp_lg_u32 s8, 0
	v_sub_u32_e32 v0, v0, v2
	v_mad_u64_u32 v[6:7], s[10:11], v0, s12, v[6:7]
	v_mad_u64_u32 v[13:14], s[10:11], v0, s13, v[13:14]
	v_mov_b32_e32 v0, v1
	s_cbranch_scc1 .LBB135_1162
.LBB135_1163:
	s_cbranch_execnz .LBB135_1166
.LBB135_1164:
	s_load_dwordx4 s[8:11], s[34:35], 0x4
	s_load_dwordx2 s[2:3], s[34:35], 0xc4
	s_cmp_lt_u32 s33, 2
	s_waitcnt lgkmcnt(0)
	v_mul_hi_u32 v0, s9, v8
	v_add_u32_e32 v0, v8, v0
	v_lshrrev_b32_e32 v0, s10, v0
	v_mul_lo_u32 v1, v0, s8
	v_sub_u32_e32 v1, v8, v1
	v_mul_lo_u32 v6, v1, s2
	v_mul_lo_u32 v13, v1, s3
	s_cbranch_scc1 .LBB135_1166
; %bb.1165:
	s_load_dwordx4 s[8:11], s[34:35], 0x10
	s_load_dwordx2 s[2:3], s[34:35], 0xcc
	s_waitcnt lgkmcnt(0)
	v_mul_hi_u32 v1, s9, v0
	v_add_u32_e32 v1, v0, v1
	v_lshrrev_b32_e32 v1, s10, v1
	v_mul_lo_u32 v1, v1, s8
	v_sub_u32_e32 v0, v0, v1
	v_mad_u64_u32 v[6:7], s[6:7], v0, s2, v[6:7]
	v_mad_u64_u32 v[13:14], s[2:3], v0, s3, v[13:14]
.LBB135_1166:
	s_and_b64 vcc, exec, s[0:1]
	v_add_u32_e32 v0, 0x80, v8
	s_cbranch_vccnz .LBB135_1172
; %bb.1167:
	s_cmp_lg_u32 s33, 0
	s_mov_b32 s36, 0
	s_cbranch_scc0 .LBB135_1173
; %bb.1168:
	s_min_u32 s37, s74, 15
	s_add_i32 s37, s37, 1
	s_cmp_eq_u32 s74, 2
	s_cbranch_scc1 .LBB135_1174
; %bb.1169:
	s_and_b32 s36, s37, 28
	s_add_u32 s2, s34, 0xc4
	s_addc_u32 s3, s35, 0
	v_mov_b32_e32 v11, 0
	s_mov_b32 s38, 0
	s_mov_b64 s[6:7], s[34:35]
	v_mov_b32_e32 v4, 0
	v_mov_b32_e32 v1, v0
.LBB135_1170:                           ; =>This Inner Loop Header: Depth=1
	s_load_dwordx8 s[16:23], s[6:7], 0x4
	s_load_dwordx4 s[24:27], s[6:7], 0x24
	s_load_dwordx8 s[8:15], s[2:3], 0x0
	s_add_u32 s6, s6, 48
	s_addc_u32 s7, s7, 0
	s_waitcnt lgkmcnt(0)
	v_mul_hi_u32 v2, s17, v1
	s_add_i32 s38, s38, 4
	s_add_u32 s2, s2, 32
	s_addc_u32 s3, s3, 0
	v_add_u32_e32 v2, v1, v2
	v_lshrrev_b32_e32 v2, s18, v2
	s_waitcnt vmcnt(0)
	v_mul_lo_u32 v3, v2, s16
	v_mul_hi_u32 v5, s20, v2
	s_cmp_lg_u32 s36, s38
	v_sub_u32_e32 v1, v1, v3
	v_add_u32_e32 v3, v2, v5
	v_mul_lo_u32 v5, v1, s8
	v_mul_lo_u32 v7, v1, s9
	v_lshrrev_b32_e32 v1, s21, v3
	v_mul_lo_u32 v3, v1, s19
	v_mul_hi_u32 v9, s23, v1
	v_sub_u32_e32 v2, v2, v3
	v_add_u32_e32 v3, v1, v9
	v_lshrrev_b32_e32 v3, s24, v3
	v_mul_hi_u32 v10, s26, v3
	v_mul_lo_u32 v12, v3, s22
	v_mul_lo_u32 v9, v2, s10
	;; [unrolled: 1-line block ×3, first 2 shown]
	v_sub_u32_e32 v12, v1, v12
	v_add_u32_e32 v1, v3, v10
	v_lshrrev_b32_e32 v1, s27, v1
	v_mul_lo_u32 v10, v1, s25
	v_mul_lo_u32 v14, v12, s12
	;; [unrolled: 1-line block ×3, first 2 shown]
	v_add3_u32 v4, v5, v4, v9
	v_sub_u32_e32 v3, v3, v10
	v_mul_lo_u32 v10, v3, s14
	v_mul_lo_u32 v3, v3, s15
	v_add3_u32 v2, v7, v11, v2
	v_add3_u32 v4, v14, v4, v10
	;; [unrolled: 1-line block ×3, first 2 shown]
	s_cbranch_scc1 .LBB135_1170
; %bb.1171:
	s_and_b32 s8, s37, 3
	s_cmp_eq_u32 s8, 0
	s_cbranch_scc0 .LBB135_1175
	s_branch .LBB135_1177
.LBB135_1172:
                                        ; implicit-def: $vgpr4
                                        ; implicit-def: $vgpr11
	s_branch .LBB135_1178
.LBB135_1173:
	v_mov_b32_e32 v4, 0
	v_mov_b32_e32 v11, 0
	s_branch .LBB135_1177
.LBB135_1174:
	v_mov_b32_e32 v4, 0
	v_mov_b32_e32 v11, 0
	;; [unrolled: 1-line block ×3, first 2 shown]
	s_and_b32 s8, s37, 3
	s_cmp_eq_u32 s8, 0
	s_cbranch_scc1 .LBB135_1177
.LBB135_1175:
	s_lshl_b32 s2, s36, 3
	s_add_u32 s2, s34, s2
	s_addc_u32 s3, s35, 0
	s_add_u32 s2, s2, 0xc4
	s_addc_u32 s3, s3, 0
	s_mul_i32 s6, s36, 12
	s_add_u32 s6, s34, s6
	s_addc_u32 s7, s35, 0
.LBB135_1176:                           ; =>This Inner Loop Header: Depth=1
	s_load_dwordx2 s[10:11], s[6:7], 0x4
	s_load_dword s9, s[6:7], 0xc
	s_load_dwordx2 s[12:13], s[2:3], 0x0
	s_add_u32 s6, s6, 12
	s_addc_u32 s7, s7, 0
	s_waitcnt lgkmcnt(0)
	v_mul_hi_u32 v2, s11, v1
	s_add_u32 s2, s2, 8
	s_addc_u32 s3, s3, 0
	s_add_i32 s8, s8, -1
	v_add_u32_e32 v2, v1, v2
	v_lshrrev_b32_e32 v2, s9, v2
	s_waitcnt vmcnt(0)
	v_mul_lo_u32 v3, v2, s10
	s_cmp_lg_u32 s8, 0
	v_sub_u32_e32 v1, v1, v3
	v_mad_u64_u32 v[4:5], s[10:11], v1, s12, v[4:5]
	v_mad_u64_u32 v[11:12], s[10:11], v1, s13, v[11:12]
	v_mov_b32_e32 v1, v2
	s_cbranch_scc1 .LBB135_1176
.LBB135_1177:
	s_cbranch_execnz .LBB135_1180
.LBB135_1178:
	s_load_dwordx4 s[8:11], s[34:35], 0x4
	s_load_dwordx2 s[2:3], s[34:35], 0xc4
	s_cmp_lt_u32 s33, 2
	s_waitcnt lgkmcnt(0)
	v_mul_hi_u32 v1, s9, v0
	v_add_u32_e32 v1, v0, v1
	v_lshrrev_b32_e32 v1, s10, v1
	v_mul_lo_u32 v2, v1, s8
	v_sub_u32_e32 v0, v0, v2
	v_mul_lo_u32 v4, v0, s2
	v_mul_lo_u32 v11, v0, s3
	s_cbranch_scc1 .LBB135_1180
; %bb.1179:
	s_load_dwordx4 s[8:11], s[34:35], 0x10
	s_load_dwordx2 s[2:3], s[34:35], 0xcc
	s_waitcnt lgkmcnt(0)
	v_mul_hi_u32 v0, s9, v1
	v_add_u32_e32 v0, v1, v0
	v_lshrrev_b32_e32 v0, s10, v0
	v_mul_lo_u32 v0, v0, s8
	v_sub_u32_e32 v0, v1, v0
	v_mad_u64_u32 v[4:5], s[6:7], v0, s2, v[4:5]
	v_mad_u64_u32 v[11:12], s[2:3], v0, s3, v[11:12]
.LBB135_1180:
	s_and_b64 vcc, exec, s[0:1]
	v_add_u32_e32 v0, 0x100, v8
	s_cbranch_vccnz .LBB135_1186
; %bb.1181:
	s_cmp_lg_u32 s33, 0
	s_mov_b32 s36, 0
	s_cbranch_scc0 .LBB135_1187
; %bb.1182:
	s_min_u32 s37, s74, 15
	s_add_i32 s37, s37, 1
	s_cmp_eq_u32 s74, 2
	s_cbranch_scc1 .LBB135_1188
; %bb.1183:
	s_and_b32 s36, s37, 28
	s_add_u32 s2, s34, 0xc4
	s_addc_u32 s3, s35, 0
	v_mov_b32_e32 v9, 0
	s_mov_b32 s38, 0
	s_mov_b64 s[6:7], s[34:35]
	v_mov_b32_e32 v2, 0
	v_mov_b32_e32 v1, v0
.LBB135_1184:                           ; =>This Inner Loop Header: Depth=1
	s_load_dwordx8 s[16:23], s[6:7], 0x4
	s_load_dwordx4 s[24:27], s[6:7], 0x24
	s_load_dwordx8 s[8:15], s[2:3], 0x0
	s_add_u32 s6, s6, 48
	s_addc_u32 s7, s7, 0
	s_waitcnt vmcnt(0) lgkmcnt(0)
	v_mul_hi_u32 v3, s17, v1
	s_add_i32 s38, s38, 4
	s_add_u32 s2, s2, 32
	s_addc_u32 s3, s3, 0
	v_add_u32_e32 v3, v1, v3
	v_lshrrev_b32_e32 v3, s18, v3
	v_mul_lo_u32 v5, v3, s16
	v_mul_hi_u32 v7, s20, v3
	s_cmp_lg_u32 s36, s38
	v_sub_u32_e32 v1, v1, v5
	v_add_u32_e32 v5, v3, v7
	v_mul_lo_u32 v7, v1, s8
	v_mul_lo_u32 v8, v1, s9
	v_lshrrev_b32_e32 v1, s21, v5
	v_mul_lo_u32 v5, v1, s19
	v_mul_hi_u32 v10, s23, v1
	v_sub_u32_e32 v3, v3, v5
	v_add_u32_e32 v5, v1, v10
	v_lshrrev_b32_e32 v5, s24, v5
	v_mul_hi_u32 v12, s26, v5
	v_mul_lo_u32 v14, v5, s22
	v_mul_lo_u32 v10, v3, s10
	;; [unrolled: 1-line block ×3, first 2 shown]
	v_sub_u32_e32 v14, v1, v14
	v_add_u32_e32 v1, v5, v12
	v_lshrrev_b32_e32 v1, s27, v1
	v_mul_lo_u32 v12, v1, s25
	v_mul_lo_u32 v16, v14, s12
	;; [unrolled: 1-line block ×3, first 2 shown]
	v_add3_u32 v2, v7, v2, v10
	v_sub_u32_e32 v5, v5, v12
	v_mul_lo_u32 v12, v5, s14
	v_mul_lo_u32 v5, v5, s15
	v_add3_u32 v3, v8, v9, v3
	v_add3_u32 v2, v16, v2, v12
	;; [unrolled: 1-line block ×3, first 2 shown]
	s_cbranch_scc1 .LBB135_1184
; %bb.1185:
	s_and_b32 s8, s37, 3
	s_cmp_eq_u32 s8, 0
	s_cbranch_scc0 .LBB135_1189
	s_branch .LBB135_1191
.LBB135_1186:
                                        ; implicit-def: $vgpr2
                                        ; implicit-def: $vgpr9
	s_branch .LBB135_1192
.LBB135_1187:
	v_mov_b32_e32 v2, 0
	v_mov_b32_e32 v9, 0
	s_branch .LBB135_1191
.LBB135_1188:
	v_mov_b32_e32 v2, 0
	v_mov_b32_e32 v9, 0
	;; [unrolled: 1-line block ×3, first 2 shown]
	s_and_b32 s8, s37, 3
	s_cmp_eq_u32 s8, 0
	s_cbranch_scc1 .LBB135_1191
.LBB135_1189:
	s_lshl_b32 s2, s36, 3
	s_add_u32 s2, s34, s2
	s_addc_u32 s3, s35, 0
	s_add_u32 s2, s2, 0xc4
	s_addc_u32 s3, s3, 0
	s_mul_i32 s6, s36, 12
	s_add_u32 s6, s34, s6
	s_addc_u32 s7, s35, 0
.LBB135_1190:                           ; =>This Inner Loop Header: Depth=1
	s_load_dwordx2 s[10:11], s[6:7], 0x4
	s_load_dword s9, s[6:7], 0xc
	s_load_dwordx2 s[12:13], s[2:3], 0x0
	s_add_u32 s6, s6, 12
	s_addc_u32 s7, s7, 0
	s_waitcnt vmcnt(0) lgkmcnt(0)
	v_mul_hi_u32 v3, s11, v1
	s_add_u32 s2, s2, 8
	s_addc_u32 s3, s3, 0
	s_add_i32 s8, s8, -1
	v_add_u32_e32 v3, v1, v3
	v_lshrrev_b32_e32 v5, s9, v3
	v_mul_lo_u32 v3, v5, s10
	s_cmp_lg_u32 s8, 0
	v_sub_u32_e32 v1, v1, v3
	v_mad_u64_u32 v[2:3], s[10:11], v1, s12, v[2:3]
	v_mad_u64_u32 v[9:10], s[10:11], v1, s13, v[9:10]
	v_mov_b32_e32 v1, v5
	s_cbranch_scc1 .LBB135_1190
.LBB135_1191:
	s_cbranch_execnz .LBB135_1194
.LBB135_1192:
	s_load_dwordx4 s[8:11], s[34:35], 0x4
	s_load_dwordx2 s[2:3], s[34:35], 0xc4
	s_cmp_lt_u32 s33, 2
	s_waitcnt lgkmcnt(0)
	v_mul_hi_u32 v1, s9, v0
	v_add_u32_e32 v1, v0, v1
	v_lshrrev_b32_e32 v1, s10, v1
	v_mul_lo_u32 v2, v1, s8
	v_sub_u32_e32 v0, v0, v2
	v_mul_lo_u32 v2, v0, s2
	v_mul_lo_u32 v9, v0, s3
	s_cbranch_scc1 .LBB135_1194
; %bb.1193:
	s_load_dwordx4 s[8:11], s[34:35], 0x10
	s_load_dwordx2 s[2:3], s[34:35], 0xcc
	s_waitcnt lgkmcnt(0)
	v_mul_hi_u32 v0, s9, v1
	v_add_u32_e32 v0, v1, v0
	v_lshrrev_b32_e32 v0, s10, v0
	v_mul_lo_u32 v0, v0, s8
	v_sub_u32_e32 v0, v1, v0
	s_waitcnt vmcnt(0)
	v_mad_u64_u32 v[2:3], s[6:7], v0, s2, v[2:3]
	v_mad_u64_u32 v[9:10], s[2:3], v0, s3, v[9:10]
.LBB135_1194:
	s_and_b64 vcc, exec, s[0:1]
	s_cbranch_vccnz .LBB135_1200
; %bb.1195:
	s_cmp_lg_u32 s33, 0
	s_mov_b32 s26, 0
	s_cbranch_scc0 .LBB135_1201
; %bb.1196:
	s_min_u32 s27, s74, 15
	s_add_i32 s27, s27, 1
	s_cmp_eq_u32 s74, 2
	s_cbranch_scc1 .LBB135_1202
; %bb.1197:
	s_and_b32 s26, s27, 28
	s_add_u32 s6, s34, 0xc4
	s_addc_u32 s7, s35, 0
	v_mov_b32_e32 v7, 0
	s_mov_b32 s36, 0
	s_mov_b64 s[24:25], s[34:35]
	v_mov_b32_e32 v0, 0
	v_mov_b32_e32 v1, v15
.LBB135_1198:                           ; =>This Inner Loop Header: Depth=1
	s_load_dwordx8 s[16:23], s[24:25], 0x4
	s_load_dwordx4 s[0:3], s[24:25], 0x24
	s_load_dwordx8 s[8:15], s[6:7], 0x0
	s_add_u32 s24, s24, 48
	s_addc_u32 s25, s25, 0
	s_waitcnt vmcnt(0) lgkmcnt(0)
	v_mul_hi_u32 v3, s17, v1
	s_add_i32 s36, s36, 4
	s_add_u32 s6, s6, 32
	s_addc_u32 s7, s7, 0
	v_add_u32_e32 v3, v1, v3
	v_lshrrev_b32_e32 v3, s18, v3
	v_mul_lo_u32 v5, v3, s16
	v_mul_hi_u32 v8, s20, v3
	s_cmp_lg_u32 s26, s36
	v_sub_u32_e32 v1, v1, v5
	v_add_u32_e32 v5, v3, v8
	v_mul_lo_u32 v8, v1, s8
	v_mul_lo_u32 v10, v1, s9
	v_lshrrev_b32_e32 v1, s21, v5
	v_mul_lo_u32 v5, v1, s19
	v_mul_hi_u32 v12, s23, v1
	v_sub_u32_e32 v3, v3, v5
	v_add_u32_e32 v5, v1, v12
	v_lshrrev_b32_e32 v5, s0, v5
	v_mul_hi_u32 v14, s2, v5
	v_mul_lo_u32 v16, v5, s22
	v_mul_lo_u32 v12, v3, s10
	v_mul_lo_u32 v3, v3, s11
	v_sub_u32_e32 v16, v1, v16
	v_add_u32_e32 v1, v5, v14
	v_lshrrev_b32_e32 v1, s3, v1
	v_mul_lo_u32 v14, v1, s1
	v_mul_lo_u32 v17, v16, s12
	;; [unrolled: 1-line block ×3, first 2 shown]
	v_add3_u32 v0, v8, v0, v12
	v_sub_u32_e32 v5, v5, v14
	v_mul_lo_u32 v14, v5, s14
	v_mul_lo_u32 v5, v5, s15
	v_add3_u32 v3, v10, v7, v3
	v_add3_u32 v0, v17, v0, v14
	;; [unrolled: 1-line block ×3, first 2 shown]
	s_cbranch_scc1 .LBB135_1198
; %bb.1199:
	s_and_b32 s6, s27, 3
	s_cmp_eq_u32 s6, 0
	s_cbranch_scc0 .LBB135_1203
	s_branch .LBB135_1205
.LBB135_1200:
                                        ; implicit-def: $vgpr0
                                        ; implicit-def: $vgpr7
	s_branch .LBB135_1206
.LBB135_1201:
	v_mov_b32_e32 v0, 0
	v_mov_b32_e32 v7, 0
	s_branch .LBB135_1205
.LBB135_1202:
	v_mov_b32_e32 v0, 0
	v_mov_b32_e32 v7, 0
	;; [unrolled: 1-line block ×3, first 2 shown]
	s_and_b32 s6, s27, 3
	s_cmp_eq_u32 s6, 0
	s_cbranch_scc1 .LBB135_1205
.LBB135_1203:
	s_lshl_b32 s0, s26, 3
	s_add_u32 s0, s34, s0
	s_addc_u32 s1, s35, 0
	s_add_u32 s0, s0, 0xc4
	s_addc_u32 s1, s1, 0
	s_mul_i32 s2, s26, 12
	s_add_u32 s2, s34, s2
	s_addc_u32 s3, s35, 0
.LBB135_1204:                           ; =>This Inner Loop Header: Depth=1
	s_load_dwordx2 s[8:9], s[2:3], 0x4
	s_load_dword s7, s[2:3], 0xc
	s_load_dwordx2 s[10:11], s[0:1], 0x0
	s_add_u32 s2, s2, 12
	s_addc_u32 s3, s3, 0
	s_waitcnt vmcnt(0) lgkmcnt(0)
	v_mul_hi_u32 v3, s9, v1
	s_add_u32 s0, s0, 8
	s_addc_u32 s1, s1, 0
	s_add_i32 s6, s6, -1
	v_add_u32_e32 v3, v1, v3
	v_lshrrev_b32_e32 v3, s7, v3
	v_mul_lo_u32 v5, v3, s8
	s_cmp_lg_u32 s6, 0
	v_sub_u32_e32 v5, v1, v5
	v_mad_u64_u32 v[0:1], s[8:9], v5, s10, v[0:1]
	v_mad_u64_u32 v[7:8], s[8:9], v5, s11, v[7:8]
	v_mov_b32_e32 v1, v3
	s_cbranch_scc1 .LBB135_1204
.LBB135_1205:
	s_cbranch_execnz .LBB135_1208
.LBB135_1206:
	s_load_dwordx4 s[0:3], s[34:35], 0x4
	s_load_dwordx2 s[6:7], s[34:35], 0xc4
	s_cmp_lt_u32 s33, 2
	s_waitcnt lgkmcnt(0)
	v_mul_hi_u32 v0, s1, v15
	v_add_u32_e32 v0, v15, v0
	v_lshrrev_b32_e32 v1, s2, v0
	v_mul_lo_u32 v0, v1, s0
	s_waitcnt vmcnt(0)
	v_sub_u32_e32 v3, v15, v0
	v_mul_lo_u32 v0, v3, s6
	v_mul_lo_u32 v7, v3, s7
	s_cbranch_scc1 .LBB135_1208
; %bb.1207:
	s_load_dwordx4 s[0:3], s[34:35], 0x10
	s_load_dwordx2 s[6:7], s[34:35], 0xcc
	s_waitcnt lgkmcnt(0)
	v_mul_hi_u32 v3, s1, v1
	v_add_u32_e32 v3, v1, v3
	v_lshrrev_b32_e32 v3, s2, v3
	v_mul_lo_u32 v3, v3, s0
	v_sub_u32_e32 v3, v1, v3
	v_mad_u64_u32 v[0:1], s[0:1], v3, s6, v[0:1]
	v_mad_u64_u32 v[7:8], s[0:1], v3, s7, v[7:8]
.LBB135_1208:
	s_load_dwordx4 s[8:11], s[34:35], 0x148
	s_load_dword s16, s[4:5], 0x168
	s_waitcnt lgkmcnt(0)
	v_mov_b32_e32 v1, s11
	s_bfe_u32 s14, s16, 0x80008
	v_add_co_u32_e32 v12, vcc, s10, v13
	s_cmp_lt_i32 s14, 11
	v_addc_co_u32_e32 v13, vcc, 0, v1, vcc
	s_cbranch_scc1 .LBB135_1215
; %bb.1209:
	s_and_b32 s15, 0xffff, s14
	s_cmp_gt_i32 s15, 25
	s_mov_b64 s[4:5], 0
	s_cbranch_scc0 .LBB135_1217
; %bb.1210:
	s_cmp_gt_i32 s15, 28
	s_cbranch_scc0 .LBB135_1218
; %bb.1211:
	s_cmp_gt_i32 s15, 43
	s_cbranch_scc0 .LBB135_1219
; %bb.1212:
	s_cmp_gt_i32 s15, 45
	s_cbranch_scc0 .LBB135_1220
; %bb.1213:
	s_cmp_eq_u32 s15, 46
	s_mov_b64 s[2:3], 0
	s_cbranch_scc0 .LBB135_1223
; %bb.1214:
	global_load_dword v1, v[12:13], off
	s_mov_b64 s[0:1], 0
	s_mov_b64 s[6:7], -1
	s_branch .LBB135_1224
.LBB135_1215:
	s_mov_b64 s[6:7], 0
                                        ; implicit-def: $vgpr1
	s_mov_b64 s[2:3], s[28:29]
	s_cbranch_execnz .LBB135_1286
.LBB135_1216:
	s_andn2_b64 vcc, exec, s[6:7]
	s_cbranch_vccz .LBB135_1331
	s_branch .LBB135_1770
.LBB135_1217:
	s_mov_b64 s[6:7], 0
	s_mov_b64 s[0:1], 0
                                        ; implicit-def: $vgpr1
	s_cbranch_execnz .LBB135_1251
	s_branch .LBB135_1282
.LBB135_1218:
	s_mov_b64 s[6:7], 0
	s_mov_b64 s[0:1], 0
                                        ; implicit-def: $vgpr1
	s_cbranch_execz .LBB135_1250
	s_branch .LBB135_1233
.LBB135_1219:
	s_mov_b64 s[6:7], 0
	s_mov_b64 s[0:1], 0
                                        ; implicit-def: $vgpr1
	s_cbranch_execnz .LBB135_1229
	s_branch .LBB135_1232
.LBB135_1220:
	s_mov_b64 s[2:3], -1
	s_mov_b64 s[6:7], 0
	s_mov_b64 s[0:1], 0
                                        ; implicit-def: $vgpr1
	s_branch .LBB135_1224
.LBB135_1221:
	s_andn2_saveexec_b64 s[16:17], s[16:17]
	s_cbranch_execz .LBB135_1063
.LBB135_1222:
	v_add_f32_e32 v0, 0x46000000, v3
	v_and_b32_e32 v0, 0xff, v0
	v_cmp_ne_u32_e32 vcc, 0, v0
	s_andn2_b64 s[14:15], s[14:15], exec
	s_and_b64 s[18:19], vcc, exec
	s_or_b64 s[14:15], s[14:15], s[18:19]
	s_or_b64 exec, exec, s[16:17]
	v_mov_b32_e32 v4, 0
	s_and_saveexec_b64 s[16:17], s[14:15]
	s_cbranch_execnz .LBB135_1064
	s_branch .LBB135_1065
.LBB135_1223:
	s_mov_b64 s[0:1], -1
                                        ; implicit-def: $vgpr1
	s_mov_b64 s[6:7], 0
.LBB135_1224:
	s_and_b64 vcc, exec, s[2:3]
	s_cbranch_vccz .LBB135_1227
; %bb.1225:
	s_cmp_eq_u32 s15, 44
	s_cbranch_scc0 .LBB135_1228
; %bb.1226:
	global_load_ubyte v1, v[12:13], off
	s_movk_i32 s2, 0xff
	s_waitcnt vmcnt(1)
	v_mov_b32_e32 v3, 0x7f800001
	v_mov_b32_e32 v5, 0x400000
	;; [unrolled: 1-line block ×3, first 2 shown]
	s_mov_b64 s[0:1], 0
	s_mov_b64 s[6:7], -1
	s_waitcnt vmcnt(0)
	v_lshlrev_b32_e32 v10, 23, v1
	v_cmp_ne_u32_e32 vcc, s2, v1
	v_cndmask_b32_e32 v3, v3, v10, vcc
	v_cmp_ne_u32_e32 vcc, 0, v1
	v_cndmask_b32_e32 v1, v5, v3, vcc
	v_add_u32_e32 v3, 0x7fff, v1
	v_cmp_o_f32_e32 vcc, v1, v1
	v_cndmask_b32_sdwa v1, v8, v3, vcc dst_sel:DWORD dst_unused:UNUSED_PAD src0_sel:DWORD src1_sel:WORD_1
.LBB135_1227:
	s_branch .LBB135_1232
.LBB135_1228:
	s_mov_b64 s[0:1], -1
                                        ; implicit-def: $vgpr1
	s_branch .LBB135_1232
.LBB135_1229:
	s_cmp_eq_u32 s15, 29
	s_cbranch_scc0 .LBB135_1231
; %bb.1230:
	global_load_dwordx2 v[14:15], v[12:13], off
	s_movk_i32 s2, 0x7fff
	s_mov_b64 s[0:1], 0
	s_mov_b64 s[6:7], -1
	s_waitcnt vmcnt(0)
	v_ffbh_u32_e32 v1, v15
	v_min_u32_e32 v1, 32, v1
	v_lshlrev_b64 v[14:15], v1, v[14:15]
	v_sub_u32_e32 v1, 32, v1
	v_min_u32_e32 v3, 1, v14
	v_or_b32_e32 v3, v15, v3
	v_cvt_f32_u32_e32 v3, v3
	v_ldexp_f32 v1, v3, v1
	v_bfe_u32 v3, v1, 16, 1
	v_add3_u32 v1, v1, v3, s2
	v_lshrrev_b32_e32 v1, 16, v1
	s_branch .LBB135_1232
.LBB135_1231:
	s_mov_b64 s[0:1], -1
                                        ; implicit-def: $vgpr1
.LBB135_1232:
	s_branch .LBB135_1250
.LBB135_1233:
	s_cmp_lt_i32 s15, 27
	s_cbranch_scc1 .LBB135_1236
; %bb.1234:
	s_cmp_gt_i32 s15, 27
	s_cbranch_scc0 .LBB135_1237
; %bb.1235:
	global_load_dword v1, v[12:13], off
	s_movk_i32 s2, 0x7fff
	s_waitcnt vmcnt(0)
	v_cvt_f32_u32_e32 v1, v1
	v_bfe_u32 v3, v1, 16, 1
	v_add3_u32 v1, v1, v3, s2
	v_lshrrev_b32_e32 v1, 16, v1
	s_mov_b64 s[2:3], 0
	s_branch .LBB135_1238
.LBB135_1236:
	s_mov_b64 s[2:3], -1
                                        ; implicit-def: $vgpr1
	s_branch .LBB135_1241
.LBB135_1237:
	s_mov_b64 s[2:3], -1
                                        ; implicit-def: $vgpr1
.LBB135_1238:
	s_andn2_b64 vcc, exec, s[2:3]
	s_cbranch_vccnz .LBB135_1240
; %bb.1239:
	global_load_ushort v1, v[12:13], off
	s_movk_i32 s2, 0x7fff
	s_waitcnt vmcnt(0)
	v_cvt_f32_u32_e32 v1, v1
	v_bfe_u32 v3, v1, 16, 1
	v_add3_u32 v1, v1, v3, s2
	v_lshrrev_b32_e32 v1, 16, v1
.LBB135_1240:
	s_mov_b64 s[2:3], 0
.LBB135_1241:
	s_andn2_b64 vcc, exec, s[2:3]
	s_cbranch_vccnz .LBB135_1249
; %bb.1242:
	global_load_ubyte v1, v[12:13], off
	s_movk_i32 s2, 0x7f
	s_waitcnt vmcnt(0)
	v_cmp_lt_i16_e32 vcc, s2, v1
	s_mov_b64 s[2:3], 0
	s_and_saveexec_b64 s[6:7], vcc
	s_xor_b64 s[6:7], exec, s[6:7]
	s_cbranch_execz .LBB135_1262
; %bb.1243:
	s_movk_i32 s2, 0x80
	v_cmp_eq_u16_e32 vcc, s2, v1
	s_mov_b64 s[2:3], -1
	s_and_saveexec_b64 s[12:13], vcc
; %bb.1244:
	s_xor_b64 s[2:3], exec, -1
; %bb.1245:
	s_or_b64 exec, exec, s[12:13]
	s_and_b64 s[2:3], s[2:3], exec
	s_or_saveexec_b64 s[6:7], s[6:7]
	v_mov_b32_e32 v3, 0x7f800001
	s_xor_b64 exec, exec, s[6:7]
	s_cbranch_execnz .LBB135_1263
.LBB135_1246:
	s_or_b64 exec, exec, s[6:7]
	s_and_saveexec_b64 s[6:7], s[2:3]
	s_cbranch_execz .LBB135_1248
.LBB135_1247:
	v_lshlrev_b32_e32 v3, 24, v1
	v_and_b32_e32 v1, 0xffff, v1
	v_and_b32_e32 v5, 7, v1
	v_ffbh_u32_e32 v10, v5
	v_min_u32_e32 v10, 32, v10
	v_subrev_u32_e32 v14, 28, v10
	v_bfe_u32 v8, v1, 3, 4
	v_lshlrev_b32_e32 v1, v14, v1
	v_sub_u32_e32 v10, 29, v10
	v_and_b32_e32 v1, 7, v1
	v_cmp_eq_u32_e32 vcc, 0, v8
	v_cndmask_b32_e32 v8, v8, v10, vcc
	v_cndmask_b32_e32 v1, v5, v1, vcc
	v_mov_b32_e32 v5, 0x3b800000
	v_lshlrev_b32_e32 v1, 20, v1
	v_and_b32_e32 v3, 0x80000000, v3
	v_lshl_add_u32 v5, v8, 23, v5
	v_or3_b32 v3, v3, v5, v1
.LBB135_1248:
	s_or_b64 exec, exec, s[6:7]
	v_bfe_u32 v1, v3, 16, 1
	s_movk_i32 s2, 0x7fff
	v_add3_u32 v1, v3, v1, s2
	v_cmp_o_f32_e32 vcc, v3, v3
	v_mov_b32_e32 v3, 0x7fc0
	v_cndmask_b32_sdwa v1, v3, v1, vcc dst_sel:DWORD dst_unused:UNUSED_PAD src0_sel:DWORD src1_sel:WORD_1
.LBB135_1249:
	s_mov_b64 s[6:7], -1
.LBB135_1250:
	s_branch .LBB135_1282
.LBB135_1251:
	s_cmp_gt_i32 s15, 22
	s_cbranch_scc0 .LBB135_1261
; %bb.1252:
	s_cmp_lt_i32 s15, 24
	s_cbranch_scc1 .LBB135_1264
; %bb.1253:
	s_cmp_gt_i32 s15, 24
	s_cbranch_scc0 .LBB135_1265
; %bb.1254:
	global_load_ubyte v1, v[12:13], off
	s_movk_i32 s2, 0x7f
	s_waitcnt vmcnt(0)
	v_cmp_lt_i16_e32 vcc, s2, v1
	s_mov_b64 s[2:3], 0
	s_and_saveexec_b64 s[4:5], vcc
	s_xor_b64 s[4:5], exec, s[4:5]
	s_cbranch_execz .LBB135_1276
; %bb.1255:
	s_movk_i32 s2, 0x80
	v_cmp_eq_u16_e32 vcc, s2, v1
	s_mov_b64 s[2:3], -1
	s_and_saveexec_b64 s[6:7], vcc
; %bb.1256:
	s_xor_b64 s[2:3], exec, -1
; %bb.1257:
	s_or_b64 exec, exec, s[6:7]
	s_and_b64 s[2:3], s[2:3], exec
	s_or_saveexec_b64 s[4:5], s[4:5]
	v_mov_b32_e32 v3, 0x7f800001
	s_xor_b64 exec, exec, s[4:5]
	s_cbranch_execnz .LBB135_1277
.LBB135_1258:
	s_or_b64 exec, exec, s[4:5]
	s_and_saveexec_b64 s[4:5], s[2:3]
	s_cbranch_execz .LBB135_1260
.LBB135_1259:
	v_lshlrev_b32_e32 v3, 24, v1
	v_and_b32_e32 v1, 0xffff, v1
	v_and_b32_e32 v5, 3, v1
	v_ffbh_u32_e32 v10, v5
	v_min_u32_e32 v10, 32, v10
	v_subrev_u32_e32 v14, 29, v10
	v_bfe_u32 v8, v1, 2, 5
	v_lshlrev_b32_e32 v1, v14, v1
	v_sub_u32_e32 v10, 30, v10
	v_and_b32_e32 v1, 3, v1
	v_cmp_eq_u32_e32 vcc, 0, v8
	v_cndmask_b32_e32 v8, v8, v10, vcc
	v_cndmask_b32_e32 v1, v5, v1, vcc
	v_mov_b32_e32 v5, 0x37800000
	v_lshlrev_b32_e32 v1, 21, v1
	v_and_b32_e32 v3, 0x80000000, v3
	v_lshl_add_u32 v5, v8, 23, v5
	v_or3_b32 v3, v3, v5, v1
.LBB135_1260:
	s_or_b64 exec, exec, s[4:5]
	v_bfe_u32 v1, v3, 16, 1
	s_movk_i32 s2, 0x7fff
	v_add3_u32 v1, v3, v1, s2
	v_cmp_o_f32_e32 vcc, v3, v3
	v_mov_b32_e32 v3, 0x7fc0
	v_cndmask_b32_sdwa v1, v3, v1, vcc dst_sel:DWORD dst_unused:UNUSED_PAD src0_sel:DWORD src1_sel:WORD_1
	s_mov_b64 s[2:3], 0
	s_branch .LBB135_1266
.LBB135_1261:
                                        ; implicit-def: $vgpr1
	s_mov_b64 s[4:5], 0
	s_branch .LBB135_1272
.LBB135_1262:
	s_or_saveexec_b64 s[6:7], s[6:7]
	v_mov_b32_e32 v3, 0x7f800001
	s_xor_b64 exec, exec, s[6:7]
	s_cbranch_execz .LBB135_1246
.LBB135_1263:
	v_cmp_ne_u16_e32 vcc, 0, v1
	s_andn2_b64 s[2:3], s[2:3], exec
	s_and_b64 s[12:13], vcc, exec
	v_mov_b32_e32 v3, 0
	s_or_b64 s[2:3], s[2:3], s[12:13]
	s_or_b64 exec, exec, s[6:7]
	s_and_saveexec_b64 s[6:7], s[2:3]
	s_cbranch_execnz .LBB135_1247
	s_branch .LBB135_1248
.LBB135_1264:
	s_mov_b64 s[2:3], -1
                                        ; implicit-def: $vgpr1
	s_branch .LBB135_1269
.LBB135_1265:
	s_mov_b64 s[2:3], -1
                                        ; implicit-def: $vgpr1
.LBB135_1266:
	s_and_b64 vcc, exec, s[2:3]
	s_cbranch_vccz .LBB135_1268
; %bb.1267:
	global_load_ubyte v1, v[12:13], off
	s_mov_b32 s2, 0x7f800000
	s_brev_b32 s3, 1
	s_movk_i32 s4, 0x7fff
	s_waitcnt vmcnt(0)
	v_lshlrev_b32_e32 v1, 24, v1
	v_and_b32_e32 v3, 0x7f000000, v1
	v_ffbh_u32_e32 v5, v3
	v_min_u32_e32 v5, 32, v5
	v_sub_u32_e64 v5, v5, 4 clamp
	v_lshlrev_b32_e32 v10, v5, v3
	v_lshlrev_b32_e32 v5, 23, v5
	v_lshrrev_b32_e32 v10, 4, v10
	v_add_u32_e32 v8, 0x1000000, v3
	v_sub_u32_e32 v5, v10, v5
	v_ashrrev_i32_e32 v8, 8, v8
	v_add_u32_e32 v5, 0x3c000000, v5
	v_and_or_b32 v5, v8, s2, v5
	v_cmp_ne_u32_e32 vcc, 0, v3
	v_cndmask_b32_e32 v3, 0, v5, vcc
	v_and_or_b32 v1, v1, s3, v3
	v_bfe_u32 v3, v3, 16, 1
	v_add3_u32 v3, v1, v3, s4
	v_cmp_o_f32_e32 vcc, v1, v1
	v_mov_b32_e32 v1, 0x7fc0
	v_cndmask_b32_sdwa v1, v1, v3, vcc dst_sel:DWORD dst_unused:UNUSED_PAD src0_sel:DWORD src1_sel:WORD_1
.LBB135_1268:
	s_mov_b64 s[2:3], 0
.LBB135_1269:
	s_andn2_b64 vcc, exec, s[2:3]
	s_cbranch_vccnz .LBB135_1271
; %bb.1270:
	global_load_ubyte v1, v[12:13], off
	s_movk_i32 s2, 0x7f00
	s_brev_b32 s3, 16
	s_brev_b32 s4, 1
	s_movk_i32 s5, 0x7fff
	s_waitcnt vmcnt(0)
	v_lshlrev_b16_e32 v3, 8, v1
	v_lshlrev_b32_e32 v1, 25, v1
	v_lshrrev_b32_e32 v5, 4, v1
	v_and_or_b32 v8, v3, s2, 0.5
	v_or_b32_e32 v5, 0x70000000, v5
	v_add_f32_e32 v8, -0.5, v8
	v_mul_f32_e32 v5, 0x7800000, v5
	v_cmp_gt_u32_e32 vcc, s3, v1
	v_bfe_i32 v3, v3, 0, 16
	v_cndmask_b32_e32 v1, v5, v8, vcc
	v_and_or_b32 v3, v3, s4, v1
	v_bfe_u32 v1, v1, 16, 1
	v_add3_u32 v1, v3, v1, s5
	v_cmp_o_f32_e32 vcc, v3, v3
	v_mov_b32_e32 v3, 0x7fc0
	v_cndmask_b32_sdwa v1, v3, v1, vcc dst_sel:DWORD dst_unused:UNUSED_PAD src0_sel:DWORD src1_sel:WORD_1
.LBB135_1271:
	s_mov_b64 s[6:7], -1
	s_mov_b64 s[4:5], 0
	s_cbranch_execnz .LBB135_1282
.LBB135_1272:
	s_cmp_gt_i32 s15, 14
	s_cbranch_scc0 .LBB135_1275
; %bb.1273:
	s_cmp_eq_u32 s15, 15
	s_cbranch_scc0 .LBB135_1278
; %bb.1274:
	global_load_ushort v1, v[12:13], off
	s_mov_b64 s[0:1], 0
	s_mov_b64 s[6:7], -1
	s_branch .LBB135_1279
.LBB135_1275:
	s_mov_b64 s[2:3], -1
                                        ; implicit-def: $vgpr1
	s_branch .LBB135_1280
.LBB135_1276:
	s_or_saveexec_b64 s[4:5], s[4:5]
	v_mov_b32_e32 v3, 0x7f800001
	s_xor_b64 exec, exec, s[4:5]
	s_cbranch_execz .LBB135_1258
.LBB135_1277:
	v_cmp_ne_u16_e32 vcc, 0, v1
	s_andn2_b64 s[2:3], s[2:3], exec
	s_and_b64 s[6:7], vcc, exec
	v_mov_b32_e32 v3, 0
	s_or_b64 s[2:3], s[2:3], s[6:7]
	s_or_b64 exec, exec, s[4:5]
	s_and_saveexec_b64 s[4:5], s[2:3]
	s_cbranch_execnz .LBB135_1259
	s_branch .LBB135_1260
.LBB135_1278:
	s_mov_b64 s[0:1], -1
                                        ; implicit-def: $vgpr1
.LBB135_1279:
	s_mov_b64 s[2:3], 0
.LBB135_1280:
	s_and_b64 vcc, exec, s[2:3]
	s_cbranch_vccz .LBB135_1282
; %bb.1281:
	s_cmp_lg_u32 s15, 11
	s_mov_b64 s[4:5], -1
	s_cselect_b64 s[0:1], -1, 0
.LBB135_1282:
	s_and_b64 vcc, exec, s[0:1]
	s_mov_b64 s[2:3], s[28:29]
	s_cbranch_vccnz .LBB135_1358
; %bb.1283:
	s_andn2_b64 vcc, exec, s[4:5]
	s_cbranch_vccnz .LBB135_1285
.LBB135_1284:
	global_load_ubyte v1, v[12:13], off
	s_mov_b64 s[6:7], -1
	s_waitcnt vmcnt(0)
	v_cmp_ne_u16_e32 vcc, 0, v1
	v_cndmask_b32_e64 v1, 0, 1.0, vcc
	v_lshrrev_b32_e32 v1, 16, v1
.LBB135_1285:
	s_branch .LBB135_1216
.LBB135_1286:
	s_and_b32 s4, 0xffff, s14
	s_cmp_lt_i32 s4, 5
	s_cbranch_scc1 .LBB135_1291
; %bb.1287:
	s_cmp_lt_i32 s4, 8
	s_cbranch_scc1 .LBB135_1292
; %bb.1288:
	;; [unrolled: 3-line block ×3, first 2 shown]
	s_cmp_gt_i32 s4, 9
	s_cbranch_scc0 .LBB135_1294
; %bb.1290:
	global_load_dwordx2 v[14:15], v[12:13], off
	s_movk_i32 s0, 0x7fff
	s_waitcnt vmcnt(1)
	v_mov_b32_e32 v3, 0x7fc0
	s_waitcnt vmcnt(0)
	v_cvt_f32_f64_e32 v1, v[14:15]
	v_bfe_u32 v5, v1, 16, 1
	v_cmp_o_f32_e32 vcc, v1, v1
	v_add3_u32 v1, v1, v5, s0
	v_cndmask_b32_sdwa v1, v3, v1, vcc dst_sel:DWORD dst_unused:UNUSED_PAD src0_sel:DWORD src1_sel:WORD_1
	s_mov_b64 s[0:1], 0
	s_branch .LBB135_1295
.LBB135_1291:
                                        ; implicit-def: $vgpr1
	s_branch .LBB135_1312
.LBB135_1292:
                                        ; implicit-def: $vgpr1
	s_branch .LBB135_1301
.LBB135_1293:
	s_mov_b64 s[0:1], -1
                                        ; implicit-def: $vgpr1
	s_branch .LBB135_1298
.LBB135_1294:
	s_mov_b64 s[0:1], -1
                                        ; implicit-def: $vgpr1
.LBB135_1295:
	s_andn2_b64 vcc, exec, s[0:1]
	s_cbranch_vccnz .LBB135_1297
; %bb.1296:
	global_load_dword v1, v[12:13], off
	s_movk_i32 s0, 0x7fff
	s_waitcnt vmcnt(1)
	v_mov_b32_e32 v3, 0x7fc0
	s_waitcnt vmcnt(0)
	v_bfe_u32 v5, v1, 16, 1
	v_cmp_o_f32_e32 vcc, v1, v1
	v_add3_u32 v1, v1, v5, s0
	v_cndmask_b32_sdwa v1, v3, v1, vcc dst_sel:DWORD dst_unused:UNUSED_PAD src0_sel:DWORD src1_sel:WORD_1
.LBB135_1297:
	s_mov_b64 s[0:1], 0
.LBB135_1298:
	s_andn2_b64 vcc, exec, s[0:1]
	s_cbranch_vccnz .LBB135_1300
; %bb.1299:
	global_load_dword v1, v[12:13], off
	s_movk_i32 s0, 0x7fff
	v_mov_b32_e32 v5, 0x7fc0
	s_waitcnt vmcnt(0)
	v_cvt_f32_f16_e32 v3, v1
	v_cmp_o_f16_e32 vcc, v1, v1
	v_bfe_u32 v1, v3, 16, 1
	v_add3_u32 v1, v3, v1, s0
	v_cndmask_b32_sdwa v1, v5, v1, vcc dst_sel:DWORD dst_unused:UNUSED_PAD src0_sel:DWORD src1_sel:WORD_1
.LBB135_1300:
	s_cbranch_execnz .LBB135_1311
.LBB135_1301:
	s_cmp_lt_i32 s4, 6
	s_cbranch_scc1 .LBB135_1304
; %bb.1302:
	s_cmp_gt_i32 s4, 6
	s_cbranch_scc0 .LBB135_1305
; %bb.1303:
	global_load_dwordx2 v[14:15], v[12:13], off
	s_movk_i32 s0, 0x7fff
	s_waitcnt vmcnt(1)
	v_mov_b32_e32 v3, 0x7fc0
	s_waitcnt vmcnt(0)
	v_cvt_f32_f64_e32 v1, v[14:15]
	v_bfe_u32 v5, v1, 16, 1
	v_cmp_o_f32_e32 vcc, v1, v1
	v_add3_u32 v1, v1, v5, s0
	v_cndmask_b32_sdwa v1, v3, v1, vcc dst_sel:DWORD dst_unused:UNUSED_PAD src0_sel:DWORD src1_sel:WORD_1
	s_mov_b64 s[0:1], 0
	s_branch .LBB135_1306
.LBB135_1304:
	s_mov_b64 s[0:1], -1
                                        ; implicit-def: $vgpr1
	s_branch .LBB135_1309
.LBB135_1305:
	s_mov_b64 s[0:1], -1
                                        ; implicit-def: $vgpr1
.LBB135_1306:
	s_andn2_b64 vcc, exec, s[0:1]
	s_cbranch_vccnz .LBB135_1308
; %bb.1307:
	global_load_dword v1, v[12:13], off
	s_movk_i32 s0, 0x7fff
	s_waitcnt vmcnt(1)
	v_mov_b32_e32 v3, 0x7fc0
	s_waitcnt vmcnt(0)
	v_bfe_u32 v5, v1, 16, 1
	v_cmp_o_f32_e32 vcc, v1, v1
	v_add3_u32 v1, v1, v5, s0
	v_cndmask_b32_sdwa v1, v3, v1, vcc dst_sel:DWORD dst_unused:UNUSED_PAD src0_sel:DWORD src1_sel:WORD_1
.LBB135_1308:
	s_mov_b64 s[0:1], 0
.LBB135_1309:
	s_andn2_b64 vcc, exec, s[0:1]
	s_cbranch_vccnz .LBB135_1311
; %bb.1310:
	global_load_ushort v1, v[12:13], off
	s_movk_i32 s0, 0x7fff
	v_mov_b32_e32 v5, 0x7fc0
	s_waitcnt vmcnt(0)
	v_cvt_f32_f16_e32 v3, v1
	v_cmp_o_f16_e32 vcc, v1, v1
	v_bfe_u32 v1, v3, 16, 1
	v_add3_u32 v1, v3, v1, s0
	v_cndmask_b32_sdwa v1, v5, v1, vcc dst_sel:DWORD dst_unused:UNUSED_PAD src0_sel:DWORD src1_sel:WORD_1
.LBB135_1311:
	s_cbranch_execnz .LBB135_1330
.LBB135_1312:
	s_cmp_lt_i32 s4, 2
	s_cbranch_scc1 .LBB135_1316
; %bb.1313:
	s_cmp_lt_i32 s4, 3
	s_cbranch_scc1 .LBB135_1317
; %bb.1314:
	s_cmp_gt_i32 s4, 3
	s_cbranch_scc0 .LBB135_1318
; %bb.1315:
	global_load_dwordx2 v[14:15], v[12:13], off
	s_movk_i32 s0, 0x7fff
	s_waitcnt vmcnt(0)
	v_xor_b32_e32 v3, v14, v15
	v_ffbh_i32_e32 v1, v15
	v_ashrrev_i32_e32 v3, 31, v3
	v_add_u32_e32 v1, -1, v1
	v_add_u32_e32 v3, 32, v3
	v_min_u32_e32 v1, v1, v3
	v_lshlrev_b64 v[14:15], v1, v[14:15]
	v_sub_u32_e32 v1, 32, v1
	v_min_u32_e32 v3, 1, v14
	v_or_b32_e32 v3, v15, v3
	v_cvt_f32_i32_e32 v3, v3
	v_ldexp_f32 v1, v3, v1
	v_bfe_u32 v3, v1, 16, 1
	v_add3_u32 v1, v1, v3, s0
	v_lshrrev_b32_e32 v1, 16, v1
	s_mov_b64 s[0:1], 0
	s_branch .LBB135_1319
.LBB135_1316:
                                        ; implicit-def: $vgpr1
	s_branch .LBB135_1325
.LBB135_1317:
	s_mov_b64 s[0:1], -1
                                        ; implicit-def: $vgpr1
	s_branch .LBB135_1322
.LBB135_1318:
	s_mov_b64 s[0:1], -1
                                        ; implicit-def: $vgpr1
.LBB135_1319:
	s_andn2_b64 vcc, exec, s[0:1]
	s_cbranch_vccnz .LBB135_1321
; %bb.1320:
	global_load_dword v1, v[12:13], off
	s_movk_i32 s0, 0x7fff
	s_waitcnt vmcnt(0)
	v_cvt_f32_i32_e32 v1, v1
	v_bfe_u32 v3, v1, 16, 1
	v_add3_u32 v1, v1, v3, s0
	v_lshrrev_b32_e32 v1, 16, v1
.LBB135_1321:
	s_mov_b64 s[0:1], 0
.LBB135_1322:
	s_andn2_b64 vcc, exec, s[0:1]
	s_cbranch_vccnz .LBB135_1324
; %bb.1323:
	global_load_sshort v1, v[12:13], off
	s_movk_i32 s0, 0x7fff
	s_waitcnt vmcnt(0)
	v_cvt_f32_i32_e32 v1, v1
	v_bfe_u32 v3, v1, 16, 1
	v_add3_u32 v1, v1, v3, s0
	v_lshrrev_b32_e32 v1, 16, v1
.LBB135_1324:
	s_cbranch_execnz .LBB135_1330
.LBB135_1325:
	s_cmp_gt_i32 s4, 0
	s_cbranch_scc0 .LBB135_1327
; %bb.1326:
	global_load_sbyte v1, v[12:13], off
	s_movk_i32 s0, 0x7fff
	s_waitcnt vmcnt(0)
	v_cvt_f32_i32_e32 v1, v1
	v_bfe_u32 v3, v1, 16, 1
	v_add3_u32 v1, v1, v3, s0
	v_lshrrev_b32_e32 v1, 16, v1
	s_mov_b64 s[0:1], 0
	s_branch .LBB135_1328
.LBB135_1327:
	s_mov_b64 s[0:1], -1
                                        ; implicit-def: $vgpr1
.LBB135_1328:
	s_andn2_b64 vcc, exec, s[0:1]
	s_cbranch_vccnz .LBB135_1330
; %bb.1329:
	global_load_ubyte v1, v[12:13], off
	s_movk_i32 s0, 0x7fff
	s_waitcnt vmcnt(0)
	v_cvt_f32_ubyte0_e32 v1, v1
	v_bfe_u32 v3, v1, 16, 1
	v_add3_u32 v1, v1, v3, s0
	v_lshrrev_b32_e32 v1, 16, v1
.LBB135_1330:
.LBB135_1331:
	s_load_dwordx2 s[0:1], s[34:35], 0x158
	s_waitcnt vmcnt(0)
	v_lshlrev_b32_e32 v1, 16, v1
	s_mov_b64 s[6:7], 0
	s_waitcnt lgkmcnt(0)
	s_lshl_b32 s1, s1, 16
	s_cmp_lt_i32 s0, 1
	s_cbranch_scc1 .LBB135_1335
; %bb.1332:
	s_cmp_gt_i32 s0, 1
	s_cbranch_scc0 .LBB135_1336
; %bb.1333:
	s_cmp_eq_u32 s0, 2
	s_cbranch_scc0 .LBB135_1337
; %bb.1334:
	v_cmp_ge_f32_e64 s[4:5], s1, v1
	s_mov_b64 s[12:13], 0
	s_branch .LBB135_1338
.LBB135_1335:
                                        ; implicit-def: $sgpr4_sgpr5
	s_mov_b64 s[12:13], 0
	s_cbranch_execnz .LBB135_1341
	s_branch .LBB135_1342
.LBB135_1336:
	s_mov_b64 s[12:13], 0
                                        ; implicit-def: $sgpr4_sgpr5
	s_cbranch_execnz .LBB135_1339
	s_branch .LBB135_1340
.LBB135_1337:
	s_mov_b64 s[12:13], -1
                                        ; implicit-def: $sgpr4_sgpr5
.LBB135_1338:
	s_branch .LBB135_1340
.LBB135_1339:
	v_cmp_lt_f32_e32 vcc, s1, v1
	s_andn2_b64 s[4:5], s[4:5], exec
	s_and_b64 s[14:15], vcc, exec
	s_or_b64 s[4:5], s[4:5], s[14:15]
.LBB135_1340:
	s_branch .LBB135_1342
.LBB135_1341:
	s_cmp_lg_u32 s0, 0
	s_mov_b64 s[6:7], -1
	s_cselect_b64 s[12:13], -1, 0
.LBB135_1342:
	s_andn2_b64 vcc, exec, s[12:13]
	s_cbranch_vccnz .LBB135_1344
; %bb.1343:
	v_cmp_gt_f32_e32 vcc, s1, v1
	s_andn2_b64 s[4:5], s[4:5], exec
	s_and_b64 s[12:13], vcc, exec
	s_or_b64 s[4:5], s[4:5], s[12:13]
	s_cbranch_execz .LBB135_1345
	s_branch .LBB135_1346
.LBB135_1344:
	s_andn2_b64 vcc, exec, s[6:7]
	s_cbranch_vccnz .LBB135_1346
.LBB135_1345:
	v_cmp_le_f32_e32 vcc, s1, v1
	s_andn2_b64 s[4:5], s[4:5], exec
	s_and_b64 s[6:7], vcc, exec
	s_or_b64 s[4:5], s[4:5], s[6:7]
.LBB135_1346:
	s_lshr_b32 s6, s16, 8
	v_mov_b32_e32 v1, s11
	s_and_b32 s22, s6, 0xff
	v_add_co_u32_e32 v10, vcc, s10, v11
	s_cmp_lt_i32 s22, 11
	v_addc_co_u32_e32 v11, vcc, 0, v1, vcc
	s_cbranch_scc1 .LBB135_1353
; %bb.1347:
	s_and_b32 s20, 0xffff, s22
	s_cmp_gt_i32 s20, 25
	s_mov_b64 s[12:13], 0
	s_cbranch_scc0 .LBB135_1355
; %bb.1348:
	s_cmp_gt_i32 s20, 28
	s_cbranch_scc0 .LBB135_1356
; %bb.1349:
	s_cmp_gt_i32 s20, 43
	;; [unrolled: 3-line block ×3, first 2 shown]
	s_cbranch_scc0 .LBB135_1359
; %bb.1351:
	s_cmp_eq_u32 s20, 46
	s_mov_b64 s[16:17], 0
	s_cbranch_scc0 .LBB135_1362
; %bb.1352:
	global_load_dword v1, v[10:11], off
	s_mov_b64 s[6:7], 0
	s_mov_b64 s[14:15], -1
	s_branch .LBB135_1363
.LBB135_1353:
	s_mov_b64 s[14:15], 0
                                        ; implicit-def: $vgpr1
	s_cbranch_execnz .LBB135_1428
.LBB135_1354:
	s_andn2_b64 vcc, exec, s[14:15]
	s_cbranch_vccnz .LBB135_1770
	s_branch .LBB135_1475
.LBB135_1355:
	s_mov_b64 s[14:15], 0
	s_mov_b64 s[6:7], 0
                                        ; implicit-def: $vgpr1
	s_cbranch_execnz .LBB135_1392
	s_branch .LBB135_1424
.LBB135_1356:
	s_mov_b64 s[16:17], -1
	s_mov_b64 s[14:15], 0
	s_mov_b64 s[6:7], 0
                                        ; implicit-def: $vgpr1
	s_branch .LBB135_1373
.LBB135_1357:
	s_mov_b64 s[16:17], -1
	s_mov_b64 s[14:15], 0
	s_mov_b64 s[6:7], 0
                                        ; implicit-def: $vgpr1
	s_branch .LBB135_1368
.LBB135_1358:
	s_or_b64 s[2:3], s[28:29], exec
	s_trap 2
	s_cbranch_execz .LBB135_1284
	s_branch .LBB135_1285
.LBB135_1359:
	s_mov_b64 s[16:17], -1
	s_mov_b64 s[14:15], 0
	s_mov_b64 s[6:7], 0
                                        ; implicit-def: $vgpr1
	s_branch .LBB135_1363
.LBB135_1360:
	s_andn2_saveexec_b64 s[18:19], s[18:19]
	s_cbranch_execz .LBB135_1075
.LBB135_1361:
	v_add_f32_e32 v0, 0x42800000, v3
	v_and_b32_e32 v0, 0xff, v0
	v_cmp_ne_u32_e32 vcc, 0, v0
	s_andn2_b64 s[16:17], s[16:17], exec
	s_and_b64 s[22:23], vcc, exec
	s_or_b64 s[16:17], s[16:17], s[22:23]
	s_or_b64 exec, exec, s[18:19]
	v_mov_b32_e32 v4, 0
	s_and_saveexec_b64 s[18:19], s[16:17]
	s_cbranch_execnz .LBB135_1076
	s_branch .LBB135_1077
.LBB135_1362:
	s_mov_b64 s[6:7], -1
                                        ; implicit-def: $vgpr1
	s_mov_b64 s[14:15], 0
.LBB135_1363:
	s_and_b64 vcc, exec, s[16:17]
	s_cbranch_vccz .LBB135_1367
; %bb.1364:
	s_cmp_eq_u32 s20, 44
	s_cbranch_scc0 .LBB135_1366
; %bb.1365:
	global_load_ubyte v1, v[10:11], off
	s_movk_i32 s14, 0xff
	v_mov_b32_e32 v3, 0x7f800001
	v_mov_b32_e32 v5, 0x400000
	;; [unrolled: 1-line block ×3, first 2 shown]
	s_mov_b64 s[6:7], 0
	s_waitcnt vmcnt(0)
	v_lshlrev_b32_e32 v12, 23, v1
	v_cmp_ne_u32_e32 vcc, s14, v1
	v_cndmask_b32_e32 v3, v3, v12, vcc
	v_cmp_ne_u32_e32 vcc, 0, v1
	v_cndmask_b32_e32 v1, v5, v3, vcc
	v_add_u32_e32 v3, 0x7fff, v1
	v_cmp_o_f32_e32 vcc, v1, v1
	v_cndmask_b32_sdwa v1, v8, v3, vcc dst_sel:DWORD dst_unused:UNUSED_PAD src0_sel:DWORD src1_sel:WORD_1
	s_mov_b64 s[14:15], -1
	s_branch .LBB135_1367
.LBB135_1366:
	s_mov_b64 s[6:7], -1
                                        ; implicit-def: $vgpr1
.LBB135_1367:
	s_mov_b64 s[16:17], 0
.LBB135_1368:
	s_and_b64 vcc, exec, s[16:17]
	s_cbranch_vccz .LBB135_1372
; %bb.1369:
	s_cmp_eq_u32 s20, 29
	s_cbranch_scc0 .LBB135_1371
; %bb.1370:
	global_load_dwordx2 v[12:13], v[10:11], off
	s_movk_i32 s14, 0x7fff
	s_mov_b64 s[6:7], 0
	s_mov_b64 s[16:17], 0
	s_waitcnt vmcnt(0)
	v_ffbh_u32_e32 v1, v13
	v_min_u32_e32 v1, 32, v1
	v_lshlrev_b64 v[12:13], v1, v[12:13]
	v_sub_u32_e32 v1, 32, v1
	v_min_u32_e32 v3, 1, v12
	v_or_b32_e32 v3, v13, v3
	v_cvt_f32_u32_e32 v3, v3
	v_ldexp_f32 v1, v3, v1
	v_bfe_u32 v3, v1, 16, 1
	v_add3_u32 v1, v1, v3, s14
	v_lshrrev_b32_e32 v1, 16, v1
	s_mov_b64 s[14:15], -1
	s_branch .LBB135_1373
.LBB135_1371:
	s_mov_b64 s[6:7], -1
                                        ; implicit-def: $vgpr1
.LBB135_1372:
	s_mov_b64 s[16:17], 0
.LBB135_1373:
	s_and_b64 vcc, exec, s[16:17]
	s_cbranch_vccz .LBB135_1391
; %bb.1374:
	s_cmp_lt_i32 s20, 27
	s_cbranch_scc1 .LBB135_1377
; %bb.1375:
	s_cmp_gt_i32 s20, 27
	s_cbranch_scc0 .LBB135_1378
; %bb.1376:
	global_load_dword v1, v[10:11], off
	s_movk_i32 s14, 0x7fff
	s_waitcnt vmcnt(0)
	v_cvt_f32_u32_e32 v1, v1
	v_bfe_u32 v3, v1, 16, 1
	v_add3_u32 v1, v1, v3, s14
	v_lshrrev_b32_e32 v1, 16, v1
	s_mov_b64 s[14:15], 0
	s_branch .LBB135_1379
.LBB135_1377:
	s_mov_b64 s[14:15], -1
                                        ; implicit-def: $vgpr1
	s_branch .LBB135_1382
.LBB135_1378:
	s_mov_b64 s[14:15], -1
                                        ; implicit-def: $vgpr1
.LBB135_1379:
	s_andn2_b64 vcc, exec, s[14:15]
	s_cbranch_vccnz .LBB135_1381
; %bb.1380:
	global_load_ushort v1, v[10:11], off
	s_movk_i32 s14, 0x7fff
	s_waitcnt vmcnt(0)
	v_cvt_f32_u32_e32 v1, v1
	v_bfe_u32 v3, v1, 16, 1
	v_add3_u32 v1, v1, v3, s14
	v_lshrrev_b32_e32 v1, 16, v1
.LBB135_1381:
	s_mov_b64 s[14:15], 0
.LBB135_1382:
	s_andn2_b64 vcc, exec, s[14:15]
	s_cbranch_vccnz .LBB135_1390
; %bb.1383:
	global_load_ubyte v1, v[10:11], off
	s_movk_i32 s14, 0x7f
	s_waitcnt vmcnt(0)
	v_cmp_lt_i16_e32 vcc, s14, v1
	s_mov_b64 s[14:15], 0
	s_and_saveexec_b64 s[16:17], vcc
	s_xor_b64 s[16:17], exec, s[16:17]
	s_cbranch_execz .LBB135_1403
; %bb.1384:
	s_movk_i32 s14, 0x80
	v_cmp_eq_u16_e32 vcc, s14, v1
	s_mov_b64 s[14:15], -1
	s_and_saveexec_b64 s[18:19], vcc
; %bb.1385:
	s_xor_b64 s[14:15], exec, -1
; %bb.1386:
	s_or_b64 exec, exec, s[18:19]
	s_and_b64 s[14:15], s[14:15], exec
	s_or_saveexec_b64 s[16:17], s[16:17]
	v_mov_b32_e32 v3, 0x7f800001
	s_xor_b64 exec, exec, s[16:17]
	s_cbranch_execnz .LBB135_1404
.LBB135_1387:
	s_or_b64 exec, exec, s[16:17]
	s_and_saveexec_b64 s[16:17], s[14:15]
	s_cbranch_execz .LBB135_1389
.LBB135_1388:
	v_lshlrev_b32_e32 v3, 24, v1
	v_and_b32_e32 v1, 0xffff, v1
	v_and_b32_e32 v5, 7, v1
	v_ffbh_u32_e32 v12, v5
	v_min_u32_e32 v12, 32, v12
	v_subrev_u32_e32 v13, 28, v12
	v_bfe_u32 v8, v1, 3, 4
	v_lshlrev_b32_e32 v1, v13, v1
	v_sub_u32_e32 v12, 29, v12
	v_and_b32_e32 v1, 7, v1
	v_cmp_eq_u32_e32 vcc, 0, v8
	v_cndmask_b32_e32 v8, v8, v12, vcc
	v_cndmask_b32_e32 v1, v5, v1, vcc
	v_mov_b32_e32 v5, 0x3b800000
	v_lshlrev_b32_e32 v1, 20, v1
	v_and_b32_e32 v3, 0x80000000, v3
	v_lshl_add_u32 v5, v8, 23, v5
	v_or3_b32 v3, v3, v5, v1
.LBB135_1389:
	s_or_b64 exec, exec, s[16:17]
	v_bfe_u32 v1, v3, 16, 1
	s_movk_i32 s14, 0x7fff
	v_add3_u32 v1, v3, v1, s14
	v_cmp_o_f32_e32 vcc, v3, v3
	v_mov_b32_e32 v3, 0x7fc0
	v_cndmask_b32_sdwa v1, v3, v1, vcc dst_sel:DWORD dst_unused:UNUSED_PAD src0_sel:DWORD src1_sel:WORD_1
.LBB135_1390:
	s_mov_b64 s[14:15], -1
.LBB135_1391:
	s_branch .LBB135_1424
.LBB135_1392:
	s_cmp_gt_i32 s20, 22
	s_cbranch_scc0 .LBB135_1402
; %bb.1393:
	s_cmp_lt_i32 s20, 24
	s_cbranch_scc1 .LBB135_1405
; %bb.1394:
	s_cmp_gt_i32 s20, 24
	s_cbranch_scc0 .LBB135_1406
; %bb.1395:
	global_load_ubyte v1, v[10:11], off
	s_movk_i32 s12, 0x7f
	s_waitcnt vmcnt(0)
	v_cmp_lt_i16_e32 vcc, s12, v1
	s_mov_b64 s[12:13], 0
	s_and_saveexec_b64 s[14:15], vcc
	s_xor_b64 s[14:15], exec, s[14:15]
	s_cbranch_execz .LBB135_1418
; %bb.1396:
	s_movk_i32 s12, 0x80
	v_cmp_eq_u16_e32 vcc, s12, v1
	s_mov_b64 s[12:13], -1
	s_and_saveexec_b64 s[16:17], vcc
; %bb.1397:
	s_xor_b64 s[12:13], exec, -1
; %bb.1398:
	s_or_b64 exec, exec, s[16:17]
	s_and_b64 s[12:13], s[12:13], exec
	s_or_saveexec_b64 s[14:15], s[14:15]
	v_mov_b32_e32 v3, 0x7f800001
	s_xor_b64 exec, exec, s[14:15]
	s_cbranch_execnz .LBB135_1419
.LBB135_1399:
	s_or_b64 exec, exec, s[14:15]
	s_and_saveexec_b64 s[14:15], s[12:13]
	s_cbranch_execz .LBB135_1401
.LBB135_1400:
	v_lshlrev_b32_e32 v3, 24, v1
	v_and_b32_e32 v1, 0xffff, v1
	v_and_b32_e32 v5, 3, v1
	v_ffbh_u32_e32 v12, v5
	v_min_u32_e32 v12, 32, v12
	v_subrev_u32_e32 v13, 29, v12
	v_bfe_u32 v8, v1, 2, 5
	v_lshlrev_b32_e32 v1, v13, v1
	v_sub_u32_e32 v12, 30, v12
	v_and_b32_e32 v1, 3, v1
	v_cmp_eq_u32_e32 vcc, 0, v8
	v_cndmask_b32_e32 v8, v8, v12, vcc
	v_cndmask_b32_e32 v1, v5, v1, vcc
	v_mov_b32_e32 v5, 0x37800000
	v_lshlrev_b32_e32 v1, 21, v1
	v_and_b32_e32 v3, 0x80000000, v3
	v_lshl_add_u32 v5, v8, 23, v5
	v_or3_b32 v3, v3, v5, v1
.LBB135_1401:
	s_or_b64 exec, exec, s[14:15]
	v_bfe_u32 v1, v3, 16, 1
	s_movk_i32 s12, 0x7fff
	v_add3_u32 v1, v3, v1, s12
	v_cmp_o_f32_e32 vcc, v3, v3
	v_mov_b32_e32 v3, 0x7fc0
	v_cndmask_b32_sdwa v1, v3, v1, vcc dst_sel:DWORD dst_unused:UNUSED_PAD src0_sel:DWORD src1_sel:WORD_1
	s_mov_b64 s[12:13], 0
	s_branch .LBB135_1407
.LBB135_1402:
	s_mov_b64 s[12:13], -1
                                        ; implicit-def: $vgpr1
	s_branch .LBB135_1413
.LBB135_1403:
	s_or_saveexec_b64 s[16:17], s[16:17]
	v_mov_b32_e32 v3, 0x7f800001
	s_xor_b64 exec, exec, s[16:17]
	s_cbranch_execz .LBB135_1387
.LBB135_1404:
	v_cmp_ne_u16_e32 vcc, 0, v1
	s_andn2_b64 s[14:15], s[14:15], exec
	s_and_b64 s[18:19], vcc, exec
	v_mov_b32_e32 v3, 0
	s_or_b64 s[14:15], s[14:15], s[18:19]
	s_or_b64 exec, exec, s[16:17]
	s_and_saveexec_b64 s[16:17], s[14:15]
	s_cbranch_execnz .LBB135_1388
	s_branch .LBB135_1389
.LBB135_1405:
	s_mov_b64 s[12:13], -1
                                        ; implicit-def: $vgpr1
	s_branch .LBB135_1410
.LBB135_1406:
	s_mov_b64 s[12:13], -1
                                        ; implicit-def: $vgpr1
.LBB135_1407:
	s_and_b64 vcc, exec, s[12:13]
	s_cbranch_vccz .LBB135_1409
; %bb.1408:
	global_load_ubyte v1, v[10:11], off
	s_mov_b32 s12, 0x7f800000
	s_brev_b32 s13, 1
	s_movk_i32 s14, 0x7fff
	s_waitcnt vmcnt(0)
	v_lshlrev_b32_e32 v1, 24, v1
	v_and_b32_e32 v3, 0x7f000000, v1
	v_ffbh_u32_e32 v5, v3
	v_min_u32_e32 v5, 32, v5
	v_sub_u32_e64 v5, v5, 4 clamp
	v_lshlrev_b32_e32 v12, v5, v3
	v_lshlrev_b32_e32 v5, 23, v5
	v_lshrrev_b32_e32 v12, 4, v12
	v_add_u32_e32 v8, 0x1000000, v3
	v_sub_u32_e32 v5, v12, v5
	v_ashrrev_i32_e32 v8, 8, v8
	v_add_u32_e32 v5, 0x3c000000, v5
	v_and_or_b32 v5, v8, s12, v5
	v_cmp_ne_u32_e32 vcc, 0, v3
	v_cndmask_b32_e32 v3, 0, v5, vcc
	v_and_or_b32 v1, v1, s13, v3
	v_bfe_u32 v3, v3, 16, 1
	v_add3_u32 v3, v1, v3, s14
	v_cmp_o_f32_e32 vcc, v1, v1
	v_mov_b32_e32 v1, 0x7fc0
	v_cndmask_b32_sdwa v1, v1, v3, vcc dst_sel:DWORD dst_unused:UNUSED_PAD src0_sel:DWORD src1_sel:WORD_1
.LBB135_1409:
	s_mov_b64 s[12:13], 0
.LBB135_1410:
	s_andn2_b64 vcc, exec, s[12:13]
	s_cbranch_vccnz .LBB135_1412
; %bb.1411:
	global_load_ubyte v1, v[10:11], off
	s_movk_i32 s12, 0x7f00
	s_brev_b32 s13, 16
	s_brev_b32 s14, 1
	s_movk_i32 s15, 0x7fff
	s_waitcnt vmcnt(0)
	v_lshlrev_b16_e32 v3, 8, v1
	v_lshlrev_b32_e32 v1, 25, v1
	v_lshrrev_b32_e32 v5, 4, v1
	v_and_or_b32 v8, v3, s12, 0.5
	v_or_b32_e32 v5, 0x70000000, v5
	v_add_f32_e32 v8, -0.5, v8
	v_mul_f32_e32 v5, 0x7800000, v5
	v_cmp_gt_u32_e32 vcc, s13, v1
	v_bfe_i32 v3, v3, 0, 16
	v_cndmask_b32_e32 v1, v5, v8, vcc
	v_and_or_b32 v3, v3, s14, v1
	v_bfe_u32 v1, v1, 16, 1
	v_add3_u32 v1, v3, v1, s15
	v_cmp_o_f32_e32 vcc, v3, v3
	v_mov_b32_e32 v3, 0x7fc0
	v_cndmask_b32_sdwa v1, v3, v1, vcc dst_sel:DWORD dst_unused:UNUSED_PAD src0_sel:DWORD src1_sel:WORD_1
.LBB135_1412:
	s_mov_b64 s[12:13], 0
	s_mov_b64 s[14:15], -1
.LBB135_1413:
	s_andn2_b64 vcc, exec, s[12:13]
	s_mov_b64 s[12:13], 0
	s_cbranch_vccnz .LBB135_1424
; %bb.1414:
	s_cmp_gt_i32 s20, 14
	s_cbranch_scc0 .LBB135_1417
; %bb.1415:
	s_cmp_eq_u32 s20, 15
	s_cbranch_scc0 .LBB135_1420
; %bb.1416:
	global_load_ushort v1, v[10:11], off
	s_mov_b64 s[6:7], 0
	s_mov_b64 s[14:15], -1
	s_branch .LBB135_1421
.LBB135_1417:
	s_mov_b64 s[16:17], -1
                                        ; implicit-def: $vgpr1
	s_branch .LBB135_1422
.LBB135_1418:
	s_or_saveexec_b64 s[14:15], s[14:15]
	v_mov_b32_e32 v3, 0x7f800001
	s_xor_b64 exec, exec, s[14:15]
	s_cbranch_execz .LBB135_1399
.LBB135_1419:
	v_cmp_ne_u16_e32 vcc, 0, v1
	s_andn2_b64 s[12:13], s[12:13], exec
	s_and_b64 s[16:17], vcc, exec
	v_mov_b32_e32 v3, 0
	s_or_b64 s[12:13], s[12:13], s[16:17]
	s_or_b64 exec, exec, s[14:15]
	s_and_saveexec_b64 s[14:15], s[12:13]
	s_cbranch_execnz .LBB135_1400
	s_branch .LBB135_1401
.LBB135_1420:
	s_mov_b64 s[6:7], -1
                                        ; implicit-def: $vgpr1
.LBB135_1421:
	s_mov_b64 s[16:17], 0
.LBB135_1422:
	s_and_b64 vcc, exec, s[16:17]
	s_cbranch_vccz .LBB135_1424
; %bb.1423:
	s_cmp_lg_u32 s20, 11
	s_mov_b64 s[12:13], -1
	s_cselect_b64 s[6:7], -1, 0
.LBB135_1424:
	s_and_b64 vcc, exec, s[6:7]
	s_cbranch_vccnz .LBB135_1503
; %bb.1425:
	s_andn2_b64 vcc, exec, s[12:13]
	s_cbranch_vccnz .LBB135_1427
.LBB135_1426:
	global_load_ubyte v1, v[10:11], off
	s_mov_b64 s[14:15], -1
	s_waitcnt vmcnt(0)
	v_cmp_ne_u16_e32 vcc, 0, v1
	v_cndmask_b32_e64 v1, 0, 1.0, vcc
	v_lshrrev_b32_e32 v1, 16, v1
.LBB135_1427:
	s_branch .LBB135_1354
.LBB135_1428:
	s_and_b32 s12, 0xffff, s22
	s_cmp_lt_i32 s12, 5
	s_cbranch_scc1 .LBB135_1433
; %bb.1429:
	s_cmp_lt_i32 s12, 8
	s_cbranch_scc1 .LBB135_1434
; %bb.1430:
	s_cmp_lt_i32 s12, 9
	s_cbranch_scc1 .LBB135_1435
; %bb.1431:
	s_cmp_gt_i32 s12, 9
	s_cbranch_scc0 .LBB135_1436
; %bb.1432:
	global_load_dwordx2 v[12:13], v[10:11], off
	s_movk_i32 s6, 0x7fff
	v_mov_b32_e32 v3, 0x7fc0
	s_waitcnt vmcnt(0)
	v_cvt_f32_f64_e32 v1, v[12:13]
	v_bfe_u32 v5, v1, 16, 1
	v_cmp_o_f32_e32 vcc, v1, v1
	v_add3_u32 v1, v1, v5, s6
	v_cndmask_b32_sdwa v1, v3, v1, vcc dst_sel:DWORD dst_unused:UNUSED_PAD src0_sel:DWORD src1_sel:WORD_1
	s_mov_b64 s[6:7], 0
	s_branch .LBB135_1437
.LBB135_1433:
                                        ; implicit-def: $vgpr1
	s_branch .LBB135_1455
.LBB135_1434:
	s_mov_b64 s[6:7], -1
                                        ; implicit-def: $vgpr1
	s_branch .LBB135_1443
.LBB135_1435:
	s_mov_b64 s[6:7], -1
                                        ; implicit-def: $vgpr1
	s_branch .LBB135_1440
.LBB135_1436:
	s_mov_b64 s[6:7], -1
                                        ; implicit-def: $vgpr1
.LBB135_1437:
	s_andn2_b64 vcc, exec, s[6:7]
	s_cbranch_vccnz .LBB135_1439
; %bb.1438:
	global_load_dword v1, v[10:11], off
	s_movk_i32 s6, 0x7fff
	v_mov_b32_e32 v3, 0x7fc0
	s_waitcnt vmcnt(0)
	v_bfe_u32 v5, v1, 16, 1
	v_cmp_o_f32_e32 vcc, v1, v1
	v_add3_u32 v1, v1, v5, s6
	v_cndmask_b32_sdwa v1, v3, v1, vcc dst_sel:DWORD dst_unused:UNUSED_PAD src0_sel:DWORD src1_sel:WORD_1
.LBB135_1439:
	s_mov_b64 s[6:7], 0
.LBB135_1440:
	s_andn2_b64 vcc, exec, s[6:7]
	s_cbranch_vccnz .LBB135_1442
; %bb.1441:
	global_load_dword v1, v[10:11], off
	s_movk_i32 s6, 0x7fff
	v_mov_b32_e32 v5, 0x7fc0
	s_waitcnt vmcnt(0)
	v_cvt_f32_f16_e32 v3, v1
	v_cmp_o_f16_e32 vcc, v1, v1
	v_bfe_u32 v1, v3, 16, 1
	v_add3_u32 v1, v3, v1, s6
	v_cndmask_b32_sdwa v1, v5, v1, vcc dst_sel:DWORD dst_unused:UNUSED_PAD src0_sel:DWORD src1_sel:WORD_1
.LBB135_1442:
	s_mov_b64 s[6:7], 0
.LBB135_1443:
	s_andn2_b64 vcc, exec, s[6:7]
	s_cbranch_vccnz .LBB135_1454
; %bb.1444:
	s_cmp_lt_i32 s12, 6
	s_cbranch_scc1 .LBB135_1447
; %bb.1445:
	s_cmp_gt_i32 s12, 6
	s_cbranch_scc0 .LBB135_1448
; %bb.1446:
	global_load_dwordx2 v[12:13], v[10:11], off
	s_movk_i32 s6, 0x7fff
	v_mov_b32_e32 v3, 0x7fc0
	s_waitcnt vmcnt(0)
	v_cvt_f32_f64_e32 v1, v[12:13]
	v_bfe_u32 v5, v1, 16, 1
	v_cmp_o_f32_e32 vcc, v1, v1
	v_add3_u32 v1, v1, v5, s6
	v_cndmask_b32_sdwa v1, v3, v1, vcc dst_sel:DWORD dst_unused:UNUSED_PAD src0_sel:DWORD src1_sel:WORD_1
	s_mov_b64 s[6:7], 0
	s_branch .LBB135_1449
.LBB135_1447:
	s_mov_b64 s[6:7], -1
                                        ; implicit-def: $vgpr1
	s_branch .LBB135_1452
.LBB135_1448:
	s_mov_b64 s[6:7], -1
                                        ; implicit-def: $vgpr1
.LBB135_1449:
	s_andn2_b64 vcc, exec, s[6:7]
	s_cbranch_vccnz .LBB135_1451
; %bb.1450:
	global_load_dword v1, v[10:11], off
	s_movk_i32 s6, 0x7fff
	v_mov_b32_e32 v3, 0x7fc0
	s_waitcnt vmcnt(0)
	v_bfe_u32 v5, v1, 16, 1
	v_cmp_o_f32_e32 vcc, v1, v1
	v_add3_u32 v1, v1, v5, s6
	v_cndmask_b32_sdwa v1, v3, v1, vcc dst_sel:DWORD dst_unused:UNUSED_PAD src0_sel:DWORD src1_sel:WORD_1
.LBB135_1451:
	s_mov_b64 s[6:7], 0
.LBB135_1452:
	s_andn2_b64 vcc, exec, s[6:7]
	s_cbranch_vccnz .LBB135_1454
; %bb.1453:
	global_load_ushort v1, v[10:11], off
	s_movk_i32 s6, 0x7fff
	v_mov_b32_e32 v5, 0x7fc0
	s_waitcnt vmcnt(0)
	v_cvt_f32_f16_e32 v3, v1
	v_cmp_o_f16_e32 vcc, v1, v1
	v_bfe_u32 v1, v3, 16, 1
	v_add3_u32 v1, v3, v1, s6
	v_cndmask_b32_sdwa v1, v5, v1, vcc dst_sel:DWORD dst_unused:UNUSED_PAD src0_sel:DWORD src1_sel:WORD_1
.LBB135_1454:
	s_cbranch_execnz .LBB135_1474
.LBB135_1455:
	s_cmp_lt_i32 s12, 2
	s_cbranch_scc1 .LBB135_1459
; %bb.1456:
	s_cmp_lt_i32 s12, 3
	s_cbranch_scc1 .LBB135_1460
; %bb.1457:
	s_cmp_gt_i32 s12, 3
	s_cbranch_scc0 .LBB135_1461
; %bb.1458:
	global_load_dwordx2 v[12:13], v[10:11], off
	s_movk_i32 s6, 0x7fff
	s_waitcnt vmcnt(0)
	v_xor_b32_e32 v3, v12, v13
	v_ffbh_i32_e32 v1, v13
	v_ashrrev_i32_e32 v3, 31, v3
	v_add_u32_e32 v1, -1, v1
	v_add_u32_e32 v3, 32, v3
	v_min_u32_e32 v1, v1, v3
	v_lshlrev_b64 v[12:13], v1, v[12:13]
	v_sub_u32_e32 v1, 32, v1
	v_min_u32_e32 v3, 1, v12
	v_or_b32_e32 v3, v13, v3
	v_cvt_f32_i32_e32 v3, v3
	v_ldexp_f32 v1, v3, v1
	v_bfe_u32 v3, v1, 16, 1
	v_add3_u32 v1, v1, v3, s6
	v_lshrrev_b32_e32 v1, 16, v1
	s_mov_b64 s[6:7], 0
	s_branch .LBB135_1462
.LBB135_1459:
	s_mov_b64 s[6:7], -1
                                        ; implicit-def: $vgpr1
	s_branch .LBB135_1468
.LBB135_1460:
	s_mov_b64 s[6:7], -1
                                        ; implicit-def: $vgpr1
	s_branch .LBB135_1465
.LBB135_1461:
	s_mov_b64 s[6:7], -1
                                        ; implicit-def: $vgpr1
.LBB135_1462:
	s_andn2_b64 vcc, exec, s[6:7]
	s_cbranch_vccnz .LBB135_1464
; %bb.1463:
	global_load_dword v1, v[10:11], off
	s_movk_i32 s6, 0x7fff
	s_waitcnt vmcnt(0)
	v_cvt_f32_i32_e32 v1, v1
	v_bfe_u32 v3, v1, 16, 1
	v_add3_u32 v1, v1, v3, s6
	v_lshrrev_b32_e32 v1, 16, v1
.LBB135_1464:
	s_mov_b64 s[6:7], 0
.LBB135_1465:
	s_andn2_b64 vcc, exec, s[6:7]
	s_cbranch_vccnz .LBB135_1467
; %bb.1466:
	global_load_sshort v1, v[10:11], off
	s_movk_i32 s6, 0x7fff
	s_waitcnt vmcnt(0)
	v_cvt_f32_i32_e32 v1, v1
	v_bfe_u32 v3, v1, 16, 1
	v_add3_u32 v1, v1, v3, s6
	v_lshrrev_b32_e32 v1, 16, v1
.LBB135_1467:
	s_mov_b64 s[6:7], 0
.LBB135_1468:
	s_andn2_b64 vcc, exec, s[6:7]
	s_cbranch_vccnz .LBB135_1474
; %bb.1469:
	s_cmp_gt_i32 s12, 0
	s_cbranch_scc0 .LBB135_1471
; %bb.1470:
	global_load_sbyte v1, v[10:11], off
	s_movk_i32 s6, 0x7fff
	s_waitcnt vmcnt(0)
	v_cvt_f32_i32_e32 v1, v1
	v_bfe_u32 v3, v1, 16, 1
	v_add3_u32 v1, v1, v3, s6
	v_lshrrev_b32_e32 v1, 16, v1
	s_mov_b64 s[6:7], 0
	s_branch .LBB135_1472
.LBB135_1471:
	s_mov_b64 s[6:7], -1
                                        ; implicit-def: $vgpr1
.LBB135_1472:
	s_andn2_b64 vcc, exec, s[6:7]
	s_cbranch_vccnz .LBB135_1474
; %bb.1473:
	global_load_ubyte v1, v[10:11], off
	s_movk_i32 s6, 0x7fff
	s_waitcnt vmcnt(0)
	v_cvt_f32_ubyte0_e32 v1, v1
	v_bfe_u32 v3, v1, 16, 1
	v_add3_u32 v1, v1, v3, s6
	v_lshrrev_b32_e32 v1, 16, v1
.LBB135_1474:
.LBB135_1475:
	s_waitcnt vmcnt(0)
	v_lshlrev_b32_e32 v1, 16, v1
	s_cmp_lt_i32 s0, 1
	s_mov_b64 s[12:13], 0
	s_cbranch_scc1 .LBB135_1479
; %bb.1476:
	s_cmp_gt_i32 s0, 1
	s_cbranch_scc0 .LBB135_1480
; %bb.1477:
	s_cmp_eq_u32 s0, 2
	s_cbranch_scc0 .LBB135_1481
; %bb.1478:
	v_cmp_ge_f32_e64 s[6:7], s1, v1
	s_mov_b64 s[14:15], 0
	s_branch .LBB135_1482
.LBB135_1479:
                                        ; implicit-def: $sgpr6_sgpr7
	s_mov_b64 s[14:15], 0
	s_cbranch_execnz .LBB135_1486
	s_branch .LBB135_1487
.LBB135_1480:
	s_mov_b64 s[16:17], -1
	s_mov_b64 s[14:15], 0
                                        ; implicit-def: $sgpr6_sgpr7
	s_branch .LBB135_1483
.LBB135_1481:
	s_mov_b64 s[14:15], -1
                                        ; implicit-def: $sgpr6_sgpr7
.LBB135_1482:
	s_mov_b64 s[16:17], 0
.LBB135_1483:
	s_and_b64 vcc, exec, s[16:17]
	s_cbranch_vccz .LBB135_1485
; %bb.1484:
	v_cmp_lt_f32_e32 vcc, s1, v1
	s_andn2_b64 s[6:7], s[6:7], exec
	s_and_b64 s[16:17], vcc, exec
	s_or_b64 s[6:7], s[6:7], s[16:17]
.LBB135_1485:
	s_branch .LBB135_1487
.LBB135_1486:
	s_cmp_lg_u32 s0, 0
	s_mov_b64 s[12:13], -1
	s_cselect_b64 s[14:15], -1, 0
.LBB135_1487:
	s_andn2_b64 vcc, exec, s[14:15]
	s_cbranch_vccnz .LBB135_1489
; %bb.1488:
	v_cmp_gt_f32_e32 vcc, s1, v1
	s_andn2_b64 s[6:7], s[6:7], exec
	s_and_b64 s[14:15], vcc, exec
	s_or_b64 s[6:7], s[6:7], s[14:15]
	s_cbranch_execz .LBB135_1490
	s_branch .LBB135_1491
.LBB135_1489:
	s_andn2_b64 vcc, exec, s[12:13]
	s_cbranch_vccnz .LBB135_1491
.LBB135_1490:
	v_cmp_le_f32_e32 vcc, s1, v1
	s_andn2_b64 s[6:7], s[6:7], exec
	s_and_b64 s[12:13], vcc, exec
	s_or_b64 s[6:7], s[6:7], s[12:13]
.LBB135_1491:
	v_mov_b32_e32 v1, s11
	v_add_co_u32_e32 v8, vcc, s10, v9
	s_cmp_lt_i32 s22, 11
	v_addc_co_u32_e32 v9, vcc, 0, v1, vcc
	s_cbranch_scc1 .LBB135_1498
; %bb.1492:
	s_and_b32 s23, 0xffff, s22
	s_cmp_gt_i32 s23, 25
	s_mov_b64 s[14:15], 0
	s_cbranch_scc0 .LBB135_1500
; %bb.1493:
	s_cmp_gt_i32 s23, 28
	s_cbranch_scc0 .LBB135_1501
; %bb.1494:
	s_cmp_gt_i32 s23, 43
	;; [unrolled: 3-line block ×3, first 2 shown]
	s_cbranch_scc0 .LBB135_1504
; %bb.1496:
	s_cmp_eq_u32 s23, 46
	s_mov_b64 s[18:19], 0
	s_cbranch_scc0 .LBB135_1505
; %bb.1497:
	global_load_dword v1, v[8:9], off
	s_mov_b64 s[12:13], 0
	s_mov_b64 s[16:17], -1
	s_branch .LBB135_1506
.LBB135_1498:
	s_mov_b64 s[16:17], 0
                                        ; implicit-def: $vgpr1
	s_cbranch_execnz .LBB135_1572
.LBB135_1499:
	s_andn2_b64 vcc, exec, s[16:17]
	s_cbranch_vccnz .LBB135_1770
	s_branch .LBB135_1620
.LBB135_1500:
	s_mov_b64 s[18:19], -1
	s_mov_b64 s[16:17], 0
	s_mov_b64 s[12:13], 0
                                        ; implicit-def: $vgpr1
	s_branch .LBB135_1535
.LBB135_1501:
	s_mov_b64 s[18:19], -1
	s_mov_b64 s[16:17], 0
	s_mov_b64 s[12:13], 0
                                        ; implicit-def: $vgpr1
	s_branch .LBB135_1516
.LBB135_1502:
	s_mov_b64 s[18:19], -1
	s_mov_b64 s[16:17], 0
	s_mov_b64 s[12:13], 0
                                        ; implicit-def: $vgpr1
	s_branch .LBB135_1511
.LBB135_1503:
	s_trap 2
	s_or_b64 s[2:3], s[2:3], exec
	s_cbranch_execz .LBB135_1426
	s_branch .LBB135_1427
.LBB135_1504:
	s_mov_b64 s[18:19], -1
	s_mov_b64 s[16:17], 0
	s_mov_b64 s[12:13], 0
                                        ; implicit-def: $vgpr1
	s_branch .LBB135_1506
.LBB135_1505:
	s_mov_b64 s[12:13], -1
                                        ; implicit-def: $vgpr1
	s_mov_b64 s[16:17], 0
.LBB135_1506:
	s_and_b64 vcc, exec, s[18:19]
	s_cbranch_vccz .LBB135_1510
; %bb.1507:
	s_cmp_eq_u32 s23, 44
	s_cbranch_scc0 .LBB135_1509
; %bb.1508:
	global_load_ubyte v1, v[8:9], off
	s_movk_i32 s16, 0xff
	v_mov_b32_e32 v3, 0x7f800001
	v_mov_b32_e32 v5, 0x400000
	;; [unrolled: 1-line block ×3, first 2 shown]
	s_mov_b64 s[12:13], 0
	s_waitcnt vmcnt(0)
	v_lshlrev_b32_e32 v11, 23, v1
	v_cmp_ne_u32_e32 vcc, s16, v1
	v_cndmask_b32_e32 v3, v3, v11, vcc
	v_cmp_ne_u32_e32 vcc, 0, v1
	v_cndmask_b32_e32 v1, v5, v3, vcc
	v_add_u32_e32 v3, 0x7fff, v1
	v_cmp_o_f32_e32 vcc, v1, v1
	v_cndmask_b32_sdwa v1, v10, v3, vcc dst_sel:DWORD dst_unused:UNUSED_PAD src0_sel:DWORD src1_sel:WORD_1
	s_mov_b64 s[16:17], -1
	s_branch .LBB135_1510
.LBB135_1509:
	s_mov_b64 s[12:13], -1
                                        ; implicit-def: $vgpr1
.LBB135_1510:
	s_mov_b64 s[18:19], 0
.LBB135_1511:
	s_and_b64 vcc, exec, s[18:19]
	s_cbranch_vccz .LBB135_1515
; %bb.1512:
	s_cmp_eq_u32 s23, 29
	s_cbranch_scc0 .LBB135_1514
; %bb.1513:
	global_load_dwordx2 v[10:11], v[8:9], off
	s_movk_i32 s16, 0x7fff
	s_mov_b64 s[12:13], 0
	s_mov_b64 s[18:19], 0
	s_waitcnt vmcnt(0)
	v_ffbh_u32_e32 v1, v11
	v_min_u32_e32 v1, 32, v1
	v_lshlrev_b64 v[10:11], v1, v[10:11]
	v_sub_u32_e32 v1, 32, v1
	v_min_u32_e32 v3, 1, v10
	v_or_b32_e32 v3, v11, v3
	v_cvt_f32_u32_e32 v3, v3
	v_ldexp_f32 v1, v3, v1
	v_bfe_u32 v3, v1, 16, 1
	v_add3_u32 v1, v1, v3, s16
	v_lshrrev_b32_e32 v1, 16, v1
	s_mov_b64 s[16:17], -1
	s_branch .LBB135_1516
.LBB135_1514:
	s_mov_b64 s[12:13], -1
                                        ; implicit-def: $vgpr1
.LBB135_1515:
	s_mov_b64 s[18:19], 0
.LBB135_1516:
	s_and_b64 vcc, exec, s[18:19]
	s_cbranch_vccz .LBB135_1534
; %bb.1517:
	s_cmp_lt_i32 s23, 27
	s_cbranch_scc1 .LBB135_1520
; %bb.1518:
	s_cmp_gt_i32 s23, 27
	s_cbranch_scc0 .LBB135_1521
; %bb.1519:
	global_load_dword v1, v[8:9], off
	s_movk_i32 s16, 0x7fff
	s_waitcnt vmcnt(0)
	v_cvt_f32_u32_e32 v1, v1
	v_bfe_u32 v3, v1, 16, 1
	v_add3_u32 v1, v1, v3, s16
	v_lshrrev_b32_e32 v1, 16, v1
	s_mov_b64 s[16:17], 0
	s_branch .LBB135_1522
.LBB135_1520:
	s_mov_b64 s[16:17], -1
                                        ; implicit-def: $vgpr1
	s_branch .LBB135_1525
.LBB135_1521:
	s_mov_b64 s[16:17], -1
                                        ; implicit-def: $vgpr1
.LBB135_1522:
	s_andn2_b64 vcc, exec, s[16:17]
	s_cbranch_vccnz .LBB135_1524
; %bb.1523:
	global_load_ushort v1, v[8:9], off
	s_movk_i32 s16, 0x7fff
	s_waitcnt vmcnt(0)
	v_cvt_f32_u32_e32 v1, v1
	v_bfe_u32 v3, v1, 16, 1
	v_add3_u32 v1, v1, v3, s16
	v_lshrrev_b32_e32 v1, 16, v1
.LBB135_1524:
	s_mov_b64 s[16:17], 0
.LBB135_1525:
	s_andn2_b64 vcc, exec, s[16:17]
	s_cbranch_vccnz .LBB135_1533
; %bb.1526:
	global_load_ubyte v1, v[8:9], off
	s_movk_i32 s16, 0x7f
	s_waitcnt vmcnt(0)
	v_cmp_lt_i16_e32 vcc, s16, v1
	s_mov_b64 s[16:17], 0
	s_and_saveexec_b64 s[18:19], vcc
	s_xor_b64 s[18:19], exec, s[18:19]
	s_cbranch_execz .LBB135_1547
; %bb.1527:
	s_movk_i32 s16, 0x80
	v_cmp_eq_u16_e32 vcc, s16, v1
	s_mov_b64 s[16:17], -1
	s_and_saveexec_b64 s[20:21], vcc
; %bb.1528:
	s_xor_b64 s[16:17], exec, -1
; %bb.1529:
	s_or_b64 exec, exec, s[20:21]
	s_and_b64 s[16:17], s[16:17], exec
	s_or_saveexec_b64 s[18:19], s[18:19]
	v_mov_b32_e32 v3, 0x7f800001
	s_xor_b64 exec, exec, s[18:19]
	s_cbranch_execnz .LBB135_1548
.LBB135_1530:
	s_or_b64 exec, exec, s[18:19]
	s_and_saveexec_b64 s[18:19], s[16:17]
	s_cbranch_execz .LBB135_1532
.LBB135_1531:
	v_lshlrev_b32_e32 v3, 24, v1
	v_and_b32_e32 v1, 0xffff, v1
	v_and_b32_e32 v5, 7, v1
	v_ffbh_u32_e32 v11, v5
	v_min_u32_e32 v11, 32, v11
	v_subrev_u32_e32 v12, 28, v11
	v_bfe_u32 v10, v1, 3, 4
	v_lshlrev_b32_e32 v1, v12, v1
	v_sub_u32_e32 v11, 29, v11
	v_and_b32_e32 v1, 7, v1
	v_cmp_eq_u32_e32 vcc, 0, v10
	v_cndmask_b32_e32 v10, v10, v11, vcc
	v_cndmask_b32_e32 v1, v5, v1, vcc
	v_mov_b32_e32 v5, 0x3b800000
	v_lshlrev_b32_e32 v1, 20, v1
	v_and_b32_e32 v3, 0x80000000, v3
	v_lshl_add_u32 v5, v10, 23, v5
	v_or3_b32 v3, v3, v5, v1
.LBB135_1532:
	s_or_b64 exec, exec, s[18:19]
	v_bfe_u32 v1, v3, 16, 1
	s_movk_i32 s16, 0x7fff
	v_add3_u32 v1, v3, v1, s16
	v_cmp_o_f32_e32 vcc, v3, v3
	v_mov_b32_e32 v3, 0x7fc0
	v_cndmask_b32_sdwa v1, v3, v1, vcc dst_sel:DWORD dst_unused:UNUSED_PAD src0_sel:DWORD src1_sel:WORD_1
.LBB135_1533:
	s_mov_b64 s[16:17], -1
.LBB135_1534:
	s_mov_b64 s[18:19], 0
.LBB135_1535:
	s_and_b64 vcc, exec, s[18:19]
	s_cbranch_vccz .LBB135_1568
; %bb.1536:
	s_cmp_gt_i32 s23, 22
	s_cbranch_scc0 .LBB135_1546
; %bb.1537:
	s_cmp_lt_i32 s23, 24
	s_cbranch_scc1 .LBB135_1549
; %bb.1538:
	s_cmp_gt_i32 s23, 24
	s_cbranch_scc0 .LBB135_1550
; %bb.1539:
	global_load_ubyte v1, v[8:9], off
	s_movk_i32 s14, 0x7f
	s_waitcnt vmcnt(0)
	v_cmp_lt_i16_e32 vcc, s14, v1
	s_mov_b64 s[14:15], 0
	s_and_saveexec_b64 s[16:17], vcc
	s_xor_b64 s[16:17], exec, s[16:17]
	s_cbranch_execz .LBB135_1562
; %bb.1540:
	s_movk_i32 s14, 0x80
	v_cmp_eq_u16_e32 vcc, s14, v1
	s_mov_b64 s[14:15], -1
	s_and_saveexec_b64 s[18:19], vcc
; %bb.1541:
	s_xor_b64 s[14:15], exec, -1
; %bb.1542:
	s_or_b64 exec, exec, s[18:19]
	s_and_b64 s[14:15], s[14:15], exec
	s_or_saveexec_b64 s[16:17], s[16:17]
	v_mov_b32_e32 v3, 0x7f800001
	s_xor_b64 exec, exec, s[16:17]
	s_cbranch_execnz .LBB135_1563
.LBB135_1543:
	s_or_b64 exec, exec, s[16:17]
	s_and_saveexec_b64 s[16:17], s[14:15]
	s_cbranch_execz .LBB135_1545
.LBB135_1544:
	v_lshlrev_b32_e32 v3, 24, v1
	v_and_b32_e32 v1, 0xffff, v1
	v_and_b32_e32 v5, 3, v1
	v_ffbh_u32_e32 v11, v5
	v_min_u32_e32 v11, 32, v11
	v_subrev_u32_e32 v12, 29, v11
	v_bfe_u32 v10, v1, 2, 5
	v_lshlrev_b32_e32 v1, v12, v1
	v_sub_u32_e32 v11, 30, v11
	v_and_b32_e32 v1, 3, v1
	v_cmp_eq_u32_e32 vcc, 0, v10
	v_cndmask_b32_e32 v10, v10, v11, vcc
	v_cndmask_b32_e32 v1, v5, v1, vcc
	v_mov_b32_e32 v5, 0x37800000
	v_lshlrev_b32_e32 v1, 21, v1
	v_and_b32_e32 v3, 0x80000000, v3
	v_lshl_add_u32 v5, v10, 23, v5
	v_or3_b32 v3, v3, v5, v1
.LBB135_1545:
	s_or_b64 exec, exec, s[16:17]
	v_bfe_u32 v1, v3, 16, 1
	s_movk_i32 s14, 0x7fff
	v_add3_u32 v1, v3, v1, s14
	v_cmp_o_f32_e32 vcc, v3, v3
	v_mov_b32_e32 v3, 0x7fc0
	v_cndmask_b32_sdwa v1, v3, v1, vcc dst_sel:DWORD dst_unused:UNUSED_PAD src0_sel:DWORD src1_sel:WORD_1
	s_mov_b64 s[14:15], 0
	s_branch .LBB135_1551
.LBB135_1546:
	s_mov_b64 s[14:15], -1
                                        ; implicit-def: $vgpr1
	s_branch .LBB135_1557
.LBB135_1547:
	s_or_saveexec_b64 s[18:19], s[18:19]
	v_mov_b32_e32 v3, 0x7f800001
	s_xor_b64 exec, exec, s[18:19]
	s_cbranch_execz .LBB135_1530
.LBB135_1548:
	v_cmp_ne_u16_e32 vcc, 0, v1
	s_andn2_b64 s[16:17], s[16:17], exec
	s_and_b64 s[20:21], vcc, exec
	v_mov_b32_e32 v3, 0
	s_or_b64 s[16:17], s[16:17], s[20:21]
	s_or_b64 exec, exec, s[18:19]
	s_and_saveexec_b64 s[18:19], s[16:17]
	s_cbranch_execnz .LBB135_1531
	s_branch .LBB135_1532
.LBB135_1549:
	s_mov_b64 s[14:15], -1
                                        ; implicit-def: $vgpr1
	s_branch .LBB135_1554
.LBB135_1550:
	s_mov_b64 s[14:15], -1
                                        ; implicit-def: $vgpr1
.LBB135_1551:
	s_and_b64 vcc, exec, s[14:15]
	s_cbranch_vccz .LBB135_1553
; %bb.1552:
	global_load_ubyte v1, v[8:9], off
	s_mov_b32 s14, 0x7f800000
	s_brev_b32 s15, 1
	s_movk_i32 s16, 0x7fff
	s_waitcnt vmcnt(0)
	v_lshlrev_b32_e32 v1, 24, v1
	v_and_b32_e32 v3, 0x7f000000, v1
	v_ffbh_u32_e32 v5, v3
	v_min_u32_e32 v5, 32, v5
	v_sub_u32_e64 v5, v5, 4 clamp
	v_lshlrev_b32_e32 v11, v5, v3
	v_lshlrev_b32_e32 v5, 23, v5
	v_lshrrev_b32_e32 v11, 4, v11
	v_add_u32_e32 v10, 0x1000000, v3
	v_sub_u32_e32 v5, v11, v5
	v_ashrrev_i32_e32 v10, 8, v10
	v_add_u32_e32 v5, 0x3c000000, v5
	v_and_or_b32 v5, v10, s14, v5
	v_cmp_ne_u32_e32 vcc, 0, v3
	v_cndmask_b32_e32 v3, 0, v5, vcc
	v_and_or_b32 v1, v1, s15, v3
	v_bfe_u32 v3, v3, 16, 1
	v_add3_u32 v3, v1, v3, s16
	v_cmp_o_f32_e32 vcc, v1, v1
	v_mov_b32_e32 v1, 0x7fc0
	v_cndmask_b32_sdwa v1, v1, v3, vcc dst_sel:DWORD dst_unused:UNUSED_PAD src0_sel:DWORD src1_sel:WORD_1
.LBB135_1553:
	s_mov_b64 s[14:15], 0
.LBB135_1554:
	s_andn2_b64 vcc, exec, s[14:15]
	s_cbranch_vccnz .LBB135_1556
; %bb.1555:
	global_load_ubyte v1, v[8:9], off
	s_movk_i32 s14, 0x7f00
	s_brev_b32 s15, 16
	s_brev_b32 s16, 1
	s_movk_i32 s17, 0x7fff
	s_waitcnt vmcnt(0)
	v_lshlrev_b16_e32 v3, 8, v1
	v_lshlrev_b32_e32 v1, 25, v1
	v_lshrrev_b32_e32 v5, 4, v1
	v_and_or_b32 v10, v3, s14, 0.5
	v_or_b32_e32 v5, 0x70000000, v5
	v_add_f32_e32 v10, -0.5, v10
	v_mul_f32_e32 v5, 0x7800000, v5
	v_cmp_gt_u32_e32 vcc, s15, v1
	v_bfe_i32 v3, v3, 0, 16
	v_cndmask_b32_e32 v1, v5, v10, vcc
	v_and_or_b32 v3, v3, s16, v1
	v_bfe_u32 v1, v1, 16, 1
	v_add3_u32 v1, v3, v1, s17
	v_cmp_o_f32_e32 vcc, v3, v3
	v_mov_b32_e32 v3, 0x7fc0
	v_cndmask_b32_sdwa v1, v3, v1, vcc dst_sel:DWORD dst_unused:UNUSED_PAD src0_sel:DWORD src1_sel:WORD_1
.LBB135_1556:
	s_mov_b64 s[14:15], 0
	s_mov_b64 s[16:17], -1
.LBB135_1557:
	s_andn2_b64 vcc, exec, s[14:15]
	s_mov_b64 s[14:15], 0
	s_cbranch_vccnz .LBB135_1568
; %bb.1558:
	s_cmp_gt_i32 s23, 14
	s_cbranch_scc0 .LBB135_1561
; %bb.1559:
	s_cmp_eq_u32 s23, 15
	s_cbranch_scc0 .LBB135_1564
; %bb.1560:
	global_load_ushort v1, v[8:9], off
	s_mov_b64 s[12:13], 0
	s_mov_b64 s[16:17], -1
	s_branch .LBB135_1565
.LBB135_1561:
	s_mov_b64 s[18:19], -1
                                        ; implicit-def: $vgpr1
	s_branch .LBB135_1566
.LBB135_1562:
	s_or_saveexec_b64 s[16:17], s[16:17]
	v_mov_b32_e32 v3, 0x7f800001
	s_xor_b64 exec, exec, s[16:17]
	s_cbranch_execz .LBB135_1543
.LBB135_1563:
	v_cmp_ne_u16_e32 vcc, 0, v1
	s_andn2_b64 s[14:15], s[14:15], exec
	s_and_b64 s[18:19], vcc, exec
	v_mov_b32_e32 v3, 0
	s_or_b64 s[14:15], s[14:15], s[18:19]
	s_or_b64 exec, exec, s[16:17]
	s_and_saveexec_b64 s[16:17], s[14:15]
	s_cbranch_execnz .LBB135_1544
	s_branch .LBB135_1545
.LBB135_1564:
	s_mov_b64 s[12:13], -1
                                        ; implicit-def: $vgpr1
.LBB135_1565:
	s_mov_b64 s[18:19], 0
.LBB135_1566:
	s_and_b64 vcc, exec, s[18:19]
	s_cbranch_vccz .LBB135_1568
; %bb.1567:
	s_cmp_lg_u32 s23, 11
	s_mov_b64 s[14:15], -1
	s_cselect_b64 s[12:13], -1, 0
.LBB135_1568:
	s_and_b64 vcc, exec, s[12:13]
	s_cbranch_vccnz .LBB135_1647
; %bb.1569:
	s_andn2_b64 vcc, exec, s[14:15]
	s_cbranch_vccnz .LBB135_1571
.LBB135_1570:
	global_load_ubyte v1, v[8:9], off
	s_mov_b64 s[16:17], -1
	s_waitcnt vmcnt(0)
	v_cmp_ne_u16_e32 vcc, 0, v1
	v_cndmask_b32_e64 v1, 0, 1.0, vcc
	v_lshrrev_b32_e32 v1, 16, v1
.LBB135_1571:
	s_branch .LBB135_1499
.LBB135_1572:
	s_and_b32 s14, 0xffff, s22
	s_cmp_lt_i32 s14, 5
	s_cbranch_scc1 .LBB135_1577
; %bb.1573:
	s_cmp_lt_i32 s14, 8
	s_cbranch_scc1 .LBB135_1578
; %bb.1574:
	;; [unrolled: 3-line block ×3, first 2 shown]
	s_cmp_gt_i32 s14, 9
	s_cbranch_scc0 .LBB135_1580
; %bb.1576:
	global_load_dwordx2 v[10:11], v[8:9], off
	s_movk_i32 s12, 0x7fff
	v_mov_b32_e32 v3, 0x7fc0
	s_waitcnt vmcnt(0)
	v_cvt_f32_f64_e32 v1, v[10:11]
	v_bfe_u32 v5, v1, 16, 1
	v_cmp_o_f32_e32 vcc, v1, v1
	v_add3_u32 v1, v1, v5, s12
	v_cndmask_b32_sdwa v1, v3, v1, vcc dst_sel:DWORD dst_unused:UNUSED_PAD src0_sel:DWORD src1_sel:WORD_1
	s_mov_b64 s[12:13], 0
	s_branch .LBB135_1581
.LBB135_1577:
	s_mov_b64 s[12:13], -1
                                        ; implicit-def: $vgpr1
	s_branch .LBB135_1599
.LBB135_1578:
	s_mov_b64 s[12:13], -1
                                        ; implicit-def: $vgpr1
	s_branch .LBB135_1587
.LBB135_1579:
	s_mov_b64 s[12:13], -1
                                        ; implicit-def: $vgpr1
	s_branch .LBB135_1584
.LBB135_1580:
	s_mov_b64 s[12:13], -1
                                        ; implicit-def: $vgpr1
.LBB135_1581:
	s_andn2_b64 vcc, exec, s[12:13]
	s_cbranch_vccnz .LBB135_1583
; %bb.1582:
	global_load_dword v1, v[8:9], off
	s_movk_i32 s12, 0x7fff
	v_mov_b32_e32 v3, 0x7fc0
	s_waitcnt vmcnt(0)
	v_bfe_u32 v5, v1, 16, 1
	v_cmp_o_f32_e32 vcc, v1, v1
	v_add3_u32 v1, v1, v5, s12
	v_cndmask_b32_sdwa v1, v3, v1, vcc dst_sel:DWORD dst_unused:UNUSED_PAD src0_sel:DWORD src1_sel:WORD_1
.LBB135_1583:
	s_mov_b64 s[12:13], 0
.LBB135_1584:
	s_andn2_b64 vcc, exec, s[12:13]
	s_cbranch_vccnz .LBB135_1586
; %bb.1585:
	global_load_dword v1, v[8:9], off
	s_movk_i32 s12, 0x7fff
	v_mov_b32_e32 v5, 0x7fc0
	s_waitcnt vmcnt(0)
	v_cvt_f32_f16_e32 v3, v1
	v_cmp_o_f16_e32 vcc, v1, v1
	v_bfe_u32 v1, v3, 16, 1
	v_add3_u32 v1, v3, v1, s12
	v_cndmask_b32_sdwa v1, v5, v1, vcc dst_sel:DWORD dst_unused:UNUSED_PAD src0_sel:DWORD src1_sel:WORD_1
.LBB135_1586:
	s_mov_b64 s[12:13], 0
.LBB135_1587:
	s_andn2_b64 vcc, exec, s[12:13]
	s_cbranch_vccnz .LBB135_1598
; %bb.1588:
	s_cmp_lt_i32 s14, 6
	s_cbranch_scc1 .LBB135_1591
; %bb.1589:
	s_cmp_gt_i32 s14, 6
	s_cbranch_scc0 .LBB135_1592
; %bb.1590:
	global_load_dwordx2 v[10:11], v[8:9], off
	s_movk_i32 s12, 0x7fff
	v_mov_b32_e32 v3, 0x7fc0
	s_waitcnt vmcnt(0)
	v_cvt_f32_f64_e32 v1, v[10:11]
	v_bfe_u32 v5, v1, 16, 1
	v_cmp_o_f32_e32 vcc, v1, v1
	v_add3_u32 v1, v1, v5, s12
	v_cndmask_b32_sdwa v1, v3, v1, vcc dst_sel:DWORD dst_unused:UNUSED_PAD src0_sel:DWORD src1_sel:WORD_1
	s_mov_b64 s[12:13], 0
	s_branch .LBB135_1593
.LBB135_1591:
	s_mov_b64 s[12:13], -1
                                        ; implicit-def: $vgpr1
	s_branch .LBB135_1596
.LBB135_1592:
	s_mov_b64 s[12:13], -1
                                        ; implicit-def: $vgpr1
.LBB135_1593:
	s_andn2_b64 vcc, exec, s[12:13]
	s_cbranch_vccnz .LBB135_1595
; %bb.1594:
	global_load_dword v1, v[8:9], off
	s_movk_i32 s12, 0x7fff
	v_mov_b32_e32 v3, 0x7fc0
	s_waitcnt vmcnt(0)
	v_bfe_u32 v5, v1, 16, 1
	v_cmp_o_f32_e32 vcc, v1, v1
	v_add3_u32 v1, v1, v5, s12
	v_cndmask_b32_sdwa v1, v3, v1, vcc dst_sel:DWORD dst_unused:UNUSED_PAD src0_sel:DWORD src1_sel:WORD_1
.LBB135_1595:
	s_mov_b64 s[12:13], 0
.LBB135_1596:
	s_andn2_b64 vcc, exec, s[12:13]
	s_cbranch_vccnz .LBB135_1598
; %bb.1597:
	global_load_ushort v1, v[8:9], off
	s_movk_i32 s12, 0x7fff
	v_mov_b32_e32 v5, 0x7fc0
	s_waitcnt vmcnt(0)
	v_cvt_f32_f16_e32 v3, v1
	v_cmp_o_f16_e32 vcc, v1, v1
	v_bfe_u32 v1, v3, 16, 1
	v_add3_u32 v1, v3, v1, s12
	v_cndmask_b32_sdwa v1, v5, v1, vcc dst_sel:DWORD dst_unused:UNUSED_PAD src0_sel:DWORD src1_sel:WORD_1
.LBB135_1598:
	s_mov_b64 s[12:13], 0
.LBB135_1599:
	s_andn2_b64 vcc, exec, s[12:13]
	s_cbranch_vccnz .LBB135_1619
; %bb.1600:
	s_cmp_lt_i32 s14, 2
	s_cbranch_scc1 .LBB135_1604
; %bb.1601:
	s_cmp_lt_i32 s14, 3
	s_cbranch_scc1 .LBB135_1605
; %bb.1602:
	s_cmp_gt_i32 s14, 3
	s_cbranch_scc0 .LBB135_1606
; %bb.1603:
	global_load_dwordx2 v[10:11], v[8:9], off
	s_movk_i32 s12, 0x7fff
	s_waitcnt vmcnt(0)
	v_xor_b32_e32 v3, v10, v11
	v_ffbh_i32_e32 v1, v11
	v_ashrrev_i32_e32 v3, 31, v3
	v_add_u32_e32 v1, -1, v1
	v_add_u32_e32 v3, 32, v3
	v_min_u32_e32 v1, v1, v3
	v_lshlrev_b64 v[10:11], v1, v[10:11]
	v_sub_u32_e32 v1, 32, v1
	v_min_u32_e32 v3, 1, v10
	v_or_b32_e32 v3, v11, v3
	v_cvt_f32_i32_e32 v3, v3
	v_ldexp_f32 v1, v3, v1
	v_bfe_u32 v3, v1, 16, 1
	v_add3_u32 v1, v1, v3, s12
	v_lshrrev_b32_e32 v1, 16, v1
	s_mov_b64 s[12:13], 0
	s_branch .LBB135_1607
.LBB135_1604:
	s_mov_b64 s[12:13], -1
                                        ; implicit-def: $vgpr1
	s_branch .LBB135_1613
.LBB135_1605:
	s_mov_b64 s[12:13], -1
                                        ; implicit-def: $vgpr1
	s_branch .LBB135_1610
.LBB135_1606:
	s_mov_b64 s[12:13], -1
                                        ; implicit-def: $vgpr1
.LBB135_1607:
	s_andn2_b64 vcc, exec, s[12:13]
	s_cbranch_vccnz .LBB135_1609
; %bb.1608:
	global_load_dword v1, v[8:9], off
	s_movk_i32 s12, 0x7fff
	s_waitcnt vmcnt(0)
	v_cvt_f32_i32_e32 v1, v1
	v_bfe_u32 v3, v1, 16, 1
	v_add3_u32 v1, v1, v3, s12
	v_lshrrev_b32_e32 v1, 16, v1
.LBB135_1609:
	s_mov_b64 s[12:13], 0
.LBB135_1610:
	s_andn2_b64 vcc, exec, s[12:13]
	s_cbranch_vccnz .LBB135_1612
; %bb.1611:
	global_load_sshort v1, v[8:9], off
	s_movk_i32 s12, 0x7fff
	s_waitcnt vmcnt(0)
	v_cvt_f32_i32_e32 v1, v1
	v_bfe_u32 v3, v1, 16, 1
	v_add3_u32 v1, v1, v3, s12
	v_lshrrev_b32_e32 v1, 16, v1
.LBB135_1612:
	s_mov_b64 s[12:13], 0
.LBB135_1613:
	s_andn2_b64 vcc, exec, s[12:13]
	s_cbranch_vccnz .LBB135_1619
; %bb.1614:
	s_cmp_gt_i32 s14, 0
	s_cbranch_scc0 .LBB135_1616
; %bb.1615:
	global_load_sbyte v1, v[8:9], off
	s_movk_i32 s12, 0x7fff
	s_waitcnt vmcnt(0)
	v_cvt_f32_i32_e32 v1, v1
	v_bfe_u32 v3, v1, 16, 1
	v_add3_u32 v1, v1, v3, s12
	v_lshrrev_b32_e32 v1, 16, v1
	s_mov_b64 s[12:13], 0
	s_branch .LBB135_1617
.LBB135_1616:
	s_mov_b64 s[12:13], -1
                                        ; implicit-def: $vgpr1
.LBB135_1617:
	s_andn2_b64 vcc, exec, s[12:13]
	s_cbranch_vccnz .LBB135_1619
; %bb.1618:
	global_load_ubyte v1, v[8:9], off
	s_movk_i32 s12, 0x7fff
	s_waitcnt vmcnt(0)
	v_cvt_f32_ubyte0_e32 v1, v1
	v_bfe_u32 v3, v1, 16, 1
	v_add3_u32 v1, v1, v3, s12
	v_lshrrev_b32_e32 v1, 16, v1
.LBB135_1619:
.LBB135_1620:
	s_waitcnt vmcnt(0)
	v_lshlrev_b32_e32 v1, 16, v1
	s_cmp_lt_i32 s0, 1
	s_mov_b64 s[14:15], 0
	s_cbranch_scc1 .LBB135_1624
; %bb.1621:
	s_cmp_gt_i32 s0, 1
	s_cbranch_scc0 .LBB135_1627
; %bb.1622:
	s_cmp_eq_u32 s0, 2
	s_cbranch_scc0 .LBB135_1628
; %bb.1623:
	v_cmp_ge_f32_e64 s[12:13], s1, v1
	s_mov_b64 s[16:17], 0
	s_branch .LBB135_1629
.LBB135_1624:
                                        ; implicit-def: $sgpr12_sgpr13
	s_mov_b64 s[16:17], 0
	s_cbranch_execnz .LBB135_1633
.LBB135_1625:
	s_andn2_b64 vcc, exec, s[16:17]
	s_cbranch_vccnz .LBB135_1634
.LBB135_1626:
	v_cmp_gt_f32_e32 vcc, s1, v1
	s_andn2_b64 s[12:13], s[12:13], exec
	s_and_b64 s[16:17], vcc, exec
	s_or_b64 s[12:13], s[12:13], s[16:17]
	s_cbranch_execz .LBB135_1635
	s_branch .LBB135_1636
.LBB135_1627:
	s_mov_b64 s[18:19], -1
	s_mov_b64 s[16:17], 0
                                        ; implicit-def: $sgpr12_sgpr13
	s_branch .LBB135_1630
.LBB135_1628:
	s_mov_b64 s[16:17], -1
                                        ; implicit-def: $sgpr12_sgpr13
.LBB135_1629:
	s_mov_b64 s[18:19], 0
.LBB135_1630:
	s_and_b64 vcc, exec, s[18:19]
	s_cbranch_vccz .LBB135_1632
; %bb.1631:
	v_cmp_lt_f32_e32 vcc, s1, v1
	s_andn2_b64 s[12:13], s[12:13], exec
	s_and_b64 s[18:19], vcc, exec
	s_or_b64 s[12:13], s[12:13], s[18:19]
.LBB135_1632:
	s_branch .LBB135_1625
.LBB135_1633:
	s_cmp_lg_u32 s0, 0
	s_mov_b64 s[14:15], -1
	s_cselect_b64 s[16:17], -1, 0
	s_andn2_b64 vcc, exec, s[16:17]
	s_cbranch_vccz .LBB135_1626
.LBB135_1634:
	s_andn2_b64 vcc, exec, s[14:15]
	s_cbranch_vccnz .LBB135_1636
.LBB135_1635:
	v_cmp_le_f32_e32 vcc, s1, v1
	s_andn2_b64 s[12:13], s[12:13], exec
	s_and_b64 s[14:15], vcc, exec
	s_or_b64 s[12:13], s[12:13], s[14:15]
.LBB135_1636:
	v_mov_b32_e32 v1, s11
	v_add_co_u32_e32 v7, vcc, s10, v7
	s_cmp_lt_i32 s22, 11
	v_addc_co_u32_e32 v8, vcc, 0, v1, vcc
	s_cbranch_scc1 .LBB135_1643
; %bb.1637:
	s_and_b32 s23, 0xffff, s22
	s_cmp_gt_i32 s23, 25
	s_mov_b64 s[14:15], 0
	s_cbranch_scc0 .LBB135_1644
; %bb.1638:
	s_cmp_gt_i32 s23, 28
	s_cbranch_scc0 .LBB135_1645
; %bb.1639:
	s_cmp_gt_i32 s23, 43
	;; [unrolled: 3-line block ×3, first 2 shown]
	s_cbranch_scc0 .LBB135_1648
; %bb.1641:
	s_cmp_eq_u32 s23, 46
	s_mov_b64 s[18:19], 0
	s_cbranch_scc0 .LBB135_1649
; %bb.1642:
	global_load_dword v1, v[7:8], off
	s_mov_b64 s[10:11], 0
	s_mov_b64 s[16:17], -1
	s_branch .LBB135_1650
.LBB135_1643:
	s_mov_b64 s[10:11], -1
	s_mov_b64 s[16:17], 0
                                        ; implicit-def: $vgpr1
	s_branch .LBB135_1716
.LBB135_1644:
	s_mov_b64 s[18:19], -1
	s_mov_b64 s[16:17], 0
	s_mov_b64 s[10:11], 0
                                        ; implicit-def: $vgpr1
	s_branch .LBB135_1679
.LBB135_1645:
	s_mov_b64 s[18:19], -1
	s_mov_b64 s[16:17], 0
	s_mov_b64 s[10:11], 0
                                        ; implicit-def: $vgpr1
	s_branch .LBB135_1660
.LBB135_1646:
	s_mov_b64 s[18:19], -1
	s_mov_b64 s[16:17], 0
	s_mov_b64 s[10:11], 0
                                        ; implicit-def: $vgpr1
	s_branch .LBB135_1655
.LBB135_1647:
	s_trap 2
	s_or_b64 s[2:3], s[2:3], exec
	s_cbranch_execz .LBB135_1570
	s_branch .LBB135_1571
.LBB135_1648:
	s_mov_b64 s[18:19], -1
	s_mov_b64 s[16:17], 0
	s_mov_b64 s[10:11], 0
                                        ; implicit-def: $vgpr1
	s_branch .LBB135_1650
.LBB135_1649:
	s_mov_b64 s[10:11], -1
                                        ; implicit-def: $vgpr1
	s_mov_b64 s[16:17], 0
.LBB135_1650:
	s_and_b64 vcc, exec, s[18:19]
	s_cbranch_vccz .LBB135_1654
; %bb.1651:
	s_cmp_eq_u32 s23, 44
	s_cbranch_scc0 .LBB135_1653
; %bb.1652:
	global_load_ubyte v1, v[7:8], off
	s_movk_i32 s16, 0xff
	v_mov_b32_e32 v3, 0x7f800001
	v_mov_b32_e32 v5, 0x400000
	;; [unrolled: 1-line block ×3, first 2 shown]
	s_mov_b64 s[10:11], 0
	s_waitcnt vmcnt(0)
	v_lshlrev_b32_e32 v10, 23, v1
	v_cmp_ne_u32_e32 vcc, s16, v1
	v_cndmask_b32_e32 v3, v3, v10, vcc
	v_cmp_ne_u32_e32 vcc, 0, v1
	v_cndmask_b32_e32 v1, v5, v3, vcc
	v_add_u32_e32 v3, 0x7fff, v1
	v_cmp_o_f32_e32 vcc, v1, v1
	v_cndmask_b32_sdwa v1, v9, v3, vcc dst_sel:DWORD dst_unused:UNUSED_PAD src0_sel:DWORD src1_sel:WORD_1
	s_mov_b64 s[16:17], -1
	s_branch .LBB135_1654
.LBB135_1653:
	s_mov_b64 s[10:11], -1
                                        ; implicit-def: $vgpr1
.LBB135_1654:
	s_mov_b64 s[18:19], 0
.LBB135_1655:
	s_and_b64 vcc, exec, s[18:19]
	s_cbranch_vccz .LBB135_1659
; %bb.1656:
	s_cmp_eq_u32 s23, 29
	s_cbranch_scc0 .LBB135_1658
; %bb.1657:
	global_load_dwordx2 v[9:10], v[7:8], off
	s_movk_i32 s16, 0x7fff
	s_mov_b64 s[10:11], 0
	s_mov_b64 s[18:19], 0
	s_waitcnt vmcnt(0)
	v_ffbh_u32_e32 v1, v10
	v_min_u32_e32 v1, 32, v1
	v_lshlrev_b64 v[9:10], v1, v[9:10]
	v_sub_u32_e32 v1, 32, v1
	v_min_u32_e32 v3, 1, v9
	v_or_b32_e32 v3, v10, v3
	v_cvt_f32_u32_e32 v3, v3
	v_ldexp_f32 v1, v3, v1
	v_bfe_u32 v3, v1, 16, 1
	v_add3_u32 v1, v1, v3, s16
	v_lshrrev_b32_e32 v1, 16, v1
	s_mov_b64 s[16:17], -1
	s_branch .LBB135_1660
.LBB135_1658:
	s_mov_b64 s[10:11], -1
                                        ; implicit-def: $vgpr1
.LBB135_1659:
	s_mov_b64 s[18:19], 0
.LBB135_1660:
	s_and_b64 vcc, exec, s[18:19]
	s_cbranch_vccz .LBB135_1678
; %bb.1661:
	s_cmp_lt_i32 s23, 27
	s_cbranch_scc1 .LBB135_1664
; %bb.1662:
	s_cmp_gt_i32 s23, 27
	s_cbranch_scc0 .LBB135_1665
; %bb.1663:
	global_load_dword v1, v[7:8], off
	s_movk_i32 s16, 0x7fff
	s_waitcnt vmcnt(0)
	v_cvt_f32_u32_e32 v1, v1
	v_bfe_u32 v3, v1, 16, 1
	v_add3_u32 v1, v1, v3, s16
	v_lshrrev_b32_e32 v1, 16, v1
	s_mov_b64 s[16:17], 0
	s_branch .LBB135_1666
.LBB135_1664:
	s_mov_b64 s[16:17], -1
                                        ; implicit-def: $vgpr1
	s_branch .LBB135_1669
.LBB135_1665:
	s_mov_b64 s[16:17], -1
                                        ; implicit-def: $vgpr1
.LBB135_1666:
	s_andn2_b64 vcc, exec, s[16:17]
	s_cbranch_vccnz .LBB135_1668
; %bb.1667:
	global_load_ushort v1, v[7:8], off
	s_movk_i32 s16, 0x7fff
	s_waitcnt vmcnt(0)
	v_cvt_f32_u32_e32 v1, v1
	v_bfe_u32 v3, v1, 16, 1
	v_add3_u32 v1, v1, v3, s16
	v_lshrrev_b32_e32 v1, 16, v1
.LBB135_1668:
	s_mov_b64 s[16:17], 0
.LBB135_1669:
	s_andn2_b64 vcc, exec, s[16:17]
	s_cbranch_vccnz .LBB135_1677
; %bb.1670:
	global_load_ubyte v1, v[7:8], off
	s_movk_i32 s16, 0x7f
	s_waitcnt vmcnt(0)
	v_cmp_lt_i16_e32 vcc, s16, v1
	s_mov_b64 s[16:17], 0
	s_and_saveexec_b64 s[18:19], vcc
	s_xor_b64 s[18:19], exec, s[18:19]
	s_cbranch_execz .LBB135_1691
; %bb.1671:
	s_movk_i32 s16, 0x80
	v_cmp_eq_u16_e32 vcc, s16, v1
	s_mov_b64 s[16:17], -1
	s_and_saveexec_b64 s[20:21], vcc
; %bb.1672:
	s_xor_b64 s[16:17], exec, -1
; %bb.1673:
	s_or_b64 exec, exec, s[20:21]
	s_and_b64 s[16:17], s[16:17], exec
	s_or_saveexec_b64 s[18:19], s[18:19]
	v_mov_b32_e32 v3, 0x7f800001
	s_xor_b64 exec, exec, s[18:19]
	s_cbranch_execnz .LBB135_1692
.LBB135_1674:
	s_or_b64 exec, exec, s[18:19]
	s_and_saveexec_b64 s[18:19], s[16:17]
	s_cbranch_execz .LBB135_1676
.LBB135_1675:
	v_lshlrev_b32_e32 v3, 24, v1
	v_and_b32_e32 v1, 0xffff, v1
	v_and_b32_e32 v5, 7, v1
	v_ffbh_u32_e32 v10, v5
	v_min_u32_e32 v10, 32, v10
	v_subrev_u32_e32 v11, 28, v10
	v_bfe_u32 v9, v1, 3, 4
	v_lshlrev_b32_e32 v1, v11, v1
	v_sub_u32_e32 v10, 29, v10
	v_and_b32_e32 v1, 7, v1
	v_cmp_eq_u32_e32 vcc, 0, v9
	v_cndmask_b32_e32 v9, v9, v10, vcc
	v_cndmask_b32_e32 v1, v5, v1, vcc
	v_mov_b32_e32 v5, 0x3b800000
	v_lshlrev_b32_e32 v1, 20, v1
	v_and_b32_e32 v3, 0x80000000, v3
	v_lshl_add_u32 v5, v9, 23, v5
	v_or3_b32 v3, v3, v5, v1
.LBB135_1676:
	s_or_b64 exec, exec, s[18:19]
	v_bfe_u32 v1, v3, 16, 1
	s_movk_i32 s16, 0x7fff
	v_add3_u32 v1, v3, v1, s16
	v_cmp_o_f32_e32 vcc, v3, v3
	v_mov_b32_e32 v3, 0x7fc0
	v_cndmask_b32_sdwa v1, v3, v1, vcc dst_sel:DWORD dst_unused:UNUSED_PAD src0_sel:DWORD src1_sel:WORD_1
.LBB135_1677:
	s_mov_b64 s[16:17], -1
.LBB135_1678:
	s_mov_b64 s[18:19], 0
.LBB135_1679:
	s_and_b64 vcc, exec, s[18:19]
	s_cbranch_vccz .LBB135_1712
; %bb.1680:
	s_cmp_gt_i32 s23, 22
	s_cbranch_scc0 .LBB135_1690
; %bb.1681:
	s_cmp_lt_i32 s23, 24
	s_cbranch_scc1 .LBB135_1693
; %bb.1682:
	s_cmp_gt_i32 s23, 24
	s_cbranch_scc0 .LBB135_1694
; %bb.1683:
	global_load_ubyte v1, v[7:8], off
	s_movk_i32 s14, 0x7f
	s_waitcnt vmcnt(0)
	v_cmp_lt_i16_e32 vcc, s14, v1
	s_mov_b64 s[14:15], 0
	s_and_saveexec_b64 s[16:17], vcc
	s_xor_b64 s[16:17], exec, s[16:17]
	s_cbranch_execz .LBB135_1706
; %bb.1684:
	s_movk_i32 s14, 0x80
	v_cmp_eq_u16_e32 vcc, s14, v1
	s_mov_b64 s[14:15], -1
	s_and_saveexec_b64 s[18:19], vcc
; %bb.1685:
	s_xor_b64 s[14:15], exec, -1
; %bb.1686:
	s_or_b64 exec, exec, s[18:19]
	s_and_b64 s[14:15], s[14:15], exec
	s_or_saveexec_b64 s[16:17], s[16:17]
	v_mov_b32_e32 v3, 0x7f800001
	s_xor_b64 exec, exec, s[16:17]
	s_cbranch_execnz .LBB135_1707
.LBB135_1687:
	s_or_b64 exec, exec, s[16:17]
	s_and_saveexec_b64 s[16:17], s[14:15]
	s_cbranch_execz .LBB135_1689
.LBB135_1688:
	v_lshlrev_b32_e32 v3, 24, v1
	v_and_b32_e32 v1, 0xffff, v1
	v_and_b32_e32 v5, 3, v1
	v_ffbh_u32_e32 v10, v5
	v_min_u32_e32 v10, 32, v10
	v_subrev_u32_e32 v11, 29, v10
	v_bfe_u32 v9, v1, 2, 5
	v_lshlrev_b32_e32 v1, v11, v1
	v_sub_u32_e32 v10, 30, v10
	v_and_b32_e32 v1, 3, v1
	v_cmp_eq_u32_e32 vcc, 0, v9
	v_cndmask_b32_e32 v9, v9, v10, vcc
	v_cndmask_b32_e32 v1, v5, v1, vcc
	v_mov_b32_e32 v5, 0x37800000
	v_lshlrev_b32_e32 v1, 21, v1
	v_and_b32_e32 v3, 0x80000000, v3
	v_lshl_add_u32 v5, v9, 23, v5
	v_or3_b32 v3, v3, v5, v1
.LBB135_1689:
	s_or_b64 exec, exec, s[16:17]
	v_bfe_u32 v1, v3, 16, 1
	s_movk_i32 s14, 0x7fff
	v_add3_u32 v1, v3, v1, s14
	v_cmp_o_f32_e32 vcc, v3, v3
	v_mov_b32_e32 v3, 0x7fc0
	v_cndmask_b32_sdwa v1, v3, v1, vcc dst_sel:DWORD dst_unused:UNUSED_PAD src0_sel:DWORD src1_sel:WORD_1
	s_mov_b64 s[14:15], 0
	s_branch .LBB135_1695
.LBB135_1690:
	s_mov_b64 s[14:15], -1
                                        ; implicit-def: $vgpr1
	s_branch .LBB135_1701
.LBB135_1691:
	s_or_saveexec_b64 s[18:19], s[18:19]
	v_mov_b32_e32 v3, 0x7f800001
	s_xor_b64 exec, exec, s[18:19]
	s_cbranch_execz .LBB135_1674
.LBB135_1692:
	v_cmp_ne_u16_e32 vcc, 0, v1
	s_andn2_b64 s[16:17], s[16:17], exec
	s_and_b64 s[20:21], vcc, exec
	v_mov_b32_e32 v3, 0
	s_or_b64 s[16:17], s[16:17], s[20:21]
	s_or_b64 exec, exec, s[18:19]
	s_and_saveexec_b64 s[18:19], s[16:17]
	s_cbranch_execnz .LBB135_1675
	s_branch .LBB135_1676
.LBB135_1693:
	s_mov_b64 s[14:15], -1
                                        ; implicit-def: $vgpr1
	s_branch .LBB135_1698
.LBB135_1694:
	s_mov_b64 s[14:15], -1
                                        ; implicit-def: $vgpr1
.LBB135_1695:
	s_and_b64 vcc, exec, s[14:15]
	s_cbranch_vccz .LBB135_1697
; %bb.1696:
	global_load_ubyte v1, v[7:8], off
	s_mov_b32 s14, 0x7f800000
	s_brev_b32 s15, 1
	s_movk_i32 s16, 0x7fff
	s_waitcnt vmcnt(0)
	v_lshlrev_b32_e32 v1, 24, v1
	v_and_b32_e32 v3, 0x7f000000, v1
	v_ffbh_u32_e32 v5, v3
	v_min_u32_e32 v5, 32, v5
	v_sub_u32_e64 v5, v5, 4 clamp
	v_lshlrev_b32_e32 v10, v5, v3
	v_lshlrev_b32_e32 v5, 23, v5
	v_lshrrev_b32_e32 v10, 4, v10
	v_add_u32_e32 v9, 0x1000000, v3
	v_sub_u32_e32 v5, v10, v5
	v_ashrrev_i32_e32 v9, 8, v9
	v_add_u32_e32 v5, 0x3c000000, v5
	v_and_or_b32 v5, v9, s14, v5
	v_cmp_ne_u32_e32 vcc, 0, v3
	v_cndmask_b32_e32 v3, 0, v5, vcc
	v_and_or_b32 v1, v1, s15, v3
	v_bfe_u32 v3, v3, 16, 1
	v_add3_u32 v3, v1, v3, s16
	v_cmp_o_f32_e32 vcc, v1, v1
	v_mov_b32_e32 v1, 0x7fc0
	v_cndmask_b32_sdwa v1, v1, v3, vcc dst_sel:DWORD dst_unused:UNUSED_PAD src0_sel:DWORD src1_sel:WORD_1
.LBB135_1697:
	s_mov_b64 s[14:15], 0
.LBB135_1698:
	s_andn2_b64 vcc, exec, s[14:15]
	s_cbranch_vccnz .LBB135_1700
; %bb.1699:
	global_load_ubyte v1, v[7:8], off
	s_movk_i32 s14, 0x7f00
	s_brev_b32 s15, 16
	s_brev_b32 s16, 1
	s_movk_i32 s17, 0x7fff
	s_waitcnt vmcnt(0)
	v_lshlrev_b16_e32 v3, 8, v1
	v_lshlrev_b32_e32 v1, 25, v1
	v_lshrrev_b32_e32 v5, 4, v1
	v_and_or_b32 v9, v3, s14, 0.5
	v_or_b32_e32 v5, 0x70000000, v5
	v_add_f32_e32 v9, -0.5, v9
	v_mul_f32_e32 v5, 0x7800000, v5
	v_cmp_gt_u32_e32 vcc, s15, v1
	v_bfe_i32 v3, v3, 0, 16
	v_cndmask_b32_e32 v1, v5, v9, vcc
	v_and_or_b32 v3, v3, s16, v1
	v_bfe_u32 v1, v1, 16, 1
	v_add3_u32 v1, v3, v1, s17
	v_cmp_o_f32_e32 vcc, v3, v3
	v_mov_b32_e32 v3, 0x7fc0
	v_cndmask_b32_sdwa v1, v3, v1, vcc dst_sel:DWORD dst_unused:UNUSED_PAD src0_sel:DWORD src1_sel:WORD_1
.LBB135_1700:
	s_mov_b64 s[14:15], 0
	s_mov_b64 s[16:17], -1
.LBB135_1701:
	s_andn2_b64 vcc, exec, s[14:15]
	s_mov_b64 s[14:15], 0
	s_cbranch_vccnz .LBB135_1712
; %bb.1702:
	s_cmp_gt_i32 s23, 14
	s_cbranch_scc0 .LBB135_1705
; %bb.1703:
	s_cmp_eq_u32 s23, 15
	s_cbranch_scc0 .LBB135_1708
; %bb.1704:
	global_load_ushort v1, v[7:8], off
	s_mov_b64 s[10:11], 0
	s_mov_b64 s[16:17], -1
	s_branch .LBB135_1709
.LBB135_1705:
	s_mov_b64 s[18:19], -1
                                        ; implicit-def: $vgpr1
	s_branch .LBB135_1710
.LBB135_1706:
	s_or_saveexec_b64 s[16:17], s[16:17]
	v_mov_b32_e32 v3, 0x7f800001
	s_xor_b64 exec, exec, s[16:17]
	s_cbranch_execz .LBB135_1687
.LBB135_1707:
	v_cmp_ne_u16_e32 vcc, 0, v1
	s_andn2_b64 s[14:15], s[14:15], exec
	s_and_b64 s[18:19], vcc, exec
	v_mov_b32_e32 v3, 0
	s_or_b64 s[14:15], s[14:15], s[18:19]
	s_or_b64 exec, exec, s[16:17]
	s_and_saveexec_b64 s[16:17], s[14:15]
	s_cbranch_execnz .LBB135_1688
	s_branch .LBB135_1689
.LBB135_1708:
	s_mov_b64 s[10:11], -1
                                        ; implicit-def: $vgpr1
.LBB135_1709:
	s_mov_b64 s[18:19], 0
.LBB135_1710:
	s_and_b64 vcc, exec, s[18:19]
	s_cbranch_vccz .LBB135_1712
; %bb.1711:
	s_cmp_lg_u32 s23, 11
	s_mov_b64 s[14:15], -1
	s_cselect_b64 s[10:11], -1, 0
.LBB135_1712:
	s_and_b64 vcc, exec, s[10:11]
	s_cbranch_vccnz .LBB135_2264
; %bb.1713:
	s_andn2_b64 vcc, exec, s[14:15]
	s_cbranch_vccnz .LBB135_1715
.LBB135_1714:
	global_load_ubyte v1, v[7:8], off
	s_mov_b64 s[16:17], -1
	s_waitcnt vmcnt(0)
	v_cmp_ne_u16_e32 vcc, 0, v1
	v_cndmask_b32_e64 v1, 0, 1.0, vcc
	v_lshrrev_b32_e32 v1, 16, v1
.LBB135_1715:
	s_mov_b64 s[10:11], 0
.LBB135_1716:
	s_and_b64 vcc, exec, s[10:11]
	s_cbranch_vccz .LBB135_1765
; %bb.1717:
	s_and_b32 s14, 0xffff, s22
	s_cmp_lt_i32 s14, 5
	s_cbranch_scc1 .LBB135_1722
; %bb.1718:
	s_cmp_lt_i32 s14, 8
	s_cbranch_scc1 .LBB135_1723
; %bb.1719:
	;; [unrolled: 3-line block ×3, first 2 shown]
	s_cmp_gt_i32 s14, 9
	s_cbranch_scc0 .LBB135_1725
; %bb.1721:
	global_load_dwordx2 v[9:10], v[7:8], off
	s_movk_i32 s10, 0x7fff
	v_mov_b32_e32 v3, 0x7fc0
	s_waitcnt vmcnt(0)
	v_cvt_f32_f64_e32 v1, v[9:10]
	v_bfe_u32 v5, v1, 16, 1
	v_cmp_o_f32_e32 vcc, v1, v1
	v_add3_u32 v1, v1, v5, s10
	v_cndmask_b32_sdwa v1, v3, v1, vcc dst_sel:DWORD dst_unused:UNUSED_PAD src0_sel:DWORD src1_sel:WORD_1
	s_mov_b64 s[10:11], 0
	s_branch .LBB135_1726
.LBB135_1722:
	s_mov_b64 s[10:11], -1
                                        ; implicit-def: $vgpr1
	s_branch .LBB135_1744
.LBB135_1723:
	s_mov_b64 s[10:11], -1
                                        ; implicit-def: $vgpr1
	s_branch .LBB135_1732
.LBB135_1724:
	s_mov_b64 s[10:11], -1
                                        ; implicit-def: $vgpr1
	s_branch .LBB135_1729
.LBB135_1725:
	s_mov_b64 s[10:11], -1
                                        ; implicit-def: $vgpr1
.LBB135_1726:
	s_andn2_b64 vcc, exec, s[10:11]
	s_cbranch_vccnz .LBB135_1728
; %bb.1727:
	global_load_dword v1, v[7:8], off
	s_movk_i32 s10, 0x7fff
	v_mov_b32_e32 v3, 0x7fc0
	s_waitcnt vmcnt(0)
	v_bfe_u32 v5, v1, 16, 1
	v_cmp_o_f32_e32 vcc, v1, v1
	v_add3_u32 v1, v1, v5, s10
	v_cndmask_b32_sdwa v1, v3, v1, vcc dst_sel:DWORD dst_unused:UNUSED_PAD src0_sel:DWORD src1_sel:WORD_1
.LBB135_1728:
	s_mov_b64 s[10:11], 0
.LBB135_1729:
	s_andn2_b64 vcc, exec, s[10:11]
	s_cbranch_vccnz .LBB135_1731
; %bb.1730:
	global_load_dword v1, v[7:8], off
	s_movk_i32 s10, 0x7fff
	v_mov_b32_e32 v5, 0x7fc0
	s_waitcnt vmcnt(0)
	v_cvt_f32_f16_e32 v3, v1
	v_cmp_o_f16_e32 vcc, v1, v1
	v_bfe_u32 v1, v3, 16, 1
	v_add3_u32 v1, v3, v1, s10
	v_cndmask_b32_sdwa v1, v5, v1, vcc dst_sel:DWORD dst_unused:UNUSED_PAD src0_sel:DWORD src1_sel:WORD_1
.LBB135_1731:
	s_mov_b64 s[10:11], 0
.LBB135_1732:
	s_andn2_b64 vcc, exec, s[10:11]
	s_cbranch_vccnz .LBB135_1743
; %bb.1733:
	s_cmp_lt_i32 s14, 6
	s_cbranch_scc1 .LBB135_1736
; %bb.1734:
	s_cmp_gt_i32 s14, 6
	s_cbranch_scc0 .LBB135_1737
; %bb.1735:
	global_load_dwordx2 v[9:10], v[7:8], off
	s_movk_i32 s10, 0x7fff
	v_mov_b32_e32 v3, 0x7fc0
	s_waitcnt vmcnt(0)
	v_cvt_f32_f64_e32 v1, v[9:10]
	v_bfe_u32 v5, v1, 16, 1
	v_cmp_o_f32_e32 vcc, v1, v1
	v_add3_u32 v1, v1, v5, s10
	v_cndmask_b32_sdwa v1, v3, v1, vcc dst_sel:DWORD dst_unused:UNUSED_PAD src0_sel:DWORD src1_sel:WORD_1
	s_mov_b64 s[10:11], 0
	s_branch .LBB135_1738
.LBB135_1736:
	s_mov_b64 s[10:11], -1
                                        ; implicit-def: $vgpr1
	s_branch .LBB135_1741
.LBB135_1737:
	s_mov_b64 s[10:11], -1
                                        ; implicit-def: $vgpr1
.LBB135_1738:
	s_andn2_b64 vcc, exec, s[10:11]
	s_cbranch_vccnz .LBB135_1740
; %bb.1739:
	global_load_dword v1, v[7:8], off
	s_movk_i32 s10, 0x7fff
	v_mov_b32_e32 v3, 0x7fc0
	s_waitcnt vmcnt(0)
	v_bfe_u32 v5, v1, 16, 1
	v_cmp_o_f32_e32 vcc, v1, v1
	v_add3_u32 v1, v1, v5, s10
	v_cndmask_b32_sdwa v1, v3, v1, vcc dst_sel:DWORD dst_unused:UNUSED_PAD src0_sel:DWORD src1_sel:WORD_1
.LBB135_1740:
	s_mov_b64 s[10:11], 0
.LBB135_1741:
	s_andn2_b64 vcc, exec, s[10:11]
	s_cbranch_vccnz .LBB135_1743
; %bb.1742:
	global_load_ushort v1, v[7:8], off
	s_movk_i32 s10, 0x7fff
	v_mov_b32_e32 v5, 0x7fc0
	s_waitcnt vmcnt(0)
	v_cvt_f32_f16_e32 v3, v1
	v_cmp_o_f16_e32 vcc, v1, v1
	v_bfe_u32 v1, v3, 16, 1
	v_add3_u32 v1, v3, v1, s10
	v_cndmask_b32_sdwa v1, v5, v1, vcc dst_sel:DWORD dst_unused:UNUSED_PAD src0_sel:DWORD src1_sel:WORD_1
.LBB135_1743:
	s_mov_b64 s[10:11], 0
.LBB135_1744:
	s_andn2_b64 vcc, exec, s[10:11]
	s_cbranch_vccnz .LBB135_1764
; %bb.1745:
	s_cmp_lt_i32 s14, 2
	s_cbranch_scc1 .LBB135_1749
; %bb.1746:
	s_cmp_lt_i32 s14, 3
	s_cbranch_scc1 .LBB135_1750
; %bb.1747:
	s_cmp_gt_i32 s14, 3
	s_cbranch_scc0 .LBB135_1751
; %bb.1748:
	global_load_dwordx2 v[9:10], v[7:8], off
	s_movk_i32 s10, 0x7fff
	s_waitcnt vmcnt(0)
	v_xor_b32_e32 v3, v9, v10
	v_ffbh_i32_e32 v1, v10
	v_ashrrev_i32_e32 v3, 31, v3
	v_add_u32_e32 v1, -1, v1
	v_add_u32_e32 v3, 32, v3
	v_min_u32_e32 v1, v1, v3
	v_lshlrev_b64 v[9:10], v1, v[9:10]
	v_sub_u32_e32 v1, 32, v1
	v_min_u32_e32 v3, 1, v9
	v_or_b32_e32 v3, v10, v3
	v_cvt_f32_i32_e32 v3, v3
	v_ldexp_f32 v1, v3, v1
	v_bfe_u32 v3, v1, 16, 1
	v_add3_u32 v1, v1, v3, s10
	v_lshrrev_b32_e32 v1, 16, v1
	s_mov_b64 s[10:11], 0
	s_branch .LBB135_1752
.LBB135_1749:
	s_mov_b64 s[10:11], -1
                                        ; implicit-def: $vgpr1
	s_branch .LBB135_1758
.LBB135_1750:
	s_mov_b64 s[10:11], -1
                                        ; implicit-def: $vgpr1
	s_branch .LBB135_1755
.LBB135_1751:
	s_mov_b64 s[10:11], -1
                                        ; implicit-def: $vgpr1
.LBB135_1752:
	s_andn2_b64 vcc, exec, s[10:11]
	s_cbranch_vccnz .LBB135_1754
; %bb.1753:
	global_load_dword v1, v[7:8], off
	s_movk_i32 s10, 0x7fff
	s_waitcnt vmcnt(0)
	v_cvt_f32_i32_e32 v1, v1
	v_bfe_u32 v3, v1, 16, 1
	v_add3_u32 v1, v1, v3, s10
	v_lshrrev_b32_e32 v1, 16, v1
.LBB135_1754:
	s_mov_b64 s[10:11], 0
.LBB135_1755:
	s_andn2_b64 vcc, exec, s[10:11]
	s_cbranch_vccnz .LBB135_1757
; %bb.1756:
	global_load_sshort v1, v[7:8], off
	s_movk_i32 s10, 0x7fff
	s_waitcnt vmcnt(0)
	v_cvt_f32_i32_e32 v1, v1
	v_bfe_u32 v3, v1, 16, 1
	v_add3_u32 v1, v1, v3, s10
	v_lshrrev_b32_e32 v1, 16, v1
.LBB135_1757:
	s_mov_b64 s[10:11], 0
.LBB135_1758:
	s_andn2_b64 vcc, exec, s[10:11]
	s_cbranch_vccnz .LBB135_1764
; %bb.1759:
	s_cmp_gt_i32 s14, 0
	s_cbranch_scc0 .LBB135_1761
; %bb.1760:
	global_load_sbyte v1, v[7:8], off
	s_movk_i32 s10, 0x7fff
	s_waitcnt vmcnt(0)
	v_cvt_f32_i32_e32 v1, v1
	v_bfe_u32 v3, v1, 16, 1
	v_add3_u32 v1, v1, v3, s10
	v_lshrrev_b32_e32 v1, 16, v1
	s_mov_b64 s[10:11], 0
	s_branch .LBB135_1762
.LBB135_1761:
	s_mov_b64 s[10:11], -1
                                        ; implicit-def: $vgpr1
.LBB135_1762:
	s_andn2_b64 vcc, exec, s[10:11]
	s_cbranch_vccnz .LBB135_1764
; %bb.1763:
	global_load_ubyte v1, v[7:8], off
	s_movk_i32 s10, 0x7fff
	s_waitcnt vmcnt(0)
	v_cvt_f32_ubyte0_e32 v1, v1
	v_bfe_u32 v3, v1, 16, 1
	v_add3_u32 v1, v1, v3, s10
	v_lshrrev_b32_e32 v1, 16, v1
.LBB135_1764:
	s_mov_b64 s[16:17], -1
.LBB135_1765:
	s_andn2_b64 vcc, exec, s[16:17]
	s_cbranch_vccnz .LBB135_1770
; %bb.1766:
	s_waitcnt vmcnt(0)
	v_lshlrev_b32_e32 v1, 16, v1
	s_cmp_lt_i32 s0, 1
	s_mov_b64 s[14:15], 0
	s_cbranch_scc1 .LBB135_1816
; %bb.1767:
	s_cmp_gt_i32 s0, 1
	s_cbranch_scc0 .LBB135_1817
; %bb.1768:
	s_cmp_eq_u32 s0, 2
	s_cbranch_scc0 .LBB135_1818
; %bb.1769:
	v_cmp_ge_f32_e64 s[10:11], s1, v1
	s_mov_b64 s[16:17], 0
	s_branch .LBB135_1819
.LBB135_1770:
	s_mov_b64 s[0:1], 0
                                        ; implicit-def: $sgpr10_sgpr11
.LBB135_1771:
	s_mov_b64 s[4:5], 0
                                        ; implicit-def: $vgpr0_vgpr1
                                        ; implicit-def: $sgpr22
.LBB135_1772:
	s_and_b64 s[6:7], s[4:5], exec
	s_andn2_b64 s[4:5], s[28:29], exec
	s_and_b64 s[2:3], s[2:3], exec
	s_and_b64 s[0:1], s[0:1], exec
	s_or_b64 s[28:29], s[4:5], s[2:3]
.LBB135_1773:
	s_or_b64 exec, exec, s[30:31]
	s_and_saveexec_b64 s[2:3], s[28:29]
	s_cbranch_execz .LBB135_1776
; %bb.1774:
	; divergent unreachable
	s_or_b64 exec, exec, s[2:3]
	s_and_saveexec_b64 s[2:3], s[6:7]
	s_xor_b64 s[2:3], exec, s[2:3]
	s_cbranch_execnz .LBB135_1777
.LBB135_1775:
	s_or_b64 exec, exec, s[2:3]
	s_and_saveexec_b64 s[2:3], s[0:1]
	s_cbranch_execnz .LBB135_1778
	s_branch .LBB135_1815
.LBB135_1776:
	s_or_b64 exec, exec, s[2:3]
	s_and_saveexec_b64 s[2:3], s[6:7]
	s_xor_b64 s[2:3], exec, s[2:3]
	s_cbranch_execz .LBB135_1775
.LBB135_1777:
	v_cndmask_b32_e64 v2, 0, 1, s[10:11]
	s_waitcnt vmcnt(0)
	global_store_byte v[0:1], v2, off
	s_or_b64 exec, exec, s[2:3]
	s_and_saveexec_b64 s[2:3], s[0:1]
	s_cbranch_execz .LBB135_1815
.LBB135_1778:
	s_sext_i32_i16 s2, s22
	s_cmp_lt_i32 s2, 5
	s_mov_b64 s[0:1], -1
	s_cbranch_scc1 .LBB135_1799
; %bb.1779:
	s_cmp_lt_i32 s2, 8
	s_cbranch_scc1 .LBB135_1789
; %bb.1780:
	s_cmp_lt_i32 s2, 9
	s_cbranch_scc1 .LBB135_1786
; %bb.1781:
	s_cmp_gt_i32 s2, 9
	s_cbranch_scc0 .LBB135_1783
; %bb.1782:
	v_cndmask_b32_e64 v2, 0, 1, s[10:11]
	s_waitcnt vmcnt(0)
	v_cvt_f64_u32_e32 v[2:3], v2
	v_mov_b32_e32 v4, 0
	v_mov_b32_e32 v5, v4
	s_mov_b64 s[0:1], 0
	global_store_dwordx4 v[0:1], v[2:5], off
.LBB135_1783:
	s_andn2_b64 vcc, exec, s[0:1]
	s_cbranch_vccnz .LBB135_1785
; %bb.1784:
	v_cndmask_b32_e64 v2, 0, 1.0, s[10:11]
	s_waitcnt vmcnt(0)
	v_mov_b32_e32 v3, 0
	global_store_dwordx2 v[0:1], v[2:3], off
.LBB135_1785:
	s_mov_b64 s[0:1], 0
.LBB135_1786:
	s_andn2_b64 vcc, exec, s[0:1]
	s_cbranch_vccnz .LBB135_1788
; %bb.1787:
	v_cndmask_b32_e64 v2, 0, 1.0, s[10:11]
	v_cvt_f16_f32_e32 v2, v2
	s_waitcnt vmcnt(0)
	global_store_dword v[0:1], v2, off
.LBB135_1788:
	s_mov_b64 s[0:1], 0
.LBB135_1789:
	s_andn2_b64 vcc, exec, s[0:1]
	s_cbranch_vccnz .LBB135_1798
; %bb.1790:
	s_sext_i32_i16 s2, s22
	s_cmp_lt_i32 s2, 6
	s_mov_b64 s[0:1], -1
	s_cbranch_scc1 .LBB135_1796
; %bb.1791:
	s_cmp_gt_i32 s2, 6
	s_cbranch_scc0 .LBB135_1793
; %bb.1792:
	v_cndmask_b32_e64 v2, 0, 1, s[10:11]
	s_waitcnt vmcnt(0)
	v_cvt_f64_u32_e32 v[2:3], v2
	s_mov_b64 s[0:1], 0
	global_store_dwordx2 v[0:1], v[2:3], off
.LBB135_1793:
	s_andn2_b64 vcc, exec, s[0:1]
	s_cbranch_vccnz .LBB135_1795
; %bb.1794:
	v_cndmask_b32_e64 v2, 0, 1.0, s[10:11]
	s_waitcnt vmcnt(0)
	global_store_dword v[0:1], v2, off
.LBB135_1795:
	s_mov_b64 s[0:1], 0
.LBB135_1796:
	s_andn2_b64 vcc, exec, s[0:1]
	s_cbranch_vccnz .LBB135_1798
; %bb.1797:
	v_cndmask_b32_e64 v2, 0, 1.0, s[10:11]
	v_cvt_f16_f32_e32 v2, v2
	s_waitcnt vmcnt(0)
	global_store_short v[0:1], v2, off
.LBB135_1798:
	s_mov_b64 s[0:1], 0
.LBB135_1799:
	s_andn2_b64 vcc, exec, s[0:1]
	s_cbranch_vccnz .LBB135_1815
; %bb.1800:
	s_sext_i32_i16 s2, s22
	s_cmp_lt_i32 s2, 2
	s_mov_b64 s[0:1], -1
	s_cbranch_scc1 .LBB135_1810
; %bb.1801:
	s_cmp_lt_i32 s2, 3
	s_cbranch_scc1 .LBB135_1807
; %bb.1802:
	s_cmp_gt_i32 s2, 3
	s_cbranch_scc0 .LBB135_1804
; %bb.1803:
	s_mov_b32 s0, 0
	v_cndmask_b32_e64 v2, 0, 1, s[10:11]
	s_waitcnt vmcnt(0)
	v_mov_b32_e32 v3, s0
	global_store_dwordx2 v[0:1], v[2:3], off
	s_mov_b64 s[0:1], 0
.LBB135_1804:
	s_andn2_b64 vcc, exec, s[0:1]
	s_cbranch_vccnz .LBB135_1806
; %bb.1805:
	v_cndmask_b32_e64 v2, 0, 1, s[10:11]
	s_waitcnt vmcnt(0)
	global_store_dword v[0:1], v2, off
.LBB135_1806:
	s_mov_b64 s[0:1], 0
.LBB135_1807:
	s_andn2_b64 vcc, exec, s[0:1]
	s_cbranch_vccnz .LBB135_1809
; %bb.1808:
	v_cndmask_b32_e64 v2, 0, 1, s[10:11]
	s_waitcnt vmcnt(0)
	global_store_short v[0:1], v2, off
.LBB135_1809:
	s_mov_b64 s[0:1], 0
.LBB135_1810:
	s_andn2_b64 vcc, exec, s[0:1]
	s_cbranch_vccnz .LBB135_1815
; %bb.1811:
	s_sext_i32_i16 s0, s22
	s_cmp_gt_i32 s0, 0
	s_mov_b64 s[0:1], -1
	s_cbranch_scc0 .LBB135_1813
; %bb.1812:
	v_cndmask_b32_e64 v2, 0, 1, s[10:11]
	s_waitcnt vmcnt(0)
	global_store_byte v[0:1], v2, off
	s_mov_b64 s[0:1], 0
.LBB135_1813:
	s_andn2_b64 vcc, exec, s[0:1]
	s_cbranch_vccnz .LBB135_1815
; %bb.1814:
	v_cndmask_b32_e64 v2, 0, 1, s[10:11]
	s_waitcnt vmcnt(0)
	global_store_byte v[0:1], v2, off
	s_endpgm
.LBB135_1815:
	s_endpgm
.LBB135_1816:
	s_mov_b64 s[18:19], -1
                                        ; implicit-def: $sgpr10_sgpr11
	s_mov_b64 s[16:17], 0
	s_branch .LBB135_1823
.LBB135_1817:
	s_mov_b64 s[18:19], -1
	s_mov_b64 s[16:17], 0
                                        ; implicit-def: $sgpr10_sgpr11
	s_branch .LBB135_1820
.LBB135_1818:
	s_mov_b64 s[16:17], -1
                                        ; implicit-def: $sgpr10_sgpr11
.LBB135_1819:
	s_mov_b64 s[18:19], 0
.LBB135_1820:
	s_and_b64 vcc, exec, s[18:19]
	s_cbranch_vccz .LBB135_1822
; %bb.1821:
	v_cmp_lt_f32_e32 vcc, s1, v1
	s_andn2_b64 s[10:11], s[10:11], exec
	s_and_b64 s[18:19], vcc, exec
	s_or_b64 s[10:11], s[10:11], s[18:19]
.LBB135_1822:
	s_mov_b64 s[18:19], 0
.LBB135_1823:
	s_and_b64 vcc, exec, s[18:19]
	s_cbranch_vccz .LBB135_1905
; %bb.1824:
	s_cmp_lg_u32 s0, 0
	s_mov_b64 s[14:15], -1
	s_cselect_b64 s[16:17], -1, 0
	s_andn2_b64 vcc, exec, s[16:17]
	s_cbranch_vccz .LBB135_1906
.LBB135_1825:
	s_andn2_b64 vcc, exec, s[14:15]
	s_cbranch_vccnz .LBB135_1827
.LBB135_1826:
	v_cmp_le_f32_e32 vcc, s1, v1
	s_andn2_b64 s[0:1], s[10:11], exec
	s_and_b64 s[10:11], vcc, exec
	s_or_b64 s[10:11], s[0:1], s[10:11]
.LBB135_1827:
	s_load_dword s0, s[34:35], 0x160
	v_mov_b32_e32 v1, s9
	v_add_co_u32_e32 v5, vcc, s8, v6
	v_addc_co_u32_e32 v6, vcc, 0, v1, vcc
	s_waitcnt lgkmcnt(0)
	s_and_b32 s22, s0, 0xff
	s_cmp_lt_i32 s22, 11
	s_cbranch_scc1 .LBB135_1907
; %bb.1828:
	s_and_b32 s23, 0xffff, s22
	s_mov_b64 s[18:19], -1
	s_mov_b64 s[14:15], 0
	s_cmp_gt_i32 s23, 25
	s_mov_b64 s[16:17], 0
	s_mov_b64 s[0:1], 0
	s_cbranch_scc0 .LBB135_1861
; %bb.1829:
	s_cmp_gt_i32 s23, 28
	s_cbranch_scc0 .LBB135_1844
; %bb.1830:
	s_cmp_gt_i32 s23, 43
	;; [unrolled: 3-line block ×3, first 2 shown]
	s_cbranch_scc0 .LBB135_1834
; %bb.1832:
	s_mov_b64 s[0:1], -1
	s_mov_b64 s[18:19], 0
	s_cmp_eq_u32 s23, 46
	s_cbranch_scc0 .LBB135_1834
; %bb.1833:
	v_cndmask_b32_e64 v1, 0, 1.0, s[4:5]
	v_bfe_u32 v3, v1, 16, 1
	s_movk_i32 s0, 0x7fff
	v_add3_u32 v1, v1, v3, s0
	v_lshrrev_b32_e32 v1, 16, v1
	global_store_dword v[5:6], v1, off
	s_mov_b64 s[0:1], 0
	s_mov_b64 s[16:17], -1
.LBB135_1834:
	s_and_b64 vcc, exec, s[18:19]
	s_cbranch_vccz .LBB135_1839
; %bb.1835:
	s_cmp_eq_u32 s23, 44
	s_mov_b64 s[0:1], -1
	s_cbranch_scc0 .LBB135_1839
; %bb.1836:
	v_cndmask_b32_e64 v3, 0, 1.0, s[4:5]
	v_lshrrev_b32_e32 v1, 23, v3
	s_movk_i32 s0, 0xff
	v_cmp_ne_u32_e32 vcc, s0, v1
	v_mov_b32_e32 v7, 0xff
	s_and_saveexec_b64 s[16:17], vcc
; %bb.1837:
	s_mov_b32 s0, 0x3fffff
	v_and_b32_e32 v7, 0x400000, v3
	v_and_or_b32 v3, v3, s0, v1
	v_cmp_ne_u32_e32 vcc, 0, v7
	v_cmp_ne_u32_e64 s[0:1], 0, v3
	s_and_b64 s[0:1], vcc, s[0:1]
	v_cndmask_b32_e64 v3, 0, 1, s[0:1]
	v_add_u32_e32 v7, v1, v3
; %bb.1838:
	s_or_b64 exec, exec, s[16:17]
	s_mov_b64 s[0:1], 0
	s_mov_b64 s[16:17], -1
	global_store_byte v[5:6], v7, off
.LBB135_1839:
	s_mov_b64 s[18:19], 0
.LBB135_1840:
	s_and_b64 vcc, exec, s[18:19]
	s_cbranch_vccz .LBB135_1843
; %bb.1841:
	s_cmp_eq_u32 s23, 29
	s_mov_b64 s[0:1], -1
	s_cbranch_scc0 .LBB135_1843
; %bb.1842:
	s_mov_b32 s0, 0
	v_cndmask_b32_e64 v7, 0, 1, s[4:5]
	v_mov_b32_e32 v8, s0
	global_store_dwordx2 v[5:6], v[7:8], off
	s_mov_b64 s[0:1], 0
	s_mov_b64 s[16:17], -1
.LBB135_1843:
	s_mov_b64 s[18:19], 0
.LBB135_1844:
	s_and_b64 vcc, exec, s[18:19]
	s_cbranch_vccz .LBB135_1860
; %bb.1845:
	s_cmp_lt_i32 s23, 27
	s_mov_b64 s[16:17], -1
	s_cbranch_scc1 .LBB135_1851
; %bb.1846:
	s_cmp_gt_i32 s23, 27
	s_cbranch_scc0 .LBB135_1848
; %bb.1847:
	v_cndmask_b32_e64 v1, 0, 1, s[4:5]
	s_mov_b64 s[16:17], 0
	global_store_dword v[5:6], v1, off
.LBB135_1848:
	s_andn2_b64 vcc, exec, s[16:17]
	s_cbranch_vccnz .LBB135_1850
; %bb.1849:
	v_cndmask_b32_e64 v1, 0, 1, s[4:5]
	global_store_short v[5:6], v1, off
.LBB135_1850:
	s_mov_b64 s[16:17], 0
.LBB135_1851:
	s_andn2_b64 vcc, exec, s[16:17]
	s_cbranch_vccnz .LBB135_1859
; %bb.1852:
	v_cndmask_b32_e64 v3, 0, 1.0, s[4:5]
	s_mov_b32 s16, 0x43800000
	v_cmp_gt_u32_e32 vcc, s16, v3
	v_mov_b32_e32 v7, 0x80
	s_and_saveexec_b64 s[16:17], vcc
	s_cbranch_execz .LBB135_1858
; %bb.1853:
	s_mov_b32 s18, 0x3bffffff
	v_cmp_lt_u32_e32 vcc, s18, v3
	s_mov_b64 s[18:19], 0
                                        ; implicit-def: $vgpr1
	s_and_saveexec_b64 s[20:21], vcc
	s_xor_b64 s[20:21], exec, s[20:21]
	s_cbranch_execz .LBB135_2265
; %bb.1854:
	v_bfe_u32 v1, v3, 20, 1
	s_mov_b32 s24, 0x487ffff
	v_add3_u32 v1, v3, v1, s24
	s_mov_b64 s[18:19], exec
	v_lshrrev_b32_e32 v1, 20, v1
                                        ; implicit-def: $vgpr3
	s_andn2_saveexec_b64 s[20:21], s[20:21]
	s_cbranch_execnz .LBB135_2266
.LBB135_1855:
	s_or_b64 exec, exec, s[20:21]
	v_mov_b32_e32 v7, 0
	s_and_saveexec_b64 s[20:21], s[18:19]
.LBB135_1856:
	v_mov_b32_e32 v7, v1
.LBB135_1857:
	s_or_b64 exec, exec, s[20:21]
.LBB135_1858:
	s_or_b64 exec, exec, s[16:17]
	global_store_byte v[5:6], v7, off
.LBB135_1859:
	s_mov_b64 s[16:17], -1
.LBB135_1860:
	s_mov_b64 s[18:19], 0
.LBB135_1861:
	s_and_b64 vcc, exec, s[18:19]
	s_cbranch_vccz .LBB135_1901
; %bb.1862:
	s_cmp_gt_i32 s23, 22
	s_mov_b64 s[14:15], -1
	s_cbranch_scc0 .LBB135_1894
; %bb.1863:
	s_cmp_lt_i32 s23, 24
	s_cbranch_scc1 .LBB135_1883
; %bb.1864:
	s_cmp_gt_i32 s23, 24
	s_cbranch_scc0 .LBB135_1872
; %bb.1865:
	v_cndmask_b32_e64 v3, 0, 1.0, s[4:5]
	s_mov_b32 s14, 0x47800000
	v_cmp_gt_u32_e32 vcc, s14, v3
	v_mov_b32_e32 v7, 0x80
	s_and_saveexec_b64 s[14:15], vcc
	s_cbranch_execz .LBB135_1871
; %bb.1866:
	s_mov_b32 s16, 0x37ffffff
	v_cmp_lt_u32_e32 vcc, s16, v3
	s_mov_b64 s[16:17], 0
                                        ; implicit-def: $vgpr1
	s_and_saveexec_b64 s[18:19], vcc
	s_xor_b64 s[18:19], exec, s[18:19]
	s_cbranch_execz .LBB135_2268
; %bb.1867:
	v_bfe_u32 v1, v3, 21, 1
	s_mov_b32 s20, 0x88fffff
	v_add3_u32 v1, v3, v1, s20
	s_mov_b64 s[16:17], exec
	v_lshrrev_b32_e32 v1, 21, v1
                                        ; implicit-def: $vgpr3
	s_andn2_saveexec_b64 s[18:19], s[18:19]
	s_cbranch_execnz .LBB135_2269
.LBB135_1868:
	s_or_b64 exec, exec, s[18:19]
	v_mov_b32_e32 v7, 0
	s_and_saveexec_b64 s[18:19], s[16:17]
.LBB135_1869:
	v_mov_b32_e32 v7, v1
.LBB135_1870:
	s_or_b64 exec, exec, s[18:19]
.LBB135_1871:
	s_or_b64 exec, exec, s[14:15]
	s_mov_b64 s[14:15], 0
	global_store_byte v[5:6], v7, off
.LBB135_1872:
	s_and_b64 vcc, exec, s[14:15]
	s_cbranch_vccz .LBB135_1882
; %bb.1873:
	v_cndmask_b32_e64 v1, 0, 1.0, s[4:5]
	s_mov_b32 s14, 0x43f00000
	v_cmp_gt_u32_e32 vcc, s14, v1
                                        ; implicit-def: $vgpr3
	s_and_saveexec_b64 s[14:15], vcc
	s_xor_b64 s[14:15], exec, s[14:15]
	s_cbranch_execz .LBB135_1879
; %bb.1874:
	s_mov_b32 s16, 0x3c7fffff
	v_cmp_lt_u32_e32 vcc, s16, v1
                                        ; implicit-def: $vgpr3
	s_and_saveexec_b64 s[16:17], vcc
	s_xor_b64 s[16:17], exec, s[16:17]
; %bb.1875:
	v_bfe_u32 v3, v1, 20, 1
	s_mov_b32 s18, 0x407ffff
	v_add3_u32 v1, v1, v3, s18
	v_lshrrev_b32_e32 v3, 20, v1
	v_and_b32_e32 v1, 0xff00000, v1
	s_mov_b32 s18, 0x7f00000
	v_mov_b32_e32 v7, 0x7e
	v_cmp_ne_u32_e32 vcc, s18, v1
	v_cndmask_b32_e32 v3, v7, v3, vcc
                                        ; implicit-def: $vgpr1
; %bb.1876:
	s_andn2_saveexec_b64 s[16:17], s[16:17]
; %bb.1877:
	v_add_f32_e32 v3, 0x46800000, v1
; %bb.1878:
	s_or_b64 exec, exec, s[16:17]
                                        ; implicit-def: $vgpr1
.LBB135_1879:
	s_andn2_saveexec_b64 s[14:15], s[14:15]
; %bb.1880:
	s_mov_b32 s16, 0x7f800000
	v_mov_b32_e32 v3, 0x7e
	v_mov_b32_e32 v7, 0x7f
	v_cmp_lt_u32_e32 vcc, s16, v1
	v_cndmask_b32_e32 v3, v3, v7, vcc
; %bb.1881:
	s_or_b64 exec, exec, s[14:15]
	global_store_byte v[5:6], v3, off
.LBB135_1882:
	s_mov_b64 s[14:15], 0
.LBB135_1883:
	s_andn2_b64 vcc, exec, s[14:15]
	s_cbranch_vccnz .LBB135_1893
; %bb.1884:
	v_cndmask_b32_e64 v1, 0, 1.0, s[4:5]
	s_mov_b32 s14, 0x47800000
	v_cmp_gt_u32_e32 vcc, s14, v1
                                        ; implicit-def: $vgpr3
	s_and_saveexec_b64 s[14:15], vcc
	s_xor_b64 s[14:15], exec, s[14:15]
	s_cbranch_execz .LBB135_1890
; %bb.1885:
	s_mov_b32 s16, 0x387fffff
	v_cmp_lt_u32_e32 vcc, s16, v1
                                        ; implicit-def: $vgpr3
	s_and_saveexec_b64 s[16:17], vcc
	s_xor_b64 s[16:17], exec, s[16:17]
; %bb.1886:
	v_bfe_u32 v3, v1, 21, 1
	s_mov_b32 s18, 0x80fffff
	v_add3_u32 v1, v1, v3, s18
	v_lshrrev_b32_e32 v3, 21, v1
                                        ; implicit-def: $vgpr1
; %bb.1887:
	s_andn2_saveexec_b64 s[16:17], s[16:17]
; %bb.1888:
	v_add_f32_e32 v3, 0x43000000, v1
; %bb.1889:
	s_or_b64 exec, exec, s[16:17]
                                        ; implicit-def: $vgpr1
.LBB135_1890:
	s_andn2_saveexec_b64 s[14:15], s[14:15]
; %bb.1891:
	s_mov_b32 s16, 0x7f800000
	v_mov_b32_e32 v3, 0x7c
	v_mov_b32_e32 v7, 0x7f
	v_cmp_lt_u32_e32 vcc, s16, v1
	v_cndmask_b32_e32 v3, v3, v7, vcc
; %bb.1892:
	s_or_b64 exec, exec, s[14:15]
	global_store_byte v[5:6], v3, off
.LBB135_1893:
	s_mov_b64 s[14:15], 0
	s_mov_b64 s[16:17], -1
.LBB135_1894:
	s_andn2_b64 vcc, exec, s[14:15]
	s_mov_b64 s[14:15], 0
	s_cbranch_vccnz .LBB135_1901
; %bb.1895:
	s_cmp_gt_i32 s23, 14
	s_mov_b64 s[18:19], -1
	s_cbranch_scc0 .LBB135_1899
; %bb.1896:
	s_cmp_eq_u32 s23, 15
	s_mov_b64 s[0:1], -1
	s_cbranch_scc0 .LBB135_1898
; %bb.1897:
	v_cndmask_b32_e64 v1, 0, 1.0, s[4:5]
	v_bfe_u32 v3, v1, 16, 1
	s_movk_i32 s0, 0x7fff
	v_add3_u32 v1, v1, v3, s0
	global_store_short_d16_hi v[5:6], v1, off
	s_mov_b64 s[0:1], 0
	s_mov_b64 s[16:17], -1
.LBB135_1898:
	s_mov_b64 s[18:19], 0
.LBB135_1899:
	s_and_b64 vcc, exec, s[18:19]
	s_cbranch_vccz .LBB135_1901
; %bb.1900:
	s_cmp_lg_u32 s23, 11
	s_mov_b64 s[14:15], -1
	s_cselect_b64 s[0:1], -1, 0
.LBB135_1901:
	s_and_b64 vcc, exec, s[0:1]
	s_cbranch_vccnz .LBB135_2267
; %bb.1902:
	s_andn2_b64 vcc, exec, s[14:15]
	s_cbranch_vccnz .LBB135_1904
.LBB135_1903:
	v_cndmask_b32_e64 v1, 0, 1, s[4:5]
	s_mov_b64 s[16:17], -1
	global_store_byte v[5:6], v1, off
.LBB135_1904:
	s_mov_b64 s[0:1], 0
	s_branch .LBB135_1908
.LBB135_1905:
	s_andn2_b64 vcc, exec, s[16:17]
	s_cbranch_vccnz .LBB135_1825
.LBB135_1906:
	v_cmp_gt_f32_e32 vcc, s1, v1
	s_andn2_b64 s[10:11], s[10:11], exec
	s_and_b64 s[16:17], vcc, exec
	s_or_b64 s[10:11], s[10:11], s[16:17]
	s_cbranch_execz .LBB135_1826
	s_branch .LBB135_1827
.LBB135_1907:
	s_mov_b64 s[0:1], -1
	s_mov_b64 s[16:17], 0
.LBB135_1908:
	s_and_b64 vcc, exec, s[0:1]
	s_cbranch_vccz .LBB135_1947
; %bb.1909:
	s_and_b32 s14, 0xffff, s22
	s_cmp_lt_i32 s14, 5
	s_mov_b64 s[0:1], -1
	s_cbranch_scc1 .LBB135_1930
; %bb.1910:
	s_cmp_lt_i32 s14, 8
	s_cbranch_scc1 .LBB135_1920
; %bb.1911:
	s_cmp_lt_i32 s14, 9
	s_cbranch_scc1 .LBB135_1917
; %bb.1912:
	s_cmp_gt_i32 s14, 9
	s_cbranch_scc0 .LBB135_1914
; %bb.1913:
	v_cndmask_b32_e64 v1, 0, 1, s[4:5]
	v_cvt_f64_u32_e32 v[7:8], v1
	v_mov_b32_e32 v9, 0
	v_mov_b32_e32 v10, v9
	s_mov_b64 s[0:1], 0
	global_store_dwordx4 v[5:6], v[7:10], off
.LBB135_1914:
	s_andn2_b64 vcc, exec, s[0:1]
	s_cbranch_vccnz .LBB135_1916
; %bb.1915:
	v_cndmask_b32_e64 v7, 0, 1.0, s[4:5]
	v_mov_b32_e32 v8, 0
	global_store_dwordx2 v[5:6], v[7:8], off
.LBB135_1916:
	s_mov_b64 s[0:1], 0
.LBB135_1917:
	s_andn2_b64 vcc, exec, s[0:1]
	s_cbranch_vccnz .LBB135_1919
; %bb.1918:
	v_cndmask_b32_e64 v1, 0, 1.0, s[4:5]
	v_cvt_f16_f32_e32 v1, v1
	global_store_dword v[5:6], v1, off
.LBB135_1919:
	s_mov_b64 s[0:1], 0
.LBB135_1920:
	s_andn2_b64 vcc, exec, s[0:1]
	s_cbranch_vccnz .LBB135_1929
; %bb.1921:
	s_cmp_lt_i32 s14, 6
	s_mov_b64 s[0:1], -1
	s_cbranch_scc1 .LBB135_1927
; %bb.1922:
	s_cmp_gt_i32 s14, 6
	s_cbranch_scc0 .LBB135_1924
; %bb.1923:
	v_cndmask_b32_e64 v1, 0, 1, s[4:5]
	v_cvt_f64_u32_e32 v[7:8], v1
	s_mov_b64 s[0:1], 0
	global_store_dwordx2 v[5:6], v[7:8], off
.LBB135_1924:
	s_andn2_b64 vcc, exec, s[0:1]
	s_cbranch_vccnz .LBB135_1926
; %bb.1925:
	v_cndmask_b32_e64 v1, 0, 1.0, s[4:5]
	global_store_dword v[5:6], v1, off
.LBB135_1926:
	s_mov_b64 s[0:1], 0
.LBB135_1927:
	s_andn2_b64 vcc, exec, s[0:1]
	s_cbranch_vccnz .LBB135_1929
; %bb.1928:
	v_cndmask_b32_e64 v1, 0, 1.0, s[4:5]
	v_cvt_f16_f32_e32 v1, v1
	global_store_short v[5:6], v1, off
.LBB135_1929:
	s_mov_b64 s[0:1], 0
.LBB135_1930:
	s_andn2_b64 vcc, exec, s[0:1]
	s_cbranch_vccnz .LBB135_1946
; %bb.1931:
	s_cmp_lt_i32 s14, 2
	s_mov_b64 s[0:1], -1
	s_cbranch_scc1 .LBB135_1941
; %bb.1932:
	s_cmp_lt_i32 s14, 3
	s_cbranch_scc1 .LBB135_1938
; %bb.1933:
	s_cmp_gt_i32 s14, 3
	s_cbranch_scc0 .LBB135_1935
; %bb.1934:
	s_mov_b32 s0, 0
	v_cndmask_b32_e64 v7, 0, 1, s[4:5]
	v_mov_b32_e32 v8, s0
	global_store_dwordx2 v[5:6], v[7:8], off
	s_mov_b64 s[0:1], 0
.LBB135_1935:
	s_andn2_b64 vcc, exec, s[0:1]
	s_cbranch_vccnz .LBB135_1937
; %bb.1936:
	v_cndmask_b32_e64 v1, 0, 1, s[4:5]
	global_store_dword v[5:6], v1, off
.LBB135_1937:
	s_mov_b64 s[0:1], 0
.LBB135_1938:
	s_andn2_b64 vcc, exec, s[0:1]
	s_cbranch_vccnz .LBB135_1940
; %bb.1939:
	v_cndmask_b32_e64 v1, 0, 1, s[4:5]
	global_store_short v[5:6], v1, off
.LBB135_1940:
	s_mov_b64 s[0:1], 0
.LBB135_1941:
	s_andn2_b64 vcc, exec, s[0:1]
	s_cbranch_vccnz .LBB135_1946
; %bb.1942:
	s_mov_b64 s[0:1], -1
	s_cmp_gt_i32 s14, 0
	v_cndmask_b32_e64 v1, 0, 1, s[4:5]
	s_cbranch_scc0 .LBB135_1944
; %bb.1943:
	global_store_byte v[5:6], v1, off
	s_mov_b64 s[0:1], 0
.LBB135_1944:
	s_andn2_b64 vcc, exec, s[0:1]
	s_cbranch_vccnz .LBB135_1946
; %bb.1945:
	global_store_byte v[5:6], v1, off
.LBB135_1946:
	s_mov_b64 s[16:17], -1
.LBB135_1947:
	s_andn2_b64 vcc, exec, s[16:17]
	s_cbranch_vccnz .LBB135_2262
; %bb.1948:
	v_mov_b32_e32 v1, s9
	s_and_b32 s20, 0xffff, s22
	v_add_co_u32_e32 v3, vcc, s8, v4
	s_cmp_lt_i32 s20, 11
	v_addc_co_u32_e32 v4, vcc, 0, v1, vcc
	s_cbranch_scc1 .LBB135_2026
; %bb.1949:
	s_mov_b64 s[16:17], -1
	s_mov_b64 s[4:5], 0
	s_cmp_gt_i32 s20, 25
	s_mov_b64 s[14:15], 0
	s_mov_b64 s[0:1], 0
	s_cbranch_scc0 .LBB135_1982
; %bb.1950:
	s_cmp_gt_i32 s20, 28
	s_cbranch_scc0 .LBB135_1965
; %bb.1951:
	s_cmp_gt_i32 s20, 43
	;; [unrolled: 3-line block ×3, first 2 shown]
	s_cbranch_scc0 .LBB135_1955
; %bb.1953:
	s_mov_b64 s[0:1], -1
	s_mov_b64 s[16:17], 0
	s_cmp_eq_u32 s20, 46
	s_cbranch_scc0 .LBB135_1955
; %bb.1954:
	v_cndmask_b32_e64 v1, 0, 1.0, s[6:7]
	v_bfe_u32 v5, v1, 16, 1
	s_movk_i32 s0, 0x7fff
	v_add3_u32 v1, v1, v5, s0
	v_lshrrev_b32_e32 v1, 16, v1
	global_store_dword v[3:4], v1, off
	s_mov_b64 s[0:1], 0
	s_mov_b64 s[14:15], -1
.LBB135_1955:
	s_and_b64 vcc, exec, s[16:17]
	s_cbranch_vccz .LBB135_1960
; %bb.1956:
	s_cmp_eq_u32 s20, 44
	s_mov_b64 s[0:1], -1
	s_cbranch_scc0 .LBB135_1960
; %bb.1957:
	v_cndmask_b32_e64 v5, 0, 1.0, s[6:7]
	v_lshrrev_b32_e32 v1, 23, v5
	s_movk_i32 s0, 0xff
	v_cmp_ne_u32_e32 vcc, s0, v1
	v_mov_b32_e32 v6, 0xff
	s_and_saveexec_b64 s[14:15], vcc
; %bb.1958:
	s_mov_b32 s0, 0x3fffff
	v_and_b32_e32 v6, 0x400000, v5
	v_and_or_b32 v5, v5, s0, v1
	v_cmp_ne_u32_e32 vcc, 0, v6
	v_cmp_ne_u32_e64 s[0:1], 0, v5
	s_and_b64 s[0:1], vcc, s[0:1]
	v_cndmask_b32_e64 v5, 0, 1, s[0:1]
	v_add_u32_e32 v6, v1, v5
; %bb.1959:
	s_or_b64 exec, exec, s[14:15]
	s_mov_b64 s[0:1], 0
	s_mov_b64 s[14:15], -1
	global_store_byte v[3:4], v6, off
.LBB135_1960:
	s_mov_b64 s[16:17], 0
.LBB135_1961:
	s_and_b64 vcc, exec, s[16:17]
	s_cbranch_vccz .LBB135_1964
; %bb.1962:
	s_cmp_eq_u32 s20, 29
	s_mov_b64 s[0:1], -1
	s_cbranch_scc0 .LBB135_1964
; %bb.1963:
	s_mov_b32 s0, 0
	v_cndmask_b32_e64 v5, 0, 1, s[6:7]
	v_mov_b32_e32 v6, s0
	global_store_dwordx2 v[3:4], v[5:6], off
	s_mov_b64 s[0:1], 0
	s_mov_b64 s[14:15], -1
.LBB135_1964:
	s_mov_b64 s[16:17], 0
.LBB135_1965:
	s_and_b64 vcc, exec, s[16:17]
	s_cbranch_vccz .LBB135_1981
; %bb.1966:
	s_cmp_lt_i32 s20, 27
	s_mov_b64 s[14:15], -1
	s_cbranch_scc1 .LBB135_1972
; %bb.1967:
	s_cmp_gt_i32 s20, 27
	s_cbranch_scc0 .LBB135_1969
; %bb.1968:
	v_cndmask_b32_e64 v1, 0, 1, s[6:7]
	s_mov_b64 s[14:15], 0
	global_store_dword v[3:4], v1, off
.LBB135_1969:
	s_andn2_b64 vcc, exec, s[14:15]
	s_cbranch_vccnz .LBB135_1971
; %bb.1970:
	v_cndmask_b32_e64 v1, 0, 1, s[6:7]
	global_store_short v[3:4], v1, off
.LBB135_1971:
	s_mov_b64 s[14:15], 0
.LBB135_1972:
	s_andn2_b64 vcc, exec, s[14:15]
	s_cbranch_vccnz .LBB135_1980
; %bb.1973:
	v_cndmask_b32_e64 v5, 0, 1.0, s[6:7]
	s_mov_b32 s14, 0x43800000
	v_cmp_gt_u32_e32 vcc, s14, v5
	v_mov_b32_e32 v6, 0x80
	s_and_saveexec_b64 s[14:15], vcc
	s_cbranch_execz .LBB135_1979
; %bb.1974:
	s_mov_b32 s16, 0x3bffffff
	v_cmp_lt_u32_e32 vcc, s16, v5
	s_mov_b64 s[16:17], 0
                                        ; implicit-def: $vgpr1
	s_and_saveexec_b64 s[18:19], vcc
	s_xor_b64 s[18:19], exec, s[18:19]
	s_cbranch_execz .LBB135_2270
; %bb.1975:
	v_bfe_u32 v1, v5, 20, 1
	s_mov_b32 s21, 0x487ffff
	v_add3_u32 v1, v5, v1, s21
	s_mov_b64 s[16:17], exec
	v_lshrrev_b32_e32 v1, 20, v1
                                        ; implicit-def: $vgpr5
	s_andn2_saveexec_b64 s[18:19], s[18:19]
	s_cbranch_execnz .LBB135_2271
.LBB135_1976:
	s_or_b64 exec, exec, s[18:19]
	v_mov_b32_e32 v6, 0
	s_and_saveexec_b64 s[18:19], s[16:17]
.LBB135_1977:
	v_mov_b32_e32 v6, v1
.LBB135_1978:
	s_or_b64 exec, exec, s[18:19]
.LBB135_1979:
	s_or_b64 exec, exec, s[14:15]
	global_store_byte v[3:4], v6, off
.LBB135_1980:
	s_mov_b64 s[14:15], -1
.LBB135_1981:
	s_mov_b64 s[16:17], 0
.LBB135_1982:
	s_and_b64 vcc, exec, s[16:17]
	s_cbranch_vccz .LBB135_2022
; %bb.1983:
	s_cmp_gt_i32 s20, 22
	s_mov_b64 s[4:5], -1
	s_cbranch_scc0 .LBB135_2015
; %bb.1984:
	s_cmp_lt_i32 s20, 24
	s_cbranch_scc1 .LBB135_2004
; %bb.1985:
	s_cmp_gt_i32 s20, 24
	s_cbranch_scc0 .LBB135_1993
; %bb.1986:
	v_cndmask_b32_e64 v5, 0, 1.0, s[6:7]
	s_mov_b32 s4, 0x47800000
	v_cmp_gt_u32_e32 vcc, s4, v5
	v_mov_b32_e32 v6, 0x80
	s_and_saveexec_b64 s[4:5], vcc
	s_cbranch_execz .LBB135_1992
; %bb.1987:
	s_mov_b32 s14, 0x37ffffff
	v_cmp_lt_u32_e32 vcc, s14, v5
	s_mov_b64 s[14:15], 0
                                        ; implicit-def: $vgpr1
	s_and_saveexec_b64 s[16:17], vcc
	s_xor_b64 s[16:17], exec, s[16:17]
	s_cbranch_execz .LBB135_2273
; %bb.1988:
	v_bfe_u32 v1, v5, 21, 1
	s_mov_b32 s18, 0x88fffff
	v_add3_u32 v1, v5, v1, s18
	s_mov_b64 s[14:15], exec
	v_lshrrev_b32_e32 v1, 21, v1
                                        ; implicit-def: $vgpr5
	s_andn2_saveexec_b64 s[16:17], s[16:17]
	s_cbranch_execnz .LBB135_2274
.LBB135_1989:
	s_or_b64 exec, exec, s[16:17]
	v_mov_b32_e32 v6, 0
	s_and_saveexec_b64 s[16:17], s[14:15]
.LBB135_1990:
	v_mov_b32_e32 v6, v1
.LBB135_1991:
	s_or_b64 exec, exec, s[16:17]
.LBB135_1992:
	s_or_b64 exec, exec, s[4:5]
	s_mov_b64 s[4:5], 0
	global_store_byte v[3:4], v6, off
.LBB135_1993:
	s_and_b64 vcc, exec, s[4:5]
	s_cbranch_vccz .LBB135_2003
; %bb.1994:
	v_cndmask_b32_e64 v1, 0, 1.0, s[6:7]
	s_mov_b32 s4, 0x43f00000
	v_cmp_gt_u32_e32 vcc, s4, v1
                                        ; implicit-def: $vgpr5
	s_and_saveexec_b64 s[4:5], vcc
	s_xor_b64 s[4:5], exec, s[4:5]
	s_cbranch_execz .LBB135_2000
; %bb.1995:
	s_mov_b32 s14, 0x3c7fffff
	v_cmp_lt_u32_e32 vcc, s14, v1
                                        ; implicit-def: $vgpr5
	s_and_saveexec_b64 s[14:15], vcc
	s_xor_b64 s[14:15], exec, s[14:15]
; %bb.1996:
	v_bfe_u32 v5, v1, 20, 1
	s_mov_b32 s16, 0x407ffff
	v_add3_u32 v1, v1, v5, s16
	v_lshrrev_b32_e32 v5, 20, v1
	v_and_b32_e32 v1, 0xff00000, v1
	s_mov_b32 s16, 0x7f00000
	v_mov_b32_e32 v6, 0x7e
	v_cmp_ne_u32_e32 vcc, s16, v1
	v_cndmask_b32_e32 v5, v6, v5, vcc
                                        ; implicit-def: $vgpr1
; %bb.1997:
	s_andn2_saveexec_b64 s[14:15], s[14:15]
; %bb.1998:
	v_add_f32_e32 v5, 0x46800000, v1
; %bb.1999:
	s_or_b64 exec, exec, s[14:15]
                                        ; implicit-def: $vgpr1
.LBB135_2000:
	s_andn2_saveexec_b64 s[4:5], s[4:5]
; %bb.2001:
	s_mov_b32 s14, 0x7f800000
	v_mov_b32_e32 v5, 0x7e
	v_mov_b32_e32 v6, 0x7f
	v_cmp_lt_u32_e32 vcc, s14, v1
	v_cndmask_b32_e32 v5, v5, v6, vcc
; %bb.2002:
	s_or_b64 exec, exec, s[4:5]
	global_store_byte v[3:4], v5, off
.LBB135_2003:
	s_mov_b64 s[4:5], 0
.LBB135_2004:
	s_andn2_b64 vcc, exec, s[4:5]
	s_cbranch_vccnz .LBB135_2014
; %bb.2005:
	v_cndmask_b32_e64 v1, 0, 1.0, s[6:7]
	s_mov_b32 s4, 0x47800000
	v_cmp_gt_u32_e32 vcc, s4, v1
                                        ; implicit-def: $vgpr5
	s_and_saveexec_b64 s[4:5], vcc
	s_xor_b64 s[4:5], exec, s[4:5]
	s_cbranch_execz .LBB135_2011
; %bb.2006:
	s_mov_b32 s14, 0x387fffff
	v_cmp_lt_u32_e32 vcc, s14, v1
                                        ; implicit-def: $vgpr5
	s_and_saveexec_b64 s[14:15], vcc
	s_xor_b64 s[14:15], exec, s[14:15]
; %bb.2007:
	v_bfe_u32 v5, v1, 21, 1
	s_mov_b32 s16, 0x80fffff
	v_add3_u32 v1, v1, v5, s16
	v_lshrrev_b32_e32 v5, 21, v1
                                        ; implicit-def: $vgpr1
; %bb.2008:
	s_andn2_saveexec_b64 s[14:15], s[14:15]
; %bb.2009:
	v_add_f32_e32 v5, 0x43000000, v1
; %bb.2010:
	s_or_b64 exec, exec, s[14:15]
                                        ; implicit-def: $vgpr1
.LBB135_2011:
	s_andn2_saveexec_b64 s[4:5], s[4:5]
; %bb.2012:
	s_mov_b32 s14, 0x7f800000
	v_mov_b32_e32 v5, 0x7c
	v_mov_b32_e32 v6, 0x7f
	v_cmp_lt_u32_e32 vcc, s14, v1
	v_cndmask_b32_e32 v5, v5, v6, vcc
; %bb.2013:
	s_or_b64 exec, exec, s[4:5]
	global_store_byte v[3:4], v5, off
.LBB135_2014:
	s_mov_b64 s[4:5], 0
	s_mov_b64 s[14:15], -1
.LBB135_2015:
	s_andn2_b64 vcc, exec, s[4:5]
	s_mov_b64 s[4:5], 0
	s_cbranch_vccnz .LBB135_2022
; %bb.2016:
	s_cmp_gt_i32 s20, 14
	s_mov_b64 s[16:17], -1
	s_cbranch_scc0 .LBB135_2020
; %bb.2017:
	s_cmp_eq_u32 s20, 15
	s_mov_b64 s[0:1], -1
	s_cbranch_scc0 .LBB135_2019
; %bb.2018:
	v_cndmask_b32_e64 v1, 0, 1.0, s[6:7]
	v_bfe_u32 v5, v1, 16, 1
	s_movk_i32 s0, 0x7fff
	v_add3_u32 v1, v1, v5, s0
	global_store_short_d16_hi v[3:4], v1, off
	s_mov_b64 s[0:1], 0
	s_mov_b64 s[14:15], -1
.LBB135_2019:
	s_mov_b64 s[16:17], 0
.LBB135_2020:
	s_and_b64 vcc, exec, s[16:17]
	s_cbranch_vccz .LBB135_2022
; %bb.2021:
	s_cmp_lg_u32 s20, 11
	s_mov_b64 s[4:5], -1
	s_cselect_b64 s[0:1], -1, 0
.LBB135_2022:
	s_and_b64 vcc, exec, s[0:1]
	s_cbranch_vccnz .LBB135_2272
; %bb.2023:
	s_andn2_b64 vcc, exec, s[4:5]
	s_cbranch_vccnz .LBB135_2025
.LBB135_2024:
	v_cndmask_b32_e64 v1, 0, 1, s[6:7]
	s_mov_b64 s[14:15], -1
	global_store_byte v[3:4], v1, off
.LBB135_2025:
	s_mov_b64 s[0:1], 0
	s_branch .LBB135_2027
.LBB135_2026:
	s_mov_b64 s[0:1], -1
	s_mov_b64 s[14:15], 0
.LBB135_2027:
	s_and_b64 vcc, exec, s[0:1]
	s_cbranch_vccz .LBB135_2066
; %bb.2028:
	s_cmp_lt_i32 s20, 5
	s_mov_b64 s[0:1], -1
	s_cbranch_scc1 .LBB135_2049
; %bb.2029:
	s_cmp_lt_i32 s20, 8
	s_cbranch_scc1 .LBB135_2039
; %bb.2030:
	s_cmp_lt_i32 s20, 9
	s_cbranch_scc1 .LBB135_2036
; %bb.2031:
	s_cmp_gt_i32 s20, 9
	s_cbranch_scc0 .LBB135_2033
; %bb.2032:
	v_cndmask_b32_e64 v1, 0, 1, s[6:7]
	v_cvt_f64_u32_e32 v[5:6], v1
	v_mov_b32_e32 v7, 0
	v_mov_b32_e32 v8, v7
	s_mov_b64 s[0:1], 0
	global_store_dwordx4 v[3:4], v[5:8], off
.LBB135_2033:
	s_andn2_b64 vcc, exec, s[0:1]
	s_cbranch_vccnz .LBB135_2035
; %bb.2034:
	v_cndmask_b32_e64 v5, 0, 1.0, s[6:7]
	v_mov_b32_e32 v6, 0
	global_store_dwordx2 v[3:4], v[5:6], off
.LBB135_2035:
	s_mov_b64 s[0:1], 0
.LBB135_2036:
	s_andn2_b64 vcc, exec, s[0:1]
	s_cbranch_vccnz .LBB135_2038
; %bb.2037:
	v_cndmask_b32_e64 v1, 0, 1.0, s[6:7]
	v_cvt_f16_f32_e32 v1, v1
	global_store_dword v[3:4], v1, off
.LBB135_2038:
	s_mov_b64 s[0:1], 0
.LBB135_2039:
	s_andn2_b64 vcc, exec, s[0:1]
	s_cbranch_vccnz .LBB135_2048
; %bb.2040:
	s_cmp_lt_i32 s20, 6
	s_mov_b64 s[0:1], -1
	s_cbranch_scc1 .LBB135_2046
; %bb.2041:
	s_cmp_gt_i32 s20, 6
	s_cbranch_scc0 .LBB135_2043
; %bb.2042:
	v_cndmask_b32_e64 v1, 0, 1, s[6:7]
	v_cvt_f64_u32_e32 v[5:6], v1
	s_mov_b64 s[0:1], 0
	global_store_dwordx2 v[3:4], v[5:6], off
.LBB135_2043:
	s_andn2_b64 vcc, exec, s[0:1]
	s_cbranch_vccnz .LBB135_2045
; %bb.2044:
	v_cndmask_b32_e64 v1, 0, 1.0, s[6:7]
	global_store_dword v[3:4], v1, off
.LBB135_2045:
	s_mov_b64 s[0:1], 0
.LBB135_2046:
	s_andn2_b64 vcc, exec, s[0:1]
	s_cbranch_vccnz .LBB135_2048
; %bb.2047:
	v_cndmask_b32_e64 v1, 0, 1.0, s[6:7]
	v_cvt_f16_f32_e32 v1, v1
	global_store_short v[3:4], v1, off
.LBB135_2048:
	s_mov_b64 s[0:1], 0
.LBB135_2049:
	s_andn2_b64 vcc, exec, s[0:1]
	s_cbranch_vccnz .LBB135_2065
; %bb.2050:
	s_cmp_lt_i32 s20, 2
	s_mov_b64 s[0:1], -1
	s_cbranch_scc1 .LBB135_2060
; %bb.2051:
	s_cmp_lt_i32 s20, 3
	s_cbranch_scc1 .LBB135_2057
; %bb.2052:
	s_cmp_gt_i32 s20, 3
	s_cbranch_scc0 .LBB135_2054
; %bb.2053:
	s_mov_b32 s0, 0
	v_cndmask_b32_e64 v5, 0, 1, s[6:7]
	v_mov_b32_e32 v6, s0
	global_store_dwordx2 v[3:4], v[5:6], off
	s_mov_b64 s[0:1], 0
.LBB135_2054:
	s_andn2_b64 vcc, exec, s[0:1]
	s_cbranch_vccnz .LBB135_2056
; %bb.2055:
	v_cndmask_b32_e64 v1, 0, 1, s[6:7]
	global_store_dword v[3:4], v1, off
.LBB135_2056:
	s_mov_b64 s[0:1], 0
.LBB135_2057:
	s_andn2_b64 vcc, exec, s[0:1]
	s_cbranch_vccnz .LBB135_2059
; %bb.2058:
	v_cndmask_b32_e64 v1, 0, 1, s[6:7]
	global_store_short v[3:4], v1, off
.LBB135_2059:
	s_mov_b64 s[0:1], 0
.LBB135_2060:
	s_andn2_b64 vcc, exec, s[0:1]
	s_cbranch_vccnz .LBB135_2065
; %bb.2061:
	s_mov_b64 s[0:1], -1
	s_cmp_gt_i32 s20, 0
	v_cndmask_b32_e64 v1, 0, 1, s[6:7]
	s_cbranch_scc0 .LBB135_2063
; %bb.2062:
	global_store_byte v[3:4], v1, off
	s_mov_b64 s[0:1], 0
.LBB135_2063:
	s_andn2_b64 vcc, exec, s[0:1]
	s_cbranch_vccnz .LBB135_2065
; %bb.2064:
	global_store_byte v[3:4], v1, off
.LBB135_2065:
	s_mov_b64 s[14:15], -1
.LBB135_2066:
	s_andn2_b64 vcc, exec, s[14:15]
	s_cbranch_vccnz .LBB135_2262
; %bb.2067:
	v_mov_b32_e32 v3, s9
	v_add_co_u32_e32 v1, vcc, s8, v2
	s_cmp_lt_i32 s20, 11
	v_addc_co_u32_e32 v2, vcc, 0, v3, vcc
	s_cbranch_scc1 .LBB135_2145
; %bb.2068:
	s_mov_b64 s[14:15], -1
	s_mov_b64 s[4:5], 0
	s_cmp_gt_i32 s20, 25
	s_mov_b64 s[6:7], 0
	s_mov_b64 s[0:1], 0
	s_cbranch_scc0 .LBB135_2101
; %bb.2069:
	s_cmp_gt_i32 s20, 28
	s_cbranch_scc0 .LBB135_2084
; %bb.2070:
	s_cmp_gt_i32 s20, 43
	;; [unrolled: 3-line block ×3, first 2 shown]
	s_cbranch_scc0 .LBB135_2074
; %bb.2072:
	s_mov_b64 s[0:1], -1
	s_mov_b64 s[14:15], 0
	s_cmp_eq_u32 s20, 46
	s_cbranch_scc0 .LBB135_2074
; %bb.2073:
	v_cndmask_b32_e64 v3, 0, 1.0, s[12:13]
	v_bfe_u32 v4, v3, 16, 1
	s_movk_i32 s0, 0x7fff
	v_add3_u32 v3, v3, v4, s0
	v_lshrrev_b32_e32 v3, 16, v3
	global_store_dword v[1:2], v3, off
	s_mov_b64 s[0:1], 0
	s_mov_b64 s[6:7], -1
.LBB135_2074:
	s_and_b64 vcc, exec, s[14:15]
	s_cbranch_vccz .LBB135_2079
; %bb.2075:
	s_cmp_eq_u32 s20, 44
	s_mov_b64 s[0:1], -1
	s_cbranch_scc0 .LBB135_2079
; %bb.2076:
	v_cndmask_b32_e64 v4, 0, 1.0, s[12:13]
	v_lshrrev_b32_e32 v3, 23, v4
	s_movk_i32 s0, 0xff
	v_cmp_ne_u32_e32 vcc, s0, v3
	v_mov_b32_e32 v5, 0xff
	s_and_saveexec_b64 s[6:7], vcc
; %bb.2077:
	s_mov_b32 s0, 0x3fffff
	v_and_b32_e32 v5, 0x400000, v4
	v_and_or_b32 v4, v4, s0, v3
	v_cmp_ne_u32_e32 vcc, 0, v5
	v_cmp_ne_u32_e64 s[0:1], 0, v4
	s_and_b64 s[0:1], vcc, s[0:1]
	v_cndmask_b32_e64 v4, 0, 1, s[0:1]
	v_add_u32_e32 v5, v3, v4
; %bb.2078:
	s_or_b64 exec, exec, s[6:7]
	s_mov_b64 s[0:1], 0
	s_mov_b64 s[6:7], -1
	global_store_byte v[1:2], v5, off
.LBB135_2079:
	s_mov_b64 s[14:15], 0
.LBB135_2080:
	s_and_b64 vcc, exec, s[14:15]
	s_cbranch_vccz .LBB135_2083
; %bb.2081:
	s_cmp_eq_u32 s20, 29
	s_mov_b64 s[0:1], -1
	s_cbranch_scc0 .LBB135_2083
; %bb.2082:
	s_mov_b32 s0, 0
	v_cndmask_b32_e64 v3, 0, 1, s[12:13]
	v_mov_b32_e32 v4, s0
	global_store_dwordx2 v[1:2], v[3:4], off
	s_mov_b64 s[0:1], 0
	s_mov_b64 s[6:7], -1
.LBB135_2083:
	s_mov_b64 s[14:15], 0
.LBB135_2084:
	s_and_b64 vcc, exec, s[14:15]
	s_cbranch_vccz .LBB135_2100
; %bb.2085:
	s_cmp_lt_i32 s20, 27
	s_mov_b64 s[6:7], -1
	s_cbranch_scc1 .LBB135_2091
; %bb.2086:
	s_cmp_gt_i32 s20, 27
	s_cbranch_scc0 .LBB135_2088
; %bb.2087:
	v_cndmask_b32_e64 v3, 0, 1, s[12:13]
	s_mov_b64 s[6:7], 0
	global_store_dword v[1:2], v3, off
.LBB135_2088:
	s_andn2_b64 vcc, exec, s[6:7]
	s_cbranch_vccnz .LBB135_2090
; %bb.2089:
	v_cndmask_b32_e64 v3, 0, 1, s[12:13]
	global_store_short v[1:2], v3, off
.LBB135_2090:
	s_mov_b64 s[6:7], 0
.LBB135_2091:
	s_andn2_b64 vcc, exec, s[6:7]
	s_cbranch_vccnz .LBB135_2099
; %bb.2092:
	v_cndmask_b32_e64 v4, 0, 1.0, s[12:13]
	s_mov_b32 s6, 0x43800000
	v_cmp_gt_u32_e32 vcc, s6, v4
	v_mov_b32_e32 v5, 0x80
	s_and_saveexec_b64 s[6:7], vcc
	s_cbranch_execz .LBB135_2098
; %bb.2093:
	s_mov_b32 s14, 0x3bffffff
	v_cmp_lt_u32_e32 vcc, s14, v4
	s_mov_b64 s[14:15], 0
                                        ; implicit-def: $vgpr3
	s_and_saveexec_b64 s[16:17], vcc
	s_xor_b64 s[16:17], exec, s[16:17]
	s_cbranch_execz .LBB135_2275
; %bb.2094:
	v_bfe_u32 v3, v4, 20, 1
	s_mov_b32 s18, 0x487ffff
	v_add3_u32 v3, v4, v3, s18
	s_mov_b64 s[14:15], exec
	v_lshrrev_b32_e32 v3, 20, v3
                                        ; implicit-def: $vgpr4
	s_andn2_saveexec_b64 s[16:17], s[16:17]
	s_cbranch_execnz .LBB135_2276
.LBB135_2095:
	s_or_b64 exec, exec, s[16:17]
	v_mov_b32_e32 v5, 0
	s_and_saveexec_b64 s[16:17], s[14:15]
.LBB135_2096:
	v_mov_b32_e32 v5, v3
.LBB135_2097:
	s_or_b64 exec, exec, s[16:17]
.LBB135_2098:
	s_or_b64 exec, exec, s[6:7]
	global_store_byte v[1:2], v5, off
.LBB135_2099:
	s_mov_b64 s[6:7], -1
.LBB135_2100:
	s_mov_b64 s[14:15], 0
.LBB135_2101:
	s_and_b64 vcc, exec, s[14:15]
	s_cbranch_vccz .LBB135_2141
; %bb.2102:
	s_cmp_gt_i32 s20, 22
	s_mov_b64 s[4:5], -1
	s_cbranch_scc0 .LBB135_2134
; %bb.2103:
	s_cmp_lt_i32 s20, 24
	s_cbranch_scc1 .LBB135_2123
; %bb.2104:
	s_cmp_gt_i32 s20, 24
	s_cbranch_scc0 .LBB135_2112
; %bb.2105:
	v_cndmask_b32_e64 v4, 0, 1.0, s[12:13]
	s_mov_b32 s4, 0x47800000
	v_cmp_gt_u32_e32 vcc, s4, v4
	v_mov_b32_e32 v5, 0x80
	s_and_saveexec_b64 s[4:5], vcc
	s_cbranch_execz .LBB135_2111
; %bb.2106:
	s_mov_b32 s6, 0x37ffffff
	v_cmp_lt_u32_e32 vcc, s6, v4
	s_mov_b64 s[6:7], 0
                                        ; implicit-def: $vgpr3
	s_and_saveexec_b64 s[14:15], vcc
	s_xor_b64 s[14:15], exec, s[14:15]
	s_cbranch_execz .LBB135_2278
; %bb.2107:
	v_bfe_u32 v3, v4, 21, 1
	s_mov_b32 s16, 0x88fffff
	v_add3_u32 v3, v4, v3, s16
	s_mov_b64 s[6:7], exec
	v_lshrrev_b32_e32 v3, 21, v3
                                        ; implicit-def: $vgpr4
	s_andn2_saveexec_b64 s[14:15], s[14:15]
	s_cbranch_execnz .LBB135_2279
.LBB135_2108:
	s_or_b64 exec, exec, s[14:15]
	v_mov_b32_e32 v5, 0
	s_and_saveexec_b64 s[14:15], s[6:7]
.LBB135_2109:
	v_mov_b32_e32 v5, v3
.LBB135_2110:
	s_or_b64 exec, exec, s[14:15]
.LBB135_2111:
	s_or_b64 exec, exec, s[4:5]
	s_mov_b64 s[4:5], 0
	global_store_byte v[1:2], v5, off
.LBB135_2112:
	s_and_b64 vcc, exec, s[4:5]
	s_cbranch_vccz .LBB135_2122
; %bb.2113:
	v_cndmask_b32_e64 v3, 0, 1.0, s[12:13]
	s_mov_b32 s4, 0x43f00000
	v_cmp_gt_u32_e32 vcc, s4, v3
                                        ; implicit-def: $vgpr4
	s_and_saveexec_b64 s[4:5], vcc
	s_xor_b64 s[4:5], exec, s[4:5]
	s_cbranch_execz .LBB135_2119
; %bb.2114:
	s_mov_b32 s6, 0x3c7fffff
	v_cmp_lt_u32_e32 vcc, s6, v3
                                        ; implicit-def: $vgpr4
	s_and_saveexec_b64 s[6:7], vcc
	s_xor_b64 s[6:7], exec, s[6:7]
; %bb.2115:
	v_bfe_u32 v4, v3, 20, 1
	s_mov_b32 s14, 0x407ffff
	v_add3_u32 v3, v3, v4, s14
	v_lshrrev_b32_e32 v4, 20, v3
	v_and_b32_e32 v3, 0xff00000, v3
	s_mov_b32 s14, 0x7f00000
	v_mov_b32_e32 v5, 0x7e
	v_cmp_ne_u32_e32 vcc, s14, v3
	v_cndmask_b32_e32 v4, v5, v4, vcc
                                        ; implicit-def: $vgpr3
; %bb.2116:
	s_andn2_saveexec_b64 s[6:7], s[6:7]
; %bb.2117:
	v_add_f32_e32 v4, 0x46800000, v3
; %bb.2118:
	s_or_b64 exec, exec, s[6:7]
                                        ; implicit-def: $vgpr3
.LBB135_2119:
	s_andn2_saveexec_b64 s[4:5], s[4:5]
; %bb.2120:
	s_mov_b32 s6, 0x7f800000
	v_mov_b32_e32 v4, 0x7e
	v_mov_b32_e32 v5, 0x7f
	v_cmp_lt_u32_e32 vcc, s6, v3
	v_cndmask_b32_e32 v4, v4, v5, vcc
; %bb.2121:
	s_or_b64 exec, exec, s[4:5]
	global_store_byte v[1:2], v4, off
.LBB135_2122:
	s_mov_b64 s[4:5], 0
.LBB135_2123:
	s_andn2_b64 vcc, exec, s[4:5]
	s_cbranch_vccnz .LBB135_2133
; %bb.2124:
	v_cndmask_b32_e64 v3, 0, 1.0, s[12:13]
	s_mov_b32 s4, 0x47800000
	v_cmp_gt_u32_e32 vcc, s4, v3
                                        ; implicit-def: $vgpr4
	s_and_saveexec_b64 s[4:5], vcc
	s_xor_b64 s[4:5], exec, s[4:5]
	s_cbranch_execz .LBB135_2130
; %bb.2125:
	s_mov_b32 s6, 0x387fffff
	v_cmp_lt_u32_e32 vcc, s6, v3
                                        ; implicit-def: $vgpr4
	s_and_saveexec_b64 s[6:7], vcc
	s_xor_b64 s[6:7], exec, s[6:7]
; %bb.2126:
	v_bfe_u32 v4, v3, 21, 1
	s_mov_b32 s14, 0x80fffff
	v_add3_u32 v3, v3, v4, s14
	v_lshrrev_b32_e32 v4, 21, v3
                                        ; implicit-def: $vgpr3
; %bb.2127:
	s_andn2_saveexec_b64 s[6:7], s[6:7]
; %bb.2128:
	v_add_f32_e32 v4, 0x43000000, v3
; %bb.2129:
	s_or_b64 exec, exec, s[6:7]
                                        ; implicit-def: $vgpr3
.LBB135_2130:
	s_andn2_saveexec_b64 s[4:5], s[4:5]
; %bb.2131:
	s_mov_b32 s6, 0x7f800000
	v_mov_b32_e32 v4, 0x7c
	v_mov_b32_e32 v5, 0x7f
	v_cmp_lt_u32_e32 vcc, s6, v3
	v_cndmask_b32_e32 v4, v4, v5, vcc
; %bb.2132:
	s_or_b64 exec, exec, s[4:5]
	global_store_byte v[1:2], v4, off
.LBB135_2133:
	s_mov_b64 s[4:5], 0
	s_mov_b64 s[6:7], -1
.LBB135_2134:
	s_andn2_b64 vcc, exec, s[4:5]
	s_mov_b64 s[4:5], 0
	s_cbranch_vccnz .LBB135_2141
; %bb.2135:
	s_cmp_gt_i32 s20, 14
	s_mov_b64 s[14:15], -1
	s_cbranch_scc0 .LBB135_2139
; %bb.2136:
	s_cmp_eq_u32 s20, 15
	s_mov_b64 s[0:1], -1
	s_cbranch_scc0 .LBB135_2138
; %bb.2137:
	v_cndmask_b32_e64 v3, 0, 1.0, s[12:13]
	v_bfe_u32 v4, v3, 16, 1
	s_movk_i32 s0, 0x7fff
	v_add3_u32 v3, v3, v4, s0
	global_store_short_d16_hi v[1:2], v3, off
	s_mov_b64 s[0:1], 0
	s_mov_b64 s[6:7], -1
.LBB135_2138:
	s_mov_b64 s[14:15], 0
.LBB135_2139:
	s_and_b64 vcc, exec, s[14:15]
	s_cbranch_vccz .LBB135_2141
; %bb.2140:
	s_cmp_lg_u32 s20, 11
	s_mov_b64 s[4:5], -1
	s_cselect_b64 s[0:1], -1, 0
.LBB135_2141:
	s_and_b64 vcc, exec, s[0:1]
	s_cbranch_vccnz .LBB135_2277
; %bb.2142:
	s_andn2_b64 vcc, exec, s[4:5]
	s_cbranch_vccnz .LBB135_2144
.LBB135_2143:
	v_cndmask_b32_e64 v3, 0, 1, s[12:13]
	s_mov_b64 s[6:7], -1
	global_store_byte v[1:2], v3, off
.LBB135_2144:
	s_mov_b64 s[0:1], 0
	s_branch .LBB135_2146
.LBB135_2145:
	s_mov_b64 s[0:1], -1
	s_mov_b64 s[6:7], 0
.LBB135_2146:
	s_and_b64 vcc, exec, s[0:1]
	s_cbranch_vccz .LBB135_2185
; %bb.2147:
	s_cmp_lt_i32 s20, 5
	s_mov_b64 s[0:1], -1
	s_cbranch_scc1 .LBB135_2168
; %bb.2148:
	s_cmp_lt_i32 s20, 8
	s_cbranch_scc1 .LBB135_2158
; %bb.2149:
	s_cmp_lt_i32 s20, 9
	s_cbranch_scc1 .LBB135_2155
; %bb.2150:
	s_cmp_gt_i32 s20, 9
	s_cbranch_scc0 .LBB135_2152
; %bb.2151:
	v_cndmask_b32_e64 v3, 0, 1, s[12:13]
	v_cvt_f64_u32_e32 v[3:4], v3
	v_mov_b32_e32 v5, 0
	v_mov_b32_e32 v6, v5
	s_mov_b64 s[0:1], 0
	global_store_dwordx4 v[1:2], v[3:6], off
.LBB135_2152:
	s_andn2_b64 vcc, exec, s[0:1]
	s_cbranch_vccnz .LBB135_2154
; %bb.2153:
	v_cndmask_b32_e64 v3, 0, 1.0, s[12:13]
	v_mov_b32_e32 v4, 0
	global_store_dwordx2 v[1:2], v[3:4], off
.LBB135_2154:
	s_mov_b64 s[0:1], 0
.LBB135_2155:
	s_andn2_b64 vcc, exec, s[0:1]
	s_cbranch_vccnz .LBB135_2157
; %bb.2156:
	v_cndmask_b32_e64 v3, 0, 1.0, s[12:13]
	v_cvt_f16_f32_e32 v3, v3
	global_store_dword v[1:2], v3, off
.LBB135_2157:
	s_mov_b64 s[0:1], 0
.LBB135_2158:
	s_andn2_b64 vcc, exec, s[0:1]
	s_cbranch_vccnz .LBB135_2167
; %bb.2159:
	s_cmp_lt_i32 s20, 6
	s_mov_b64 s[0:1], -1
	s_cbranch_scc1 .LBB135_2165
; %bb.2160:
	s_cmp_gt_i32 s20, 6
	s_cbranch_scc0 .LBB135_2162
; %bb.2161:
	v_cndmask_b32_e64 v3, 0, 1, s[12:13]
	v_cvt_f64_u32_e32 v[3:4], v3
	s_mov_b64 s[0:1], 0
	global_store_dwordx2 v[1:2], v[3:4], off
.LBB135_2162:
	s_andn2_b64 vcc, exec, s[0:1]
	s_cbranch_vccnz .LBB135_2164
; %bb.2163:
	v_cndmask_b32_e64 v3, 0, 1.0, s[12:13]
	global_store_dword v[1:2], v3, off
.LBB135_2164:
	s_mov_b64 s[0:1], 0
.LBB135_2165:
	s_andn2_b64 vcc, exec, s[0:1]
	s_cbranch_vccnz .LBB135_2167
; %bb.2166:
	v_cndmask_b32_e64 v3, 0, 1.0, s[12:13]
	v_cvt_f16_f32_e32 v3, v3
	global_store_short v[1:2], v3, off
.LBB135_2167:
	s_mov_b64 s[0:1], 0
.LBB135_2168:
	s_andn2_b64 vcc, exec, s[0:1]
	s_cbranch_vccnz .LBB135_2184
; %bb.2169:
	s_cmp_lt_i32 s20, 2
	s_mov_b64 s[0:1], -1
	s_cbranch_scc1 .LBB135_2179
; %bb.2170:
	s_cmp_lt_i32 s20, 3
	s_cbranch_scc1 .LBB135_2176
; %bb.2171:
	s_cmp_gt_i32 s20, 3
	s_cbranch_scc0 .LBB135_2173
; %bb.2172:
	s_mov_b32 s0, 0
	v_cndmask_b32_e64 v3, 0, 1, s[12:13]
	v_mov_b32_e32 v4, s0
	global_store_dwordx2 v[1:2], v[3:4], off
	s_mov_b64 s[0:1], 0
.LBB135_2173:
	s_andn2_b64 vcc, exec, s[0:1]
	s_cbranch_vccnz .LBB135_2175
; %bb.2174:
	v_cndmask_b32_e64 v3, 0, 1, s[12:13]
	global_store_dword v[1:2], v3, off
.LBB135_2175:
	s_mov_b64 s[0:1], 0
.LBB135_2176:
	s_andn2_b64 vcc, exec, s[0:1]
	s_cbranch_vccnz .LBB135_2178
; %bb.2177:
	v_cndmask_b32_e64 v3, 0, 1, s[12:13]
	global_store_short v[1:2], v3, off
.LBB135_2178:
	s_mov_b64 s[0:1], 0
.LBB135_2179:
	s_andn2_b64 vcc, exec, s[0:1]
	s_cbranch_vccnz .LBB135_2184
; %bb.2180:
	s_cmp_gt_i32 s20, 0
	s_mov_b64 s[0:1], -1
	s_cbranch_scc0 .LBB135_2182
; %bb.2181:
	v_cndmask_b32_e64 v3, 0, 1, s[12:13]
	global_store_byte v[1:2], v3, off
	s_mov_b64 s[0:1], 0
.LBB135_2182:
	s_andn2_b64 vcc, exec, s[0:1]
	s_cbranch_vccnz .LBB135_2184
; %bb.2183:
	v_cndmask_b32_e64 v3, 0, 1, s[12:13]
	global_store_byte v[1:2], v3, off
.LBB135_2184:
	s_mov_b64 s[6:7], -1
.LBB135_2185:
	s_andn2_b64 vcc, exec, s[6:7]
	s_cbranch_vccnz .LBB135_2262
; %bb.2186:
	v_mov_b32_e32 v1, s9
	v_add_co_u32_e32 v0, vcc, s8, v0
	s_cmp_lt_i32 s20, 11
	v_addc_co_u32_e32 v1, vcc, 0, v1, vcc
	s_cbranch_scc1 .LBB135_2263
; %bb.2187:
	s_mov_b64 s[6:7], -1
	s_mov_b64 s[4:5], 0
	s_cmp_gt_i32 s20, 25
	s_mov_b64 s[0:1], 0
	s_cbranch_scc0 .LBB135_2220
; %bb.2188:
	s_cmp_gt_i32 s20, 28
	s_cbranch_scc0 .LBB135_2204
; %bb.2189:
	s_cmp_gt_i32 s20, 43
	;; [unrolled: 3-line block ×3, first 2 shown]
	s_cbranch_scc0 .LBB135_2194
; %bb.2191:
	s_cmp_eq_u32 s20, 46
	s_mov_b64 s[0:1], -1
	s_cbranch_scc0 .LBB135_2193
; %bb.2192:
	v_cndmask_b32_e64 v2, 0, 1.0, s[10:11]
	v_bfe_u32 v3, v2, 16, 1
	s_movk_i32 s0, 0x7fff
	v_add3_u32 v2, v2, v3, s0
	v_lshrrev_b32_e32 v2, 16, v2
	global_store_dword v[0:1], v2, off
	s_mov_b64 s[0:1], 0
.LBB135_2193:
	s_mov_b64 s[6:7], 0
.LBB135_2194:
	s_and_b64 vcc, exec, s[6:7]
	s_cbranch_vccz .LBB135_2199
; %bb.2195:
	s_cmp_eq_u32 s20, 44
	s_mov_b64 s[0:1], -1
	s_cbranch_scc0 .LBB135_2199
; %bb.2196:
	v_cndmask_b32_e64 v3, 0, 1.0, s[10:11]
	v_lshrrev_b32_e32 v2, 23, v3
	s_movk_i32 s0, 0xff
	v_cmp_ne_u32_e32 vcc, s0, v2
	v_mov_b32_e32 v4, 0xff
	s_and_saveexec_b64 s[6:7], vcc
; %bb.2197:
	s_mov_b32 s0, 0x3fffff
	v_and_b32_e32 v4, 0x400000, v3
	v_and_or_b32 v3, v3, s0, v2
	v_cmp_ne_u32_e32 vcc, 0, v4
	v_cmp_ne_u32_e64 s[0:1], 0, v3
	s_and_b64 s[0:1], vcc, s[0:1]
	v_cndmask_b32_e64 v3, 0, 1, s[0:1]
	v_add_u32_e32 v4, v2, v3
; %bb.2198:
	s_or_b64 exec, exec, s[6:7]
	s_mov_b64 s[0:1], 0
	global_store_byte v[0:1], v4, off
.LBB135_2199:
	s_mov_b64 s[6:7], 0
.LBB135_2200:
	s_and_b64 vcc, exec, s[6:7]
	s_cbranch_vccz .LBB135_2203
; %bb.2201:
	s_cmp_eq_u32 s20, 29
	s_mov_b64 s[0:1], -1
	s_cbranch_scc0 .LBB135_2203
; %bb.2202:
	s_mov_b32 s0, 0
	v_cndmask_b32_e64 v2, 0, 1, s[10:11]
	v_mov_b32_e32 v3, s0
	global_store_dwordx2 v[0:1], v[2:3], off
	s_mov_b64 s[0:1], 0
.LBB135_2203:
	s_mov_b64 s[6:7], 0
.LBB135_2204:
	s_and_b64 vcc, exec, s[6:7]
	s_cbranch_vccz .LBB135_2219
; %bb.2205:
	s_cmp_lt_i32 s20, 27
	s_mov_b64 s[6:7], -1
	s_cbranch_scc1 .LBB135_2211
; %bb.2206:
	s_cmp_gt_i32 s20, 27
	s_cbranch_scc0 .LBB135_2208
; %bb.2207:
	v_cndmask_b32_e64 v2, 0, 1, s[10:11]
	global_store_dword v[0:1], v2, off
	s_mov_b64 s[6:7], 0
.LBB135_2208:
	s_andn2_b64 vcc, exec, s[6:7]
	s_cbranch_vccnz .LBB135_2210
; %bb.2209:
	v_cndmask_b32_e64 v2, 0, 1, s[10:11]
	global_store_short v[0:1], v2, off
.LBB135_2210:
	s_mov_b64 s[6:7], 0
.LBB135_2211:
	s_andn2_b64 vcc, exec, s[6:7]
	s_cbranch_vccnz .LBB135_2219
; %bb.2212:
	v_cndmask_b32_e64 v3, 0, 1.0, s[10:11]
	s_mov_b32 s6, 0x43800000
	v_cmp_gt_u32_e32 vcc, s6, v3
	v_mov_b32_e32 v4, 0x80
	s_and_saveexec_b64 s[6:7], vcc
	s_cbranch_execz .LBB135_2218
; %bb.2213:
	s_mov_b32 s8, 0x3bffffff
	v_cmp_lt_u32_e32 vcc, s8, v3
	s_mov_b64 s[8:9], 0
                                        ; implicit-def: $vgpr2
	s_and_saveexec_b64 s[12:13], vcc
	s_xor_b64 s[12:13], exec, s[12:13]
	s_cbranch_execz .LBB135_2280
; %bb.2214:
	v_bfe_u32 v2, v3, 20, 1
	s_mov_b32 s14, 0x487ffff
	v_add3_u32 v2, v3, v2, s14
	s_mov_b64 s[8:9], exec
	v_lshrrev_b32_e32 v2, 20, v2
                                        ; implicit-def: $vgpr3
	s_andn2_saveexec_b64 s[12:13], s[12:13]
	s_cbranch_execnz .LBB135_2281
.LBB135_2215:
	s_or_b64 exec, exec, s[12:13]
	v_mov_b32_e32 v4, 0
	s_and_saveexec_b64 s[12:13], s[8:9]
.LBB135_2216:
	v_mov_b32_e32 v4, v2
.LBB135_2217:
	s_or_b64 exec, exec, s[12:13]
.LBB135_2218:
	s_or_b64 exec, exec, s[6:7]
	global_store_byte v[0:1], v4, off
.LBB135_2219:
	s_mov_b64 s[6:7], 0
.LBB135_2220:
	s_and_b64 vcc, exec, s[6:7]
	s_cbranch_vccz .LBB135_2260
; %bb.2221:
	s_cmp_gt_i32 s20, 22
	s_mov_b64 s[4:5], -1
	s_cbranch_scc0 .LBB135_2253
; %bb.2222:
	s_cmp_lt_i32 s20, 24
	s_cbranch_scc1 .LBB135_2242
; %bb.2223:
	s_cmp_gt_i32 s20, 24
	s_cbranch_scc0 .LBB135_2231
; %bb.2224:
	v_cndmask_b32_e64 v3, 0, 1.0, s[10:11]
	s_mov_b32 s4, 0x47800000
	v_cmp_gt_u32_e32 vcc, s4, v3
	v_mov_b32_e32 v4, 0x80
	s_and_saveexec_b64 s[4:5], vcc
	s_cbranch_execz .LBB135_2230
; %bb.2225:
	s_mov_b32 s6, 0x37ffffff
	v_cmp_lt_u32_e32 vcc, s6, v3
	s_mov_b64 s[6:7], 0
                                        ; implicit-def: $vgpr2
	s_and_saveexec_b64 s[8:9], vcc
	s_xor_b64 s[8:9], exec, s[8:9]
	s_cbranch_execz .LBB135_2283
; %bb.2226:
	v_bfe_u32 v2, v3, 21, 1
	s_mov_b32 s12, 0x88fffff
	v_add3_u32 v2, v3, v2, s12
	s_mov_b64 s[6:7], exec
	v_lshrrev_b32_e32 v2, 21, v2
                                        ; implicit-def: $vgpr3
	s_andn2_saveexec_b64 s[8:9], s[8:9]
	s_cbranch_execnz .LBB135_2284
.LBB135_2227:
	s_or_b64 exec, exec, s[8:9]
	v_mov_b32_e32 v4, 0
	s_and_saveexec_b64 s[8:9], s[6:7]
.LBB135_2228:
	v_mov_b32_e32 v4, v2
.LBB135_2229:
	s_or_b64 exec, exec, s[8:9]
.LBB135_2230:
	s_or_b64 exec, exec, s[4:5]
	s_mov_b64 s[4:5], 0
	global_store_byte v[0:1], v4, off
.LBB135_2231:
	s_and_b64 vcc, exec, s[4:5]
	s_cbranch_vccz .LBB135_2241
; %bb.2232:
	v_cndmask_b32_e64 v2, 0, 1.0, s[10:11]
	s_mov_b32 s4, 0x43f00000
	v_cmp_gt_u32_e32 vcc, s4, v2
                                        ; implicit-def: $vgpr3
	s_and_saveexec_b64 s[4:5], vcc
	s_xor_b64 s[4:5], exec, s[4:5]
	s_cbranch_execz .LBB135_2238
; %bb.2233:
	s_mov_b32 s6, 0x3c7fffff
	v_cmp_lt_u32_e32 vcc, s6, v2
                                        ; implicit-def: $vgpr3
	s_and_saveexec_b64 s[6:7], vcc
	s_xor_b64 s[6:7], exec, s[6:7]
; %bb.2234:
	v_bfe_u32 v3, v2, 20, 1
	s_mov_b32 s8, 0x407ffff
	v_add3_u32 v2, v2, v3, s8
	v_lshrrev_b32_e32 v3, 20, v2
	v_and_b32_e32 v2, 0xff00000, v2
	s_mov_b32 s8, 0x7f00000
	v_mov_b32_e32 v4, 0x7e
	v_cmp_ne_u32_e32 vcc, s8, v2
	v_cndmask_b32_e32 v3, v4, v3, vcc
                                        ; implicit-def: $vgpr2
; %bb.2235:
	s_andn2_saveexec_b64 s[6:7], s[6:7]
; %bb.2236:
	v_add_f32_e32 v3, 0x46800000, v2
; %bb.2237:
	s_or_b64 exec, exec, s[6:7]
                                        ; implicit-def: $vgpr2
.LBB135_2238:
	s_andn2_saveexec_b64 s[4:5], s[4:5]
; %bb.2239:
	s_mov_b32 s6, 0x7f800000
	v_mov_b32_e32 v3, 0x7e
	v_mov_b32_e32 v4, 0x7f
	v_cmp_lt_u32_e32 vcc, s6, v2
	v_cndmask_b32_e32 v3, v3, v4, vcc
; %bb.2240:
	s_or_b64 exec, exec, s[4:5]
	global_store_byte v[0:1], v3, off
.LBB135_2241:
	s_mov_b64 s[4:5], 0
.LBB135_2242:
	s_andn2_b64 vcc, exec, s[4:5]
	s_cbranch_vccnz .LBB135_2252
; %bb.2243:
	v_cndmask_b32_e64 v2, 0, 1.0, s[10:11]
	s_mov_b32 s4, 0x47800000
	v_cmp_gt_u32_e32 vcc, s4, v2
                                        ; implicit-def: $vgpr3
	s_and_saveexec_b64 s[4:5], vcc
	s_xor_b64 s[4:5], exec, s[4:5]
	s_cbranch_execz .LBB135_2249
; %bb.2244:
	s_mov_b32 s6, 0x387fffff
	v_cmp_lt_u32_e32 vcc, s6, v2
                                        ; implicit-def: $vgpr3
	s_and_saveexec_b64 s[6:7], vcc
	s_xor_b64 s[6:7], exec, s[6:7]
; %bb.2245:
	v_bfe_u32 v3, v2, 21, 1
	s_mov_b32 s8, 0x80fffff
	v_add3_u32 v2, v2, v3, s8
	v_lshrrev_b32_e32 v3, 21, v2
                                        ; implicit-def: $vgpr2
; %bb.2246:
	s_andn2_saveexec_b64 s[6:7], s[6:7]
; %bb.2247:
	v_add_f32_e32 v3, 0x43000000, v2
; %bb.2248:
	s_or_b64 exec, exec, s[6:7]
                                        ; implicit-def: $vgpr2
.LBB135_2249:
	s_andn2_saveexec_b64 s[4:5], s[4:5]
; %bb.2250:
	s_mov_b32 s6, 0x7f800000
	v_mov_b32_e32 v3, 0x7c
	v_mov_b32_e32 v4, 0x7f
	v_cmp_lt_u32_e32 vcc, s6, v2
	v_cndmask_b32_e32 v3, v3, v4, vcc
; %bb.2251:
	s_or_b64 exec, exec, s[4:5]
	global_store_byte v[0:1], v3, off
.LBB135_2252:
	s_mov_b64 s[4:5], 0
.LBB135_2253:
	s_andn2_b64 vcc, exec, s[4:5]
	s_mov_b64 s[4:5], 0
	s_cbranch_vccnz .LBB135_2260
; %bb.2254:
	s_cmp_gt_i32 s20, 14
	s_mov_b64 s[6:7], -1
	s_cbranch_scc0 .LBB135_2258
; %bb.2255:
	s_cmp_eq_u32 s20, 15
	s_mov_b64 s[0:1], -1
	s_cbranch_scc0 .LBB135_2257
; %bb.2256:
	v_cndmask_b32_e64 v2, 0, 1.0, s[10:11]
	v_bfe_u32 v3, v2, 16, 1
	s_movk_i32 s0, 0x7fff
	v_add3_u32 v2, v2, v3, s0
	global_store_short_d16_hi v[0:1], v2, off
	s_mov_b64 s[0:1], 0
.LBB135_2257:
	s_mov_b64 s[6:7], 0
.LBB135_2258:
	s_and_b64 vcc, exec, s[6:7]
	s_cbranch_vccz .LBB135_2260
; %bb.2259:
	s_cmp_lg_u32 s20, 11
	s_mov_b64 s[4:5], -1
	s_cselect_b64 s[0:1], -1, 0
.LBB135_2260:
	s_and_b64 vcc, exec, s[0:1]
	s_cbranch_vccnz .LBB135_2282
.LBB135_2261:
	s_mov_b64 s[0:1], 0
	s_branch .LBB135_1772
.LBB135_2262:
	s_mov_b64 s[0:1], 0
	s_branch .LBB135_1771
.LBB135_2263:
	s_mov_b64 s[4:5], 0
	s_mov_b64 s[0:1], -1
	s_branch .LBB135_1772
.LBB135_2264:
	s_trap 2
	s_or_b64 s[2:3], s[2:3], exec
	s_cbranch_execz .LBB135_1714
	s_branch .LBB135_1715
.LBB135_2265:
	s_andn2_saveexec_b64 s[20:21], s[20:21]
	s_cbranch_execz .LBB135_1855
.LBB135_2266:
	v_add_f32_e32 v1, 0x46000000, v3
	v_and_b32_e32 v1, 0xff, v1
	v_cmp_ne_u32_e32 vcc, 0, v1
	s_andn2_b64 s[18:19], s[18:19], exec
	s_and_b64 s[24:25], vcc, exec
	s_or_b64 s[18:19], s[18:19], s[24:25]
	s_or_b64 exec, exec, s[20:21]
	v_mov_b32_e32 v7, 0
	s_and_saveexec_b64 s[20:21], s[18:19]
	s_cbranch_execnz .LBB135_1856
	s_branch .LBB135_1857
.LBB135_2267:
	s_trap 2
	s_or_b64 s[2:3], s[2:3], exec
	s_cbranch_execz .LBB135_1903
	s_branch .LBB135_1904
.LBB135_2268:
	s_andn2_saveexec_b64 s[18:19], s[18:19]
	s_cbranch_execz .LBB135_1868
.LBB135_2269:
	v_add_f32_e32 v1, 0x42800000, v3
	v_and_b32_e32 v1, 0xff, v1
	v_cmp_ne_u32_e32 vcc, 0, v1
	s_andn2_b64 s[16:17], s[16:17], exec
	s_and_b64 s[20:21], vcc, exec
	s_or_b64 s[16:17], s[16:17], s[20:21]
	s_or_b64 exec, exec, s[18:19]
	v_mov_b32_e32 v7, 0
	s_and_saveexec_b64 s[18:19], s[16:17]
	s_cbranch_execnz .LBB135_1869
	s_branch .LBB135_1870
.LBB135_2270:
	s_andn2_saveexec_b64 s[18:19], s[18:19]
	s_cbranch_execz .LBB135_1976
.LBB135_2271:
	v_add_f32_e32 v1, 0x46000000, v5
	v_and_b32_e32 v1, 0xff, v1
	v_cmp_ne_u32_e32 vcc, 0, v1
	s_andn2_b64 s[16:17], s[16:17], exec
	s_and_b64 s[24:25], vcc, exec
	s_or_b64 s[16:17], s[16:17], s[24:25]
	s_or_b64 exec, exec, s[18:19]
	v_mov_b32_e32 v6, 0
	s_and_saveexec_b64 s[18:19], s[16:17]
	s_cbranch_execnz .LBB135_1977
	s_branch .LBB135_1978
.LBB135_2272:
	s_trap 2
	s_or_b64 s[2:3], s[2:3], exec
	s_cbranch_execz .LBB135_2024
	s_branch .LBB135_2025
.LBB135_2273:
	s_andn2_saveexec_b64 s[16:17], s[16:17]
	s_cbranch_execz .LBB135_1989
.LBB135_2274:
	v_add_f32_e32 v1, 0x42800000, v5
	v_and_b32_e32 v1, 0xff, v1
	v_cmp_ne_u32_e32 vcc, 0, v1
	s_andn2_b64 s[14:15], s[14:15], exec
	s_and_b64 s[18:19], vcc, exec
	s_or_b64 s[14:15], s[14:15], s[18:19]
	s_or_b64 exec, exec, s[16:17]
	v_mov_b32_e32 v6, 0
	s_and_saveexec_b64 s[16:17], s[14:15]
	s_cbranch_execnz .LBB135_1990
	s_branch .LBB135_1991
.LBB135_2275:
	s_andn2_saveexec_b64 s[16:17], s[16:17]
	s_cbranch_execz .LBB135_2095
.LBB135_2276:
	v_add_f32_e32 v3, 0x46000000, v4
	v_and_b32_e32 v3, 0xff, v3
	v_cmp_ne_u32_e32 vcc, 0, v3
	s_andn2_b64 s[14:15], s[14:15], exec
	s_and_b64 s[18:19], vcc, exec
	s_or_b64 s[14:15], s[14:15], s[18:19]
	s_or_b64 exec, exec, s[16:17]
	v_mov_b32_e32 v5, 0
	s_and_saveexec_b64 s[16:17], s[14:15]
	s_cbranch_execnz .LBB135_2096
	s_branch .LBB135_2097
.LBB135_2277:
	s_trap 2
	s_or_b64 s[2:3], s[2:3], exec
	s_cbranch_execz .LBB135_2143
	s_branch .LBB135_2144
.LBB135_2278:
	s_andn2_saveexec_b64 s[14:15], s[14:15]
	s_cbranch_execz .LBB135_2108
.LBB135_2279:
	v_add_f32_e32 v3, 0x42800000, v4
	v_and_b32_e32 v3, 0xff, v3
	v_cmp_ne_u32_e32 vcc, 0, v3
	s_andn2_b64 s[6:7], s[6:7], exec
	s_and_b64 s[16:17], vcc, exec
	s_or_b64 s[6:7], s[6:7], s[16:17]
	s_or_b64 exec, exec, s[14:15]
	v_mov_b32_e32 v5, 0
	s_and_saveexec_b64 s[14:15], s[6:7]
	s_cbranch_execnz .LBB135_2109
	s_branch .LBB135_2110
.LBB135_2280:
	s_andn2_saveexec_b64 s[12:13], s[12:13]
	s_cbranch_execz .LBB135_2215
.LBB135_2281:
	v_add_f32_e32 v2, 0x46000000, v3
	v_and_b32_e32 v2, 0xff, v2
	v_cmp_ne_u32_e32 vcc, 0, v2
	s_andn2_b64 s[8:9], s[8:9], exec
	s_and_b64 s[14:15], vcc, exec
	s_or_b64 s[8:9], s[8:9], s[14:15]
	s_or_b64 exec, exec, s[12:13]
	v_mov_b32_e32 v4, 0
	s_and_saveexec_b64 s[12:13], s[8:9]
	s_cbranch_execnz .LBB135_2216
	s_branch .LBB135_2217
.LBB135_2282:
	s_mov_b64 s[4:5], 0
	s_or_b64 s[2:3], s[2:3], exec
	s_trap 2
	s_branch .LBB135_2261
.LBB135_2283:
	s_andn2_saveexec_b64 s[8:9], s[8:9]
	s_cbranch_execz .LBB135_2227
.LBB135_2284:
	v_add_f32_e32 v2, 0x42800000, v3
	v_and_b32_e32 v2, 0xff, v2
	v_cmp_ne_u32_e32 vcc, 0, v2
	s_andn2_b64 s[6:7], s[6:7], exec
	s_and_b64 s[12:13], vcc, exec
	s_or_b64 s[6:7], s[6:7], s[12:13]
	s_or_b64 exec, exec, s[8:9]
	v_mov_b32_e32 v4, 0
	s_and_saveexec_b64 s[8:9], s[6:7]
	s_cbranch_execnz .LBB135_2228
	s_branch .LBB135_2229
	.section	.rodata,"a",@progbits
	.p2align	6, 0x0
	.amdhsa_kernel _ZN2at6native32elementwise_kernel_manual_unrollILi128ELi4EZNS0_15gpu_kernel_implIZNS0_21compare_scalar_kernelIN3c108BFloat16EEEvRNS_18TensorIteratorBaseENS0_12_GLOBAL__N_16OpTypeET_EUlS5_E_EEvS7_RKSA_EUlibE0_EEviT1_
		.amdhsa_group_segment_fixed_size 0
		.amdhsa_private_segment_fixed_size 0
		.amdhsa_kernarg_size 368
		.amdhsa_user_sgpr_count 6
		.amdhsa_user_sgpr_private_segment_buffer 1
		.amdhsa_user_sgpr_dispatch_ptr 0
		.amdhsa_user_sgpr_queue_ptr 0
		.amdhsa_user_sgpr_kernarg_segment_ptr 1
		.amdhsa_user_sgpr_dispatch_id 0
		.amdhsa_user_sgpr_flat_scratch_init 0
		.amdhsa_user_sgpr_private_segment_size 0
		.amdhsa_uses_dynamic_stack 0
		.amdhsa_system_sgpr_private_segment_wavefront_offset 0
		.amdhsa_system_sgpr_workgroup_id_x 1
		.amdhsa_system_sgpr_workgroup_id_y 0
		.amdhsa_system_sgpr_workgroup_id_z 0
		.amdhsa_system_sgpr_workgroup_info 0
		.amdhsa_system_vgpr_workitem_id 0
		.amdhsa_next_free_vgpr 18
		.amdhsa_next_free_sgpr 80
		.amdhsa_reserve_vcc 1
		.amdhsa_reserve_flat_scratch 0
		.amdhsa_float_round_mode_32 0
		.amdhsa_float_round_mode_16_64 0
		.amdhsa_float_denorm_mode_32 3
		.amdhsa_float_denorm_mode_16_64 3
		.amdhsa_dx10_clamp 1
		.amdhsa_ieee_mode 1
		.amdhsa_fp16_overflow 0
		.amdhsa_exception_fp_ieee_invalid_op 0
		.amdhsa_exception_fp_denorm_src 0
		.amdhsa_exception_fp_ieee_div_zero 0
		.amdhsa_exception_fp_ieee_overflow 0
		.amdhsa_exception_fp_ieee_underflow 0
		.amdhsa_exception_fp_ieee_inexact 0
		.amdhsa_exception_int_div_zero 0
	.end_amdhsa_kernel
	.section	.text._ZN2at6native32elementwise_kernel_manual_unrollILi128ELi4EZNS0_15gpu_kernel_implIZNS0_21compare_scalar_kernelIN3c108BFloat16EEEvRNS_18TensorIteratorBaseENS0_12_GLOBAL__N_16OpTypeET_EUlS5_E_EEvS7_RKSA_EUlibE0_EEviT1_,"axG",@progbits,_ZN2at6native32elementwise_kernel_manual_unrollILi128ELi4EZNS0_15gpu_kernel_implIZNS0_21compare_scalar_kernelIN3c108BFloat16EEEvRNS_18TensorIteratorBaseENS0_12_GLOBAL__N_16OpTypeET_EUlS5_E_EEvS7_RKSA_EUlibE0_EEviT1_,comdat
.Lfunc_end135:
	.size	_ZN2at6native32elementwise_kernel_manual_unrollILi128ELi4EZNS0_15gpu_kernel_implIZNS0_21compare_scalar_kernelIN3c108BFloat16EEEvRNS_18TensorIteratorBaseENS0_12_GLOBAL__N_16OpTypeET_EUlS5_E_EEvS7_RKSA_EUlibE0_EEviT1_, .Lfunc_end135-_ZN2at6native32elementwise_kernel_manual_unrollILi128ELi4EZNS0_15gpu_kernel_implIZNS0_21compare_scalar_kernelIN3c108BFloat16EEEvRNS_18TensorIteratorBaseENS0_12_GLOBAL__N_16OpTypeET_EUlS5_E_EEvS7_RKSA_EUlibE0_EEviT1_
                                        ; -- End function
	.set _ZN2at6native32elementwise_kernel_manual_unrollILi128ELi4EZNS0_15gpu_kernel_implIZNS0_21compare_scalar_kernelIN3c108BFloat16EEEvRNS_18TensorIteratorBaseENS0_12_GLOBAL__N_16OpTypeET_EUlS5_E_EEvS7_RKSA_EUlibE0_EEviT1_.num_vgpr, 18
	.set _ZN2at6native32elementwise_kernel_manual_unrollILi128ELi4EZNS0_15gpu_kernel_implIZNS0_21compare_scalar_kernelIN3c108BFloat16EEEvRNS_18TensorIteratorBaseENS0_12_GLOBAL__N_16OpTypeET_EUlS5_E_EEvS7_RKSA_EUlibE0_EEviT1_.num_agpr, 0
	.set _ZN2at6native32elementwise_kernel_manual_unrollILi128ELi4EZNS0_15gpu_kernel_implIZNS0_21compare_scalar_kernelIN3c108BFloat16EEEvRNS_18TensorIteratorBaseENS0_12_GLOBAL__N_16OpTypeET_EUlS5_E_EEvS7_RKSA_EUlibE0_EEviT1_.numbered_sgpr, 80
	.set _ZN2at6native32elementwise_kernel_manual_unrollILi128ELi4EZNS0_15gpu_kernel_implIZNS0_21compare_scalar_kernelIN3c108BFloat16EEEvRNS_18TensorIteratorBaseENS0_12_GLOBAL__N_16OpTypeET_EUlS5_E_EEvS7_RKSA_EUlibE0_EEviT1_.num_named_barrier, 0
	.set _ZN2at6native32elementwise_kernel_manual_unrollILi128ELi4EZNS0_15gpu_kernel_implIZNS0_21compare_scalar_kernelIN3c108BFloat16EEEvRNS_18TensorIteratorBaseENS0_12_GLOBAL__N_16OpTypeET_EUlS5_E_EEvS7_RKSA_EUlibE0_EEviT1_.private_seg_size, 0
	.set _ZN2at6native32elementwise_kernel_manual_unrollILi128ELi4EZNS0_15gpu_kernel_implIZNS0_21compare_scalar_kernelIN3c108BFloat16EEEvRNS_18TensorIteratorBaseENS0_12_GLOBAL__N_16OpTypeET_EUlS5_E_EEvS7_RKSA_EUlibE0_EEviT1_.uses_vcc, 1
	.set _ZN2at6native32elementwise_kernel_manual_unrollILi128ELi4EZNS0_15gpu_kernel_implIZNS0_21compare_scalar_kernelIN3c108BFloat16EEEvRNS_18TensorIteratorBaseENS0_12_GLOBAL__N_16OpTypeET_EUlS5_E_EEvS7_RKSA_EUlibE0_EEviT1_.uses_flat_scratch, 0
	.set _ZN2at6native32elementwise_kernel_manual_unrollILi128ELi4EZNS0_15gpu_kernel_implIZNS0_21compare_scalar_kernelIN3c108BFloat16EEEvRNS_18TensorIteratorBaseENS0_12_GLOBAL__N_16OpTypeET_EUlS5_E_EEvS7_RKSA_EUlibE0_EEviT1_.has_dyn_sized_stack, 0
	.set _ZN2at6native32elementwise_kernel_manual_unrollILi128ELi4EZNS0_15gpu_kernel_implIZNS0_21compare_scalar_kernelIN3c108BFloat16EEEvRNS_18TensorIteratorBaseENS0_12_GLOBAL__N_16OpTypeET_EUlS5_E_EEvS7_RKSA_EUlibE0_EEviT1_.has_recursion, 0
	.set _ZN2at6native32elementwise_kernel_manual_unrollILi128ELi4EZNS0_15gpu_kernel_implIZNS0_21compare_scalar_kernelIN3c108BFloat16EEEvRNS_18TensorIteratorBaseENS0_12_GLOBAL__N_16OpTypeET_EUlS5_E_EEvS7_RKSA_EUlibE0_EEviT1_.has_indirect_call, 0
	.section	.AMDGPU.csdata,"",@progbits
; Kernel info:
; codeLenInByte = 42516
; TotalNumSgprs: 84
; NumVgprs: 18
; ScratchSize: 0
; MemoryBound: 0
; FloatMode: 240
; IeeeMode: 1
; LDSByteSize: 0 bytes/workgroup (compile time only)
; SGPRBlocks: 10
; VGPRBlocks: 4
; NumSGPRsForWavesPerEU: 84
; NumVGPRsForWavesPerEU: 18
; Occupancy: 9
; WaveLimiterHint : 1
; COMPUTE_PGM_RSRC2:SCRATCH_EN: 0
; COMPUTE_PGM_RSRC2:USER_SGPR: 6
; COMPUTE_PGM_RSRC2:TRAP_HANDLER: 0
; COMPUTE_PGM_RSRC2:TGID_X_EN: 1
; COMPUTE_PGM_RSRC2:TGID_Y_EN: 0
; COMPUTE_PGM_RSRC2:TGID_Z_EN: 0
; COMPUTE_PGM_RSRC2:TIDIG_COMP_CNT: 0
	.section	.text._ZN2at6native29vectorized_elementwise_kernelILi16ENS0_12_GLOBAL__N_114CompareFunctorIN3c108BFloat16EEESt5arrayIPcLm3EEEEviT0_T1_,"axG",@progbits,_ZN2at6native29vectorized_elementwise_kernelILi16ENS0_12_GLOBAL__N_114CompareFunctorIN3c108BFloat16EEESt5arrayIPcLm3EEEEviT0_T1_,comdat
	.globl	_ZN2at6native29vectorized_elementwise_kernelILi16ENS0_12_GLOBAL__N_114CompareFunctorIN3c108BFloat16EEESt5arrayIPcLm3EEEEviT0_T1_ ; -- Begin function _ZN2at6native29vectorized_elementwise_kernelILi16ENS0_12_GLOBAL__N_114CompareFunctorIN3c108BFloat16EEESt5arrayIPcLm3EEEEviT0_T1_
	.p2align	8
	.type	_ZN2at6native29vectorized_elementwise_kernelILi16ENS0_12_GLOBAL__N_114CompareFunctorIN3c108BFloat16EEESt5arrayIPcLm3EEEEviT0_T1_,@function
_ZN2at6native29vectorized_elementwise_kernelILi16ENS0_12_GLOBAL__N_114CompareFunctorIN3c108BFloat16EEESt5arrayIPcLm3EEEEviT0_T1_: ; @_ZN2at6native29vectorized_elementwise_kernelILi16ENS0_12_GLOBAL__N_114CompareFunctorIN3c108BFloat16EEESt5arrayIPcLm3EEEEviT0_T1_
; %bb.0:
	s_load_dwordx2 s[12:13], s[4:5], 0x0
	s_load_dwordx4 s[8:11], s[4:5], 0x8
	s_load_dwordx2 s[14:15], s[4:5], 0x18
	s_lshl_b32 s2, s6, 12
	s_mov_b64 s[0:1], -1
	s_waitcnt lgkmcnt(0)
	s_sub_i32 s12, s12, s2
	s_cmpk_gt_i32 s12, 0xfff
	s_cbranch_scc0 .LBB136_211
; %bb.1:
	s_ashr_i32 s3, s2, 31
	s_lshl_b64 s[0:1], s[2:3], 1
	s_add_u32 s4, s10, s0
	s_addc_u32 s5, s11, s1
	v_lshlrev_b32_e32 v17, 5, v0
	global_load_dwordx4 v[9:12], v17, s[4:5]
	s_add_u32 s0, s14, s0
	s_addc_u32 s1, s15, s1
	global_load_dwordx4 v[13:16], v17, s[0:1]
	global_load_dwordx4 v[1:4], v17, s[4:5] offset:16
	global_load_dwordx4 v[5:8], v17, s[0:1] offset:16
	s_cmp_lt_i32 s13, 1
	s_mov_b64 s[4:5], 0
	s_waitcnt vmcnt(3)
	v_lshlrev_b32_e32 v17, 16, v9
	s_waitcnt vmcnt(2)
	v_lshlrev_b32_e32 v18, 16, v13
	s_cbranch_scc1 .LBB136_5
; %bb.2:
	s_cmp_gt_i32 s13, 1
	s_cbranch_scc0 .LBB136_6
; %bb.3:
	s_cmp_eq_u32 s13, 2
	s_cbranch_scc0 .LBB136_7
; %bb.4:
	v_cmp_le_f32_e64 s[0:1], v17, v18
	s_mov_b64 s[6:7], 0
	s_branch .LBB136_8
.LBB136_5:
                                        ; implicit-def: $sgpr0_sgpr1
	s_mov_b64 s[6:7], 0
	s_cbranch_execnz .LBB136_11
	s_branch .LBB136_12
.LBB136_6:
	s_mov_b64 s[6:7], 0
                                        ; implicit-def: $sgpr0_sgpr1
	s_cbranch_execnz .LBB136_9
	s_branch .LBB136_10
.LBB136_7:
	s_mov_b64 s[6:7], -1
                                        ; implicit-def: $sgpr0_sgpr1
.LBB136_8:
	s_branch .LBB136_10
.LBB136_9:
	v_cmp_gt_f32_e32 vcc, v17, v18
	s_andn2_b64 s[0:1], s[0:1], exec
	s_and_b64 s[16:17], vcc, exec
	s_or_b64 s[0:1], s[0:1], s[16:17]
.LBB136_10:
	s_branch .LBB136_12
.LBB136_11:
	s_cmp_lg_u32 s13, 0
	s_mov_b64 s[4:5], -1
	s_cselect_b64 s[6:7], -1, 0
.LBB136_12:
	s_andn2_b64 vcc, exec, s[6:7]
	s_cbranch_vccz .LBB136_19
; %bb.13:
	s_andn2_b64 vcc, exec, s[4:5]
	s_cbranch_vccnz .LBB136_15
.LBB136_14:
	v_cmp_ge_f32_e32 vcc, v17, v18
	s_andn2_b64 s[0:1], s[0:1], exec
	s_and_b64 s[4:5], vcc, exec
	s_or_b64 s[0:1], s[0:1], s[4:5]
.LBB136_15:
	v_and_b32_e32 v9, 0xffff0000, v9
	v_and_b32_e32 v13, 0xffff0000, v13
	s_cmp_lt_i32 s13, 1
	s_mov_b64 s[6:7], 0
	s_cbranch_scc1 .LBB136_20
; %bb.16:
	s_cmp_gt_i32 s13, 1
	s_cbranch_scc0 .LBB136_21
; %bb.17:
	s_cmp_eq_u32 s13, 2
	s_cbranch_scc0 .LBB136_251
; %bb.18:
	v_cmp_le_f32_e64 s[4:5], v9, v13
	s_mov_b64 s[16:17], 0
	s_branch .LBB136_23
.LBB136_19:
	v_cmp_lt_f32_e32 vcc, v17, v18
	s_andn2_b64 s[0:1], s[0:1], exec
	s_and_b64 s[6:7], vcc, exec
	s_or_b64 s[0:1], s[0:1], s[6:7]
	s_cbranch_execz .LBB136_14
	s_branch .LBB136_15
.LBB136_20:
                                        ; implicit-def: $sgpr4_sgpr5
	s_mov_b64 s[16:17], 0
	s_cbranch_execnz .LBB136_24
	s_branch .LBB136_25
.LBB136_21:
	s_mov_b64 s[16:17], 0
                                        ; implicit-def: $sgpr4_sgpr5
	s_cbranch_execz .LBB136_23
; %bb.22:
	v_cmp_gt_f32_e32 vcc, v9, v13
	s_andn2_b64 s[4:5], s[4:5], exec
	s_and_b64 s[18:19], vcc, exec
	s_or_b64 s[4:5], s[4:5], s[18:19]
.LBB136_23:
	s_branch .LBB136_25
.LBB136_24:
	s_cmp_lg_u32 s13, 0
	s_mov_b64 s[6:7], -1
	s_cselect_b64 s[16:17], -1, 0
.LBB136_25:
	s_andn2_b64 vcc, exec, s[16:17]
	s_cbranch_vccz .LBB136_32
; %bb.26:
	s_andn2_b64 vcc, exec, s[6:7]
	s_cbranch_vccnz .LBB136_28
.LBB136_27:
	v_cmp_ge_f32_e32 vcc, v9, v13
	s_andn2_b64 s[4:5], s[4:5], exec
	s_and_b64 s[6:7], vcc, exec
	s_or_b64 s[4:5], s[4:5], s[6:7]
.LBB136_28:
	v_lshlrev_b32_e32 v9, 16, v10
	v_lshlrev_b32_e32 v13, 16, v14
	s_cmp_lt_i32 s13, 1
	s_mov_b64 s[16:17], 0
	s_cbranch_scc1 .LBB136_33
; %bb.29:
	s_cmp_gt_i32 s13, 1
	s_cbranch_scc0 .LBB136_34
; %bb.30:
	s_cmp_eq_u32 s13, 2
	s_cbranch_scc0 .LBB136_252
; %bb.31:
	v_cmp_le_f32_e64 s[6:7], v9, v13
	s_mov_b64 s[18:19], 0
	s_branch .LBB136_36
.LBB136_32:
	v_cmp_lt_f32_e32 vcc, v9, v13
	s_andn2_b64 s[4:5], s[4:5], exec
	s_and_b64 s[16:17], vcc, exec
	s_or_b64 s[4:5], s[4:5], s[16:17]
	s_cbranch_execz .LBB136_27
	s_branch .LBB136_28
.LBB136_33:
                                        ; implicit-def: $sgpr6_sgpr7
	s_mov_b64 s[18:19], 0
	s_cbranch_execnz .LBB136_37
	s_branch .LBB136_38
.LBB136_34:
	s_mov_b64 s[18:19], 0
                                        ; implicit-def: $sgpr6_sgpr7
	s_cbranch_execz .LBB136_36
; %bb.35:
	v_cmp_gt_f32_e32 vcc, v9, v13
	s_andn2_b64 s[6:7], s[6:7], exec
	s_and_b64 s[20:21], vcc, exec
	s_or_b64 s[6:7], s[6:7], s[20:21]
.LBB136_36:
	s_branch .LBB136_38
.LBB136_37:
	s_cmp_lg_u32 s13, 0
	s_mov_b64 s[16:17], -1
	s_cselect_b64 s[18:19], -1, 0
.LBB136_38:
	s_andn2_b64 vcc, exec, s[18:19]
	s_cbranch_vccz .LBB136_45
; %bb.39:
	s_andn2_b64 vcc, exec, s[16:17]
	s_cbranch_vccnz .LBB136_41
.LBB136_40:
	v_cmp_ge_f32_e32 vcc, v9, v13
	s_andn2_b64 s[6:7], s[6:7], exec
	s_and_b64 s[16:17], vcc, exec
	s_or_b64 s[6:7], s[6:7], s[16:17]
.LBB136_41:
	v_and_b32_e32 v9, 0xffff0000, v10
	v_and_b32_e32 v10, 0xffff0000, v14
	s_cmp_lt_i32 s13, 1
	s_mov_b64 s[18:19], 0
	s_cbranch_scc1 .LBB136_46
; %bb.42:
	s_cmp_gt_i32 s13, 1
	s_cbranch_scc0 .LBB136_47
; %bb.43:
	s_cmp_eq_u32 s13, 2
	s_cbranch_scc0 .LBB136_253
; %bb.44:
	v_cmp_le_f32_e64 s[16:17], v9, v10
	s_mov_b64 s[20:21], 0
	s_branch .LBB136_49
.LBB136_45:
	v_cmp_lt_f32_e32 vcc, v9, v13
	s_andn2_b64 s[6:7], s[6:7], exec
	s_and_b64 s[18:19], vcc, exec
	s_or_b64 s[6:7], s[6:7], s[18:19]
	s_cbranch_execz .LBB136_40
	s_branch .LBB136_41
.LBB136_46:
                                        ; implicit-def: $sgpr16_sgpr17
	s_mov_b64 s[20:21], 0
	s_cbranch_execnz .LBB136_50
	s_branch .LBB136_51
.LBB136_47:
	s_mov_b64 s[20:21], 0
                                        ; implicit-def: $sgpr16_sgpr17
	s_cbranch_execz .LBB136_49
; %bb.48:
	v_cmp_gt_f32_e32 vcc, v9, v10
	s_andn2_b64 s[16:17], s[16:17], exec
	s_and_b64 s[22:23], vcc, exec
	s_or_b64 s[16:17], s[16:17], s[22:23]
.LBB136_49:
	s_branch .LBB136_51
.LBB136_50:
	s_cmp_lg_u32 s13, 0
	s_mov_b64 s[18:19], -1
	s_cselect_b64 s[20:21], -1, 0
.LBB136_51:
	s_andn2_b64 vcc, exec, s[20:21]
	s_cbranch_vccz .LBB136_58
; %bb.52:
	s_andn2_b64 vcc, exec, s[18:19]
	s_cbranch_vccnz .LBB136_54
.LBB136_53:
	v_cmp_ge_f32_e32 vcc, v9, v10
	s_andn2_b64 s[16:17], s[16:17], exec
	s_and_b64 s[18:19], vcc, exec
	s_or_b64 s[16:17], s[16:17], s[18:19]
.LBB136_54:
	v_lshlrev_b32_e32 v9, 16, v11
	v_lshlrev_b32_e32 v10, 16, v15
	s_cmp_lt_i32 s13, 1
	s_mov_b64 s[20:21], 0
	s_cbranch_scc1 .LBB136_59
; %bb.55:
	s_cmp_gt_i32 s13, 1
	s_cbranch_scc0 .LBB136_60
; %bb.56:
	s_cmp_eq_u32 s13, 2
	s_cbranch_scc0 .LBB136_254
; %bb.57:
	v_cmp_le_f32_e64 s[18:19], v9, v10
	s_mov_b64 s[22:23], 0
	s_branch .LBB136_62
.LBB136_58:
	v_cmp_lt_f32_e32 vcc, v9, v10
	s_andn2_b64 s[16:17], s[16:17], exec
	s_and_b64 s[20:21], vcc, exec
	s_or_b64 s[16:17], s[16:17], s[20:21]
	s_cbranch_execz .LBB136_53
	s_branch .LBB136_54
.LBB136_59:
                                        ; implicit-def: $sgpr18_sgpr19
	s_mov_b64 s[22:23], 0
	s_cbranch_execnz .LBB136_63
	s_branch .LBB136_64
.LBB136_60:
	s_mov_b64 s[22:23], 0
                                        ; implicit-def: $sgpr18_sgpr19
	s_cbranch_execz .LBB136_62
; %bb.61:
	v_cmp_gt_f32_e32 vcc, v9, v10
	s_andn2_b64 s[18:19], s[18:19], exec
	s_and_b64 s[24:25], vcc, exec
	s_or_b64 s[18:19], s[18:19], s[24:25]
.LBB136_62:
	s_branch .LBB136_64
.LBB136_63:
	s_cmp_lg_u32 s13, 0
	s_mov_b64 s[20:21], -1
	s_cselect_b64 s[22:23], -1, 0
.LBB136_64:
	s_andn2_b64 vcc, exec, s[22:23]
	s_cbranch_vccz .LBB136_71
; %bb.65:
	s_andn2_b64 vcc, exec, s[20:21]
	s_cbranch_vccnz .LBB136_67
.LBB136_66:
	v_cmp_ge_f32_e32 vcc, v9, v10
	s_andn2_b64 s[18:19], s[18:19], exec
	s_and_b64 s[20:21], vcc, exec
	s_or_b64 s[18:19], s[18:19], s[20:21]
.LBB136_67:
	v_and_b32_e32 v9, 0xffff0000, v11
	v_and_b32_e32 v10, 0xffff0000, v15
	s_cmp_lt_i32 s13, 1
	s_mov_b64 s[22:23], 0
	s_cbranch_scc1 .LBB136_72
; %bb.68:
	s_cmp_gt_i32 s13, 1
	s_cbranch_scc0 .LBB136_73
; %bb.69:
	s_cmp_eq_u32 s13, 2
	s_cbranch_scc0 .LBB136_255
; %bb.70:
	v_cmp_le_f32_e64 s[20:21], v9, v10
	s_mov_b64 s[24:25], 0
	s_branch .LBB136_75
.LBB136_71:
	v_cmp_lt_f32_e32 vcc, v9, v10
	s_andn2_b64 s[18:19], s[18:19], exec
	s_and_b64 s[22:23], vcc, exec
	s_or_b64 s[18:19], s[18:19], s[22:23]
	s_cbranch_execz .LBB136_66
	s_branch .LBB136_67
.LBB136_72:
                                        ; implicit-def: $sgpr20_sgpr21
	s_mov_b64 s[24:25], 0
	s_cbranch_execnz .LBB136_76
	s_branch .LBB136_77
.LBB136_73:
	s_mov_b64 s[24:25], 0
                                        ; implicit-def: $sgpr20_sgpr21
	s_cbranch_execz .LBB136_75
; %bb.74:
	v_cmp_gt_f32_e32 vcc, v9, v10
	s_andn2_b64 s[20:21], s[20:21], exec
	s_and_b64 s[26:27], vcc, exec
	s_or_b64 s[20:21], s[20:21], s[26:27]
.LBB136_75:
	s_branch .LBB136_77
.LBB136_76:
	s_cmp_lg_u32 s13, 0
	s_mov_b64 s[22:23], -1
	s_cselect_b64 s[24:25], -1, 0
.LBB136_77:
	s_andn2_b64 vcc, exec, s[24:25]
	s_cbranch_vccz .LBB136_84
; %bb.78:
	s_andn2_b64 vcc, exec, s[22:23]
	s_cbranch_vccnz .LBB136_80
.LBB136_79:
	v_cmp_ge_f32_e32 vcc, v9, v10
	s_andn2_b64 s[20:21], s[20:21], exec
	s_and_b64 s[22:23], vcc, exec
	s_or_b64 s[20:21], s[20:21], s[22:23]
.LBB136_80:
	v_lshlrev_b32_e32 v9, 16, v12
	v_lshlrev_b32_e32 v10, 16, v16
	s_cmp_lt_i32 s13, 1
	s_mov_b64 s[24:25], 0
	s_cbranch_scc1 .LBB136_85
; %bb.81:
	s_cmp_gt_i32 s13, 1
	s_cbranch_scc0 .LBB136_86
; %bb.82:
	s_cmp_eq_u32 s13, 2
	s_cbranch_scc0 .LBB136_256
; %bb.83:
	v_cmp_le_f32_e64 s[22:23], v9, v10
	s_mov_b64 s[26:27], 0
	s_branch .LBB136_88
.LBB136_84:
	v_cmp_lt_f32_e32 vcc, v9, v10
	s_andn2_b64 s[20:21], s[20:21], exec
	s_and_b64 s[24:25], vcc, exec
	s_or_b64 s[20:21], s[20:21], s[24:25]
	s_cbranch_execz .LBB136_79
	s_branch .LBB136_80
.LBB136_85:
                                        ; implicit-def: $sgpr22_sgpr23
	s_mov_b64 s[26:27], 0
	s_cbranch_execnz .LBB136_89
	s_branch .LBB136_90
.LBB136_86:
	s_mov_b64 s[26:27], 0
                                        ; implicit-def: $sgpr22_sgpr23
	s_cbranch_execz .LBB136_88
; %bb.87:
	v_cmp_gt_f32_e32 vcc, v9, v10
	s_andn2_b64 s[22:23], s[22:23], exec
	s_and_b64 s[28:29], vcc, exec
	s_or_b64 s[22:23], s[22:23], s[28:29]
.LBB136_88:
	s_branch .LBB136_90
.LBB136_89:
	s_cmp_lg_u32 s13, 0
	s_mov_b64 s[24:25], -1
	s_cselect_b64 s[26:27], -1, 0
.LBB136_90:
	s_andn2_b64 vcc, exec, s[26:27]
	s_cbranch_vccz .LBB136_97
; %bb.91:
	s_andn2_b64 vcc, exec, s[24:25]
	s_cbranch_vccnz .LBB136_93
.LBB136_92:
	v_cmp_ge_f32_e32 vcc, v9, v10
	s_andn2_b64 s[22:23], s[22:23], exec
	s_and_b64 s[24:25], vcc, exec
	s_or_b64 s[22:23], s[22:23], s[24:25]
.LBB136_93:
	v_and_b32_e32 v9, 0xffff0000, v12
	v_and_b32_e32 v10, 0xffff0000, v16
	s_cmp_lt_i32 s13, 1
	s_mov_b64 s[26:27], 0
	s_cbranch_scc1 .LBB136_98
; %bb.94:
	s_cmp_gt_i32 s13, 1
	s_cbranch_scc0 .LBB136_99
; %bb.95:
	s_cmp_eq_u32 s13, 2
	s_cbranch_scc0 .LBB136_257
; %bb.96:
	v_cmp_le_f32_e64 s[24:25], v9, v10
	s_mov_b64 s[28:29], 0
	s_branch .LBB136_101
.LBB136_97:
	v_cmp_lt_f32_e32 vcc, v9, v10
	s_andn2_b64 s[22:23], s[22:23], exec
	s_and_b64 s[26:27], vcc, exec
	s_or_b64 s[22:23], s[22:23], s[26:27]
	s_cbranch_execz .LBB136_92
	s_branch .LBB136_93
.LBB136_98:
                                        ; implicit-def: $sgpr24_sgpr25
	s_mov_b64 s[28:29], 0
	s_cbranch_execnz .LBB136_102
	s_branch .LBB136_103
.LBB136_99:
	s_mov_b64 s[28:29], 0
                                        ; implicit-def: $sgpr24_sgpr25
	s_cbranch_execz .LBB136_101
; %bb.100:
	v_cmp_gt_f32_e32 vcc, v9, v10
	s_andn2_b64 s[24:25], s[24:25], exec
	s_and_b64 s[30:31], vcc, exec
	s_or_b64 s[24:25], s[24:25], s[30:31]
.LBB136_101:
	s_branch .LBB136_103
.LBB136_102:
	s_cmp_lg_u32 s13, 0
	s_mov_b64 s[26:27], -1
	s_cselect_b64 s[28:29], -1, 0
.LBB136_103:
	s_andn2_b64 vcc, exec, s[28:29]
	s_cbranch_vccz .LBB136_110
; %bb.104:
	s_andn2_b64 vcc, exec, s[26:27]
	s_cbranch_vccnz .LBB136_106
.LBB136_105:
	v_cmp_ge_f32_e32 vcc, v9, v10
	s_andn2_b64 s[24:25], s[24:25], exec
	s_and_b64 s[26:27], vcc, exec
	s_or_b64 s[24:25], s[24:25], s[26:27]
.LBB136_106:
	s_waitcnt vmcnt(1)
	v_lshlrev_b32_e32 v9, 16, v1
	s_waitcnt vmcnt(0)
	v_lshlrev_b32_e32 v10, 16, v5
	s_cmp_lt_i32 s13, 1
	s_mov_b64 s[28:29], 0
	s_cbranch_scc1 .LBB136_111
; %bb.107:
	s_cmp_gt_i32 s13, 1
	s_cbranch_scc0 .LBB136_112
; %bb.108:
	s_cmp_eq_u32 s13, 2
	s_cbranch_scc0 .LBB136_258
; %bb.109:
	v_cmp_le_f32_e64 s[26:27], v9, v10
	s_mov_b64 s[30:31], 0
	s_branch .LBB136_114
.LBB136_110:
	v_cmp_lt_f32_e32 vcc, v9, v10
	s_andn2_b64 s[24:25], s[24:25], exec
	s_and_b64 s[28:29], vcc, exec
	s_or_b64 s[24:25], s[24:25], s[28:29]
	s_cbranch_execz .LBB136_105
	s_branch .LBB136_106
.LBB136_111:
                                        ; implicit-def: $sgpr26_sgpr27
	s_mov_b64 s[30:31], 0
	s_cbranch_execnz .LBB136_115
	s_branch .LBB136_116
.LBB136_112:
	s_mov_b64 s[30:31], 0
                                        ; implicit-def: $sgpr26_sgpr27
	s_cbranch_execz .LBB136_114
; %bb.113:
	v_cmp_gt_f32_e32 vcc, v9, v10
	s_andn2_b64 s[26:27], s[26:27], exec
	s_and_b64 s[34:35], vcc, exec
	s_or_b64 s[26:27], s[26:27], s[34:35]
.LBB136_114:
	s_branch .LBB136_116
.LBB136_115:
	s_cmp_lg_u32 s13, 0
	s_mov_b64 s[28:29], -1
	s_cselect_b64 s[30:31], -1, 0
.LBB136_116:
	s_andn2_b64 vcc, exec, s[30:31]
	s_cbranch_vccz .LBB136_123
; %bb.117:
	s_andn2_b64 vcc, exec, s[28:29]
	s_cbranch_vccnz .LBB136_119
.LBB136_118:
	v_cmp_ge_f32_e32 vcc, v9, v10
	s_andn2_b64 s[26:27], s[26:27], exec
	s_and_b64 s[28:29], vcc, exec
	s_or_b64 s[26:27], s[26:27], s[28:29]
.LBB136_119:
	v_and_b32_e32 v1, 0xffff0000, v1
	v_and_b32_e32 v5, 0xffff0000, v5
	s_cmp_lt_i32 s13, 1
	s_mov_b64 s[30:31], 0
	s_cbranch_scc1 .LBB136_124
; %bb.120:
	s_cmp_gt_i32 s13, 1
	s_cbranch_scc0 .LBB136_125
; %bb.121:
	s_cmp_eq_u32 s13, 2
	s_cbranch_scc0 .LBB136_259
; %bb.122:
	v_cmp_le_f32_e64 s[28:29], v1, v5
	s_mov_b64 s[34:35], 0
	s_branch .LBB136_127
.LBB136_123:
	v_cmp_lt_f32_e32 vcc, v9, v10
	s_andn2_b64 s[26:27], s[26:27], exec
	s_and_b64 s[30:31], vcc, exec
	s_or_b64 s[26:27], s[26:27], s[30:31]
	s_cbranch_execz .LBB136_118
	s_branch .LBB136_119
.LBB136_124:
                                        ; implicit-def: $sgpr28_sgpr29
	s_mov_b64 s[34:35], 0
	s_cbranch_execnz .LBB136_128
	s_branch .LBB136_129
.LBB136_125:
	s_mov_b64 s[34:35], 0
                                        ; implicit-def: $sgpr28_sgpr29
	s_cbranch_execz .LBB136_127
; %bb.126:
	v_cmp_gt_f32_e32 vcc, v1, v5
	s_andn2_b64 s[28:29], s[28:29], exec
	s_and_b64 s[36:37], vcc, exec
	s_or_b64 s[28:29], s[28:29], s[36:37]
.LBB136_127:
	s_branch .LBB136_129
.LBB136_128:
	s_cmp_lg_u32 s13, 0
	s_mov_b64 s[30:31], -1
	s_cselect_b64 s[34:35], -1, 0
.LBB136_129:
	s_andn2_b64 vcc, exec, s[34:35]
	s_cbranch_vccz .LBB136_136
; %bb.130:
	s_andn2_b64 vcc, exec, s[30:31]
	s_cbranch_vccnz .LBB136_132
.LBB136_131:
	v_cmp_ge_f32_e32 vcc, v1, v5
	s_andn2_b64 s[28:29], s[28:29], exec
	s_and_b64 s[30:31], vcc, exec
	s_or_b64 s[28:29], s[28:29], s[30:31]
.LBB136_132:
	v_lshlrev_b32_e32 v1, 16, v2
	v_lshlrev_b32_e32 v5, 16, v6
	s_cmp_lt_i32 s13, 1
	s_mov_b64 s[34:35], 0
	s_cbranch_scc1 .LBB136_137
; %bb.133:
	s_cmp_gt_i32 s13, 1
	s_cbranch_scc0 .LBB136_138
; %bb.134:
	s_cmp_eq_u32 s13, 2
	s_cbranch_scc0 .LBB136_260
; %bb.135:
	v_cmp_le_f32_e64 s[30:31], v1, v5
	s_mov_b64 s[36:37], 0
	s_branch .LBB136_140
.LBB136_136:
	v_cmp_lt_f32_e32 vcc, v1, v5
	s_andn2_b64 s[28:29], s[28:29], exec
	s_and_b64 s[34:35], vcc, exec
	s_or_b64 s[28:29], s[28:29], s[34:35]
	s_cbranch_execz .LBB136_131
	s_branch .LBB136_132
.LBB136_137:
                                        ; implicit-def: $sgpr30_sgpr31
	s_mov_b64 s[36:37], 0
	s_cbranch_execnz .LBB136_141
	s_branch .LBB136_142
.LBB136_138:
	s_mov_b64 s[36:37], 0
                                        ; implicit-def: $sgpr30_sgpr31
	s_cbranch_execz .LBB136_140
; %bb.139:
	v_cmp_gt_f32_e32 vcc, v1, v5
	s_andn2_b64 s[30:31], s[30:31], exec
	s_and_b64 s[38:39], vcc, exec
	s_or_b64 s[30:31], s[30:31], s[38:39]
.LBB136_140:
	s_branch .LBB136_142
.LBB136_141:
	s_cmp_lg_u32 s13, 0
	s_mov_b64 s[34:35], -1
	s_cselect_b64 s[36:37], -1, 0
.LBB136_142:
	s_andn2_b64 vcc, exec, s[36:37]
	s_cbranch_vccz .LBB136_149
; %bb.143:
	s_andn2_b64 vcc, exec, s[34:35]
	s_cbranch_vccnz .LBB136_145
.LBB136_144:
	v_cmp_ge_f32_e32 vcc, v1, v5
	s_andn2_b64 s[30:31], s[30:31], exec
	s_and_b64 s[34:35], vcc, exec
	s_or_b64 s[30:31], s[30:31], s[34:35]
.LBB136_145:
	v_and_b32_e32 v1, 0xffff0000, v2
	v_and_b32_e32 v2, 0xffff0000, v6
	s_cmp_lt_i32 s13, 1
	s_mov_b64 s[36:37], 0
	s_cbranch_scc1 .LBB136_150
; %bb.146:
	s_cmp_gt_i32 s13, 1
	s_cbranch_scc0 .LBB136_151
; %bb.147:
	s_cmp_eq_u32 s13, 2
	s_cbranch_scc0 .LBB136_261
; %bb.148:
	v_cmp_le_f32_e64 s[34:35], v1, v2
	s_mov_b64 s[38:39], 0
	s_branch .LBB136_153
.LBB136_149:
	v_cmp_lt_f32_e32 vcc, v1, v5
	s_andn2_b64 s[30:31], s[30:31], exec
	s_and_b64 s[36:37], vcc, exec
	s_or_b64 s[30:31], s[30:31], s[36:37]
	s_cbranch_execz .LBB136_144
	s_branch .LBB136_145
.LBB136_150:
                                        ; implicit-def: $sgpr34_sgpr35
	s_mov_b64 s[38:39], 0
	s_cbranch_execnz .LBB136_154
	s_branch .LBB136_155
.LBB136_151:
	s_mov_b64 s[38:39], 0
                                        ; implicit-def: $sgpr34_sgpr35
	s_cbranch_execz .LBB136_153
; %bb.152:
	v_cmp_gt_f32_e32 vcc, v1, v2
	s_andn2_b64 s[34:35], s[34:35], exec
	s_and_b64 s[40:41], vcc, exec
	s_or_b64 s[34:35], s[34:35], s[40:41]
.LBB136_153:
	s_branch .LBB136_155
.LBB136_154:
	s_cmp_lg_u32 s13, 0
	s_mov_b64 s[36:37], -1
	s_cselect_b64 s[38:39], -1, 0
.LBB136_155:
	s_andn2_b64 vcc, exec, s[38:39]
	s_cbranch_vccz .LBB136_162
; %bb.156:
	s_andn2_b64 vcc, exec, s[36:37]
	s_cbranch_vccnz .LBB136_158
.LBB136_157:
	v_cmp_ge_f32_e32 vcc, v1, v2
	s_andn2_b64 s[34:35], s[34:35], exec
	s_and_b64 s[36:37], vcc, exec
	s_or_b64 s[34:35], s[34:35], s[36:37]
.LBB136_158:
	v_lshlrev_b32_e32 v1, 16, v3
	v_lshlrev_b32_e32 v2, 16, v7
	s_cmp_lt_i32 s13, 1
	s_mov_b64 s[38:39], 0
	s_cbranch_scc1 .LBB136_163
; %bb.159:
	s_cmp_gt_i32 s13, 1
	s_cbranch_scc0 .LBB136_164
; %bb.160:
	s_cmp_eq_u32 s13, 2
	s_cbranch_scc0 .LBB136_262
; %bb.161:
	v_cmp_le_f32_e64 s[36:37], v1, v2
	s_mov_b64 s[40:41], 0
	s_branch .LBB136_166
.LBB136_162:
	v_cmp_lt_f32_e32 vcc, v1, v2
	s_andn2_b64 s[34:35], s[34:35], exec
	s_and_b64 s[38:39], vcc, exec
	s_or_b64 s[34:35], s[34:35], s[38:39]
	s_cbranch_execz .LBB136_157
	s_branch .LBB136_158
.LBB136_163:
                                        ; implicit-def: $sgpr36_sgpr37
	s_mov_b64 s[40:41], 0
	s_cbranch_execnz .LBB136_167
	s_branch .LBB136_168
.LBB136_164:
	s_mov_b64 s[40:41], 0
                                        ; implicit-def: $sgpr36_sgpr37
	s_cbranch_execz .LBB136_166
; %bb.165:
	v_cmp_gt_f32_e32 vcc, v1, v2
	s_andn2_b64 s[36:37], s[36:37], exec
	s_and_b64 s[42:43], vcc, exec
	s_or_b64 s[36:37], s[36:37], s[42:43]
.LBB136_166:
	s_branch .LBB136_168
.LBB136_167:
	s_cmp_lg_u32 s13, 0
	s_mov_b64 s[38:39], -1
	s_cselect_b64 s[40:41], -1, 0
.LBB136_168:
	s_andn2_b64 vcc, exec, s[40:41]
	s_cbranch_vccz .LBB136_175
; %bb.169:
	s_andn2_b64 vcc, exec, s[38:39]
	s_cbranch_vccnz .LBB136_171
.LBB136_170:
	v_cmp_ge_f32_e32 vcc, v1, v2
	s_andn2_b64 s[36:37], s[36:37], exec
	s_and_b64 s[38:39], vcc, exec
	s_or_b64 s[36:37], s[36:37], s[38:39]
.LBB136_171:
	v_and_b32_e32 v1, 0xffff0000, v3
	v_and_b32_e32 v2, 0xffff0000, v7
	s_cmp_lt_i32 s13, 1
	s_mov_b64 s[40:41], 0
	s_cbranch_scc1 .LBB136_176
; %bb.172:
	s_cmp_gt_i32 s13, 1
	s_cbranch_scc0 .LBB136_177
; %bb.173:
	s_cmp_eq_u32 s13, 2
	s_cbranch_scc0 .LBB136_263
; %bb.174:
	v_cmp_le_f32_e64 s[38:39], v1, v2
	s_mov_b64 s[42:43], 0
	s_branch .LBB136_179
.LBB136_175:
	v_cmp_lt_f32_e32 vcc, v1, v2
	s_andn2_b64 s[36:37], s[36:37], exec
	s_and_b64 s[40:41], vcc, exec
	s_or_b64 s[36:37], s[36:37], s[40:41]
	s_cbranch_execz .LBB136_170
	s_branch .LBB136_171
.LBB136_176:
                                        ; implicit-def: $sgpr38_sgpr39
	s_mov_b64 s[42:43], 0
	s_cbranch_execnz .LBB136_180
	s_branch .LBB136_181
.LBB136_177:
	s_mov_b64 s[42:43], 0
                                        ; implicit-def: $sgpr38_sgpr39
	s_cbranch_execz .LBB136_179
; %bb.178:
	v_cmp_gt_f32_e32 vcc, v1, v2
	s_andn2_b64 s[38:39], s[38:39], exec
	s_and_b64 s[44:45], vcc, exec
	s_or_b64 s[38:39], s[38:39], s[44:45]
.LBB136_179:
	s_branch .LBB136_181
.LBB136_180:
	s_cmp_lg_u32 s13, 0
	s_mov_b64 s[40:41], -1
	s_cselect_b64 s[42:43], -1, 0
.LBB136_181:
	s_andn2_b64 vcc, exec, s[42:43]
	s_cbranch_vccz .LBB136_188
; %bb.182:
	s_andn2_b64 vcc, exec, s[40:41]
	s_cbranch_vccnz .LBB136_184
.LBB136_183:
	v_cmp_ge_f32_e32 vcc, v1, v2
	s_andn2_b64 s[38:39], s[38:39], exec
	s_and_b64 s[40:41], vcc, exec
	s_or_b64 s[38:39], s[38:39], s[40:41]
.LBB136_184:
	v_lshlrev_b32_e32 v1, 16, v4
	v_lshlrev_b32_e32 v2, 16, v8
	s_cmp_lt_i32 s13, 1
	s_mov_b64 s[42:43], 0
	s_cbranch_scc1 .LBB136_189
; %bb.185:
	s_cmp_gt_i32 s13, 1
	s_cbranch_scc0 .LBB136_190
; %bb.186:
	s_cmp_eq_u32 s13, 2
	s_cbranch_scc0 .LBB136_264
; %bb.187:
	v_cmp_le_f32_e64 s[40:41], v1, v2
	s_mov_b64 s[44:45], 0
	s_branch .LBB136_192
.LBB136_188:
	v_cmp_lt_f32_e32 vcc, v1, v2
	s_andn2_b64 s[38:39], s[38:39], exec
	s_and_b64 s[42:43], vcc, exec
	s_or_b64 s[38:39], s[38:39], s[42:43]
	s_cbranch_execz .LBB136_183
	s_branch .LBB136_184
.LBB136_189:
                                        ; implicit-def: $sgpr40_sgpr41
	s_mov_b64 s[44:45], 0
	s_cbranch_execnz .LBB136_193
	s_branch .LBB136_194
.LBB136_190:
	s_mov_b64 s[44:45], 0
                                        ; implicit-def: $sgpr40_sgpr41
	s_cbranch_execz .LBB136_192
; %bb.191:
	v_cmp_gt_f32_e32 vcc, v1, v2
	s_andn2_b64 s[40:41], s[40:41], exec
	s_and_b64 s[46:47], vcc, exec
	s_or_b64 s[40:41], s[40:41], s[46:47]
.LBB136_192:
	s_branch .LBB136_194
.LBB136_193:
	s_cmp_lg_u32 s13, 0
	s_mov_b64 s[42:43], -1
	s_cselect_b64 s[44:45], -1, 0
.LBB136_194:
	s_andn2_b64 vcc, exec, s[44:45]
	s_cbranch_vccz .LBB136_201
; %bb.195:
	s_andn2_b64 vcc, exec, s[42:43]
	s_cbranch_vccnz .LBB136_197
.LBB136_196:
	v_cmp_ge_f32_e32 vcc, v1, v2
	s_andn2_b64 s[40:41], s[40:41], exec
	s_and_b64 s[42:43], vcc, exec
	s_or_b64 s[40:41], s[40:41], s[42:43]
.LBB136_197:
	v_and_b32_e32 v1, 0xffff0000, v4
	v_and_b32_e32 v2, 0xffff0000, v8
	s_cmp_lt_i32 s13, 1
	s_mov_b64 s[44:45], 0
	s_cbranch_scc1 .LBB136_202
; %bb.198:
	s_cmp_gt_i32 s13, 1
	s_cbranch_scc0 .LBB136_203
; %bb.199:
	s_cmp_eq_u32 s13, 2
	s_cbranch_scc0 .LBB136_265
; %bb.200:
	v_cmp_le_f32_e64 s[42:43], v1, v2
	s_mov_b64 s[46:47], 0
	s_branch .LBB136_205
.LBB136_201:
	v_cmp_lt_f32_e32 vcc, v1, v2
	s_andn2_b64 s[40:41], s[40:41], exec
	s_and_b64 s[44:45], vcc, exec
	s_or_b64 s[40:41], s[40:41], s[44:45]
	s_cbranch_execz .LBB136_196
	s_branch .LBB136_197
.LBB136_202:
                                        ; implicit-def: $sgpr42_sgpr43
	s_mov_b64 s[46:47], 0
	s_cbranch_execnz .LBB136_206
	s_branch .LBB136_207
.LBB136_203:
	s_mov_b64 s[46:47], 0
                                        ; implicit-def: $sgpr42_sgpr43
	s_cbranch_execz .LBB136_205
; %bb.204:
	v_cmp_gt_f32_e32 vcc, v1, v2
	s_andn2_b64 s[42:43], s[42:43], exec
	s_and_b64 s[48:49], vcc, exec
	s_or_b64 s[42:43], s[42:43], s[48:49]
.LBB136_205:
	s_branch .LBB136_207
.LBB136_206:
	s_cmp_lg_u32 s13, 0
	s_mov_b64 s[44:45], -1
	s_cselect_b64 s[46:47], -1, 0
.LBB136_207:
	s_andn2_b64 vcc, exec, s[46:47]
	s_cbranch_vccz .LBB136_249
; %bb.208:
	s_andn2_b64 vcc, exec, s[44:45]
	s_cbranch_vccnz .LBB136_210
.LBB136_209:
	v_cmp_ge_f32_e32 vcc, v1, v2
	s_andn2_b64 s[42:43], s[42:43], exec
	s_and_b64 s[44:45], vcc, exec
	s_or_b64 s[42:43], s[42:43], s[44:45]
.LBB136_210:
	v_cndmask_b32_e64 v1, 0, 1, s[4:5]
	v_lshlrev_b16_e32 v1, 8, v1
	v_cndmask_b32_e64 v2, 0, 1, s[0:1]
	v_or_b32_e32 v1, v2, v1
	v_cndmask_b32_e64 v2, 0, 1, s[16:17]
	v_lshlrev_b16_e32 v2, 8, v2
	v_cndmask_b32_e64 v3, 0, 1, s[6:7]
	v_or_b32_sdwa v2, v3, v2 dst_sel:WORD_1 dst_unused:UNUSED_PAD src0_sel:DWORD src1_sel:DWORD
	v_or_b32_sdwa v1, v1, v2 dst_sel:DWORD dst_unused:UNUSED_PAD src0_sel:WORD_0 src1_sel:DWORD
	v_cndmask_b32_e64 v2, 0, 1, s[20:21]
	v_lshlrev_b16_e32 v2, 8, v2
	v_cndmask_b32_e64 v3, 0, 1, s[18:19]
	v_or_b32_e32 v2, v3, v2
	v_cndmask_b32_e64 v3, 0, 1, s[24:25]
	v_lshlrev_b16_e32 v3, 8, v3
	v_cndmask_b32_e64 v4, 0, 1, s[22:23]
	v_or_b32_sdwa v3, v4, v3 dst_sel:WORD_1 dst_unused:UNUSED_PAD src0_sel:DWORD src1_sel:DWORD
	v_or_b32_sdwa v2, v2, v3 dst_sel:DWORD dst_unused:UNUSED_PAD src0_sel:WORD_0 src1_sel:DWORD
	;; [unrolled: 9-line block ×3, first 2 shown]
	v_cndmask_b32_e64 v4, 0, 1, s[38:39]
	v_lshlrev_b16_e32 v4, 8, v4
	v_cndmask_b32_e64 v6, 0, 1, s[36:37]
	v_or_b32_e32 v4, v6, v4
	v_cndmask_b32_e64 v6, 0, 1, s[42:43]
	v_lshlrev_b16_e32 v6, 8, v6
	v_cndmask_b32_e64 v7, 0, 1, s[40:41]
	s_add_u32 s44, s8, s2
	v_or_b32_sdwa v6, v7, v6 dst_sel:WORD_1 dst_unused:UNUSED_PAD src0_sel:DWORD src1_sel:DWORD
	s_addc_u32 s45, s9, s3
	v_lshlrev_b32_e32 v5, 4, v0
	v_or_b32_sdwa v4, v4, v6 dst_sel:DWORD dst_unused:UNUSED_PAD src0_sel:WORD_0 src1_sel:DWORD
	global_store_dwordx4 v5, v[1:4], s[44:45]
	s_mov_b64 s[0:1], 0
.LBB136_211:
	s_and_b64 vcc, exec, s[0:1]
	s_cbranch_vccz .LBB136_519
; %bb.212:
	v_cmp_gt_i32_e64 s[0:1], s12, v0
	v_mov_b32_e32 v14, 0
	v_or_b32_e32 v1, s2, v0
	v_mov_b32_e32 v6, v0
	v_mov_b32_e32 v7, 0
	;; [unrolled: 1-line block ×3, first 2 shown]
	s_and_saveexec_b64 s[4:5], s[0:1]
	s_cbranch_execz .LBB136_214
; %bb.213:
	v_mov_b32_e32 v2, 0
	v_lshlrev_b64 v[2:3], 1, v[1:2]
	v_mov_b32_e32 v5, s15
	v_add_co_u32_e32 v4, vcc, s14, v2
	v_addc_co_u32_e32 v5, vcc, v5, v3, vcc
	v_mov_b32_e32 v6, s11
	v_add_co_u32_e32 v2, vcc, s10, v2
	v_addc_co_u32_e32 v3, vcc, v6, v3, vcc
	global_load_ushort v7, v[2:3], off
	global_load_ushort v8, v[4:5], off
	v_or_b32_e32 v6, 0x100, v0
	s_waitcnt vmcnt(1)
	v_lshlrev_b32_e32 v7, 16, v7
	s_waitcnt vmcnt(0)
	v_lshlrev_b32_e32 v10, 16, v8
.LBB136_214:
	s_or_b64 exec, exec, s[4:5]
	v_cmp_gt_i32_e32 vcc, s12, v6
	v_mov_b32_e32 v34, 0
	s_and_saveexec_b64 s[4:5], vcc
	s_cbranch_execz .LBB136_216
; %bb.215:
	v_add_u32_e32 v2, s2, v6
	v_mov_b32_e32 v3, 0
	v_lshlrev_b64 v[2:3], 1, v[2:3]
	v_mov_b32_e32 v5, s15
	v_add_co_u32_e32 v4, vcc, s14, v2
	v_addc_co_u32_e32 v5, vcc, v5, v3, vcc
	v_mov_b32_e32 v8, s11
	v_add_co_u32_e32 v2, vcc, s10, v2
	v_addc_co_u32_e32 v3, vcc, v8, v3, vcc
	global_load_ushort v8, v[2:3], off
	global_load_ushort v9, v[4:5], off
	v_add_u32_e32 v6, 0x100, v6
	s_waitcnt vmcnt(1)
	v_lshlrev_b32_e32 v14, 16, v8
	s_waitcnt vmcnt(0)
	v_lshlrev_b32_e32 v34, 16, v9
.LBB136_216:
	s_or_b64 exec, exec, s[4:5]
	v_cmp_gt_i32_e32 vcc, s12, v6
	v_mov_b32_e32 v21, 0
	v_mov_b32_e32 v18, 0
	v_mov_b32_e32 v33, 0
	s_and_saveexec_b64 s[4:5], vcc
	s_cbranch_execz .LBB136_218
; %bb.217:
	v_add_u32_e32 v2, s2, v6
	v_mov_b32_e32 v3, 0
	v_lshlrev_b64 v[2:3], 1, v[2:3]
	v_mov_b32_e32 v5, s15
	v_add_co_u32_e32 v4, vcc, s14, v2
	v_addc_co_u32_e32 v5, vcc, v5, v3, vcc
	v_mov_b32_e32 v8, s11
	v_add_co_u32_e32 v2, vcc, s10, v2
	v_addc_co_u32_e32 v3, vcc, v8, v3, vcc
	global_load_ushort v8, v[2:3], off
	global_load_ushort v9, v[4:5], off
	v_add_u32_e32 v6, 0x100, v6
	s_waitcnt vmcnt(1)
	v_lshlrev_b32_e32 v18, 16, v8
	s_waitcnt vmcnt(0)
	v_lshlrev_b32_e32 v33, 16, v9
.LBB136_218:
	s_or_b64 exec, exec, s[4:5]
	v_cmp_gt_i32_e32 vcc, s12, v6
	v_mov_b32_e32 v32, 0
	s_and_saveexec_b64 s[4:5], vcc
	s_cbranch_execz .LBB136_220
; %bb.219:
	v_add_u32_e32 v2, s2, v6
	v_mov_b32_e32 v3, 0
	v_lshlrev_b64 v[2:3], 1, v[2:3]
	v_mov_b32_e32 v5, s15
	v_add_co_u32_e32 v4, vcc, s14, v2
	v_addc_co_u32_e32 v5, vcc, v5, v3, vcc
	v_mov_b32_e32 v8, s11
	v_add_co_u32_e32 v2, vcc, s10, v2
	v_addc_co_u32_e32 v3, vcc, v8, v3, vcc
	global_load_ushort v8, v[2:3], off
	global_load_ushort v9, v[4:5], off
	v_add_u32_e32 v6, 0x100, v6
	s_waitcnt vmcnt(1)
	v_lshlrev_b32_e32 v21, 16, v8
	s_waitcnt vmcnt(0)
	v_lshlrev_b32_e32 v32, 16, v9
.LBB136_220:
	s_or_b64 exec, exec, s[4:5]
	v_cmp_gt_i32_e32 vcc, s12, v6
	v_mov_b32_e32 v27, 0
	v_mov_b32_e32 v25, 0
	v_mov_b32_e32 v31, 0
	s_and_saveexec_b64 s[4:5], vcc
	s_cbranch_execz .LBB136_222
; %bb.221:
	v_add_u32_e32 v2, s2, v6
	v_mov_b32_e32 v3, 0
	v_lshlrev_b64 v[2:3], 1, v[2:3]
	v_mov_b32_e32 v5, s15
	v_add_co_u32_e32 v4, vcc, s14, v2
	v_addc_co_u32_e32 v5, vcc, v5, v3, vcc
	v_mov_b32_e32 v8, s11
	v_add_co_u32_e32 v2, vcc, s10, v2
	v_addc_co_u32_e32 v3, vcc, v8, v3, vcc
	global_load_ushort v8, v[2:3], off
	global_load_ushort v9, v[4:5], off
	v_add_u32_e32 v6, 0x100, v6
	s_waitcnt vmcnt(1)
	v_lshlrev_b32_e32 v25, 16, v8
	s_waitcnt vmcnt(0)
	v_lshlrev_b32_e32 v31, 16, v9
.LBB136_222:
	;; [unrolled: 48-line block ×7, first 2 shown]
	s_or_b64 exec, exec, s[4:5]
	v_cmp_gt_i32_e32 vcc, s12, v6
	v_mov_b32_e32 v3, 0
	s_and_saveexec_b64 s[4:5], vcc
	s_cbranch_execz .LBB136_244
; %bb.243:
	v_add_u32_e32 v2, s2, v6
	v_mov_b32_e32 v3, 0
	v_lshlrev_b64 v[2:3], 1, v[2:3]
	v_mov_b32_e32 v6, s15
	v_add_co_u32_e32 v35, vcc, s14, v2
	v_addc_co_u32_e32 v36, vcc, v6, v3, vcc
	v_mov_b32_e32 v6, s11
	v_add_co_u32_e32 v2, vcc, s10, v2
	v_addc_co_u32_e32 v3, vcc, v6, v3, vcc
	global_load_ushort v6, v[2:3], off
	global_load_ushort v37, v[35:36], off
	s_waitcnt vmcnt(1)
	v_lshlrev_b32_e32 v2, 16, v6
	s_waitcnt vmcnt(0)
	v_lshlrev_b32_e32 v3, 16, v37
.LBB136_244:
	s_or_b64 exec, exec, s[4:5]
                                        ; implicit-def: $vgpr6
	s_and_saveexec_b64 s[4:5], s[0:1]
	s_cbranch_execz .LBB136_276
; %bb.245:
	s_cmp_lt_i32 s13, 1
	s_mov_b64 s[6:7], 0
	s_cbranch_scc1 .LBB136_250
; %bb.246:
	s_cmp_gt_i32 s13, 1
	s_cbranch_scc0 .LBB136_266
; %bb.247:
	s_cmp_eq_u32 s13, 2
	s_cbranch_scc0 .LBB136_267
; %bb.248:
	v_cmp_le_f32_e64 s[10:11], v7, v10
	s_mov_b64 s[14:15], 0
	s_branch .LBB136_268
.LBB136_249:
	v_cmp_lt_f32_e32 vcc, v1, v2
	s_andn2_b64 s[42:43], s[42:43], exec
	s_and_b64 s[46:47], vcc, exec
	s_or_b64 s[42:43], s[42:43], s[46:47]
	s_cbranch_execz .LBB136_209
	s_branch .LBB136_210
.LBB136_250:
                                        ; implicit-def: $sgpr10_sgpr11
	s_mov_b64 s[14:15], 0
	s_cbranch_execnz .LBB136_271
	s_branch .LBB136_272
.LBB136_251:
	s_mov_b64 s[16:17], -1
                                        ; implicit-def: $sgpr4_sgpr5
	s_branch .LBB136_23
.LBB136_252:
	s_mov_b64 s[18:19], -1
                                        ; implicit-def: $sgpr6_sgpr7
	s_branch .LBB136_36
.LBB136_253:
	s_mov_b64 s[20:21], -1
                                        ; implicit-def: $sgpr16_sgpr17
	s_branch .LBB136_49
.LBB136_254:
	s_mov_b64 s[22:23], -1
                                        ; implicit-def: $sgpr18_sgpr19
	s_branch .LBB136_62
.LBB136_255:
	s_mov_b64 s[24:25], -1
                                        ; implicit-def: $sgpr20_sgpr21
	s_branch .LBB136_75
.LBB136_256:
	s_mov_b64 s[26:27], -1
                                        ; implicit-def: $sgpr22_sgpr23
	s_branch .LBB136_88
.LBB136_257:
	s_mov_b64 s[28:29], -1
                                        ; implicit-def: $sgpr24_sgpr25
	s_branch .LBB136_101
.LBB136_258:
	s_mov_b64 s[30:31], -1
                                        ; implicit-def: $sgpr26_sgpr27
	s_branch .LBB136_114
.LBB136_259:
	s_mov_b64 s[34:35], -1
                                        ; implicit-def: $sgpr28_sgpr29
	s_branch .LBB136_127
.LBB136_260:
	s_mov_b64 s[36:37], -1
                                        ; implicit-def: $sgpr30_sgpr31
	s_branch .LBB136_140
.LBB136_261:
	s_mov_b64 s[38:39], -1
                                        ; implicit-def: $sgpr34_sgpr35
	s_branch .LBB136_153
.LBB136_262:
	s_mov_b64 s[40:41], -1
                                        ; implicit-def: $sgpr36_sgpr37
	s_branch .LBB136_166
.LBB136_263:
	s_mov_b64 s[42:43], -1
                                        ; implicit-def: $sgpr38_sgpr39
	s_branch .LBB136_179
.LBB136_264:
	s_mov_b64 s[44:45], -1
                                        ; implicit-def: $sgpr40_sgpr41
	s_branch .LBB136_192
.LBB136_265:
	s_mov_b64 s[46:47], -1
                                        ; implicit-def: $sgpr42_sgpr43
	s_branch .LBB136_205
.LBB136_266:
	s_mov_b64 s[14:15], 0
                                        ; implicit-def: $sgpr10_sgpr11
	s_cbranch_execnz .LBB136_269
	s_branch .LBB136_270
.LBB136_267:
	s_mov_b64 s[14:15], -1
                                        ; implicit-def: $sgpr10_sgpr11
.LBB136_268:
	s_branch .LBB136_270
.LBB136_269:
	v_cmp_gt_f32_e32 vcc, v7, v10
	s_andn2_b64 s[10:11], s[10:11], exec
	s_and_b64 s[16:17], vcc, exec
	s_or_b64 s[10:11], s[10:11], s[16:17]
.LBB136_270:
	s_branch .LBB136_272
.LBB136_271:
	s_cmp_lg_u32 s13, 0
	s_mov_b64 s[6:7], -1
	s_cselect_b64 s[14:15], -1, 0
.LBB136_272:
	s_andn2_b64 vcc, exec, s[14:15]
	s_cbranch_vccz .LBB136_281
; %bb.273:
	s_andn2_b64 vcc, exec, s[6:7]
	s_cbranch_vccnz .LBB136_275
.LBB136_274:
	v_cmp_ge_f32_e32 vcc, v7, v10
	s_andn2_b64 s[6:7], s[10:11], exec
	s_and_b64 s[10:11], vcc, exec
	s_or_b64 s[10:11], s[6:7], s[10:11]
.LBB136_275:
	v_cndmask_b32_e64 v6, 0, 1, s[10:11]
.LBB136_276:
	s_or_b64 exec, exec, s[4:5]
	v_or_b32_e32 v7, 0x100, v0
	v_cmp_gt_i32_e32 vcc, s12, v7
                                        ; implicit-def: $vgpr10
	s_and_saveexec_b64 s[4:5], vcc
	s_cbranch_execz .LBB136_291
; %bb.277:
	s_cmp_lt_i32 s13, 1
	s_mov_b64 s[6:7], 0
	s_cbranch_scc1 .LBB136_282
; %bb.278:
	s_cmp_gt_i32 s13, 1
	s_cbranch_scc0 .LBB136_283
; %bb.279:
	s_cmp_eq_u32 s13, 2
	s_cbranch_scc0 .LBB136_535
; %bb.280:
	v_cmp_le_f32_e64 s[10:11], v14, v34
	s_mov_b64 s[14:15], 0
	s_branch .LBB136_285
.LBB136_281:
	v_cmp_lt_f32_e32 vcc, v7, v10
	s_andn2_b64 s[10:11], s[10:11], exec
	s_and_b64 s[14:15], vcc, exec
	s_or_b64 s[10:11], s[10:11], s[14:15]
	s_cbranch_execz .LBB136_274
	s_branch .LBB136_275
.LBB136_282:
                                        ; implicit-def: $sgpr10_sgpr11
	s_mov_b64 s[14:15], 0
	s_cbranch_execnz .LBB136_286
	s_branch .LBB136_287
.LBB136_283:
	s_mov_b64 s[14:15], 0
                                        ; implicit-def: $sgpr10_sgpr11
	s_cbranch_execz .LBB136_285
; %bb.284:
	v_cmp_gt_f32_e32 vcc, v14, v34
	s_andn2_b64 s[10:11], s[10:11], exec
	s_and_b64 s[16:17], vcc, exec
	s_or_b64 s[10:11], s[10:11], s[16:17]
.LBB136_285:
	s_branch .LBB136_287
.LBB136_286:
	s_cmp_lg_u32 s13, 0
	s_mov_b64 s[6:7], -1
	s_cselect_b64 s[14:15], -1, 0
.LBB136_287:
	s_andn2_b64 vcc, exec, s[14:15]
	s_cbranch_vccz .LBB136_296
; %bb.288:
	s_andn2_b64 vcc, exec, s[6:7]
	s_cbranch_vccnz .LBB136_290
.LBB136_289:
	v_cmp_ge_f32_e32 vcc, v14, v34
	s_andn2_b64 s[6:7], s[10:11], exec
	s_and_b64 s[10:11], vcc, exec
	s_or_b64 s[10:11], s[6:7], s[10:11]
.LBB136_290:
	v_cndmask_b32_e64 v10, 0, 1, s[10:11]
.LBB136_291:
	s_or_b64 exec, exec, s[4:5]
	v_or_b32_e32 v14, 0x200, v0
	v_cmp_gt_i32_e32 vcc, s12, v14
                                        ; implicit-def: $vgpr14
	s_and_saveexec_b64 s[4:5], vcc
	s_cbranch_execz .LBB136_306
; %bb.292:
	s_cmp_lt_i32 s13, 1
	s_mov_b64 s[6:7], 0
	s_cbranch_scc1 .LBB136_297
; %bb.293:
	s_cmp_gt_i32 s13, 1
	s_cbranch_scc0 .LBB136_298
; %bb.294:
	s_cmp_eq_u32 s13, 2
	s_cbranch_scc0 .LBB136_536
; %bb.295:
	v_cmp_le_f32_e64 s[10:11], v18, v33
	s_mov_b64 s[14:15], 0
	s_branch .LBB136_300
.LBB136_296:
	v_cmp_lt_f32_e32 vcc, v14, v34
	s_andn2_b64 s[10:11], s[10:11], exec
	s_and_b64 s[14:15], vcc, exec
	s_or_b64 s[10:11], s[10:11], s[14:15]
	s_cbranch_execz .LBB136_289
	s_branch .LBB136_290
.LBB136_297:
                                        ; implicit-def: $sgpr10_sgpr11
	s_mov_b64 s[14:15], 0
	s_cbranch_execnz .LBB136_301
	s_branch .LBB136_302
.LBB136_298:
	s_mov_b64 s[14:15], 0
                                        ; implicit-def: $sgpr10_sgpr11
	s_cbranch_execz .LBB136_300
; %bb.299:
	v_cmp_gt_f32_e32 vcc, v18, v33
	s_andn2_b64 s[10:11], s[10:11], exec
	s_and_b64 s[16:17], vcc, exec
	s_or_b64 s[10:11], s[10:11], s[16:17]
.LBB136_300:
	s_branch .LBB136_302
.LBB136_301:
	s_cmp_lg_u32 s13, 0
	s_mov_b64 s[6:7], -1
	s_cselect_b64 s[14:15], -1, 0
.LBB136_302:
	s_andn2_b64 vcc, exec, s[14:15]
	s_cbranch_vccz .LBB136_311
; %bb.303:
	s_andn2_b64 vcc, exec, s[6:7]
	s_cbranch_vccnz .LBB136_305
.LBB136_304:
	v_cmp_ge_f32_e32 vcc, v18, v33
	s_andn2_b64 s[6:7], s[10:11], exec
	s_and_b64 s[10:11], vcc, exec
	s_or_b64 s[10:11], s[6:7], s[10:11]
.LBB136_305:
	v_cndmask_b32_e64 v14, 0, 1, s[10:11]
.LBB136_306:
	s_or_b64 exec, exec, s[4:5]
	v_or_b32_e32 v18, 0x300, v0
	v_cmp_gt_i32_e32 vcc, s12, v18
                                        ; implicit-def: $vgpr18
	s_and_saveexec_b64 s[4:5], vcc
	s_cbranch_execz .LBB136_321
; %bb.307:
	s_cmp_lt_i32 s13, 1
	s_mov_b64 s[6:7], 0
	s_cbranch_scc1 .LBB136_312
; %bb.308:
	s_cmp_gt_i32 s13, 1
	s_cbranch_scc0 .LBB136_313
; %bb.309:
	s_cmp_eq_u32 s13, 2
	s_cbranch_scc0 .LBB136_537
; %bb.310:
	v_cmp_le_f32_e64 s[10:11], v21, v32
	s_mov_b64 s[14:15], 0
	s_branch .LBB136_315
.LBB136_311:
	v_cmp_lt_f32_e32 vcc, v18, v33
	s_andn2_b64 s[10:11], s[10:11], exec
	s_and_b64 s[14:15], vcc, exec
	s_or_b64 s[10:11], s[10:11], s[14:15]
	s_cbranch_execz .LBB136_304
	s_branch .LBB136_305
.LBB136_312:
                                        ; implicit-def: $sgpr10_sgpr11
	s_mov_b64 s[14:15], 0
	s_cbranch_execnz .LBB136_316
	s_branch .LBB136_317
.LBB136_313:
	s_mov_b64 s[14:15], 0
                                        ; implicit-def: $sgpr10_sgpr11
	s_cbranch_execz .LBB136_315
; %bb.314:
	v_cmp_gt_f32_e32 vcc, v21, v32
	s_andn2_b64 s[10:11], s[10:11], exec
	s_and_b64 s[16:17], vcc, exec
	s_or_b64 s[10:11], s[10:11], s[16:17]
.LBB136_315:
	s_branch .LBB136_317
.LBB136_316:
	s_cmp_lg_u32 s13, 0
	s_mov_b64 s[6:7], -1
	s_cselect_b64 s[14:15], -1, 0
.LBB136_317:
	s_andn2_b64 vcc, exec, s[14:15]
	s_cbranch_vccz .LBB136_326
; %bb.318:
	s_andn2_b64 vcc, exec, s[6:7]
	s_cbranch_vccnz .LBB136_320
.LBB136_319:
	v_cmp_ge_f32_e32 vcc, v21, v32
	s_andn2_b64 s[6:7], s[10:11], exec
	s_and_b64 s[10:11], vcc, exec
	s_or_b64 s[10:11], s[6:7], s[10:11]
.LBB136_320:
	v_cndmask_b32_e64 v18, 0, 1, s[10:11]
.LBB136_321:
	s_or_b64 exec, exec, s[4:5]
	v_or_b32_e32 v21, 0x400, v0
	v_cmp_gt_i32_e32 vcc, s12, v21
                                        ; implicit-def: $vgpr21
	s_and_saveexec_b64 s[4:5], vcc
	s_cbranch_execz .LBB136_336
; %bb.322:
	s_cmp_lt_i32 s13, 1
	s_mov_b64 s[6:7], 0
	s_cbranch_scc1 .LBB136_327
; %bb.323:
	s_cmp_gt_i32 s13, 1
	s_cbranch_scc0 .LBB136_328
; %bb.324:
	s_cmp_eq_u32 s13, 2
	s_cbranch_scc0 .LBB136_538
; %bb.325:
	v_cmp_le_f32_e64 s[10:11], v25, v31
	s_mov_b64 s[14:15], 0
	s_branch .LBB136_330
.LBB136_326:
	v_cmp_lt_f32_e32 vcc, v21, v32
	s_andn2_b64 s[10:11], s[10:11], exec
	s_and_b64 s[14:15], vcc, exec
	s_or_b64 s[10:11], s[10:11], s[14:15]
	s_cbranch_execz .LBB136_319
	s_branch .LBB136_320
.LBB136_327:
                                        ; implicit-def: $sgpr10_sgpr11
	s_mov_b64 s[14:15], 0
	s_cbranch_execnz .LBB136_331
	s_branch .LBB136_332
.LBB136_328:
	s_mov_b64 s[14:15], 0
                                        ; implicit-def: $sgpr10_sgpr11
	s_cbranch_execz .LBB136_330
; %bb.329:
	v_cmp_gt_f32_e32 vcc, v25, v31
	s_andn2_b64 s[10:11], s[10:11], exec
	s_and_b64 s[16:17], vcc, exec
	s_or_b64 s[10:11], s[10:11], s[16:17]
.LBB136_330:
	s_branch .LBB136_332
.LBB136_331:
	s_cmp_lg_u32 s13, 0
	s_mov_b64 s[6:7], -1
	s_cselect_b64 s[14:15], -1, 0
.LBB136_332:
	s_andn2_b64 vcc, exec, s[14:15]
	s_cbranch_vccz .LBB136_341
; %bb.333:
	s_andn2_b64 vcc, exec, s[6:7]
	s_cbranch_vccnz .LBB136_335
.LBB136_334:
	v_cmp_ge_f32_e32 vcc, v25, v31
	s_andn2_b64 s[6:7], s[10:11], exec
	s_and_b64 s[10:11], vcc, exec
	s_or_b64 s[10:11], s[6:7], s[10:11]
.LBB136_335:
	v_cndmask_b32_e64 v21, 0, 1, s[10:11]
.LBB136_336:
	s_or_b64 exec, exec, s[4:5]
	v_or_b32_e32 v25, 0x500, v0
	v_cmp_gt_i32_e32 vcc, s12, v25
                                        ; implicit-def: $vgpr25
	s_and_saveexec_b64 s[4:5], vcc
	s_cbranch_execz .LBB136_351
; %bb.337:
	s_cmp_lt_i32 s13, 1
	s_mov_b64 s[6:7], 0
	s_cbranch_scc1 .LBB136_342
; %bb.338:
	s_cmp_gt_i32 s13, 1
	s_cbranch_scc0 .LBB136_343
; %bb.339:
	s_cmp_eq_u32 s13, 2
	s_cbranch_scc0 .LBB136_539
; %bb.340:
	v_cmp_le_f32_e64 s[10:11], v27, v30
	s_mov_b64 s[14:15], 0
	s_branch .LBB136_345
.LBB136_341:
	v_cmp_lt_f32_e32 vcc, v25, v31
	s_andn2_b64 s[10:11], s[10:11], exec
	s_and_b64 s[14:15], vcc, exec
	s_or_b64 s[10:11], s[10:11], s[14:15]
	s_cbranch_execz .LBB136_334
	s_branch .LBB136_335
.LBB136_342:
                                        ; implicit-def: $sgpr10_sgpr11
	s_mov_b64 s[14:15], 0
	s_cbranch_execnz .LBB136_346
	s_branch .LBB136_347
.LBB136_343:
	s_mov_b64 s[14:15], 0
                                        ; implicit-def: $sgpr10_sgpr11
	s_cbranch_execz .LBB136_345
; %bb.344:
	v_cmp_gt_f32_e32 vcc, v27, v30
	s_andn2_b64 s[10:11], s[10:11], exec
	s_and_b64 s[16:17], vcc, exec
	s_or_b64 s[10:11], s[10:11], s[16:17]
.LBB136_345:
	s_branch .LBB136_347
.LBB136_346:
	s_cmp_lg_u32 s13, 0
	s_mov_b64 s[6:7], -1
	s_cselect_b64 s[14:15], -1, 0
.LBB136_347:
	s_andn2_b64 vcc, exec, s[14:15]
	s_cbranch_vccz .LBB136_356
; %bb.348:
	s_andn2_b64 vcc, exec, s[6:7]
	s_cbranch_vccnz .LBB136_350
.LBB136_349:
	v_cmp_ge_f32_e32 vcc, v27, v30
	s_andn2_b64 s[6:7], s[10:11], exec
	s_and_b64 s[10:11], vcc, exec
	s_or_b64 s[10:11], s[6:7], s[10:11]
.LBB136_350:
	v_cndmask_b32_e64 v25, 0, 1, s[10:11]
.LBB136_351:
	s_or_b64 exec, exec, s[4:5]
	v_or_b32_e32 v27, 0x600, v0
	v_cmp_gt_i32_e32 vcc, s12, v27
                                        ; implicit-def: $vgpr27
	s_and_saveexec_b64 s[4:5], vcc
	s_cbranch_execz .LBB136_366
; %bb.352:
	s_cmp_lt_i32 s13, 1
	s_mov_b64 s[6:7], 0
	s_cbranch_scc1 .LBB136_357
; %bb.353:
	s_cmp_gt_i32 s13, 1
	s_cbranch_scc0 .LBB136_358
; %bb.354:
	s_cmp_eq_u32 s13, 2
	s_cbranch_scc0 .LBB136_540
; %bb.355:
	v_cmp_le_f32_e64 s[10:11], v28, v29
	s_mov_b64 s[14:15], 0
	s_branch .LBB136_360
.LBB136_356:
	v_cmp_lt_f32_e32 vcc, v27, v30
	s_andn2_b64 s[10:11], s[10:11], exec
	s_and_b64 s[14:15], vcc, exec
	s_or_b64 s[10:11], s[10:11], s[14:15]
	s_cbranch_execz .LBB136_349
	s_branch .LBB136_350
.LBB136_357:
                                        ; implicit-def: $sgpr10_sgpr11
	s_mov_b64 s[14:15], 0
	s_cbranch_execnz .LBB136_361
	s_branch .LBB136_362
.LBB136_358:
	s_mov_b64 s[14:15], 0
                                        ; implicit-def: $sgpr10_sgpr11
	s_cbranch_execz .LBB136_360
; %bb.359:
	v_cmp_gt_f32_e32 vcc, v28, v29
	s_andn2_b64 s[10:11], s[10:11], exec
	s_and_b64 s[16:17], vcc, exec
	s_or_b64 s[10:11], s[10:11], s[16:17]
.LBB136_360:
	s_branch .LBB136_362
.LBB136_361:
	s_cmp_lg_u32 s13, 0
	s_mov_b64 s[6:7], -1
	s_cselect_b64 s[14:15], -1, 0
.LBB136_362:
	s_andn2_b64 vcc, exec, s[14:15]
	s_cbranch_vccz .LBB136_371
; %bb.363:
	s_andn2_b64 vcc, exec, s[6:7]
	s_cbranch_vccnz .LBB136_365
.LBB136_364:
	v_cmp_ge_f32_e32 vcc, v28, v29
	s_andn2_b64 s[6:7], s[10:11], exec
	s_and_b64 s[10:11], vcc, exec
	s_or_b64 s[10:11], s[6:7], s[10:11]
.LBB136_365:
	v_cndmask_b32_e64 v27, 0, 1, s[10:11]
.LBB136_366:
	s_or_b64 exec, exec, s[4:5]
	v_or_b32_e32 v28, 0x700, v0
	v_cmp_gt_i32_e32 vcc, s12, v28
                                        ; implicit-def: $vgpr28
	s_and_saveexec_b64 s[4:5], vcc
	s_cbranch_execz .LBB136_381
; %bb.367:
	s_cmp_lt_i32 s13, 1
	s_mov_b64 s[6:7], 0
	s_cbranch_scc1 .LBB136_372
; %bb.368:
	s_cmp_gt_i32 s13, 1
	s_cbranch_scc0 .LBB136_373
; %bb.369:
	s_cmp_eq_u32 s13, 2
	s_cbranch_scc0 .LBB136_541
; %bb.370:
	v_cmp_le_f32_e64 s[10:11], v24, v26
	s_mov_b64 s[14:15], 0
	s_branch .LBB136_375
.LBB136_371:
	v_cmp_lt_f32_e32 vcc, v28, v29
	s_andn2_b64 s[10:11], s[10:11], exec
	s_and_b64 s[14:15], vcc, exec
	s_or_b64 s[10:11], s[10:11], s[14:15]
	s_cbranch_execz .LBB136_364
	s_branch .LBB136_365
.LBB136_372:
                                        ; implicit-def: $sgpr10_sgpr11
	s_mov_b64 s[14:15], 0
	s_cbranch_execnz .LBB136_376
	s_branch .LBB136_377
.LBB136_373:
	s_mov_b64 s[14:15], 0
                                        ; implicit-def: $sgpr10_sgpr11
	s_cbranch_execz .LBB136_375
; %bb.374:
	v_cmp_gt_f32_e32 vcc, v24, v26
	s_andn2_b64 s[10:11], s[10:11], exec
	s_and_b64 s[16:17], vcc, exec
	s_or_b64 s[10:11], s[10:11], s[16:17]
.LBB136_375:
	s_branch .LBB136_377
.LBB136_376:
	s_cmp_lg_u32 s13, 0
	s_mov_b64 s[6:7], -1
	s_cselect_b64 s[14:15], -1, 0
.LBB136_377:
	s_andn2_b64 vcc, exec, s[14:15]
	s_cbranch_vccz .LBB136_386
; %bb.378:
	s_andn2_b64 vcc, exec, s[6:7]
	s_cbranch_vccnz .LBB136_380
.LBB136_379:
	v_cmp_ge_f32_e32 vcc, v24, v26
	s_andn2_b64 s[6:7], s[10:11], exec
	s_and_b64 s[10:11], vcc, exec
	s_or_b64 s[10:11], s[6:7], s[10:11]
.LBB136_380:
	v_cndmask_b32_e64 v28, 0, 1, s[10:11]
.LBB136_381:
	s_or_b64 exec, exec, s[4:5]
	v_or_b32_e32 v24, 0x800, v0
	v_cmp_gt_i32_e32 vcc, s12, v24
                                        ; implicit-def: $vgpr24
	s_and_saveexec_b64 s[4:5], vcc
	s_cbranch_execz .LBB136_396
; %bb.382:
	s_cmp_lt_i32 s13, 1
	s_mov_b64 s[6:7], 0
	s_cbranch_scc1 .LBB136_387
; %bb.383:
	s_cmp_gt_i32 s13, 1
	s_cbranch_scc0 .LBB136_388
; %bb.384:
	s_cmp_eq_u32 s13, 2
	s_cbranch_scc0 .LBB136_542
; %bb.385:
	v_cmp_le_f32_e64 s[10:11], v22, v23
	s_mov_b64 s[14:15], 0
	s_branch .LBB136_390
.LBB136_386:
	v_cmp_lt_f32_e32 vcc, v24, v26
	s_andn2_b64 s[10:11], s[10:11], exec
	s_and_b64 s[14:15], vcc, exec
	s_or_b64 s[10:11], s[10:11], s[14:15]
	s_cbranch_execz .LBB136_379
	s_branch .LBB136_380
.LBB136_387:
                                        ; implicit-def: $sgpr10_sgpr11
	s_mov_b64 s[14:15], 0
	s_cbranch_execnz .LBB136_391
	s_branch .LBB136_392
.LBB136_388:
	s_mov_b64 s[14:15], 0
                                        ; implicit-def: $sgpr10_sgpr11
	s_cbranch_execz .LBB136_390
; %bb.389:
	v_cmp_gt_f32_e32 vcc, v22, v23
	s_andn2_b64 s[10:11], s[10:11], exec
	s_and_b64 s[16:17], vcc, exec
	s_or_b64 s[10:11], s[10:11], s[16:17]
.LBB136_390:
	s_branch .LBB136_392
.LBB136_391:
	s_cmp_lg_u32 s13, 0
	s_mov_b64 s[6:7], -1
	s_cselect_b64 s[14:15], -1, 0
.LBB136_392:
	s_andn2_b64 vcc, exec, s[14:15]
	s_cbranch_vccz .LBB136_401
; %bb.393:
	s_andn2_b64 vcc, exec, s[6:7]
	s_cbranch_vccnz .LBB136_395
.LBB136_394:
	v_cmp_ge_f32_e32 vcc, v22, v23
	s_andn2_b64 s[6:7], s[10:11], exec
	s_and_b64 s[10:11], vcc, exec
	s_or_b64 s[10:11], s[6:7], s[10:11]
.LBB136_395:
	v_cndmask_b32_e64 v24, 0, 1, s[10:11]
.LBB136_396:
	s_or_b64 exec, exec, s[4:5]
	v_or_b32_e32 v22, 0x900, v0
	v_cmp_gt_i32_e32 vcc, s12, v22
                                        ; implicit-def: $vgpr22
	s_and_saveexec_b64 s[4:5], vcc
	s_cbranch_execz .LBB136_411
; %bb.397:
	s_cmp_lt_i32 s13, 1
	s_mov_b64 s[6:7], 0
	s_cbranch_scc1 .LBB136_402
; %bb.398:
	s_cmp_gt_i32 s13, 1
	s_cbranch_scc0 .LBB136_403
; %bb.399:
	s_cmp_eq_u32 s13, 2
	s_cbranch_scc0 .LBB136_543
; %bb.400:
	v_cmp_le_f32_e64 s[10:11], v19, v20
	s_mov_b64 s[14:15], 0
	s_branch .LBB136_405
.LBB136_401:
	v_cmp_lt_f32_e32 vcc, v22, v23
	s_andn2_b64 s[10:11], s[10:11], exec
	s_and_b64 s[14:15], vcc, exec
	s_or_b64 s[10:11], s[10:11], s[14:15]
	s_cbranch_execz .LBB136_394
	s_branch .LBB136_395
.LBB136_402:
                                        ; implicit-def: $sgpr10_sgpr11
	s_mov_b64 s[14:15], 0
	s_cbranch_execnz .LBB136_406
	s_branch .LBB136_407
.LBB136_403:
	s_mov_b64 s[14:15], 0
                                        ; implicit-def: $sgpr10_sgpr11
	s_cbranch_execz .LBB136_405
; %bb.404:
	v_cmp_gt_f32_e32 vcc, v19, v20
	s_andn2_b64 s[10:11], s[10:11], exec
	s_and_b64 s[16:17], vcc, exec
	s_or_b64 s[10:11], s[10:11], s[16:17]
.LBB136_405:
	s_branch .LBB136_407
.LBB136_406:
	s_cmp_lg_u32 s13, 0
	s_mov_b64 s[6:7], -1
	s_cselect_b64 s[14:15], -1, 0
.LBB136_407:
	s_andn2_b64 vcc, exec, s[14:15]
	s_cbranch_vccz .LBB136_416
; %bb.408:
	s_andn2_b64 vcc, exec, s[6:7]
	s_cbranch_vccnz .LBB136_410
.LBB136_409:
	v_cmp_ge_f32_e32 vcc, v19, v20
	s_andn2_b64 s[6:7], s[10:11], exec
	s_and_b64 s[10:11], vcc, exec
	s_or_b64 s[10:11], s[6:7], s[10:11]
.LBB136_410:
	v_cndmask_b32_e64 v22, 0, 1, s[10:11]
.LBB136_411:
	s_or_b64 exec, exec, s[4:5]
	v_or_b32_e32 v19, 0xa00, v0
	v_cmp_gt_i32_e32 vcc, s12, v19
                                        ; implicit-def: $vgpr19
	s_and_saveexec_b64 s[4:5], vcc
	s_cbranch_execz .LBB136_426
; %bb.412:
	s_cmp_lt_i32 s13, 1
	s_mov_b64 s[6:7], 0
	s_cbranch_scc1 .LBB136_417
; %bb.413:
	s_cmp_gt_i32 s13, 1
	s_cbranch_scc0 .LBB136_418
; %bb.414:
	s_cmp_eq_u32 s13, 2
	s_cbranch_scc0 .LBB136_544
; %bb.415:
	v_cmp_le_f32_e64 s[10:11], v16, v17
	s_mov_b64 s[14:15], 0
	s_branch .LBB136_420
.LBB136_416:
	v_cmp_lt_f32_e32 vcc, v19, v20
	s_andn2_b64 s[10:11], s[10:11], exec
	s_and_b64 s[14:15], vcc, exec
	s_or_b64 s[10:11], s[10:11], s[14:15]
	s_cbranch_execz .LBB136_409
	s_branch .LBB136_410
.LBB136_417:
                                        ; implicit-def: $sgpr10_sgpr11
	s_mov_b64 s[14:15], 0
	s_cbranch_execnz .LBB136_421
	s_branch .LBB136_422
.LBB136_418:
	s_mov_b64 s[14:15], 0
                                        ; implicit-def: $sgpr10_sgpr11
	s_cbranch_execz .LBB136_420
; %bb.419:
	v_cmp_gt_f32_e32 vcc, v16, v17
	s_andn2_b64 s[10:11], s[10:11], exec
	s_and_b64 s[16:17], vcc, exec
	s_or_b64 s[10:11], s[10:11], s[16:17]
.LBB136_420:
	s_branch .LBB136_422
.LBB136_421:
	s_cmp_lg_u32 s13, 0
	s_mov_b64 s[6:7], -1
	s_cselect_b64 s[14:15], -1, 0
.LBB136_422:
	s_andn2_b64 vcc, exec, s[14:15]
	s_cbranch_vccz .LBB136_431
; %bb.423:
	s_andn2_b64 vcc, exec, s[6:7]
	s_cbranch_vccnz .LBB136_425
.LBB136_424:
	v_cmp_ge_f32_e32 vcc, v16, v17
	s_andn2_b64 s[6:7], s[10:11], exec
	s_and_b64 s[10:11], vcc, exec
	s_or_b64 s[10:11], s[6:7], s[10:11]
.LBB136_425:
	v_cndmask_b32_e64 v19, 0, 1, s[10:11]
.LBB136_426:
	s_or_b64 exec, exec, s[4:5]
	v_or_b32_e32 v16, 0xb00, v0
	v_cmp_gt_i32_e32 vcc, s12, v16
                                        ; implicit-def: $vgpr16
	s_and_saveexec_b64 s[4:5], vcc
	s_cbranch_execz .LBB136_441
; %bb.427:
	s_cmp_lt_i32 s13, 1
	s_mov_b64 s[6:7], 0
	s_cbranch_scc1 .LBB136_432
; %bb.428:
	s_cmp_gt_i32 s13, 1
	s_cbranch_scc0 .LBB136_433
; %bb.429:
	s_cmp_eq_u32 s13, 2
	s_cbranch_scc0 .LBB136_545
; %bb.430:
	v_cmp_le_f32_e64 s[10:11], v13, v15
	s_mov_b64 s[14:15], 0
	s_branch .LBB136_435
.LBB136_431:
	v_cmp_lt_f32_e32 vcc, v16, v17
	s_andn2_b64 s[10:11], s[10:11], exec
	s_and_b64 s[14:15], vcc, exec
	s_or_b64 s[10:11], s[10:11], s[14:15]
	s_cbranch_execz .LBB136_424
	s_branch .LBB136_425
.LBB136_432:
                                        ; implicit-def: $sgpr10_sgpr11
	s_mov_b64 s[14:15], 0
	s_cbranch_execnz .LBB136_436
	s_branch .LBB136_437
.LBB136_433:
	s_mov_b64 s[14:15], 0
                                        ; implicit-def: $sgpr10_sgpr11
	s_cbranch_execz .LBB136_435
; %bb.434:
	v_cmp_gt_f32_e32 vcc, v13, v15
	s_andn2_b64 s[10:11], s[10:11], exec
	s_and_b64 s[16:17], vcc, exec
	s_or_b64 s[10:11], s[10:11], s[16:17]
.LBB136_435:
	s_branch .LBB136_437
.LBB136_436:
	s_cmp_lg_u32 s13, 0
	s_mov_b64 s[6:7], -1
	s_cselect_b64 s[14:15], -1, 0
.LBB136_437:
	s_andn2_b64 vcc, exec, s[14:15]
	s_cbranch_vccz .LBB136_446
; %bb.438:
	s_andn2_b64 vcc, exec, s[6:7]
	s_cbranch_vccnz .LBB136_440
.LBB136_439:
	v_cmp_ge_f32_e32 vcc, v13, v15
	s_andn2_b64 s[6:7], s[10:11], exec
	s_and_b64 s[10:11], vcc, exec
	s_or_b64 s[10:11], s[6:7], s[10:11]
.LBB136_440:
	v_cndmask_b32_e64 v16, 0, 1, s[10:11]
.LBB136_441:
	s_or_b64 exec, exec, s[4:5]
	v_or_b32_e32 v13, 0xc00, v0
	v_cmp_gt_i32_e32 vcc, s12, v13
                                        ; implicit-def: $vgpr13
	s_and_saveexec_b64 s[4:5], vcc
	s_cbranch_execz .LBB136_456
; %bb.442:
	s_cmp_lt_i32 s13, 1
	s_mov_b64 s[6:7], 0
	s_cbranch_scc1 .LBB136_447
; %bb.443:
	s_cmp_gt_i32 s13, 1
	s_cbranch_scc0 .LBB136_448
; %bb.444:
	s_cmp_eq_u32 s13, 2
	s_cbranch_scc0 .LBB136_546
; %bb.445:
	v_cmp_le_f32_e64 s[10:11], v11, v12
	s_mov_b64 s[14:15], 0
	s_branch .LBB136_450
.LBB136_446:
	v_cmp_lt_f32_e32 vcc, v13, v15
	s_andn2_b64 s[10:11], s[10:11], exec
	s_and_b64 s[14:15], vcc, exec
	s_or_b64 s[10:11], s[10:11], s[14:15]
	s_cbranch_execz .LBB136_439
	s_branch .LBB136_440
.LBB136_447:
                                        ; implicit-def: $sgpr10_sgpr11
	s_mov_b64 s[14:15], 0
	s_cbranch_execnz .LBB136_451
	s_branch .LBB136_452
.LBB136_448:
	s_mov_b64 s[14:15], 0
                                        ; implicit-def: $sgpr10_sgpr11
	s_cbranch_execz .LBB136_450
; %bb.449:
	v_cmp_gt_f32_e32 vcc, v11, v12
	s_andn2_b64 s[10:11], s[10:11], exec
	s_and_b64 s[16:17], vcc, exec
	s_or_b64 s[10:11], s[10:11], s[16:17]
.LBB136_450:
	s_branch .LBB136_452
.LBB136_451:
	s_cmp_lg_u32 s13, 0
	s_mov_b64 s[6:7], -1
	s_cselect_b64 s[14:15], -1, 0
.LBB136_452:
	s_andn2_b64 vcc, exec, s[14:15]
	s_cbranch_vccz .LBB136_461
; %bb.453:
	s_andn2_b64 vcc, exec, s[6:7]
	s_cbranch_vccnz .LBB136_455
.LBB136_454:
	v_cmp_ge_f32_e32 vcc, v11, v12
	s_andn2_b64 s[6:7], s[10:11], exec
	s_and_b64 s[10:11], vcc, exec
	s_or_b64 s[10:11], s[6:7], s[10:11]
.LBB136_455:
	v_cndmask_b32_e64 v13, 0, 1, s[10:11]
.LBB136_456:
	s_or_b64 exec, exec, s[4:5]
	v_or_b32_e32 v11, 0xd00, v0
	v_cmp_gt_i32_e32 vcc, s12, v11
                                        ; implicit-def: $vgpr11
	s_and_saveexec_b64 s[4:5], vcc
	s_cbranch_execz .LBB136_471
; %bb.457:
	s_cmp_lt_i32 s13, 1
	s_mov_b64 s[6:7], 0
	s_cbranch_scc1 .LBB136_462
; %bb.458:
	s_cmp_gt_i32 s13, 1
	s_cbranch_scc0 .LBB136_463
; %bb.459:
	s_cmp_eq_u32 s13, 2
	s_cbranch_scc0 .LBB136_547
; %bb.460:
	v_cmp_le_f32_e64 s[10:11], v8, v9
	s_mov_b64 s[14:15], 0
	s_branch .LBB136_465
.LBB136_461:
	v_cmp_lt_f32_e32 vcc, v11, v12
	s_andn2_b64 s[10:11], s[10:11], exec
	s_and_b64 s[14:15], vcc, exec
	s_or_b64 s[10:11], s[10:11], s[14:15]
	s_cbranch_execz .LBB136_454
	s_branch .LBB136_455
.LBB136_462:
                                        ; implicit-def: $sgpr10_sgpr11
	s_mov_b64 s[14:15], 0
	s_cbranch_execnz .LBB136_466
	s_branch .LBB136_467
.LBB136_463:
	s_mov_b64 s[14:15], 0
                                        ; implicit-def: $sgpr10_sgpr11
	s_cbranch_execz .LBB136_465
; %bb.464:
	v_cmp_gt_f32_e32 vcc, v8, v9
	s_andn2_b64 s[10:11], s[10:11], exec
	s_and_b64 s[16:17], vcc, exec
	s_or_b64 s[10:11], s[10:11], s[16:17]
.LBB136_465:
	s_branch .LBB136_467
.LBB136_466:
	s_cmp_lg_u32 s13, 0
	s_mov_b64 s[6:7], -1
	s_cselect_b64 s[14:15], -1, 0
.LBB136_467:
	s_andn2_b64 vcc, exec, s[14:15]
	s_cbranch_vccz .LBB136_476
; %bb.468:
	s_andn2_b64 vcc, exec, s[6:7]
	s_cbranch_vccnz .LBB136_470
.LBB136_469:
	v_cmp_ge_f32_e32 vcc, v8, v9
	s_andn2_b64 s[6:7], s[10:11], exec
	s_and_b64 s[10:11], vcc, exec
	s_or_b64 s[10:11], s[6:7], s[10:11]
.LBB136_470:
	v_cndmask_b32_e64 v11, 0, 1, s[10:11]
.LBB136_471:
	s_or_b64 exec, exec, s[4:5]
	v_or_b32_e32 v8, 0xe00, v0
	v_cmp_gt_i32_e32 vcc, s12, v8
                                        ; implicit-def: $vgpr8
	s_and_saveexec_b64 s[4:5], vcc
	s_cbranch_execz .LBB136_486
; %bb.472:
	s_cmp_lt_i32 s13, 1
	s_mov_b64 s[6:7], 0
	s_cbranch_scc1 .LBB136_477
; %bb.473:
	s_cmp_gt_i32 s13, 1
	s_cbranch_scc0 .LBB136_478
; %bb.474:
	s_cmp_eq_u32 s13, 2
	s_cbranch_scc0 .LBB136_548
; %bb.475:
	v_cmp_le_f32_e64 s[10:11], v4, v5
	s_mov_b64 s[14:15], 0
	s_branch .LBB136_480
.LBB136_476:
	v_cmp_lt_f32_e32 vcc, v8, v9
	s_andn2_b64 s[10:11], s[10:11], exec
	s_and_b64 s[14:15], vcc, exec
	s_or_b64 s[10:11], s[10:11], s[14:15]
	s_cbranch_execz .LBB136_469
	s_branch .LBB136_470
.LBB136_477:
                                        ; implicit-def: $sgpr10_sgpr11
	s_mov_b64 s[14:15], 0
	s_cbranch_execnz .LBB136_481
	s_branch .LBB136_482
.LBB136_478:
	s_mov_b64 s[14:15], 0
                                        ; implicit-def: $sgpr10_sgpr11
	s_cbranch_execz .LBB136_480
; %bb.479:
	v_cmp_gt_f32_e32 vcc, v4, v5
	s_andn2_b64 s[10:11], s[10:11], exec
	s_and_b64 s[16:17], vcc, exec
	s_or_b64 s[10:11], s[10:11], s[16:17]
.LBB136_480:
	s_branch .LBB136_482
.LBB136_481:
	s_cmp_lg_u32 s13, 0
	s_mov_b64 s[6:7], -1
	s_cselect_b64 s[14:15], -1, 0
.LBB136_482:
	s_andn2_b64 vcc, exec, s[14:15]
	s_cbranch_vccz .LBB136_491
; %bb.483:
	s_andn2_b64 vcc, exec, s[6:7]
	s_cbranch_vccnz .LBB136_485
.LBB136_484:
	v_cmp_ge_f32_e32 vcc, v4, v5
	s_andn2_b64 s[6:7], s[10:11], exec
	s_and_b64 s[10:11], vcc, exec
	s_or_b64 s[10:11], s[6:7], s[10:11]
.LBB136_485:
	v_cndmask_b32_e64 v8, 0, 1, s[10:11]
.LBB136_486:
	s_or_b64 exec, exec, s[4:5]
	v_or_b32_e32 v4, 0xf00, v0
	v_cmp_gt_i32_e32 vcc, s12, v4
                                        ; implicit-def: $vgpr4
	s_and_saveexec_b64 s[4:5], vcc
	s_cbranch_execz .LBB136_501
; %bb.487:
	s_cmp_lt_i32 s13, 1
	s_mov_b64 s[6:7], 0
	s_cbranch_scc1 .LBB136_492
; %bb.488:
	s_cmp_gt_i32 s13, 1
	s_cbranch_scc0 .LBB136_493
; %bb.489:
	s_cmp_eq_u32 s13, 2
	s_cbranch_scc0 .LBB136_549
; %bb.490:
	v_cmp_le_f32_e64 s[10:11], v2, v3
	s_mov_b64 s[14:15], 0
	s_branch .LBB136_495
.LBB136_491:
	v_cmp_lt_f32_e32 vcc, v4, v5
	s_andn2_b64 s[10:11], s[10:11], exec
	s_and_b64 s[14:15], vcc, exec
	s_or_b64 s[10:11], s[10:11], s[14:15]
	s_cbranch_execz .LBB136_484
	s_branch .LBB136_485
.LBB136_492:
                                        ; implicit-def: $sgpr10_sgpr11
	s_mov_b64 s[14:15], 0
	s_cbranch_execnz .LBB136_496
	s_branch .LBB136_497
.LBB136_493:
	s_mov_b64 s[14:15], 0
                                        ; implicit-def: $sgpr10_sgpr11
	s_cbranch_execz .LBB136_495
; %bb.494:
	v_cmp_gt_f32_e32 vcc, v2, v3
	s_andn2_b64 s[10:11], s[10:11], exec
	s_and_b64 s[16:17], vcc, exec
	s_or_b64 s[10:11], s[10:11], s[16:17]
.LBB136_495:
	s_branch .LBB136_497
.LBB136_496:
	s_cmp_lg_u32 s13, 0
	s_mov_b64 s[6:7], -1
	s_cselect_b64 s[14:15], -1, 0
.LBB136_497:
	s_andn2_b64 vcc, exec, s[14:15]
	s_cbranch_vccz .LBB136_534
; %bb.498:
	s_andn2_b64 vcc, exec, s[6:7]
	s_cbranch_vccnz .LBB136_500
.LBB136_499:
	v_cmp_ge_f32_e32 vcc, v2, v3
	s_andn2_b64 s[6:7], s[10:11], exec
	s_and_b64 s[10:11], vcc, exec
	s_or_b64 s[10:11], s[6:7], s[10:11]
.LBB136_500:
	v_cndmask_b32_e64 v4, 0, 1, s[10:11]
.LBB136_501:
	s_or_b64 exec, exec, s[4:5]
	s_and_saveexec_b64 s[4:5], s[0:1]
	s_xor_b64 s[0:1], exec, s[4:5]
	s_cbranch_execz .LBB136_503
; %bb.502:
	v_mov_b32_e32 v0, v7
	global_store_byte v1, v6, s[8:9]
.LBB136_503:
	s_or_b64 exec, exec, s[0:1]
	v_cmp_gt_i32_e32 vcc, s12, v0
	s_and_saveexec_b64 s[0:1], vcc
	s_cbranch_execnz .LBB136_520
; %bb.504:
	s_or_b64 exec, exec, s[0:1]
	v_cmp_gt_i32_e32 vcc, s12, v0
	s_and_saveexec_b64 s[0:1], vcc
	s_cbranch_execnz .LBB136_521
.LBB136_505:
	s_or_b64 exec, exec, s[0:1]
	v_cmp_gt_i32_e32 vcc, s12, v0
	s_and_saveexec_b64 s[0:1], vcc
	s_cbranch_execnz .LBB136_522
.LBB136_506:
	s_or_b64 exec, exec, s[0:1]
	v_cmp_gt_i32_e32 vcc, s12, v0
	s_and_saveexec_b64 s[0:1], vcc
	s_cbranch_execnz .LBB136_523
.LBB136_507:
	s_or_b64 exec, exec, s[0:1]
	v_cmp_gt_i32_e32 vcc, s12, v0
	s_and_saveexec_b64 s[0:1], vcc
	s_cbranch_execnz .LBB136_524
.LBB136_508:
	s_or_b64 exec, exec, s[0:1]
	v_cmp_gt_i32_e32 vcc, s12, v0
	s_and_saveexec_b64 s[0:1], vcc
	s_cbranch_execnz .LBB136_525
.LBB136_509:
	s_or_b64 exec, exec, s[0:1]
	v_cmp_gt_i32_e32 vcc, s12, v0
	s_and_saveexec_b64 s[0:1], vcc
	s_cbranch_execnz .LBB136_526
.LBB136_510:
	s_or_b64 exec, exec, s[0:1]
	v_cmp_gt_i32_e32 vcc, s12, v0
	s_and_saveexec_b64 s[0:1], vcc
	s_cbranch_execnz .LBB136_527
.LBB136_511:
	s_or_b64 exec, exec, s[0:1]
	v_cmp_gt_i32_e32 vcc, s12, v0
	s_and_saveexec_b64 s[0:1], vcc
	s_cbranch_execnz .LBB136_528
.LBB136_512:
	s_or_b64 exec, exec, s[0:1]
	v_cmp_gt_i32_e32 vcc, s12, v0
	s_and_saveexec_b64 s[0:1], vcc
	s_cbranch_execnz .LBB136_529
.LBB136_513:
	s_or_b64 exec, exec, s[0:1]
	v_cmp_gt_i32_e32 vcc, s12, v0
	s_and_saveexec_b64 s[0:1], vcc
	s_cbranch_execnz .LBB136_530
.LBB136_514:
	s_or_b64 exec, exec, s[0:1]
	v_cmp_gt_i32_e32 vcc, s12, v0
	s_and_saveexec_b64 s[0:1], vcc
	s_cbranch_execnz .LBB136_531
.LBB136_515:
	s_or_b64 exec, exec, s[0:1]
	v_cmp_gt_i32_e32 vcc, s12, v0
	s_and_saveexec_b64 s[0:1], vcc
	s_cbranch_execnz .LBB136_532
.LBB136_516:
	s_or_b64 exec, exec, s[0:1]
	v_cmp_gt_i32_e32 vcc, s12, v0
	s_and_saveexec_b64 s[0:1], vcc
	s_cbranch_execnz .LBB136_533
.LBB136_517:
	s_or_b64 exec, exec, s[0:1]
	v_cmp_gt_i32_e32 vcc, s12, v0
	s_and_saveexec_b64 s[0:1], vcc
	s_cbranch_execz .LBB136_519
.LBB136_518:
	v_add_u32_e32 v0, s2, v0
	global_store_byte v0, v4, s[8:9]
.LBB136_519:
	s_endpgm
.LBB136_520:
	v_add_u32_e32 v1, s2, v0
	v_add_u32_e32 v0, 0x100, v0
	global_store_byte v1, v10, s[8:9]
	s_or_b64 exec, exec, s[0:1]
	v_cmp_gt_i32_e32 vcc, s12, v0
	s_and_saveexec_b64 s[0:1], vcc
	s_cbranch_execz .LBB136_505
.LBB136_521:
	v_add_u32_e32 v1, s2, v0
	v_add_u32_e32 v0, 0x100, v0
	global_store_byte v1, v14, s[8:9]
	s_or_b64 exec, exec, s[0:1]
	v_cmp_gt_i32_e32 vcc, s12, v0
	s_and_saveexec_b64 s[0:1], vcc
	s_cbranch_execz .LBB136_506
.LBB136_522:
	v_add_u32_e32 v1, s2, v0
	v_add_u32_e32 v0, 0x100, v0
	global_store_byte v1, v18, s[8:9]
	s_or_b64 exec, exec, s[0:1]
	v_cmp_gt_i32_e32 vcc, s12, v0
	s_and_saveexec_b64 s[0:1], vcc
	s_cbranch_execz .LBB136_507
.LBB136_523:
	v_add_u32_e32 v1, s2, v0
	v_add_u32_e32 v0, 0x100, v0
	global_store_byte v1, v21, s[8:9]
	s_or_b64 exec, exec, s[0:1]
	v_cmp_gt_i32_e32 vcc, s12, v0
	s_and_saveexec_b64 s[0:1], vcc
	s_cbranch_execz .LBB136_508
.LBB136_524:
	v_add_u32_e32 v1, s2, v0
	v_add_u32_e32 v0, 0x100, v0
	global_store_byte v1, v25, s[8:9]
	s_or_b64 exec, exec, s[0:1]
	v_cmp_gt_i32_e32 vcc, s12, v0
	s_and_saveexec_b64 s[0:1], vcc
	s_cbranch_execz .LBB136_509
.LBB136_525:
	v_add_u32_e32 v1, s2, v0
	v_add_u32_e32 v0, 0x100, v0
	global_store_byte v1, v27, s[8:9]
	s_or_b64 exec, exec, s[0:1]
	v_cmp_gt_i32_e32 vcc, s12, v0
	s_and_saveexec_b64 s[0:1], vcc
	s_cbranch_execz .LBB136_510
.LBB136_526:
	v_add_u32_e32 v1, s2, v0
	v_add_u32_e32 v0, 0x100, v0
	global_store_byte v1, v28, s[8:9]
	s_or_b64 exec, exec, s[0:1]
	v_cmp_gt_i32_e32 vcc, s12, v0
	s_and_saveexec_b64 s[0:1], vcc
	s_cbranch_execz .LBB136_511
.LBB136_527:
	v_add_u32_e32 v1, s2, v0
	v_add_u32_e32 v0, 0x100, v0
	global_store_byte v1, v24, s[8:9]
	s_or_b64 exec, exec, s[0:1]
	v_cmp_gt_i32_e32 vcc, s12, v0
	s_and_saveexec_b64 s[0:1], vcc
	s_cbranch_execz .LBB136_512
.LBB136_528:
	v_add_u32_e32 v1, s2, v0
	v_add_u32_e32 v0, 0x100, v0
	global_store_byte v1, v22, s[8:9]
	s_or_b64 exec, exec, s[0:1]
	v_cmp_gt_i32_e32 vcc, s12, v0
	s_and_saveexec_b64 s[0:1], vcc
	s_cbranch_execz .LBB136_513
.LBB136_529:
	v_add_u32_e32 v1, s2, v0
	v_add_u32_e32 v0, 0x100, v0
	global_store_byte v1, v19, s[8:9]
	s_or_b64 exec, exec, s[0:1]
	v_cmp_gt_i32_e32 vcc, s12, v0
	s_and_saveexec_b64 s[0:1], vcc
	s_cbranch_execz .LBB136_514
.LBB136_530:
	v_add_u32_e32 v1, s2, v0
	v_add_u32_e32 v0, 0x100, v0
	global_store_byte v1, v16, s[8:9]
	s_or_b64 exec, exec, s[0:1]
	v_cmp_gt_i32_e32 vcc, s12, v0
	s_and_saveexec_b64 s[0:1], vcc
	s_cbranch_execz .LBB136_515
.LBB136_531:
	v_add_u32_e32 v1, s2, v0
	v_add_u32_e32 v0, 0x100, v0
	global_store_byte v1, v13, s[8:9]
	s_or_b64 exec, exec, s[0:1]
	v_cmp_gt_i32_e32 vcc, s12, v0
	s_and_saveexec_b64 s[0:1], vcc
	s_cbranch_execz .LBB136_516
.LBB136_532:
	v_add_u32_e32 v1, s2, v0
	v_add_u32_e32 v0, 0x100, v0
	global_store_byte v1, v11, s[8:9]
	s_or_b64 exec, exec, s[0:1]
	v_cmp_gt_i32_e32 vcc, s12, v0
	s_and_saveexec_b64 s[0:1], vcc
	s_cbranch_execz .LBB136_517
.LBB136_533:
	v_add_u32_e32 v1, s2, v0
	v_add_u32_e32 v0, 0x100, v0
	global_store_byte v1, v8, s[8:9]
	s_or_b64 exec, exec, s[0:1]
	v_cmp_gt_i32_e32 vcc, s12, v0
	s_and_saveexec_b64 s[0:1], vcc
	s_cbranch_execnz .LBB136_518
	s_branch .LBB136_519
.LBB136_534:
	v_cmp_lt_f32_e32 vcc, v2, v3
	s_andn2_b64 s[10:11], s[10:11], exec
	s_and_b64 s[14:15], vcc, exec
	s_or_b64 s[10:11], s[10:11], s[14:15]
	s_cbranch_execz .LBB136_499
	s_branch .LBB136_500
.LBB136_535:
	s_mov_b64 s[14:15], -1
                                        ; implicit-def: $sgpr10_sgpr11
	s_branch .LBB136_285
.LBB136_536:
	s_mov_b64 s[14:15], -1
                                        ; implicit-def: $sgpr10_sgpr11
	s_branch .LBB136_300
.LBB136_537:
	s_mov_b64 s[14:15], -1
                                        ; implicit-def: $sgpr10_sgpr11
	s_branch .LBB136_315
.LBB136_538:
	s_mov_b64 s[14:15], -1
                                        ; implicit-def: $sgpr10_sgpr11
	s_branch .LBB136_330
.LBB136_539:
	s_mov_b64 s[14:15], -1
                                        ; implicit-def: $sgpr10_sgpr11
	s_branch .LBB136_345
.LBB136_540:
	s_mov_b64 s[14:15], -1
                                        ; implicit-def: $sgpr10_sgpr11
	s_branch .LBB136_360
.LBB136_541:
	s_mov_b64 s[14:15], -1
                                        ; implicit-def: $sgpr10_sgpr11
	s_branch .LBB136_375
.LBB136_542:
	s_mov_b64 s[14:15], -1
                                        ; implicit-def: $sgpr10_sgpr11
	s_branch .LBB136_390
.LBB136_543:
	s_mov_b64 s[14:15], -1
                                        ; implicit-def: $sgpr10_sgpr11
	s_branch .LBB136_405
.LBB136_544:
	s_mov_b64 s[14:15], -1
                                        ; implicit-def: $sgpr10_sgpr11
	s_branch .LBB136_420
.LBB136_545:
	s_mov_b64 s[14:15], -1
                                        ; implicit-def: $sgpr10_sgpr11
	s_branch .LBB136_435
.LBB136_546:
	s_mov_b64 s[14:15], -1
                                        ; implicit-def: $sgpr10_sgpr11
	s_branch .LBB136_450
.LBB136_547:
	s_mov_b64 s[14:15], -1
                                        ; implicit-def: $sgpr10_sgpr11
	s_branch .LBB136_465
.LBB136_548:
	s_mov_b64 s[14:15], -1
                                        ; implicit-def: $sgpr10_sgpr11
	s_branch .LBB136_480
.LBB136_549:
	s_mov_b64 s[14:15], -1
                                        ; implicit-def: $sgpr10_sgpr11
	s_branch .LBB136_495
	.section	.rodata,"a",@progbits
	.p2align	6, 0x0
	.amdhsa_kernel _ZN2at6native29vectorized_elementwise_kernelILi16ENS0_12_GLOBAL__N_114CompareFunctorIN3c108BFloat16EEESt5arrayIPcLm3EEEEviT0_T1_
		.amdhsa_group_segment_fixed_size 0
		.amdhsa_private_segment_fixed_size 0
		.amdhsa_kernarg_size 32
		.amdhsa_user_sgpr_count 6
		.amdhsa_user_sgpr_private_segment_buffer 1
		.amdhsa_user_sgpr_dispatch_ptr 0
		.amdhsa_user_sgpr_queue_ptr 0
		.amdhsa_user_sgpr_kernarg_segment_ptr 1
		.amdhsa_user_sgpr_dispatch_id 0
		.amdhsa_user_sgpr_flat_scratch_init 0
		.amdhsa_user_sgpr_private_segment_size 0
		.amdhsa_uses_dynamic_stack 0
		.amdhsa_system_sgpr_private_segment_wavefront_offset 0
		.amdhsa_system_sgpr_workgroup_id_x 1
		.amdhsa_system_sgpr_workgroup_id_y 0
		.amdhsa_system_sgpr_workgroup_id_z 0
		.amdhsa_system_sgpr_workgroup_info 0
		.amdhsa_system_vgpr_workitem_id 0
		.amdhsa_next_free_vgpr 38
		.amdhsa_next_free_sgpr 50
		.amdhsa_reserve_vcc 1
		.amdhsa_reserve_flat_scratch 0
		.amdhsa_float_round_mode_32 0
		.amdhsa_float_round_mode_16_64 0
		.amdhsa_float_denorm_mode_32 3
		.amdhsa_float_denorm_mode_16_64 3
		.amdhsa_dx10_clamp 1
		.amdhsa_ieee_mode 1
		.amdhsa_fp16_overflow 0
		.amdhsa_exception_fp_ieee_invalid_op 0
		.amdhsa_exception_fp_denorm_src 0
		.amdhsa_exception_fp_ieee_div_zero 0
		.amdhsa_exception_fp_ieee_overflow 0
		.amdhsa_exception_fp_ieee_underflow 0
		.amdhsa_exception_fp_ieee_inexact 0
		.amdhsa_exception_int_div_zero 0
	.end_amdhsa_kernel
	.section	.text._ZN2at6native29vectorized_elementwise_kernelILi16ENS0_12_GLOBAL__N_114CompareFunctorIN3c108BFloat16EEESt5arrayIPcLm3EEEEviT0_T1_,"axG",@progbits,_ZN2at6native29vectorized_elementwise_kernelILi16ENS0_12_GLOBAL__N_114CompareFunctorIN3c108BFloat16EEESt5arrayIPcLm3EEEEviT0_T1_,comdat
.Lfunc_end136:
	.size	_ZN2at6native29vectorized_elementwise_kernelILi16ENS0_12_GLOBAL__N_114CompareFunctorIN3c108BFloat16EEESt5arrayIPcLm3EEEEviT0_T1_, .Lfunc_end136-_ZN2at6native29vectorized_elementwise_kernelILi16ENS0_12_GLOBAL__N_114CompareFunctorIN3c108BFloat16EEESt5arrayIPcLm3EEEEviT0_T1_
                                        ; -- End function
	.set _ZN2at6native29vectorized_elementwise_kernelILi16ENS0_12_GLOBAL__N_114CompareFunctorIN3c108BFloat16EEESt5arrayIPcLm3EEEEviT0_T1_.num_vgpr, 38
	.set _ZN2at6native29vectorized_elementwise_kernelILi16ENS0_12_GLOBAL__N_114CompareFunctorIN3c108BFloat16EEESt5arrayIPcLm3EEEEviT0_T1_.num_agpr, 0
	.set _ZN2at6native29vectorized_elementwise_kernelILi16ENS0_12_GLOBAL__N_114CompareFunctorIN3c108BFloat16EEESt5arrayIPcLm3EEEEviT0_T1_.numbered_sgpr, 50
	.set _ZN2at6native29vectorized_elementwise_kernelILi16ENS0_12_GLOBAL__N_114CompareFunctorIN3c108BFloat16EEESt5arrayIPcLm3EEEEviT0_T1_.num_named_barrier, 0
	.set _ZN2at6native29vectorized_elementwise_kernelILi16ENS0_12_GLOBAL__N_114CompareFunctorIN3c108BFloat16EEESt5arrayIPcLm3EEEEviT0_T1_.private_seg_size, 0
	.set _ZN2at6native29vectorized_elementwise_kernelILi16ENS0_12_GLOBAL__N_114CompareFunctorIN3c108BFloat16EEESt5arrayIPcLm3EEEEviT0_T1_.uses_vcc, 1
	.set _ZN2at6native29vectorized_elementwise_kernelILi16ENS0_12_GLOBAL__N_114CompareFunctorIN3c108BFloat16EEESt5arrayIPcLm3EEEEviT0_T1_.uses_flat_scratch, 0
	.set _ZN2at6native29vectorized_elementwise_kernelILi16ENS0_12_GLOBAL__N_114CompareFunctorIN3c108BFloat16EEESt5arrayIPcLm3EEEEviT0_T1_.has_dyn_sized_stack, 0
	.set _ZN2at6native29vectorized_elementwise_kernelILi16ENS0_12_GLOBAL__N_114CompareFunctorIN3c108BFloat16EEESt5arrayIPcLm3EEEEviT0_T1_.has_recursion, 0
	.set _ZN2at6native29vectorized_elementwise_kernelILi16ENS0_12_GLOBAL__N_114CompareFunctorIN3c108BFloat16EEESt5arrayIPcLm3EEEEviT0_T1_.has_indirect_call, 0
	.section	.AMDGPU.csdata,"",@progbits
; Kernel info:
; codeLenInByte = 8668
; TotalNumSgprs: 54
; NumVgprs: 38
; ScratchSize: 0
; MemoryBound: 0
; FloatMode: 240
; IeeeMode: 1
; LDSByteSize: 0 bytes/workgroup (compile time only)
; SGPRBlocks: 6
; VGPRBlocks: 9
; NumSGPRsForWavesPerEU: 54
; NumVGPRsForWavesPerEU: 38
; Occupancy: 6
; WaveLimiterHint : 0
; COMPUTE_PGM_RSRC2:SCRATCH_EN: 0
; COMPUTE_PGM_RSRC2:USER_SGPR: 6
; COMPUTE_PGM_RSRC2:TRAP_HANDLER: 0
; COMPUTE_PGM_RSRC2:TGID_X_EN: 1
; COMPUTE_PGM_RSRC2:TGID_Y_EN: 0
; COMPUTE_PGM_RSRC2:TGID_Z_EN: 0
; COMPUTE_PGM_RSRC2:TIDIG_COMP_CNT: 0
	.section	.text._ZN2at6native29vectorized_elementwise_kernelILi8ENS0_12_GLOBAL__N_114CompareFunctorIN3c108BFloat16EEESt5arrayIPcLm3EEEEviT0_T1_,"axG",@progbits,_ZN2at6native29vectorized_elementwise_kernelILi8ENS0_12_GLOBAL__N_114CompareFunctorIN3c108BFloat16EEESt5arrayIPcLm3EEEEviT0_T1_,comdat
	.globl	_ZN2at6native29vectorized_elementwise_kernelILi8ENS0_12_GLOBAL__N_114CompareFunctorIN3c108BFloat16EEESt5arrayIPcLm3EEEEviT0_T1_ ; -- Begin function _ZN2at6native29vectorized_elementwise_kernelILi8ENS0_12_GLOBAL__N_114CompareFunctorIN3c108BFloat16EEESt5arrayIPcLm3EEEEviT0_T1_
	.p2align	8
	.type	_ZN2at6native29vectorized_elementwise_kernelILi8ENS0_12_GLOBAL__N_114CompareFunctorIN3c108BFloat16EEESt5arrayIPcLm3EEEEviT0_T1_,@function
_ZN2at6native29vectorized_elementwise_kernelILi8ENS0_12_GLOBAL__N_114CompareFunctorIN3c108BFloat16EEESt5arrayIPcLm3EEEEviT0_T1_: ; @_ZN2at6native29vectorized_elementwise_kernelILi8ENS0_12_GLOBAL__N_114CompareFunctorIN3c108BFloat16EEESt5arrayIPcLm3EEEEviT0_T1_
; %bb.0:
	s_load_dwordx2 s[12:13], s[4:5], 0x0
	s_load_dwordx4 s[8:11], s[4:5], 0x8
	s_load_dwordx2 s[14:15], s[4:5], 0x18
	s_lshl_b32 s2, s6, 12
	s_mov_b64 s[0:1], -1
	s_waitcnt lgkmcnt(0)
	s_sub_i32 s12, s12, s2
	s_cmpk_gt_i32 s12, 0xfff
	s_cbranch_scc0 .LBB137_211
; %bb.1:
	s_ashr_i32 s3, s2, 31
	s_lshl_b64 s[0:1], s[2:3], 1
	s_add_u32 s4, s10, s0
	s_addc_u32 s5, s11, s1
	v_lshlrev_b32_e32 v5, 4, v0
	v_mov_b32_e32 v1, s5
	v_add_co_u32_e32 v2, vcc, s4, v5
	v_addc_co_u32_e32 v3, vcc, 0, v1, vcc
	v_add_co_u32_e32 v1, vcc, 0x1000, v2
	s_add_u32 s0, s14, s0
	v_addc_co_u32_e32 v2, vcc, 0, v3, vcc
	s_addc_u32 s1, s15, s1
	v_mov_b32_e32 v6, s1
	v_add_co_u32_e32 v7, vcc, s0, v5
	v_addc_co_u32_e32 v6, vcc, 0, v6, vcc
	global_load_dwordx4 v[1:4], v[1:2], off
	s_nop 0
	global_load_dwordx4 v[9:12], v5, s[4:5]
	global_load_dwordx4 v[13:16], v5, s[0:1]
	v_add_co_u32_e32 v5, vcc, 0x1000, v7
	v_addc_co_u32_e32 v6, vcc, 0, v6, vcc
	global_load_dwordx4 v[5:8], v[5:6], off
	s_cmp_lt_i32 s13, 1
	s_mov_b64 s[4:5], 0
	s_waitcnt vmcnt(2)
	v_lshlrev_b32_e32 v17, 16, v9
	s_waitcnt vmcnt(1)
	v_lshlrev_b32_e32 v18, 16, v13
	s_cbranch_scc1 .LBB137_5
; %bb.2:
	s_cmp_gt_i32 s13, 1
	s_cbranch_scc0 .LBB137_6
; %bb.3:
	s_cmp_eq_u32 s13, 2
	s_cbranch_scc0 .LBB137_7
; %bb.4:
	v_cmp_le_f32_e64 s[0:1], v17, v18
	s_mov_b64 s[6:7], 0
	s_branch .LBB137_8
.LBB137_5:
                                        ; implicit-def: $sgpr0_sgpr1
	s_mov_b64 s[6:7], 0
	s_cbranch_execnz .LBB137_11
	s_branch .LBB137_12
.LBB137_6:
	s_mov_b64 s[6:7], 0
                                        ; implicit-def: $sgpr0_sgpr1
	s_cbranch_execnz .LBB137_9
	s_branch .LBB137_10
.LBB137_7:
	s_mov_b64 s[6:7], -1
                                        ; implicit-def: $sgpr0_sgpr1
.LBB137_8:
	s_branch .LBB137_10
.LBB137_9:
	v_cmp_gt_f32_e32 vcc, v17, v18
	s_andn2_b64 s[0:1], s[0:1], exec
	s_and_b64 s[16:17], vcc, exec
	s_or_b64 s[0:1], s[0:1], s[16:17]
.LBB137_10:
	s_branch .LBB137_12
.LBB137_11:
	s_cmp_lg_u32 s13, 0
	s_mov_b64 s[4:5], -1
	s_cselect_b64 s[6:7], -1, 0
.LBB137_12:
	s_andn2_b64 vcc, exec, s[6:7]
	s_cbranch_vccz .LBB137_19
; %bb.13:
	s_andn2_b64 vcc, exec, s[4:5]
	s_cbranch_vccnz .LBB137_15
.LBB137_14:
	v_cmp_ge_f32_e32 vcc, v17, v18
	s_andn2_b64 s[0:1], s[0:1], exec
	s_and_b64 s[4:5], vcc, exec
	s_or_b64 s[0:1], s[0:1], s[4:5]
.LBB137_15:
	v_and_b32_e32 v9, 0xffff0000, v9
	v_and_b32_e32 v13, 0xffff0000, v13
	s_cmp_lt_i32 s13, 1
	s_mov_b64 s[6:7], 0
	s_cbranch_scc1 .LBB137_20
; %bb.16:
	s_cmp_gt_i32 s13, 1
	s_cbranch_scc0 .LBB137_21
; %bb.17:
	s_cmp_eq_u32 s13, 2
	s_cbranch_scc0 .LBB137_251
; %bb.18:
	v_cmp_le_f32_e64 s[4:5], v9, v13
	s_mov_b64 s[16:17], 0
	s_branch .LBB137_23
.LBB137_19:
	v_cmp_lt_f32_e32 vcc, v17, v18
	s_andn2_b64 s[0:1], s[0:1], exec
	s_and_b64 s[6:7], vcc, exec
	s_or_b64 s[0:1], s[0:1], s[6:7]
	s_cbranch_execz .LBB137_14
	s_branch .LBB137_15
.LBB137_20:
                                        ; implicit-def: $sgpr4_sgpr5
	s_mov_b64 s[16:17], 0
	s_cbranch_execnz .LBB137_24
	s_branch .LBB137_25
.LBB137_21:
	s_mov_b64 s[16:17], 0
                                        ; implicit-def: $sgpr4_sgpr5
	s_cbranch_execz .LBB137_23
; %bb.22:
	v_cmp_gt_f32_e32 vcc, v9, v13
	s_andn2_b64 s[4:5], s[4:5], exec
	s_and_b64 s[18:19], vcc, exec
	s_or_b64 s[4:5], s[4:5], s[18:19]
.LBB137_23:
	s_branch .LBB137_25
.LBB137_24:
	s_cmp_lg_u32 s13, 0
	s_mov_b64 s[6:7], -1
	s_cselect_b64 s[16:17], -1, 0
.LBB137_25:
	s_andn2_b64 vcc, exec, s[16:17]
	s_cbranch_vccz .LBB137_32
; %bb.26:
	s_andn2_b64 vcc, exec, s[6:7]
	s_cbranch_vccnz .LBB137_28
.LBB137_27:
	v_cmp_ge_f32_e32 vcc, v9, v13
	s_andn2_b64 s[4:5], s[4:5], exec
	s_and_b64 s[6:7], vcc, exec
	s_or_b64 s[4:5], s[4:5], s[6:7]
.LBB137_28:
	v_lshlrev_b32_e32 v9, 16, v10
	v_lshlrev_b32_e32 v13, 16, v14
	s_cmp_lt_i32 s13, 1
	s_mov_b64 s[16:17], 0
	s_cbranch_scc1 .LBB137_33
; %bb.29:
	s_cmp_gt_i32 s13, 1
	s_cbranch_scc0 .LBB137_34
; %bb.30:
	s_cmp_eq_u32 s13, 2
	s_cbranch_scc0 .LBB137_252
; %bb.31:
	v_cmp_le_f32_e64 s[6:7], v9, v13
	s_mov_b64 s[18:19], 0
	s_branch .LBB137_36
.LBB137_32:
	v_cmp_lt_f32_e32 vcc, v9, v13
	s_andn2_b64 s[4:5], s[4:5], exec
	s_and_b64 s[16:17], vcc, exec
	s_or_b64 s[4:5], s[4:5], s[16:17]
	s_cbranch_execz .LBB137_27
	s_branch .LBB137_28
.LBB137_33:
                                        ; implicit-def: $sgpr6_sgpr7
	s_mov_b64 s[18:19], 0
	s_cbranch_execnz .LBB137_37
	s_branch .LBB137_38
.LBB137_34:
	s_mov_b64 s[18:19], 0
                                        ; implicit-def: $sgpr6_sgpr7
	s_cbranch_execz .LBB137_36
; %bb.35:
	v_cmp_gt_f32_e32 vcc, v9, v13
	s_andn2_b64 s[6:7], s[6:7], exec
	s_and_b64 s[20:21], vcc, exec
	s_or_b64 s[6:7], s[6:7], s[20:21]
.LBB137_36:
	s_branch .LBB137_38
.LBB137_37:
	s_cmp_lg_u32 s13, 0
	s_mov_b64 s[16:17], -1
	s_cselect_b64 s[18:19], -1, 0
.LBB137_38:
	s_andn2_b64 vcc, exec, s[18:19]
	s_cbranch_vccz .LBB137_45
; %bb.39:
	s_andn2_b64 vcc, exec, s[16:17]
	s_cbranch_vccnz .LBB137_41
.LBB137_40:
	v_cmp_ge_f32_e32 vcc, v9, v13
	s_andn2_b64 s[6:7], s[6:7], exec
	s_and_b64 s[16:17], vcc, exec
	s_or_b64 s[6:7], s[6:7], s[16:17]
.LBB137_41:
	v_and_b32_e32 v9, 0xffff0000, v10
	v_and_b32_e32 v10, 0xffff0000, v14
	s_cmp_lt_i32 s13, 1
	s_mov_b64 s[18:19], 0
	s_cbranch_scc1 .LBB137_46
; %bb.42:
	s_cmp_gt_i32 s13, 1
	s_cbranch_scc0 .LBB137_47
; %bb.43:
	s_cmp_eq_u32 s13, 2
	s_cbranch_scc0 .LBB137_253
; %bb.44:
	v_cmp_le_f32_e64 s[16:17], v9, v10
	s_mov_b64 s[20:21], 0
	s_branch .LBB137_49
.LBB137_45:
	v_cmp_lt_f32_e32 vcc, v9, v13
	s_andn2_b64 s[6:7], s[6:7], exec
	s_and_b64 s[18:19], vcc, exec
	s_or_b64 s[6:7], s[6:7], s[18:19]
	s_cbranch_execz .LBB137_40
	s_branch .LBB137_41
.LBB137_46:
                                        ; implicit-def: $sgpr16_sgpr17
	s_mov_b64 s[20:21], 0
	s_cbranch_execnz .LBB137_50
	s_branch .LBB137_51
.LBB137_47:
	s_mov_b64 s[20:21], 0
                                        ; implicit-def: $sgpr16_sgpr17
	s_cbranch_execz .LBB137_49
; %bb.48:
	v_cmp_gt_f32_e32 vcc, v9, v10
	s_andn2_b64 s[16:17], s[16:17], exec
	s_and_b64 s[22:23], vcc, exec
	s_or_b64 s[16:17], s[16:17], s[22:23]
.LBB137_49:
	s_branch .LBB137_51
.LBB137_50:
	s_cmp_lg_u32 s13, 0
	s_mov_b64 s[18:19], -1
	s_cselect_b64 s[20:21], -1, 0
.LBB137_51:
	s_andn2_b64 vcc, exec, s[20:21]
	s_cbranch_vccz .LBB137_58
; %bb.52:
	s_andn2_b64 vcc, exec, s[18:19]
	s_cbranch_vccnz .LBB137_54
.LBB137_53:
	v_cmp_ge_f32_e32 vcc, v9, v10
	s_andn2_b64 s[16:17], s[16:17], exec
	s_and_b64 s[18:19], vcc, exec
	s_or_b64 s[16:17], s[16:17], s[18:19]
.LBB137_54:
	v_lshlrev_b32_e32 v9, 16, v11
	v_lshlrev_b32_e32 v10, 16, v15
	s_cmp_lt_i32 s13, 1
	s_mov_b64 s[20:21], 0
	s_cbranch_scc1 .LBB137_59
; %bb.55:
	s_cmp_gt_i32 s13, 1
	s_cbranch_scc0 .LBB137_60
; %bb.56:
	s_cmp_eq_u32 s13, 2
	s_cbranch_scc0 .LBB137_254
; %bb.57:
	v_cmp_le_f32_e64 s[18:19], v9, v10
	s_mov_b64 s[22:23], 0
	s_branch .LBB137_62
.LBB137_58:
	v_cmp_lt_f32_e32 vcc, v9, v10
	s_andn2_b64 s[16:17], s[16:17], exec
	s_and_b64 s[20:21], vcc, exec
	s_or_b64 s[16:17], s[16:17], s[20:21]
	s_cbranch_execz .LBB137_53
	s_branch .LBB137_54
.LBB137_59:
                                        ; implicit-def: $sgpr18_sgpr19
	s_mov_b64 s[22:23], 0
	s_cbranch_execnz .LBB137_63
	s_branch .LBB137_64
.LBB137_60:
	s_mov_b64 s[22:23], 0
                                        ; implicit-def: $sgpr18_sgpr19
	s_cbranch_execz .LBB137_62
; %bb.61:
	v_cmp_gt_f32_e32 vcc, v9, v10
	s_andn2_b64 s[18:19], s[18:19], exec
	s_and_b64 s[24:25], vcc, exec
	s_or_b64 s[18:19], s[18:19], s[24:25]
.LBB137_62:
	s_branch .LBB137_64
.LBB137_63:
	s_cmp_lg_u32 s13, 0
	s_mov_b64 s[20:21], -1
	s_cselect_b64 s[22:23], -1, 0
.LBB137_64:
	s_andn2_b64 vcc, exec, s[22:23]
	s_cbranch_vccz .LBB137_71
; %bb.65:
	s_andn2_b64 vcc, exec, s[20:21]
	s_cbranch_vccnz .LBB137_67
.LBB137_66:
	v_cmp_ge_f32_e32 vcc, v9, v10
	s_andn2_b64 s[18:19], s[18:19], exec
	s_and_b64 s[20:21], vcc, exec
	s_or_b64 s[18:19], s[18:19], s[20:21]
.LBB137_67:
	v_and_b32_e32 v9, 0xffff0000, v11
	v_and_b32_e32 v10, 0xffff0000, v15
	s_cmp_lt_i32 s13, 1
	s_mov_b64 s[22:23], 0
	s_cbranch_scc1 .LBB137_72
; %bb.68:
	s_cmp_gt_i32 s13, 1
	s_cbranch_scc0 .LBB137_73
; %bb.69:
	s_cmp_eq_u32 s13, 2
	s_cbranch_scc0 .LBB137_255
; %bb.70:
	v_cmp_le_f32_e64 s[20:21], v9, v10
	s_mov_b64 s[24:25], 0
	s_branch .LBB137_75
.LBB137_71:
	v_cmp_lt_f32_e32 vcc, v9, v10
	s_andn2_b64 s[18:19], s[18:19], exec
	s_and_b64 s[22:23], vcc, exec
	s_or_b64 s[18:19], s[18:19], s[22:23]
	s_cbranch_execz .LBB137_66
	s_branch .LBB137_67
.LBB137_72:
                                        ; implicit-def: $sgpr20_sgpr21
	s_mov_b64 s[24:25], 0
	s_cbranch_execnz .LBB137_76
	s_branch .LBB137_77
.LBB137_73:
	s_mov_b64 s[24:25], 0
                                        ; implicit-def: $sgpr20_sgpr21
	s_cbranch_execz .LBB137_75
; %bb.74:
	v_cmp_gt_f32_e32 vcc, v9, v10
	s_andn2_b64 s[20:21], s[20:21], exec
	s_and_b64 s[26:27], vcc, exec
	s_or_b64 s[20:21], s[20:21], s[26:27]
.LBB137_75:
	s_branch .LBB137_77
.LBB137_76:
	s_cmp_lg_u32 s13, 0
	s_mov_b64 s[22:23], -1
	s_cselect_b64 s[24:25], -1, 0
.LBB137_77:
	s_andn2_b64 vcc, exec, s[24:25]
	s_cbranch_vccz .LBB137_84
; %bb.78:
	s_andn2_b64 vcc, exec, s[22:23]
	s_cbranch_vccnz .LBB137_80
.LBB137_79:
	v_cmp_ge_f32_e32 vcc, v9, v10
	s_andn2_b64 s[20:21], s[20:21], exec
	s_and_b64 s[22:23], vcc, exec
	s_or_b64 s[20:21], s[20:21], s[22:23]
.LBB137_80:
	v_lshlrev_b32_e32 v9, 16, v12
	v_lshlrev_b32_e32 v10, 16, v16
	s_cmp_lt_i32 s13, 1
	s_mov_b64 s[24:25], 0
	s_cbranch_scc1 .LBB137_85
; %bb.81:
	s_cmp_gt_i32 s13, 1
	s_cbranch_scc0 .LBB137_86
; %bb.82:
	s_cmp_eq_u32 s13, 2
	s_cbranch_scc0 .LBB137_256
; %bb.83:
	v_cmp_le_f32_e64 s[22:23], v9, v10
	s_mov_b64 s[26:27], 0
	s_branch .LBB137_88
.LBB137_84:
	v_cmp_lt_f32_e32 vcc, v9, v10
	s_andn2_b64 s[20:21], s[20:21], exec
	s_and_b64 s[24:25], vcc, exec
	s_or_b64 s[20:21], s[20:21], s[24:25]
	s_cbranch_execz .LBB137_79
	s_branch .LBB137_80
.LBB137_85:
                                        ; implicit-def: $sgpr22_sgpr23
	s_mov_b64 s[26:27], 0
	s_cbranch_execnz .LBB137_89
	s_branch .LBB137_90
.LBB137_86:
	s_mov_b64 s[26:27], 0
                                        ; implicit-def: $sgpr22_sgpr23
	s_cbranch_execz .LBB137_88
; %bb.87:
	v_cmp_gt_f32_e32 vcc, v9, v10
	s_andn2_b64 s[22:23], s[22:23], exec
	s_and_b64 s[28:29], vcc, exec
	s_or_b64 s[22:23], s[22:23], s[28:29]
.LBB137_88:
	s_branch .LBB137_90
.LBB137_89:
	s_cmp_lg_u32 s13, 0
	s_mov_b64 s[24:25], -1
	s_cselect_b64 s[26:27], -1, 0
.LBB137_90:
	s_andn2_b64 vcc, exec, s[26:27]
	s_cbranch_vccz .LBB137_97
; %bb.91:
	s_andn2_b64 vcc, exec, s[24:25]
	s_cbranch_vccnz .LBB137_93
.LBB137_92:
	v_cmp_ge_f32_e32 vcc, v9, v10
	s_andn2_b64 s[22:23], s[22:23], exec
	s_and_b64 s[24:25], vcc, exec
	s_or_b64 s[22:23], s[22:23], s[24:25]
.LBB137_93:
	v_and_b32_e32 v9, 0xffff0000, v12
	v_and_b32_e32 v10, 0xffff0000, v16
	s_cmp_lt_i32 s13, 1
	s_mov_b64 s[26:27], 0
	s_cbranch_scc1 .LBB137_98
; %bb.94:
	s_cmp_gt_i32 s13, 1
	s_cbranch_scc0 .LBB137_99
; %bb.95:
	s_cmp_eq_u32 s13, 2
	s_cbranch_scc0 .LBB137_257
; %bb.96:
	v_cmp_le_f32_e64 s[24:25], v9, v10
	s_mov_b64 s[28:29], 0
	s_branch .LBB137_101
.LBB137_97:
	v_cmp_lt_f32_e32 vcc, v9, v10
	s_andn2_b64 s[22:23], s[22:23], exec
	s_and_b64 s[26:27], vcc, exec
	s_or_b64 s[22:23], s[22:23], s[26:27]
	s_cbranch_execz .LBB137_92
	s_branch .LBB137_93
.LBB137_98:
                                        ; implicit-def: $sgpr24_sgpr25
	s_mov_b64 s[28:29], 0
	s_cbranch_execnz .LBB137_102
	s_branch .LBB137_103
.LBB137_99:
	s_mov_b64 s[28:29], 0
                                        ; implicit-def: $sgpr24_sgpr25
	s_cbranch_execz .LBB137_101
; %bb.100:
	v_cmp_gt_f32_e32 vcc, v9, v10
	s_andn2_b64 s[24:25], s[24:25], exec
	s_and_b64 s[30:31], vcc, exec
	s_or_b64 s[24:25], s[24:25], s[30:31]
.LBB137_101:
	s_branch .LBB137_103
.LBB137_102:
	s_cmp_lg_u32 s13, 0
	s_mov_b64 s[26:27], -1
	s_cselect_b64 s[28:29], -1, 0
.LBB137_103:
	s_andn2_b64 vcc, exec, s[28:29]
	s_cbranch_vccz .LBB137_110
; %bb.104:
	s_andn2_b64 vcc, exec, s[26:27]
	s_cbranch_vccnz .LBB137_106
.LBB137_105:
	v_cmp_ge_f32_e32 vcc, v9, v10
	s_andn2_b64 s[24:25], s[24:25], exec
	s_and_b64 s[26:27], vcc, exec
	s_or_b64 s[24:25], s[24:25], s[26:27]
.LBB137_106:
	v_lshlrev_b32_e32 v9, 16, v1
	s_waitcnt vmcnt(0)
	v_lshlrev_b32_e32 v10, 16, v5
	s_cmp_lt_i32 s13, 1
	s_mov_b64 s[28:29], 0
	s_cbranch_scc1 .LBB137_111
; %bb.107:
	s_cmp_gt_i32 s13, 1
	s_cbranch_scc0 .LBB137_112
; %bb.108:
	s_cmp_eq_u32 s13, 2
	s_cbranch_scc0 .LBB137_258
; %bb.109:
	v_cmp_le_f32_e64 s[26:27], v9, v10
	s_mov_b64 s[30:31], 0
	s_branch .LBB137_114
.LBB137_110:
	v_cmp_lt_f32_e32 vcc, v9, v10
	s_andn2_b64 s[24:25], s[24:25], exec
	s_and_b64 s[28:29], vcc, exec
	s_or_b64 s[24:25], s[24:25], s[28:29]
	s_cbranch_execz .LBB137_105
	s_branch .LBB137_106
.LBB137_111:
                                        ; implicit-def: $sgpr26_sgpr27
	s_mov_b64 s[30:31], 0
	s_cbranch_execnz .LBB137_115
	s_branch .LBB137_116
.LBB137_112:
	s_mov_b64 s[30:31], 0
                                        ; implicit-def: $sgpr26_sgpr27
	s_cbranch_execz .LBB137_114
; %bb.113:
	v_cmp_gt_f32_e32 vcc, v9, v10
	s_andn2_b64 s[26:27], s[26:27], exec
	s_and_b64 s[34:35], vcc, exec
	s_or_b64 s[26:27], s[26:27], s[34:35]
.LBB137_114:
	s_branch .LBB137_116
.LBB137_115:
	s_cmp_lg_u32 s13, 0
	s_mov_b64 s[28:29], -1
	s_cselect_b64 s[30:31], -1, 0
.LBB137_116:
	s_andn2_b64 vcc, exec, s[30:31]
	s_cbranch_vccz .LBB137_123
; %bb.117:
	s_andn2_b64 vcc, exec, s[28:29]
	s_cbranch_vccnz .LBB137_119
.LBB137_118:
	v_cmp_ge_f32_e32 vcc, v9, v10
	s_andn2_b64 s[26:27], s[26:27], exec
	s_and_b64 s[28:29], vcc, exec
	s_or_b64 s[26:27], s[26:27], s[28:29]
.LBB137_119:
	v_and_b32_e32 v1, 0xffff0000, v1
	v_and_b32_e32 v5, 0xffff0000, v5
	s_cmp_lt_i32 s13, 1
	s_mov_b64 s[30:31], 0
	s_cbranch_scc1 .LBB137_124
; %bb.120:
	s_cmp_gt_i32 s13, 1
	s_cbranch_scc0 .LBB137_125
; %bb.121:
	s_cmp_eq_u32 s13, 2
	s_cbranch_scc0 .LBB137_259
; %bb.122:
	v_cmp_le_f32_e64 s[28:29], v1, v5
	s_mov_b64 s[34:35], 0
	s_branch .LBB137_127
.LBB137_123:
	v_cmp_lt_f32_e32 vcc, v9, v10
	s_andn2_b64 s[26:27], s[26:27], exec
	s_and_b64 s[30:31], vcc, exec
	s_or_b64 s[26:27], s[26:27], s[30:31]
	s_cbranch_execz .LBB137_118
	s_branch .LBB137_119
.LBB137_124:
                                        ; implicit-def: $sgpr28_sgpr29
	s_mov_b64 s[34:35], 0
	s_cbranch_execnz .LBB137_128
	s_branch .LBB137_129
.LBB137_125:
	s_mov_b64 s[34:35], 0
                                        ; implicit-def: $sgpr28_sgpr29
	s_cbranch_execz .LBB137_127
; %bb.126:
	v_cmp_gt_f32_e32 vcc, v1, v5
	s_andn2_b64 s[28:29], s[28:29], exec
	s_and_b64 s[36:37], vcc, exec
	s_or_b64 s[28:29], s[28:29], s[36:37]
.LBB137_127:
	s_branch .LBB137_129
.LBB137_128:
	s_cmp_lg_u32 s13, 0
	s_mov_b64 s[30:31], -1
	s_cselect_b64 s[34:35], -1, 0
.LBB137_129:
	s_andn2_b64 vcc, exec, s[34:35]
	s_cbranch_vccz .LBB137_136
; %bb.130:
	s_andn2_b64 vcc, exec, s[30:31]
	s_cbranch_vccnz .LBB137_132
.LBB137_131:
	v_cmp_ge_f32_e32 vcc, v1, v5
	s_andn2_b64 s[28:29], s[28:29], exec
	s_and_b64 s[30:31], vcc, exec
	s_or_b64 s[28:29], s[28:29], s[30:31]
.LBB137_132:
	v_lshlrev_b32_e32 v1, 16, v2
	v_lshlrev_b32_e32 v5, 16, v6
	s_cmp_lt_i32 s13, 1
	s_mov_b64 s[34:35], 0
	s_cbranch_scc1 .LBB137_137
; %bb.133:
	s_cmp_gt_i32 s13, 1
	s_cbranch_scc0 .LBB137_138
; %bb.134:
	s_cmp_eq_u32 s13, 2
	s_cbranch_scc0 .LBB137_260
; %bb.135:
	v_cmp_le_f32_e64 s[30:31], v1, v5
	s_mov_b64 s[36:37], 0
	s_branch .LBB137_140
.LBB137_136:
	v_cmp_lt_f32_e32 vcc, v1, v5
	s_andn2_b64 s[28:29], s[28:29], exec
	s_and_b64 s[34:35], vcc, exec
	s_or_b64 s[28:29], s[28:29], s[34:35]
	s_cbranch_execz .LBB137_131
	s_branch .LBB137_132
.LBB137_137:
                                        ; implicit-def: $sgpr30_sgpr31
	s_mov_b64 s[36:37], 0
	s_cbranch_execnz .LBB137_141
	s_branch .LBB137_142
.LBB137_138:
	s_mov_b64 s[36:37], 0
                                        ; implicit-def: $sgpr30_sgpr31
	s_cbranch_execz .LBB137_140
; %bb.139:
	v_cmp_gt_f32_e32 vcc, v1, v5
	s_andn2_b64 s[30:31], s[30:31], exec
	s_and_b64 s[38:39], vcc, exec
	s_or_b64 s[30:31], s[30:31], s[38:39]
.LBB137_140:
	s_branch .LBB137_142
.LBB137_141:
	s_cmp_lg_u32 s13, 0
	s_mov_b64 s[34:35], -1
	s_cselect_b64 s[36:37], -1, 0
.LBB137_142:
	s_andn2_b64 vcc, exec, s[36:37]
	s_cbranch_vccz .LBB137_149
; %bb.143:
	s_andn2_b64 vcc, exec, s[34:35]
	s_cbranch_vccnz .LBB137_145
.LBB137_144:
	v_cmp_ge_f32_e32 vcc, v1, v5
	s_andn2_b64 s[30:31], s[30:31], exec
	s_and_b64 s[34:35], vcc, exec
	s_or_b64 s[30:31], s[30:31], s[34:35]
.LBB137_145:
	v_and_b32_e32 v1, 0xffff0000, v2
	v_and_b32_e32 v2, 0xffff0000, v6
	s_cmp_lt_i32 s13, 1
	s_mov_b64 s[36:37], 0
	s_cbranch_scc1 .LBB137_150
; %bb.146:
	s_cmp_gt_i32 s13, 1
	s_cbranch_scc0 .LBB137_151
; %bb.147:
	s_cmp_eq_u32 s13, 2
	s_cbranch_scc0 .LBB137_261
; %bb.148:
	v_cmp_le_f32_e64 s[34:35], v1, v2
	s_mov_b64 s[38:39], 0
	s_branch .LBB137_153
.LBB137_149:
	v_cmp_lt_f32_e32 vcc, v1, v5
	s_andn2_b64 s[30:31], s[30:31], exec
	s_and_b64 s[36:37], vcc, exec
	s_or_b64 s[30:31], s[30:31], s[36:37]
	s_cbranch_execz .LBB137_144
	s_branch .LBB137_145
.LBB137_150:
                                        ; implicit-def: $sgpr34_sgpr35
	s_mov_b64 s[38:39], 0
	s_cbranch_execnz .LBB137_154
	s_branch .LBB137_155
.LBB137_151:
	s_mov_b64 s[38:39], 0
                                        ; implicit-def: $sgpr34_sgpr35
	s_cbranch_execz .LBB137_153
; %bb.152:
	v_cmp_gt_f32_e32 vcc, v1, v2
	s_andn2_b64 s[34:35], s[34:35], exec
	s_and_b64 s[40:41], vcc, exec
	s_or_b64 s[34:35], s[34:35], s[40:41]
.LBB137_153:
	s_branch .LBB137_155
.LBB137_154:
	s_cmp_lg_u32 s13, 0
	s_mov_b64 s[36:37], -1
	s_cselect_b64 s[38:39], -1, 0
.LBB137_155:
	s_andn2_b64 vcc, exec, s[38:39]
	s_cbranch_vccz .LBB137_162
; %bb.156:
	s_andn2_b64 vcc, exec, s[36:37]
	s_cbranch_vccnz .LBB137_158
.LBB137_157:
	v_cmp_ge_f32_e32 vcc, v1, v2
	s_andn2_b64 s[34:35], s[34:35], exec
	s_and_b64 s[36:37], vcc, exec
	s_or_b64 s[34:35], s[34:35], s[36:37]
.LBB137_158:
	v_lshlrev_b32_e32 v1, 16, v3
	v_lshlrev_b32_e32 v2, 16, v7
	s_cmp_lt_i32 s13, 1
	s_mov_b64 s[38:39], 0
	s_cbranch_scc1 .LBB137_163
; %bb.159:
	s_cmp_gt_i32 s13, 1
	s_cbranch_scc0 .LBB137_164
; %bb.160:
	s_cmp_eq_u32 s13, 2
	s_cbranch_scc0 .LBB137_262
; %bb.161:
	v_cmp_le_f32_e64 s[36:37], v1, v2
	s_mov_b64 s[40:41], 0
	s_branch .LBB137_166
.LBB137_162:
	v_cmp_lt_f32_e32 vcc, v1, v2
	s_andn2_b64 s[34:35], s[34:35], exec
	s_and_b64 s[38:39], vcc, exec
	s_or_b64 s[34:35], s[34:35], s[38:39]
	s_cbranch_execz .LBB137_157
	s_branch .LBB137_158
.LBB137_163:
                                        ; implicit-def: $sgpr36_sgpr37
	s_mov_b64 s[40:41], 0
	s_cbranch_execnz .LBB137_167
	s_branch .LBB137_168
.LBB137_164:
	s_mov_b64 s[40:41], 0
                                        ; implicit-def: $sgpr36_sgpr37
	s_cbranch_execz .LBB137_166
; %bb.165:
	v_cmp_gt_f32_e32 vcc, v1, v2
	s_andn2_b64 s[36:37], s[36:37], exec
	s_and_b64 s[42:43], vcc, exec
	s_or_b64 s[36:37], s[36:37], s[42:43]
.LBB137_166:
	s_branch .LBB137_168
.LBB137_167:
	s_cmp_lg_u32 s13, 0
	s_mov_b64 s[38:39], -1
	s_cselect_b64 s[40:41], -1, 0
.LBB137_168:
	s_andn2_b64 vcc, exec, s[40:41]
	s_cbranch_vccz .LBB137_175
; %bb.169:
	s_andn2_b64 vcc, exec, s[38:39]
	s_cbranch_vccnz .LBB137_171
.LBB137_170:
	v_cmp_ge_f32_e32 vcc, v1, v2
	s_andn2_b64 s[36:37], s[36:37], exec
	s_and_b64 s[38:39], vcc, exec
	s_or_b64 s[36:37], s[36:37], s[38:39]
.LBB137_171:
	v_and_b32_e32 v1, 0xffff0000, v3
	v_and_b32_e32 v2, 0xffff0000, v7
	s_cmp_lt_i32 s13, 1
	s_mov_b64 s[40:41], 0
	s_cbranch_scc1 .LBB137_176
; %bb.172:
	s_cmp_gt_i32 s13, 1
	s_cbranch_scc0 .LBB137_177
; %bb.173:
	s_cmp_eq_u32 s13, 2
	s_cbranch_scc0 .LBB137_263
; %bb.174:
	v_cmp_le_f32_e64 s[38:39], v1, v2
	s_mov_b64 s[42:43], 0
	s_branch .LBB137_179
.LBB137_175:
	v_cmp_lt_f32_e32 vcc, v1, v2
	s_andn2_b64 s[36:37], s[36:37], exec
	s_and_b64 s[40:41], vcc, exec
	s_or_b64 s[36:37], s[36:37], s[40:41]
	s_cbranch_execz .LBB137_170
	s_branch .LBB137_171
.LBB137_176:
                                        ; implicit-def: $sgpr38_sgpr39
	s_mov_b64 s[42:43], 0
	s_cbranch_execnz .LBB137_180
	s_branch .LBB137_181
.LBB137_177:
	s_mov_b64 s[42:43], 0
                                        ; implicit-def: $sgpr38_sgpr39
	s_cbranch_execz .LBB137_179
; %bb.178:
	v_cmp_gt_f32_e32 vcc, v1, v2
	s_andn2_b64 s[38:39], s[38:39], exec
	s_and_b64 s[44:45], vcc, exec
	s_or_b64 s[38:39], s[38:39], s[44:45]
.LBB137_179:
	s_branch .LBB137_181
.LBB137_180:
	s_cmp_lg_u32 s13, 0
	s_mov_b64 s[40:41], -1
	s_cselect_b64 s[42:43], -1, 0
.LBB137_181:
	s_andn2_b64 vcc, exec, s[42:43]
	s_cbranch_vccz .LBB137_188
; %bb.182:
	s_andn2_b64 vcc, exec, s[40:41]
	s_cbranch_vccnz .LBB137_184
.LBB137_183:
	v_cmp_ge_f32_e32 vcc, v1, v2
	s_andn2_b64 s[38:39], s[38:39], exec
	s_and_b64 s[40:41], vcc, exec
	s_or_b64 s[38:39], s[38:39], s[40:41]
.LBB137_184:
	v_lshlrev_b32_e32 v1, 16, v4
	v_lshlrev_b32_e32 v2, 16, v8
	s_cmp_lt_i32 s13, 1
	s_mov_b64 s[42:43], 0
	s_cbranch_scc1 .LBB137_189
; %bb.185:
	s_cmp_gt_i32 s13, 1
	s_cbranch_scc0 .LBB137_190
; %bb.186:
	s_cmp_eq_u32 s13, 2
	s_cbranch_scc0 .LBB137_264
; %bb.187:
	v_cmp_le_f32_e64 s[40:41], v1, v2
	s_mov_b64 s[44:45], 0
	s_branch .LBB137_192
.LBB137_188:
	v_cmp_lt_f32_e32 vcc, v1, v2
	s_andn2_b64 s[38:39], s[38:39], exec
	s_and_b64 s[42:43], vcc, exec
	s_or_b64 s[38:39], s[38:39], s[42:43]
	s_cbranch_execz .LBB137_183
	s_branch .LBB137_184
.LBB137_189:
                                        ; implicit-def: $sgpr40_sgpr41
	s_mov_b64 s[44:45], 0
	s_cbranch_execnz .LBB137_193
	s_branch .LBB137_194
.LBB137_190:
	s_mov_b64 s[44:45], 0
                                        ; implicit-def: $sgpr40_sgpr41
	s_cbranch_execz .LBB137_192
; %bb.191:
	v_cmp_gt_f32_e32 vcc, v1, v2
	s_andn2_b64 s[40:41], s[40:41], exec
	s_and_b64 s[46:47], vcc, exec
	s_or_b64 s[40:41], s[40:41], s[46:47]
.LBB137_192:
	s_branch .LBB137_194
.LBB137_193:
	s_cmp_lg_u32 s13, 0
	s_mov_b64 s[42:43], -1
	s_cselect_b64 s[44:45], -1, 0
.LBB137_194:
	s_andn2_b64 vcc, exec, s[44:45]
	s_cbranch_vccz .LBB137_201
; %bb.195:
	s_andn2_b64 vcc, exec, s[42:43]
	s_cbranch_vccnz .LBB137_197
.LBB137_196:
	v_cmp_ge_f32_e32 vcc, v1, v2
	s_andn2_b64 s[40:41], s[40:41], exec
	s_and_b64 s[42:43], vcc, exec
	s_or_b64 s[40:41], s[40:41], s[42:43]
.LBB137_197:
	v_and_b32_e32 v1, 0xffff0000, v4
	v_and_b32_e32 v2, 0xffff0000, v8
	s_cmp_lt_i32 s13, 1
	s_mov_b64 s[44:45], 0
	s_cbranch_scc1 .LBB137_202
; %bb.198:
	s_cmp_gt_i32 s13, 1
	s_cbranch_scc0 .LBB137_203
; %bb.199:
	s_cmp_eq_u32 s13, 2
	s_cbranch_scc0 .LBB137_265
; %bb.200:
	v_cmp_le_f32_e64 s[42:43], v1, v2
	s_mov_b64 s[46:47], 0
	s_branch .LBB137_205
.LBB137_201:
	v_cmp_lt_f32_e32 vcc, v1, v2
	s_andn2_b64 s[40:41], s[40:41], exec
	s_and_b64 s[44:45], vcc, exec
	s_or_b64 s[40:41], s[40:41], s[44:45]
	s_cbranch_execz .LBB137_196
	s_branch .LBB137_197
.LBB137_202:
                                        ; implicit-def: $sgpr42_sgpr43
	s_mov_b64 s[46:47], 0
	s_cbranch_execnz .LBB137_206
	s_branch .LBB137_207
.LBB137_203:
	s_mov_b64 s[46:47], 0
                                        ; implicit-def: $sgpr42_sgpr43
	s_cbranch_execz .LBB137_205
; %bb.204:
	v_cmp_gt_f32_e32 vcc, v1, v2
	s_andn2_b64 s[42:43], s[42:43], exec
	s_and_b64 s[48:49], vcc, exec
	s_or_b64 s[42:43], s[42:43], s[48:49]
.LBB137_205:
	s_branch .LBB137_207
.LBB137_206:
	s_cmp_lg_u32 s13, 0
	s_mov_b64 s[44:45], -1
	s_cselect_b64 s[46:47], -1, 0
.LBB137_207:
	s_andn2_b64 vcc, exec, s[46:47]
	s_cbranch_vccz .LBB137_249
; %bb.208:
	s_andn2_b64 vcc, exec, s[44:45]
	s_cbranch_vccnz .LBB137_210
.LBB137_209:
	v_cmp_ge_f32_e32 vcc, v1, v2
	s_andn2_b64 s[42:43], s[42:43], exec
	s_and_b64 s[44:45], vcc, exec
	s_or_b64 s[42:43], s[42:43], s[44:45]
.LBB137_210:
	v_mov_b32_e32 v1, 0x100
	v_cndmask_b32_e64 v2, 0, v1, s[28:29]
	v_cndmask_b32_e64 v3, 0, 1, s[26:27]
	v_or_b32_e32 v2, v2, v3
	v_mov_b32_e32 v3, 0x10000
	v_mov_b32_e32 v5, 0x1000000
	v_cndmask_b32_e64 v4, 0, v3, s[30:31]
	v_cndmask_b32_e64 v6, 0, v5, s[34:35]
	v_or3_b32 v7, 0, 0, 0
	v_or3_b32 v2, v2, v4, v6
	v_cndmask_b32_e64 v4, 0, 1, s[36:37]
	v_cndmask_b32_e64 v6, 0, v1, s[38:39]
	v_or3_b32 v4, v7, v4, v6
	v_or3_b32 v6, v2, 0, 0
	v_cndmask_b32_e64 v2, 0, v1, s[4:5]
	v_cndmask_b32_e64 v9, 0, 1, s[0:1]
	v_or_b32_e32 v2, v2, v9
	v_cndmask_b32_e64 v9, 0, v3, s[6:7]
	v_cndmask_b32_e64 v10, 0, v5, s[16:17]
	v_or3_b32 v2, v2, v9, v10
	v_cndmask_b32_e64 v9, 0, 1, s[18:19]
	v_cndmask_b32_e64 v1, 0, v1, s[20:21]
	;; [unrolled: 1-line block ×3, first 2 shown]
	v_or3_b32 v1, v7, v9, v1
	v_or3_b32 v7, v2, 0, 0
	v_cndmask_b32_e64 v2, 0, v3, s[22:23]
	v_cndmask_b32_e64 v3, 0, v5, s[24:25]
	s_add_u32 s0, s8, s2
	v_or3_b32 v2, v1, v2, v3
	v_or3_b32 v1, v7, 0, 0
	v_cndmask_b32_e64 v3, 0, v5, s[42:43]
	s_addc_u32 s1, s9, s3
	v_lshlrev_b32_e32 v5, 3, v0
	v_or3_b32 v4, v4, v8, v3
	v_or3_b32 v3, v6, 0, 0
	global_store_dwordx2 v5, v[1:2], s[0:1]
	global_store_dwordx2 v5, v[3:4], s[0:1] offset:2048
	s_mov_b64 s[0:1], 0
.LBB137_211:
	s_and_b64 vcc, exec, s[0:1]
	s_cbranch_vccz .LBB137_519
; %bb.212:
	v_cmp_gt_i32_e64 s[0:1], s12, v0
	v_mov_b32_e32 v14, 0
	v_or_b32_e32 v1, s2, v0
	v_mov_b32_e32 v6, v0
	v_mov_b32_e32 v7, 0
	;; [unrolled: 1-line block ×3, first 2 shown]
	s_and_saveexec_b64 s[4:5], s[0:1]
	s_cbranch_execz .LBB137_214
; %bb.213:
	v_mov_b32_e32 v2, 0
	v_lshlrev_b64 v[2:3], 1, v[1:2]
	v_mov_b32_e32 v5, s15
	v_add_co_u32_e32 v4, vcc, s14, v2
	v_addc_co_u32_e32 v5, vcc, v5, v3, vcc
	v_mov_b32_e32 v6, s11
	v_add_co_u32_e32 v2, vcc, s10, v2
	v_addc_co_u32_e32 v3, vcc, v6, v3, vcc
	global_load_ushort v7, v[2:3], off
	global_load_ushort v8, v[4:5], off
	v_or_b32_e32 v6, 0x100, v0
	s_waitcnt vmcnt(1)
	v_lshlrev_b32_e32 v7, 16, v7
	s_waitcnt vmcnt(0)
	v_lshlrev_b32_e32 v10, 16, v8
.LBB137_214:
	s_or_b64 exec, exec, s[4:5]
	v_cmp_gt_i32_e32 vcc, s12, v6
	v_mov_b32_e32 v34, 0
	s_and_saveexec_b64 s[4:5], vcc
	s_cbranch_execz .LBB137_216
; %bb.215:
	v_add_u32_e32 v2, s2, v6
	v_mov_b32_e32 v3, 0
	v_lshlrev_b64 v[2:3], 1, v[2:3]
	v_mov_b32_e32 v5, s15
	v_add_co_u32_e32 v4, vcc, s14, v2
	v_addc_co_u32_e32 v5, vcc, v5, v3, vcc
	v_mov_b32_e32 v8, s11
	v_add_co_u32_e32 v2, vcc, s10, v2
	v_addc_co_u32_e32 v3, vcc, v8, v3, vcc
	global_load_ushort v8, v[2:3], off
	global_load_ushort v9, v[4:5], off
	v_add_u32_e32 v6, 0x100, v6
	s_waitcnt vmcnt(1)
	v_lshlrev_b32_e32 v14, 16, v8
	s_waitcnt vmcnt(0)
	v_lshlrev_b32_e32 v34, 16, v9
.LBB137_216:
	s_or_b64 exec, exec, s[4:5]
	v_cmp_gt_i32_e32 vcc, s12, v6
	v_mov_b32_e32 v21, 0
	v_mov_b32_e32 v18, 0
	v_mov_b32_e32 v33, 0
	s_and_saveexec_b64 s[4:5], vcc
	s_cbranch_execz .LBB137_218
; %bb.217:
	v_add_u32_e32 v2, s2, v6
	v_mov_b32_e32 v3, 0
	v_lshlrev_b64 v[2:3], 1, v[2:3]
	v_mov_b32_e32 v5, s15
	v_add_co_u32_e32 v4, vcc, s14, v2
	v_addc_co_u32_e32 v5, vcc, v5, v3, vcc
	v_mov_b32_e32 v8, s11
	v_add_co_u32_e32 v2, vcc, s10, v2
	v_addc_co_u32_e32 v3, vcc, v8, v3, vcc
	global_load_ushort v8, v[2:3], off
	global_load_ushort v9, v[4:5], off
	v_add_u32_e32 v6, 0x100, v6
	s_waitcnt vmcnt(1)
	v_lshlrev_b32_e32 v18, 16, v8
	s_waitcnt vmcnt(0)
	v_lshlrev_b32_e32 v33, 16, v9
.LBB137_218:
	s_or_b64 exec, exec, s[4:5]
	v_cmp_gt_i32_e32 vcc, s12, v6
	v_mov_b32_e32 v32, 0
	s_and_saveexec_b64 s[4:5], vcc
	s_cbranch_execz .LBB137_220
; %bb.219:
	v_add_u32_e32 v2, s2, v6
	v_mov_b32_e32 v3, 0
	v_lshlrev_b64 v[2:3], 1, v[2:3]
	v_mov_b32_e32 v5, s15
	v_add_co_u32_e32 v4, vcc, s14, v2
	v_addc_co_u32_e32 v5, vcc, v5, v3, vcc
	v_mov_b32_e32 v8, s11
	v_add_co_u32_e32 v2, vcc, s10, v2
	v_addc_co_u32_e32 v3, vcc, v8, v3, vcc
	global_load_ushort v8, v[2:3], off
	global_load_ushort v9, v[4:5], off
	v_add_u32_e32 v6, 0x100, v6
	s_waitcnt vmcnt(1)
	v_lshlrev_b32_e32 v21, 16, v8
	s_waitcnt vmcnt(0)
	v_lshlrev_b32_e32 v32, 16, v9
.LBB137_220:
	s_or_b64 exec, exec, s[4:5]
	v_cmp_gt_i32_e32 vcc, s12, v6
	v_mov_b32_e32 v27, 0
	v_mov_b32_e32 v25, 0
	v_mov_b32_e32 v31, 0
	s_and_saveexec_b64 s[4:5], vcc
	s_cbranch_execz .LBB137_222
; %bb.221:
	v_add_u32_e32 v2, s2, v6
	v_mov_b32_e32 v3, 0
	v_lshlrev_b64 v[2:3], 1, v[2:3]
	v_mov_b32_e32 v5, s15
	v_add_co_u32_e32 v4, vcc, s14, v2
	v_addc_co_u32_e32 v5, vcc, v5, v3, vcc
	v_mov_b32_e32 v8, s11
	v_add_co_u32_e32 v2, vcc, s10, v2
	v_addc_co_u32_e32 v3, vcc, v8, v3, vcc
	global_load_ushort v8, v[2:3], off
	global_load_ushort v9, v[4:5], off
	v_add_u32_e32 v6, 0x100, v6
	s_waitcnt vmcnt(1)
	v_lshlrev_b32_e32 v25, 16, v8
	s_waitcnt vmcnt(0)
	v_lshlrev_b32_e32 v31, 16, v9
.LBB137_222:
	;; [unrolled: 48-line block ×7, first 2 shown]
	s_or_b64 exec, exec, s[4:5]
	v_cmp_gt_i32_e32 vcc, s12, v6
	v_mov_b32_e32 v3, 0
	s_and_saveexec_b64 s[4:5], vcc
	s_cbranch_execz .LBB137_244
; %bb.243:
	v_add_u32_e32 v2, s2, v6
	v_mov_b32_e32 v3, 0
	v_lshlrev_b64 v[2:3], 1, v[2:3]
	v_mov_b32_e32 v6, s15
	v_add_co_u32_e32 v35, vcc, s14, v2
	v_addc_co_u32_e32 v36, vcc, v6, v3, vcc
	v_mov_b32_e32 v6, s11
	v_add_co_u32_e32 v2, vcc, s10, v2
	v_addc_co_u32_e32 v3, vcc, v6, v3, vcc
	global_load_ushort v6, v[2:3], off
	global_load_ushort v37, v[35:36], off
	s_waitcnt vmcnt(1)
	v_lshlrev_b32_e32 v2, 16, v6
	s_waitcnt vmcnt(0)
	v_lshlrev_b32_e32 v3, 16, v37
.LBB137_244:
	s_or_b64 exec, exec, s[4:5]
                                        ; implicit-def: $vgpr6
	s_and_saveexec_b64 s[4:5], s[0:1]
	s_cbranch_execz .LBB137_276
; %bb.245:
	s_cmp_lt_i32 s13, 1
	s_mov_b64 s[6:7], 0
	s_cbranch_scc1 .LBB137_250
; %bb.246:
	s_cmp_gt_i32 s13, 1
	s_cbranch_scc0 .LBB137_266
; %bb.247:
	s_cmp_eq_u32 s13, 2
	s_cbranch_scc0 .LBB137_267
; %bb.248:
	v_cmp_le_f32_e64 s[10:11], v7, v10
	s_mov_b64 s[14:15], 0
	s_branch .LBB137_268
.LBB137_249:
	v_cmp_lt_f32_e32 vcc, v1, v2
	s_andn2_b64 s[42:43], s[42:43], exec
	s_and_b64 s[46:47], vcc, exec
	s_or_b64 s[42:43], s[42:43], s[46:47]
	s_cbranch_execz .LBB137_209
	s_branch .LBB137_210
.LBB137_250:
                                        ; implicit-def: $sgpr10_sgpr11
	s_mov_b64 s[14:15], 0
	s_cbranch_execnz .LBB137_271
	s_branch .LBB137_272
.LBB137_251:
	s_mov_b64 s[16:17], -1
                                        ; implicit-def: $sgpr4_sgpr5
	s_branch .LBB137_23
.LBB137_252:
	s_mov_b64 s[18:19], -1
                                        ; implicit-def: $sgpr6_sgpr7
	s_branch .LBB137_36
.LBB137_253:
	s_mov_b64 s[20:21], -1
                                        ; implicit-def: $sgpr16_sgpr17
	s_branch .LBB137_49
.LBB137_254:
	s_mov_b64 s[22:23], -1
                                        ; implicit-def: $sgpr18_sgpr19
	s_branch .LBB137_62
.LBB137_255:
	s_mov_b64 s[24:25], -1
                                        ; implicit-def: $sgpr20_sgpr21
	s_branch .LBB137_75
.LBB137_256:
	s_mov_b64 s[26:27], -1
                                        ; implicit-def: $sgpr22_sgpr23
	s_branch .LBB137_88
.LBB137_257:
	s_mov_b64 s[28:29], -1
                                        ; implicit-def: $sgpr24_sgpr25
	s_branch .LBB137_101
.LBB137_258:
	s_mov_b64 s[30:31], -1
                                        ; implicit-def: $sgpr26_sgpr27
	s_branch .LBB137_114
.LBB137_259:
	s_mov_b64 s[34:35], -1
                                        ; implicit-def: $sgpr28_sgpr29
	s_branch .LBB137_127
.LBB137_260:
	s_mov_b64 s[36:37], -1
                                        ; implicit-def: $sgpr30_sgpr31
	s_branch .LBB137_140
.LBB137_261:
	s_mov_b64 s[38:39], -1
                                        ; implicit-def: $sgpr34_sgpr35
	s_branch .LBB137_153
.LBB137_262:
	s_mov_b64 s[40:41], -1
                                        ; implicit-def: $sgpr36_sgpr37
	s_branch .LBB137_166
.LBB137_263:
	s_mov_b64 s[42:43], -1
                                        ; implicit-def: $sgpr38_sgpr39
	s_branch .LBB137_179
.LBB137_264:
	s_mov_b64 s[44:45], -1
                                        ; implicit-def: $sgpr40_sgpr41
	s_branch .LBB137_192
.LBB137_265:
	s_mov_b64 s[46:47], -1
                                        ; implicit-def: $sgpr42_sgpr43
	s_branch .LBB137_205
.LBB137_266:
	s_mov_b64 s[14:15], 0
                                        ; implicit-def: $sgpr10_sgpr11
	s_cbranch_execnz .LBB137_269
	s_branch .LBB137_270
.LBB137_267:
	s_mov_b64 s[14:15], -1
                                        ; implicit-def: $sgpr10_sgpr11
.LBB137_268:
	s_branch .LBB137_270
.LBB137_269:
	v_cmp_gt_f32_e32 vcc, v7, v10
	s_andn2_b64 s[10:11], s[10:11], exec
	s_and_b64 s[16:17], vcc, exec
	s_or_b64 s[10:11], s[10:11], s[16:17]
.LBB137_270:
	s_branch .LBB137_272
.LBB137_271:
	s_cmp_lg_u32 s13, 0
	s_mov_b64 s[6:7], -1
	s_cselect_b64 s[14:15], -1, 0
.LBB137_272:
	s_andn2_b64 vcc, exec, s[14:15]
	s_cbranch_vccz .LBB137_281
; %bb.273:
	s_andn2_b64 vcc, exec, s[6:7]
	s_cbranch_vccnz .LBB137_275
.LBB137_274:
	v_cmp_ge_f32_e32 vcc, v7, v10
	s_andn2_b64 s[6:7], s[10:11], exec
	s_and_b64 s[10:11], vcc, exec
	s_or_b64 s[10:11], s[6:7], s[10:11]
.LBB137_275:
	v_cndmask_b32_e64 v6, 0, 1, s[10:11]
.LBB137_276:
	s_or_b64 exec, exec, s[4:5]
	v_or_b32_e32 v7, 0x100, v0
	v_cmp_gt_i32_e32 vcc, s12, v7
                                        ; implicit-def: $vgpr10
	s_and_saveexec_b64 s[4:5], vcc
	s_cbranch_execz .LBB137_291
; %bb.277:
	s_cmp_lt_i32 s13, 1
	s_mov_b64 s[6:7], 0
	s_cbranch_scc1 .LBB137_282
; %bb.278:
	s_cmp_gt_i32 s13, 1
	s_cbranch_scc0 .LBB137_283
; %bb.279:
	s_cmp_eq_u32 s13, 2
	s_cbranch_scc0 .LBB137_535
; %bb.280:
	v_cmp_le_f32_e64 s[10:11], v14, v34
	s_mov_b64 s[14:15], 0
	s_branch .LBB137_285
.LBB137_281:
	v_cmp_lt_f32_e32 vcc, v7, v10
	s_andn2_b64 s[10:11], s[10:11], exec
	s_and_b64 s[14:15], vcc, exec
	s_or_b64 s[10:11], s[10:11], s[14:15]
	s_cbranch_execz .LBB137_274
	s_branch .LBB137_275
.LBB137_282:
                                        ; implicit-def: $sgpr10_sgpr11
	s_mov_b64 s[14:15], 0
	s_cbranch_execnz .LBB137_286
	s_branch .LBB137_287
.LBB137_283:
	s_mov_b64 s[14:15], 0
                                        ; implicit-def: $sgpr10_sgpr11
	s_cbranch_execz .LBB137_285
; %bb.284:
	v_cmp_gt_f32_e32 vcc, v14, v34
	s_andn2_b64 s[10:11], s[10:11], exec
	s_and_b64 s[16:17], vcc, exec
	s_or_b64 s[10:11], s[10:11], s[16:17]
.LBB137_285:
	s_branch .LBB137_287
.LBB137_286:
	s_cmp_lg_u32 s13, 0
	s_mov_b64 s[6:7], -1
	s_cselect_b64 s[14:15], -1, 0
.LBB137_287:
	s_andn2_b64 vcc, exec, s[14:15]
	s_cbranch_vccz .LBB137_296
; %bb.288:
	s_andn2_b64 vcc, exec, s[6:7]
	s_cbranch_vccnz .LBB137_290
.LBB137_289:
	v_cmp_ge_f32_e32 vcc, v14, v34
	s_andn2_b64 s[6:7], s[10:11], exec
	s_and_b64 s[10:11], vcc, exec
	s_or_b64 s[10:11], s[6:7], s[10:11]
.LBB137_290:
	v_cndmask_b32_e64 v10, 0, 1, s[10:11]
.LBB137_291:
	s_or_b64 exec, exec, s[4:5]
	v_or_b32_e32 v14, 0x200, v0
	v_cmp_gt_i32_e32 vcc, s12, v14
                                        ; implicit-def: $vgpr14
	s_and_saveexec_b64 s[4:5], vcc
	s_cbranch_execz .LBB137_306
; %bb.292:
	s_cmp_lt_i32 s13, 1
	s_mov_b64 s[6:7], 0
	s_cbranch_scc1 .LBB137_297
; %bb.293:
	s_cmp_gt_i32 s13, 1
	s_cbranch_scc0 .LBB137_298
; %bb.294:
	s_cmp_eq_u32 s13, 2
	s_cbranch_scc0 .LBB137_536
; %bb.295:
	v_cmp_le_f32_e64 s[10:11], v18, v33
	s_mov_b64 s[14:15], 0
	s_branch .LBB137_300
.LBB137_296:
	v_cmp_lt_f32_e32 vcc, v14, v34
	s_andn2_b64 s[10:11], s[10:11], exec
	s_and_b64 s[14:15], vcc, exec
	s_or_b64 s[10:11], s[10:11], s[14:15]
	s_cbranch_execz .LBB137_289
	s_branch .LBB137_290
.LBB137_297:
                                        ; implicit-def: $sgpr10_sgpr11
	s_mov_b64 s[14:15], 0
	s_cbranch_execnz .LBB137_301
	s_branch .LBB137_302
.LBB137_298:
	s_mov_b64 s[14:15], 0
                                        ; implicit-def: $sgpr10_sgpr11
	s_cbranch_execz .LBB137_300
; %bb.299:
	v_cmp_gt_f32_e32 vcc, v18, v33
	s_andn2_b64 s[10:11], s[10:11], exec
	s_and_b64 s[16:17], vcc, exec
	s_or_b64 s[10:11], s[10:11], s[16:17]
.LBB137_300:
	s_branch .LBB137_302
.LBB137_301:
	s_cmp_lg_u32 s13, 0
	s_mov_b64 s[6:7], -1
	s_cselect_b64 s[14:15], -1, 0
.LBB137_302:
	s_andn2_b64 vcc, exec, s[14:15]
	s_cbranch_vccz .LBB137_311
; %bb.303:
	s_andn2_b64 vcc, exec, s[6:7]
	s_cbranch_vccnz .LBB137_305
.LBB137_304:
	v_cmp_ge_f32_e32 vcc, v18, v33
	s_andn2_b64 s[6:7], s[10:11], exec
	s_and_b64 s[10:11], vcc, exec
	s_or_b64 s[10:11], s[6:7], s[10:11]
.LBB137_305:
	v_cndmask_b32_e64 v14, 0, 1, s[10:11]
.LBB137_306:
	s_or_b64 exec, exec, s[4:5]
	v_or_b32_e32 v18, 0x300, v0
	v_cmp_gt_i32_e32 vcc, s12, v18
                                        ; implicit-def: $vgpr18
	s_and_saveexec_b64 s[4:5], vcc
	s_cbranch_execz .LBB137_321
; %bb.307:
	s_cmp_lt_i32 s13, 1
	s_mov_b64 s[6:7], 0
	s_cbranch_scc1 .LBB137_312
; %bb.308:
	s_cmp_gt_i32 s13, 1
	s_cbranch_scc0 .LBB137_313
; %bb.309:
	s_cmp_eq_u32 s13, 2
	s_cbranch_scc0 .LBB137_537
; %bb.310:
	v_cmp_le_f32_e64 s[10:11], v21, v32
	s_mov_b64 s[14:15], 0
	s_branch .LBB137_315
.LBB137_311:
	v_cmp_lt_f32_e32 vcc, v18, v33
	s_andn2_b64 s[10:11], s[10:11], exec
	s_and_b64 s[14:15], vcc, exec
	s_or_b64 s[10:11], s[10:11], s[14:15]
	s_cbranch_execz .LBB137_304
	s_branch .LBB137_305
.LBB137_312:
                                        ; implicit-def: $sgpr10_sgpr11
	s_mov_b64 s[14:15], 0
	s_cbranch_execnz .LBB137_316
	s_branch .LBB137_317
.LBB137_313:
	s_mov_b64 s[14:15], 0
                                        ; implicit-def: $sgpr10_sgpr11
	s_cbranch_execz .LBB137_315
; %bb.314:
	v_cmp_gt_f32_e32 vcc, v21, v32
	s_andn2_b64 s[10:11], s[10:11], exec
	s_and_b64 s[16:17], vcc, exec
	s_or_b64 s[10:11], s[10:11], s[16:17]
.LBB137_315:
	s_branch .LBB137_317
.LBB137_316:
	s_cmp_lg_u32 s13, 0
	s_mov_b64 s[6:7], -1
	s_cselect_b64 s[14:15], -1, 0
.LBB137_317:
	s_andn2_b64 vcc, exec, s[14:15]
	s_cbranch_vccz .LBB137_326
; %bb.318:
	s_andn2_b64 vcc, exec, s[6:7]
	s_cbranch_vccnz .LBB137_320
.LBB137_319:
	v_cmp_ge_f32_e32 vcc, v21, v32
	s_andn2_b64 s[6:7], s[10:11], exec
	s_and_b64 s[10:11], vcc, exec
	s_or_b64 s[10:11], s[6:7], s[10:11]
.LBB137_320:
	v_cndmask_b32_e64 v18, 0, 1, s[10:11]
.LBB137_321:
	s_or_b64 exec, exec, s[4:5]
	v_or_b32_e32 v21, 0x400, v0
	v_cmp_gt_i32_e32 vcc, s12, v21
                                        ; implicit-def: $vgpr21
	s_and_saveexec_b64 s[4:5], vcc
	s_cbranch_execz .LBB137_336
; %bb.322:
	s_cmp_lt_i32 s13, 1
	s_mov_b64 s[6:7], 0
	s_cbranch_scc1 .LBB137_327
; %bb.323:
	s_cmp_gt_i32 s13, 1
	s_cbranch_scc0 .LBB137_328
; %bb.324:
	s_cmp_eq_u32 s13, 2
	s_cbranch_scc0 .LBB137_538
; %bb.325:
	v_cmp_le_f32_e64 s[10:11], v25, v31
	s_mov_b64 s[14:15], 0
	s_branch .LBB137_330
.LBB137_326:
	v_cmp_lt_f32_e32 vcc, v21, v32
	s_andn2_b64 s[10:11], s[10:11], exec
	s_and_b64 s[14:15], vcc, exec
	s_or_b64 s[10:11], s[10:11], s[14:15]
	s_cbranch_execz .LBB137_319
	s_branch .LBB137_320
.LBB137_327:
                                        ; implicit-def: $sgpr10_sgpr11
	s_mov_b64 s[14:15], 0
	s_cbranch_execnz .LBB137_331
	s_branch .LBB137_332
.LBB137_328:
	s_mov_b64 s[14:15], 0
                                        ; implicit-def: $sgpr10_sgpr11
	s_cbranch_execz .LBB137_330
; %bb.329:
	v_cmp_gt_f32_e32 vcc, v25, v31
	s_andn2_b64 s[10:11], s[10:11], exec
	s_and_b64 s[16:17], vcc, exec
	s_or_b64 s[10:11], s[10:11], s[16:17]
.LBB137_330:
	s_branch .LBB137_332
.LBB137_331:
	s_cmp_lg_u32 s13, 0
	s_mov_b64 s[6:7], -1
	s_cselect_b64 s[14:15], -1, 0
.LBB137_332:
	s_andn2_b64 vcc, exec, s[14:15]
	s_cbranch_vccz .LBB137_341
; %bb.333:
	s_andn2_b64 vcc, exec, s[6:7]
	s_cbranch_vccnz .LBB137_335
.LBB137_334:
	v_cmp_ge_f32_e32 vcc, v25, v31
	s_andn2_b64 s[6:7], s[10:11], exec
	s_and_b64 s[10:11], vcc, exec
	s_or_b64 s[10:11], s[6:7], s[10:11]
.LBB137_335:
	v_cndmask_b32_e64 v21, 0, 1, s[10:11]
.LBB137_336:
	s_or_b64 exec, exec, s[4:5]
	v_or_b32_e32 v25, 0x500, v0
	v_cmp_gt_i32_e32 vcc, s12, v25
                                        ; implicit-def: $vgpr25
	s_and_saveexec_b64 s[4:5], vcc
	s_cbranch_execz .LBB137_351
; %bb.337:
	s_cmp_lt_i32 s13, 1
	s_mov_b64 s[6:7], 0
	s_cbranch_scc1 .LBB137_342
; %bb.338:
	s_cmp_gt_i32 s13, 1
	s_cbranch_scc0 .LBB137_343
; %bb.339:
	s_cmp_eq_u32 s13, 2
	s_cbranch_scc0 .LBB137_539
; %bb.340:
	v_cmp_le_f32_e64 s[10:11], v27, v30
	s_mov_b64 s[14:15], 0
	s_branch .LBB137_345
.LBB137_341:
	v_cmp_lt_f32_e32 vcc, v25, v31
	s_andn2_b64 s[10:11], s[10:11], exec
	s_and_b64 s[14:15], vcc, exec
	s_or_b64 s[10:11], s[10:11], s[14:15]
	s_cbranch_execz .LBB137_334
	s_branch .LBB137_335
.LBB137_342:
                                        ; implicit-def: $sgpr10_sgpr11
	s_mov_b64 s[14:15], 0
	s_cbranch_execnz .LBB137_346
	s_branch .LBB137_347
.LBB137_343:
	s_mov_b64 s[14:15], 0
                                        ; implicit-def: $sgpr10_sgpr11
	s_cbranch_execz .LBB137_345
; %bb.344:
	v_cmp_gt_f32_e32 vcc, v27, v30
	s_andn2_b64 s[10:11], s[10:11], exec
	s_and_b64 s[16:17], vcc, exec
	s_or_b64 s[10:11], s[10:11], s[16:17]
.LBB137_345:
	s_branch .LBB137_347
.LBB137_346:
	s_cmp_lg_u32 s13, 0
	s_mov_b64 s[6:7], -1
	s_cselect_b64 s[14:15], -1, 0
.LBB137_347:
	s_andn2_b64 vcc, exec, s[14:15]
	s_cbranch_vccz .LBB137_356
; %bb.348:
	s_andn2_b64 vcc, exec, s[6:7]
	s_cbranch_vccnz .LBB137_350
.LBB137_349:
	v_cmp_ge_f32_e32 vcc, v27, v30
	s_andn2_b64 s[6:7], s[10:11], exec
	s_and_b64 s[10:11], vcc, exec
	s_or_b64 s[10:11], s[6:7], s[10:11]
.LBB137_350:
	v_cndmask_b32_e64 v25, 0, 1, s[10:11]
.LBB137_351:
	s_or_b64 exec, exec, s[4:5]
	v_or_b32_e32 v27, 0x600, v0
	v_cmp_gt_i32_e32 vcc, s12, v27
                                        ; implicit-def: $vgpr27
	s_and_saveexec_b64 s[4:5], vcc
	s_cbranch_execz .LBB137_366
; %bb.352:
	s_cmp_lt_i32 s13, 1
	s_mov_b64 s[6:7], 0
	s_cbranch_scc1 .LBB137_357
; %bb.353:
	s_cmp_gt_i32 s13, 1
	s_cbranch_scc0 .LBB137_358
; %bb.354:
	s_cmp_eq_u32 s13, 2
	s_cbranch_scc0 .LBB137_540
; %bb.355:
	v_cmp_le_f32_e64 s[10:11], v28, v29
	s_mov_b64 s[14:15], 0
	s_branch .LBB137_360
.LBB137_356:
	v_cmp_lt_f32_e32 vcc, v27, v30
	s_andn2_b64 s[10:11], s[10:11], exec
	s_and_b64 s[14:15], vcc, exec
	s_or_b64 s[10:11], s[10:11], s[14:15]
	s_cbranch_execz .LBB137_349
	s_branch .LBB137_350
.LBB137_357:
                                        ; implicit-def: $sgpr10_sgpr11
	s_mov_b64 s[14:15], 0
	s_cbranch_execnz .LBB137_361
	s_branch .LBB137_362
.LBB137_358:
	s_mov_b64 s[14:15], 0
                                        ; implicit-def: $sgpr10_sgpr11
	s_cbranch_execz .LBB137_360
; %bb.359:
	v_cmp_gt_f32_e32 vcc, v28, v29
	s_andn2_b64 s[10:11], s[10:11], exec
	s_and_b64 s[16:17], vcc, exec
	s_or_b64 s[10:11], s[10:11], s[16:17]
.LBB137_360:
	s_branch .LBB137_362
.LBB137_361:
	s_cmp_lg_u32 s13, 0
	s_mov_b64 s[6:7], -1
	s_cselect_b64 s[14:15], -1, 0
.LBB137_362:
	s_andn2_b64 vcc, exec, s[14:15]
	s_cbranch_vccz .LBB137_371
; %bb.363:
	s_andn2_b64 vcc, exec, s[6:7]
	s_cbranch_vccnz .LBB137_365
.LBB137_364:
	v_cmp_ge_f32_e32 vcc, v28, v29
	s_andn2_b64 s[6:7], s[10:11], exec
	s_and_b64 s[10:11], vcc, exec
	s_or_b64 s[10:11], s[6:7], s[10:11]
.LBB137_365:
	v_cndmask_b32_e64 v27, 0, 1, s[10:11]
.LBB137_366:
	s_or_b64 exec, exec, s[4:5]
	v_or_b32_e32 v28, 0x700, v0
	v_cmp_gt_i32_e32 vcc, s12, v28
                                        ; implicit-def: $vgpr28
	s_and_saveexec_b64 s[4:5], vcc
	s_cbranch_execz .LBB137_381
; %bb.367:
	s_cmp_lt_i32 s13, 1
	s_mov_b64 s[6:7], 0
	s_cbranch_scc1 .LBB137_372
; %bb.368:
	s_cmp_gt_i32 s13, 1
	s_cbranch_scc0 .LBB137_373
; %bb.369:
	s_cmp_eq_u32 s13, 2
	s_cbranch_scc0 .LBB137_541
; %bb.370:
	v_cmp_le_f32_e64 s[10:11], v24, v26
	s_mov_b64 s[14:15], 0
	s_branch .LBB137_375
.LBB137_371:
	v_cmp_lt_f32_e32 vcc, v28, v29
	s_andn2_b64 s[10:11], s[10:11], exec
	s_and_b64 s[14:15], vcc, exec
	s_or_b64 s[10:11], s[10:11], s[14:15]
	s_cbranch_execz .LBB137_364
	s_branch .LBB137_365
.LBB137_372:
                                        ; implicit-def: $sgpr10_sgpr11
	s_mov_b64 s[14:15], 0
	s_cbranch_execnz .LBB137_376
	s_branch .LBB137_377
.LBB137_373:
	s_mov_b64 s[14:15], 0
                                        ; implicit-def: $sgpr10_sgpr11
	s_cbranch_execz .LBB137_375
; %bb.374:
	v_cmp_gt_f32_e32 vcc, v24, v26
	s_andn2_b64 s[10:11], s[10:11], exec
	s_and_b64 s[16:17], vcc, exec
	s_or_b64 s[10:11], s[10:11], s[16:17]
.LBB137_375:
	s_branch .LBB137_377
.LBB137_376:
	s_cmp_lg_u32 s13, 0
	s_mov_b64 s[6:7], -1
	s_cselect_b64 s[14:15], -1, 0
.LBB137_377:
	s_andn2_b64 vcc, exec, s[14:15]
	s_cbranch_vccz .LBB137_386
; %bb.378:
	s_andn2_b64 vcc, exec, s[6:7]
	s_cbranch_vccnz .LBB137_380
.LBB137_379:
	v_cmp_ge_f32_e32 vcc, v24, v26
	s_andn2_b64 s[6:7], s[10:11], exec
	s_and_b64 s[10:11], vcc, exec
	s_or_b64 s[10:11], s[6:7], s[10:11]
.LBB137_380:
	v_cndmask_b32_e64 v28, 0, 1, s[10:11]
.LBB137_381:
	s_or_b64 exec, exec, s[4:5]
	v_or_b32_e32 v24, 0x800, v0
	v_cmp_gt_i32_e32 vcc, s12, v24
                                        ; implicit-def: $vgpr24
	s_and_saveexec_b64 s[4:5], vcc
	s_cbranch_execz .LBB137_396
; %bb.382:
	s_cmp_lt_i32 s13, 1
	s_mov_b64 s[6:7], 0
	s_cbranch_scc1 .LBB137_387
; %bb.383:
	s_cmp_gt_i32 s13, 1
	s_cbranch_scc0 .LBB137_388
; %bb.384:
	s_cmp_eq_u32 s13, 2
	s_cbranch_scc0 .LBB137_542
; %bb.385:
	v_cmp_le_f32_e64 s[10:11], v22, v23
	s_mov_b64 s[14:15], 0
	s_branch .LBB137_390
.LBB137_386:
	v_cmp_lt_f32_e32 vcc, v24, v26
	s_andn2_b64 s[10:11], s[10:11], exec
	s_and_b64 s[14:15], vcc, exec
	s_or_b64 s[10:11], s[10:11], s[14:15]
	s_cbranch_execz .LBB137_379
	s_branch .LBB137_380
.LBB137_387:
                                        ; implicit-def: $sgpr10_sgpr11
	s_mov_b64 s[14:15], 0
	s_cbranch_execnz .LBB137_391
	s_branch .LBB137_392
.LBB137_388:
	s_mov_b64 s[14:15], 0
                                        ; implicit-def: $sgpr10_sgpr11
	s_cbranch_execz .LBB137_390
; %bb.389:
	v_cmp_gt_f32_e32 vcc, v22, v23
	s_andn2_b64 s[10:11], s[10:11], exec
	s_and_b64 s[16:17], vcc, exec
	s_or_b64 s[10:11], s[10:11], s[16:17]
.LBB137_390:
	s_branch .LBB137_392
.LBB137_391:
	s_cmp_lg_u32 s13, 0
	s_mov_b64 s[6:7], -1
	s_cselect_b64 s[14:15], -1, 0
.LBB137_392:
	s_andn2_b64 vcc, exec, s[14:15]
	s_cbranch_vccz .LBB137_401
; %bb.393:
	s_andn2_b64 vcc, exec, s[6:7]
	s_cbranch_vccnz .LBB137_395
.LBB137_394:
	v_cmp_ge_f32_e32 vcc, v22, v23
	s_andn2_b64 s[6:7], s[10:11], exec
	s_and_b64 s[10:11], vcc, exec
	s_or_b64 s[10:11], s[6:7], s[10:11]
.LBB137_395:
	v_cndmask_b32_e64 v24, 0, 1, s[10:11]
.LBB137_396:
	s_or_b64 exec, exec, s[4:5]
	v_or_b32_e32 v22, 0x900, v0
	v_cmp_gt_i32_e32 vcc, s12, v22
                                        ; implicit-def: $vgpr22
	s_and_saveexec_b64 s[4:5], vcc
	s_cbranch_execz .LBB137_411
; %bb.397:
	s_cmp_lt_i32 s13, 1
	s_mov_b64 s[6:7], 0
	s_cbranch_scc1 .LBB137_402
; %bb.398:
	s_cmp_gt_i32 s13, 1
	s_cbranch_scc0 .LBB137_403
; %bb.399:
	s_cmp_eq_u32 s13, 2
	s_cbranch_scc0 .LBB137_543
; %bb.400:
	v_cmp_le_f32_e64 s[10:11], v19, v20
	s_mov_b64 s[14:15], 0
	s_branch .LBB137_405
.LBB137_401:
	v_cmp_lt_f32_e32 vcc, v22, v23
	s_andn2_b64 s[10:11], s[10:11], exec
	s_and_b64 s[14:15], vcc, exec
	s_or_b64 s[10:11], s[10:11], s[14:15]
	s_cbranch_execz .LBB137_394
	s_branch .LBB137_395
.LBB137_402:
                                        ; implicit-def: $sgpr10_sgpr11
	s_mov_b64 s[14:15], 0
	s_cbranch_execnz .LBB137_406
	s_branch .LBB137_407
.LBB137_403:
	s_mov_b64 s[14:15], 0
                                        ; implicit-def: $sgpr10_sgpr11
	s_cbranch_execz .LBB137_405
; %bb.404:
	v_cmp_gt_f32_e32 vcc, v19, v20
	s_andn2_b64 s[10:11], s[10:11], exec
	s_and_b64 s[16:17], vcc, exec
	s_or_b64 s[10:11], s[10:11], s[16:17]
.LBB137_405:
	s_branch .LBB137_407
.LBB137_406:
	s_cmp_lg_u32 s13, 0
	s_mov_b64 s[6:7], -1
	s_cselect_b64 s[14:15], -1, 0
.LBB137_407:
	s_andn2_b64 vcc, exec, s[14:15]
	s_cbranch_vccz .LBB137_416
; %bb.408:
	s_andn2_b64 vcc, exec, s[6:7]
	s_cbranch_vccnz .LBB137_410
.LBB137_409:
	v_cmp_ge_f32_e32 vcc, v19, v20
	s_andn2_b64 s[6:7], s[10:11], exec
	s_and_b64 s[10:11], vcc, exec
	s_or_b64 s[10:11], s[6:7], s[10:11]
.LBB137_410:
	v_cndmask_b32_e64 v22, 0, 1, s[10:11]
.LBB137_411:
	s_or_b64 exec, exec, s[4:5]
	v_or_b32_e32 v19, 0xa00, v0
	v_cmp_gt_i32_e32 vcc, s12, v19
                                        ; implicit-def: $vgpr19
	s_and_saveexec_b64 s[4:5], vcc
	s_cbranch_execz .LBB137_426
; %bb.412:
	s_cmp_lt_i32 s13, 1
	s_mov_b64 s[6:7], 0
	s_cbranch_scc1 .LBB137_417
; %bb.413:
	s_cmp_gt_i32 s13, 1
	s_cbranch_scc0 .LBB137_418
; %bb.414:
	s_cmp_eq_u32 s13, 2
	s_cbranch_scc0 .LBB137_544
; %bb.415:
	v_cmp_le_f32_e64 s[10:11], v16, v17
	s_mov_b64 s[14:15], 0
	s_branch .LBB137_420
.LBB137_416:
	v_cmp_lt_f32_e32 vcc, v19, v20
	s_andn2_b64 s[10:11], s[10:11], exec
	s_and_b64 s[14:15], vcc, exec
	s_or_b64 s[10:11], s[10:11], s[14:15]
	s_cbranch_execz .LBB137_409
	s_branch .LBB137_410
.LBB137_417:
                                        ; implicit-def: $sgpr10_sgpr11
	s_mov_b64 s[14:15], 0
	s_cbranch_execnz .LBB137_421
	s_branch .LBB137_422
.LBB137_418:
	s_mov_b64 s[14:15], 0
                                        ; implicit-def: $sgpr10_sgpr11
	s_cbranch_execz .LBB137_420
; %bb.419:
	v_cmp_gt_f32_e32 vcc, v16, v17
	s_andn2_b64 s[10:11], s[10:11], exec
	s_and_b64 s[16:17], vcc, exec
	s_or_b64 s[10:11], s[10:11], s[16:17]
.LBB137_420:
	s_branch .LBB137_422
.LBB137_421:
	s_cmp_lg_u32 s13, 0
	s_mov_b64 s[6:7], -1
	s_cselect_b64 s[14:15], -1, 0
.LBB137_422:
	s_andn2_b64 vcc, exec, s[14:15]
	s_cbranch_vccz .LBB137_431
; %bb.423:
	s_andn2_b64 vcc, exec, s[6:7]
	s_cbranch_vccnz .LBB137_425
.LBB137_424:
	v_cmp_ge_f32_e32 vcc, v16, v17
	s_andn2_b64 s[6:7], s[10:11], exec
	s_and_b64 s[10:11], vcc, exec
	s_or_b64 s[10:11], s[6:7], s[10:11]
.LBB137_425:
	v_cndmask_b32_e64 v19, 0, 1, s[10:11]
.LBB137_426:
	s_or_b64 exec, exec, s[4:5]
	v_or_b32_e32 v16, 0xb00, v0
	v_cmp_gt_i32_e32 vcc, s12, v16
                                        ; implicit-def: $vgpr16
	s_and_saveexec_b64 s[4:5], vcc
	s_cbranch_execz .LBB137_441
; %bb.427:
	s_cmp_lt_i32 s13, 1
	s_mov_b64 s[6:7], 0
	s_cbranch_scc1 .LBB137_432
; %bb.428:
	s_cmp_gt_i32 s13, 1
	s_cbranch_scc0 .LBB137_433
; %bb.429:
	s_cmp_eq_u32 s13, 2
	s_cbranch_scc0 .LBB137_545
; %bb.430:
	v_cmp_le_f32_e64 s[10:11], v13, v15
	s_mov_b64 s[14:15], 0
	s_branch .LBB137_435
.LBB137_431:
	v_cmp_lt_f32_e32 vcc, v16, v17
	s_andn2_b64 s[10:11], s[10:11], exec
	s_and_b64 s[14:15], vcc, exec
	s_or_b64 s[10:11], s[10:11], s[14:15]
	s_cbranch_execz .LBB137_424
	s_branch .LBB137_425
.LBB137_432:
                                        ; implicit-def: $sgpr10_sgpr11
	s_mov_b64 s[14:15], 0
	s_cbranch_execnz .LBB137_436
	s_branch .LBB137_437
.LBB137_433:
	s_mov_b64 s[14:15], 0
                                        ; implicit-def: $sgpr10_sgpr11
	s_cbranch_execz .LBB137_435
; %bb.434:
	v_cmp_gt_f32_e32 vcc, v13, v15
	s_andn2_b64 s[10:11], s[10:11], exec
	s_and_b64 s[16:17], vcc, exec
	s_or_b64 s[10:11], s[10:11], s[16:17]
.LBB137_435:
	s_branch .LBB137_437
.LBB137_436:
	s_cmp_lg_u32 s13, 0
	s_mov_b64 s[6:7], -1
	s_cselect_b64 s[14:15], -1, 0
.LBB137_437:
	s_andn2_b64 vcc, exec, s[14:15]
	s_cbranch_vccz .LBB137_446
; %bb.438:
	s_andn2_b64 vcc, exec, s[6:7]
	s_cbranch_vccnz .LBB137_440
.LBB137_439:
	v_cmp_ge_f32_e32 vcc, v13, v15
	s_andn2_b64 s[6:7], s[10:11], exec
	s_and_b64 s[10:11], vcc, exec
	s_or_b64 s[10:11], s[6:7], s[10:11]
.LBB137_440:
	v_cndmask_b32_e64 v16, 0, 1, s[10:11]
.LBB137_441:
	s_or_b64 exec, exec, s[4:5]
	v_or_b32_e32 v13, 0xc00, v0
	v_cmp_gt_i32_e32 vcc, s12, v13
                                        ; implicit-def: $vgpr13
	s_and_saveexec_b64 s[4:5], vcc
	s_cbranch_execz .LBB137_456
; %bb.442:
	s_cmp_lt_i32 s13, 1
	s_mov_b64 s[6:7], 0
	s_cbranch_scc1 .LBB137_447
; %bb.443:
	s_cmp_gt_i32 s13, 1
	s_cbranch_scc0 .LBB137_448
; %bb.444:
	s_cmp_eq_u32 s13, 2
	s_cbranch_scc0 .LBB137_546
; %bb.445:
	v_cmp_le_f32_e64 s[10:11], v11, v12
	s_mov_b64 s[14:15], 0
	s_branch .LBB137_450
.LBB137_446:
	v_cmp_lt_f32_e32 vcc, v13, v15
	s_andn2_b64 s[10:11], s[10:11], exec
	s_and_b64 s[14:15], vcc, exec
	s_or_b64 s[10:11], s[10:11], s[14:15]
	s_cbranch_execz .LBB137_439
	s_branch .LBB137_440
.LBB137_447:
                                        ; implicit-def: $sgpr10_sgpr11
	s_mov_b64 s[14:15], 0
	s_cbranch_execnz .LBB137_451
	s_branch .LBB137_452
.LBB137_448:
	s_mov_b64 s[14:15], 0
                                        ; implicit-def: $sgpr10_sgpr11
	s_cbranch_execz .LBB137_450
; %bb.449:
	v_cmp_gt_f32_e32 vcc, v11, v12
	s_andn2_b64 s[10:11], s[10:11], exec
	s_and_b64 s[16:17], vcc, exec
	s_or_b64 s[10:11], s[10:11], s[16:17]
.LBB137_450:
	s_branch .LBB137_452
.LBB137_451:
	s_cmp_lg_u32 s13, 0
	s_mov_b64 s[6:7], -1
	s_cselect_b64 s[14:15], -1, 0
.LBB137_452:
	s_andn2_b64 vcc, exec, s[14:15]
	s_cbranch_vccz .LBB137_461
; %bb.453:
	s_andn2_b64 vcc, exec, s[6:7]
	s_cbranch_vccnz .LBB137_455
.LBB137_454:
	v_cmp_ge_f32_e32 vcc, v11, v12
	s_andn2_b64 s[6:7], s[10:11], exec
	s_and_b64 s[10:11], vcc, exec
	s_or_b64 s[10:11], s[6:7], s[10:11]
.LBB137_455:
	v_cndmask_b32_e64 v13, 0, 1, s[10:11]
.LBB137_456:
	s_or_b64 exec, exec, s[4:5]
	v_or_b32_e32 v11, 0xd00, v0
	v_cmp_gt_i32_e32 vcc, s12, v11
                                        ; implicit-def: $vgpr11
	s_and_saveexec_b64 s[4:5], vcc
	s_cbranch_execz .LBB137_471
; %bb.457:
	s_cmp_lt_i32 s13, 1
	s_mov_b64 s[6:7], 0
	s_cbranch_scc1 .LBB137_462
; %bb.458:
	s_cmp_gt_i32 s13, 1
	s_cbranch_scc0 .LBB137_463
; %bb.459:
	s_cmp_eq_u32 s13, 2
	s_cbranch_scc0 .LBB137_547
; %bb.460:
	v_cmp_le_f32_e64 s[10:11], v8, v9
	s_mov_b64 s[14:15], 0
	s_branch .LBB137_465
.LBB137_461:
	v_cmp_lt_f32_e32 vcc, v11, v12
	s_andn2_b64 s[10:11], s[10:11], exec
	s_and_b64 s[14:15], vcc, exec
	s_or_b64 s[10:11], s[10:11], s[14:15]
	s_cbranch_execz .LBB137_454
	s_branch .LBB137_455
.LBB137_462:
                                        ; implicit-def: $sgpr10_sgpr11
	s_mov_b64 s[14:15], 0
	s_cbranch_execnz .LBB137_466
	s_branch .LBB137_467
.LBB137_463:
	s_mov_b64 s[14:15], 0
                                        ; implicit-def: $sgpr10_sgpr11
	s_cbranch_execz .LBB137_465
; %bb.464:
	v_cmp_gt_f32_e32 vcc, v8, v9
	s_andn2_b64 s[10:11], s[10:11], exec
	s_and_b64 s[16:17], vcc, exec
	s_or_b64 s[10:11], s[10:11], s[16:17]
.LBB137_465:
	s_branch .LBB137_467
.LBB137_466:
	s_cmp_lg_u32 s13, 0
	s_mov_b64 s[6:7], -1
	s_cselect_b64 s[14:15], -1, 0
.LBB137_467:
	s_andn2_b64 vcc, exec, s[14:15]
	s_cbranch_vccz .LBB137_476
; %bb.468:
	s_andn2_b64 vcc, exec, s[6:7]
	s_cbranch_vccnz .LBB137_470
.LBB137_469:
	v_cmp_ge_f32_e32 vcc, v8, v9
	s_andn2_b64 s[6:7], s[10:11], exec
	s_and_b64 s[10:11], vcc, exec
	s_or_b64 s[10:11], s[6:7], s[10:11]
.LBB137_470:
	v_cndmask_b32_e64 v11, 0, 1, s[10:11]
.LBB137_471:
	s_or_b64 exec, exec, s[4:5]
	v_or_b32_e32 v8, 0xe00, v0
	v_cmp_gt_i32_e32 vcc, s12, v8
                                        ; implicit-def: $vgpr8
	s_and_saveexec_b64 s[4:5], vcc
	s_cbranch_execz .LBB137_486
; %bb.472:
	s_cmp_lt_i32 s13, 1
	s_mov_b64 s[6:7], 0
	s_cbranch_scc1 .LBB137_477
; %bb.473:
	s_cmp_gt_i32 s13, 1
	s_cbranch_scc0 .LBB137_478
; %bb.474:
	s_cmp_eq_u32 s13, 2
	s_cbranch_scc0 .LBB137_548
; %bb.475:
	v_cmp_le_f32_e64 s[10:11], v4, v5
	s_mov_b64 s[14:15], 0
	s_branch .LBB137_480
.LBB137_476:
	v_cmp_lt_f32_e32 vcc, v8, v9
	s_andn2_b64 s[10:11], s[10:11], exec
	s_and_b64 s[14:15], vcc, exec
	s_or_b64 s[10:11], s[10:11], s[14:15]
	s_cbranch_execz .LBB137_469
	s_branch .LBB137_470
.LBB137_477:
                                        ; implicit-def: $sgpr10_sgpr11
	s_mov_b64 s[14:15], 0
	s_cbranch_execnz .LBB137_481
	s_branch .LBB137_482
.LBB137_478:
	s_mov_b64 s[14:15], 0
                                        ; implicit-def: $sgpr10_sgpr11
	s_cbranch_execz .LBB137_480
; %bb.479:
	v_cmp_gt_f32_e32 vcc, v4, v5
	s_andn2_b64 s[10:11], s[10:11], exec
	s_and_b64 s[16:17], vcc, exec
	s_or_b64 s[10:11], s[10:11], s[16:17]
.LBB137_480:
	s_branch .LBB137_482
.LBB137_481:
	s_cmp_lg_u32 s13, 0
	s_mov_b64 s[6:7], -1
	s_cselect_b64 s[14:15], -1, 0
.LBB137_482:
	s_andn2_b64 vcc, exec, s[14:15]
	s_cbranch_vccz .LBB137_491
; %bb.483:
	s_andn2_b64 vcc, exec, s[6:7]
	s_cbranch_vccnz .LBB137_485
.LBB137_484:
	v_cmp_ge_f32_e32 vcc, v4, v5
	s_andn2_b64 s[6:7], s[10:11], exec
	s_and_b64 s[10:11], vcc, exec
	s_or_b64 s[10:11], s[6:7], s[10:11]
.LBB137_485:
	v_cndmask_b32_e64 v8, 0, 1, s[10:11]
.LBB137_486:
	s_or_b64 exec, exec, s[4:5]
	v_or_b32_e32 v4, 0xf00, v0
	v_cmp_gt_i32_e32 vcc, s12, v4
                                        ; implicit-def: $vgpr4
	s_and_saveexec_b64 s[4:5], vcc
	s_cbranch_execz .LBB137_501
; %bb.487:
	s_cmp_lt_i32 s13, 1
	s_mov_b64 s[6:7], 0
	s_cbranch_scc1 .LBB137_492
; %bb.488:
	s_cmp_gt_i32 s13, 1
	s_cbranch_scc0 .LBB137_493
; %bb.489:
	s_cmp_eq_u32 s13, 2
	s_cbranch_scc0 .LBB137_549
; %bb.490:
	v_cmp_le_f32_e64 s[10:11], v2, v3
	s_mov_b64 s[14:15], 0
	s_branch .LBB137_495
.LBB137_491:
	v_cmp_lt_f32_e32 vcc, v4, v5
	s_andn2_b64 s[10:11], s[10:11], exec
	s_and_b64 s[14:15], vcc, exec
	s_or_b64 s[10:11], s[10:11], s[14:15]
	s_cbranch_execz .LBB137_484
	s_branch .LBB137_485
.LBB137_492:
                                        ; implicit-def: $sgpr10_sgpr11
	s_mov_b64 s[14:15], 0
	s_cbranch_execnz .LBB137_496
	s_branch .LBB137_497
.LBB137_493:
	s_mov_b64 s[14:15], 0
                                        ; implicit-def: $sgpr10_sgpr11
	s_cbranch_execz .LBB137_495
; %bb.494:
	v_cmp_gt_f32_e32 vcc, v2, v3
	s_andn2_b64 s[10:11], s[10:11], exec
	s_and_b64 s[16:17], vcc, exec
	s_or_b64 s[10:11], s[10:11], s[16:17]
.LBB137_495:
	s_branch .LBB137_497
.LBB137_496:
	s_cmp_lg_u32 s13, 0
	s_mov_b64 s[6:7], -1
	s_cselect_b64 s[14:15], -1, 0
.LBB137_497:
	s_andn2_b64 vcc, exec, s[14:15]
	s_cbranch_vccz .LBB137_534
; %bb.498:
	s_andn2_b64 vcc, exec, s[6:7]
	s_cbranch_vccnz .LBB137_500
.LBB137_499:
	v_cmp_ge_f32_e32 vcc, v2, v3
	s_andn2_b64 s[6:7], s[10:11], exec
	s_and_b64 s[10:11], vcc, exec
	s_or_b64 s[10:11], s[6:7], s[10:11]
.LBB137_500:
	v_cndmask_b32_e64 v4, 0, 1, s[10:11]
.LBB137_501:
	s_or_b64 exec, exec, s[4:5]
	s_and_saveexec_b64 s[4:5], s[0:1]
	s_xor_b64 s[0:1], exec, s[4:5]
	s_cbranch_execz .LBB137_503
; %bb.502:
	v_mov_b32_e32 v0, v7
	global_store_byte v1, v6, s[8:9]
.LBB137_503:
	s_or_b64 exec, exec, s[0:1]
	v_cmp_gt_i32_e32 vcc, s12, v0
	s_and_saveexec_b64 s[0:1], vcc
	s_cbranch_execnz .LBB137_520
; %bb.504:
	s_or_b64 exec, exec, s[0:1]
	v_cmp_gt_i32_e32 vcc, s12, v0
	s_and_saveexec_b64 s[0:1], vcc
	s_cbranch_execnz .LBB137_521
.LBB137_505:
	s_or_b64 exec, exec, s[0:1]
	v_cmp_gt_i32_e32 vcc, s12, v0
	s_and_saveexec_b64 s[0:1], vcc
	s_cbranch_execnz .LBB137_522
.LBB137_506:
	s_or_b64 exec, exec, s[0:1]
	v_cmp_gt_i32_e32 vcc, s12, v0
	s_and_saveexec_b64 s[0:1], vcc
	s_cbranch_execnz .LBB137_523
.LBB137_507:
	s_or_b64 exec, exec, s[0:1]
	v_cmp_gt_i32_e32 vcc, s12, v0
	s_and_saveexec_b64 s[0:1], vcc
	s_cbranch_execnz .LBB137_524
.LBB137_508:
	s_or_b64 exec, exec, s[0:1]
	v_cmp_gt_i32_e32 vcc, s12, v0
	s_and_saveexec_b64 s[0:1], vcc
	s_cbranch_execnz .LBB137_525
.LBB137_509:
	s_or_b64 exec, exec, s[0:1]
	v_cmp_gt_i32_e32 vcc, s12, v0
	s_and_saveexec_b64 s[0:1], vcc
	s_cbranch_execnz .LBB137_526
.LBB137_510:
	s_or_b64 exec, exec, s[0:1]
	v_cmp_gt_i32_e32 vcc, s12, v0
	s_and_saveexec_b64 s[0:1], vcc
	s_cbranch_execnz .LBB137_527
.LBB137_511:
	s_or_b64 exec, exec, s[0:1]
	v_cmp_gt_i32_e32 vcc, s12, v0
	s_and_saveexec_b64 s[0:1], vcc
	s_cbranch_execnz .LBB137_528
.LBB137_512:
	s_or_b64 exec, exec, s[0:1]
	v_cmp_gt_i32_e32 vcc, s12, v0
	s_and_saveexec_b64 s[0:1], vcc
	s_cbranch_execnz .LBB137_529
.LBB137_513:
	s_or_b64 exec, exec, s[0:1]
	v_cmp_gt_i32_e32 vcc, s12, v0
	s_and_saveexec_b64 s[0:1], vcc
	s_cbranch_execnz .LBB137_530
.LBB137_514:
	s_or_b64 exec, exec, s[0:1]
	v_cmp_gt_i32_e32 vcc, s12, v0
	s_and_saveexec_b64 s[0:1], vcc
	s_cbranch_execnz .LBB137_531
.LBB137_515:
	s_or_b64 exec, exec, s[0:1]
	v_cmp_gt_i32_e32 vcc, s12, v0
	s_and_saveexec_b64 s[0:1], vcc
	s_cbranch_execnz .LBB137_532
.LBB137_516:
	s_or_b64 exec, exec, s[0:1]
	v_cmp_gt_i32_e32 vcc, s12, v0
	s_and_saveexec_b64 s[0:1], vcc
	s_cbranch_execnz .LBB137_533
.LBB137_517:
	s_or_b64 exec, exec, s[0:1]
	v_cmp_gt_i32_e32 vcc, s12, v0
	s_and_saveexec_b64 s[0:1], vcc
	s_cbranch_execz .LBB137_519
.LBB137_518:
	v_add_u32_e32 v0, s2, v0
	global_store_byte v0, v4, s[8:9]
.LBB137_519:
	s_endpgm
.LBB137_520:
	v_add_u32_e32 v1, s2, v0
	v_add_u32_e32 v0, 0x100, v0
	global_store_byte v1, v10, s[8:9]
	s_or_b64 exec, exec, s[0:1]
	v_cmp_gt_i32_e32 vcc, s12, v0
	s_and_saveexec_b64 s[0:1], vcc
	s_cbranch_execz .LBB137_505
.LBB137_521:
	v_add_u32_e32 v1, s2, v0
	v_add_u32_e32 v0, 0x100, v0
	global_store_byte v1, v14, s[8:9]
	s_or_b64 exec, exec, s[0:1]
	v_cmp_gt_i32_e32 vcc, s12, v0
	s_and_saveexec_b64 s[0:1], vcc
	s_cbranch_execz .LBB137_506
.LBB137_522:
	v_add_u32_e32 v1, s2, v0
	v_add_u32_e32 v0, 0x100, v0
	global_store_byte v1, v18, s[8:9]
	s_or_b64 exec, exec, s[0:1]
	v_cmp_gt_i32_e32 vcc, s12, v0
	s_and_saveexec_b64 s[0:1], vcc
	s_cbranch_execz .LBB137_507
.LBB137_523:
	v_add_u32_e32 v1, s2, v0
	v_add_u32_e32 v0, 0x100, v0
	global_store_byte v1, v21, s[8:9]
	s_or_b64 exec, exec, s[0:1]
	v_cmp_gt_i32_e32 vcc, s12, v0
	s_and_saveexec_b64 s[0:1], vcc
	s_cbranch_execz .LBB137_508
.LBB137_524:
	v_add_u32_e32 v1, s2, v0
	v_add_u32_e32 v0, 0x100, v0
	global_store_byte v1, v25, s[8:9]
	s_or_b64 exec, exec, s[0:1]
	v_cmp_gt_i32_e32 vcc, s12, v0
	s_and_saveexec_b64 s[0:1], vcc
	s_cbranch_execz .LBB137_509
.LBB137_525:
	v_add_u32_e32 v1, s2, v0
	v_add_u32_e32 v0, 0x100, v0
	global_store_byte v1, v27, s[8:9]
	s_or_b64 exec, exec, s[0:1]
	v_cmp_gt_i32_e32 vcc, s12, v0
	s_and_saveexec_b64 s[0:1], vcc
	s_cbranch_execz .LBB137_510
.LBB137_526:
	v_add_u32_e32 v1, s2, v0
	v_add_u32_e32 v0, 0x100, v0
	global_store_byte v1, v28, s[8:9]
	s_or_b64 exec, exec, s[0:1]
	v_cmp_gt_i32_e32 vcc, s12, v0
	s_and_saveexec_b64 s[0:1], vcc
	s_cbranch_execz .LBB137_511
.LBB137_527:
	v_add_u32_e32 v1, s2, v0
	v_add_u32_e32 v0, 0x100, v0
	global_store_byte v1, v24, s[8:9]
	s_or_b64 exec, exec, s[0:1]
	v_cmp_gt_i32_e32 vcc, s12, v0
	s_and_saveexec_b64 s[0:1], vcc
	s_cbranch_execz .LBB137_512
.LBB137_528:
	v_add_u32_e32 v1, s2, v0
	v_add_u32_e32 v0, 0x100, v0
	global_store_byte v1, v22, s[8:9]
	s_or_b64 exec, exec, s[0:1]
	v_cmp_gt_i32_e32 vcc, s12, v0
	s_and_saveexec_b64 s[0:1], vcc
	s_cbranch_execz .LBB137_513
.LBB137_529:
	v_add_u32_e32 v1, s2, v0
	v_add_u32_e32 v0, 0x100, v0
	global_store_byte v1, v19, s[8:9]
	s_or_b64 exec, exec, s[0:1]
	v_cmp_gt_i32_e32 vcc, s12, v0
	s_and_saveexec_b64 s[0:1], vcc
	s_cbranch_execz .LBB137_514
.LBB137_530:
	v_add_u32_e32 v1, s2, v0
	v_add_u32_e32 v0, 0x100, v0
	global_store_byte v1, v16, s[8:9]
	s_or_b64 exec, exec, s[0:1]
	v_cmp_gt_i32_e32 vcc, s12, v0
	s_and_saveexec_b64 s[0:1], vcc
	s_cbranch_execz .LBB137_515
.LBB137_531:
	v_add_u32_e32 v1, s2, v0
	v_add_u32_e32 v0, 0x100, v0
	global_store_byte v1, v13, s[8:9]
	s_or_b64 exec, exec, s[0:1]
	v_cmp_gt_i32_e32 vcc, s12, v0
	s_and_saveexec_b64 s[0:1], vcc
	s_cbranch_execz .LBB137_516
.LBB137_532:
	v_add_u32_e32 v1, s2, v0
	v_add_u32_e32 v0, 0x100, v0
	global_store_byte v1, v11, s[8:9]
	s_or_b64 exec, exec, s[0:1]
	v_cmp_gt_i32_e32 vcc, s12, v0
	s_and_saveexec_b64 s[0:1], vcc
	s_cbranch_execz .LBB137_517
.LBB137_533:
	v_add_u32_e32 v1, s2, v0
	v_add_u32_e32 v0, 0x100, v0
	global_store_byte v1, v8, s[8:9]
	s_or_b64 exec, exec, s[0:1]
	v_cmp_gt_i32_e32 vcc, s12, v0
	s_and_saveexec_b64 s[0:1], vcc
	s_cbranch_execnz .LBB137_518
	s_branch .LBB137_519
.LBB137_534:
	v_cmp_lt_f32_e32 vcc, v2, v3
	s_andn2_b64 s[10:11], s[10:11], exec
	s_and_b64 s[14:15], vcc, exec
	s_or_b64 s[10:11], s[10:11], s[14:15]
	s_cbranch_execz .LBB137_499
	s_branch .LBB137_500
.LBB137_535:
	s_mov_b64 s[14:15], -1
                                        ; implicit-def: $sgpr10_sgpr11
	s_branch .LBB137_285
.LBB137_536:
	s_mov_b64 s[14:15], -1
                                        ; implicit-def: $sgpr10_sgpr11
	s_branch .LBB137_300
.LBB137_537:
	s_mov_b64 s[14:15], -1
                                        ; implicit-def: $sgpr10_sgpr11
	s_branch .LBB137_315
.LBB137_538:
	s_mov_b64 s[14:15], -1
                                        ; implicit-def: $sgpr10_sgpr11
	s_branch .LBB137_330
.LBB137_539:
	s_mov_b64 s[14:15], -1
                                        ; implicit-def: $sgpr10_sgpr11
	s_branch .LBB137_345
.LBB137_540:
	s_mov_b64 s[14:15], -1
                                        ; implicit-def: $sgpr10_sgpr11
	s_branch .LBB137_360
.LBB137_541:
	s_mov_b64 s[14:15], -1
                                        ; implicit-def: $sgpr10_sgpr11
	s_branch .LBB137_375
.LBB137_542:
	s_mov_b64 s[14:15], -1
                                        ; implicit-def: $sgpr10_sgpr11
	s_branch .LBB137_390
.LBB137_543:
	s_mov_b64 s[14:15], -1
                                        ; implicit-def: $sgpr10_sgpr11
	s_branch .LBB137_405
.LBB137_544:
	s_mov_b64 s[14:15], -1
                                        ; implicit-def: $sgpr10_sgpr11
	s_branch .LBB137_420
.LBB137_545:
	s_mov_b64 s[14:15], -1
                                        ; implicit-def: $sgpr10_sgpr11
	s_branch .LBB137_435
.LBB137_546:
	s_mov_b64 s[14:15], -1
                                        ; implicit-def: $sgpr10_sgpr11
	s_branch .LBB137_450
.LBB137_547:
	s_mov_b64 s[14:15], -1
                                        ; implicit-def: $sgpr10_sgpr11
	s_branch .LBB137_465
.LBB137_548:
	s_mov_b64 s[14:15], -1
                                        ; implicit-def: $sgpr10_sgpr11
	s_branch .LBB137_480
.LBB137_549:
	s_mov_b64 s[14:15], -1
                                        ; implicit-def: $sgpr10_sgpr11
	s_branch .LBB137_495
	.section	.rodata,"a",@progbits
	.p2align	6, 0x0
	.amdhsa_kernel _ZN2at6native29vectorized_elementwise_kernelILi8ENS0_12_GLOBAL__N_114CompareFunctorIN3c108BFloat16EEESt5arrayIPcLm3EEEEviT0_T1_
		.amdhsa_group_segment_fixed_size 0
		.amdhsa_private_segment_fixed_size 0
		.amdhsa_kernarg_size 32
		.amdhsa_user_sgpr_count 6
		.amdhsa_user_sgpr_private_segment_buffer 1
		.amdhsa_user_sgpr_dispatch_ptr 0
		.amdhsa_user_sgpr_queue_ptr 0
		.amdhsa_user_sgpr_kernarg_segment_ptr 1
		.amdhsa_user_sgpr_dispatch_id 0
		.amdhsa_user_sgpr_flat_scratch_init 0
		.amdhsa_user_sgpr_private_segment_size 0
		.amdhsa_uses_dynamic_stack 0
		.amdhsa_system_sgpr_private_segment_wavefront_offset 0
		.amdhsa_system_sgpr_workgroup_id_x 1
		.amdhsa_system_sgpr_workgroup_id_y 0
		.amdhsa_system_sgpr_workgroup_id_z 0
		.amdhsa_system_sgpr_workgroup_info 0
		.amdhsa_system_vgpr_workitem_id 0
		.amdhsa_next_free_vgpr 38
		.amdhsa_next_free_sgpr 50
		.amdhsa_reserve_vcc 1
		.amdhsa_reserve_flat_scratch 0
		.amdhsa_float_round_mode_32 0
		.amdhsa_float_round_mode_16_64 0
		.amdhsa_float_denorm_mode_32 3
		.amdhsa_float_denorm_mode_16_64 3
		.amdhsa_dx10_clamp 1
		.amdhsa_ieee_mode 1
		.amdhsa_fp16_overflow 0
		.amdhsa_exception_fp_ieee_invalid_op 0
		.amdhsa_exception_fp_denorm_src 0
		.amdhsa_exception_fp_ieee_div_zero 0
		.amdhsa_exception_fp_ieee_overflow 0
		.amdhsa_exception_fp_ieee_underflow 0
		.amdhsa_exception_fp_ieee_inexact 0
		.amdhsa_exception_int_div_zero 0
	.end_amdhsa_kernel
	.section	.text._ZN2at6native29vectorized_elementwise_kernelILi8ENS0_12_GLOBAL__N_114CompareFunctorIN3c108BFloat16EEESt5arrayIPcLm3EEEEviT0_T1_,"axG",@progbits,_ZN2at6native29vectorized_elementwise_kernelILi8ENS0_12_GLOBAL__N_114CompareFunctorIN3c108BFloat16EEESt5arrayIPcLm3EEEEviT0_T1_,comdat
.Lfunc_end137:
	.size	_ZN2at6native29vectorized_elementwise_kernelILi8ENS0_12_GLOBAL__N_114CompareFunctorIN3c108BFloat16EEESt5arrayIPcLm3EEEEviT0_T1_, .Lfunc_end137-_ZN2at6native29vectorized_elementwise_kernelILi8ENS0_12_GLOBAL__N_114CompareFunctorIN3c108BFloat16EEESt5arrayIPcLm3EEEEviT0_T1_
                                        ; -- End function
	.set _ZN2at6native29vectorized_elementwise_kernelILi8ENS0_12_GLOBAL__N_114CompareFunctorIN3c108BFloat16EEESt5arrayIPcLm3EEEEviT0_T1_.num_vgpr, 38
	.set _ZN2at6native29vectorized_elementwise_kernelILi8ENS0_12_GLOBAL__N_114CompareFunctorIN3c108BFloat16EEESt5arrayIPcLm3EEEEviT0_T1_.num_agpr, 0
	.set _ZN2at6native29vectorized_elementwise_kernelILi8ENS0_12_GLOBAL__N_114CompareFunctorIN3c108BFloat16EEESt5arrayIPcLm3EEEEviT0_T1_.numbered_sgpr, 50
	.set _ZN2at6native29vectorized_elementwise_kernelILi8ENS0_12_GLOBAL__N_114CompareFunctorIN3c108BFloat16EEESt5arrayIPcLm3EEEEviT0_T1_.num_named_barrier, 0
	.set _ZN2at6native29vectorized_elementwise_kernelILi8ENS0_12_GLOBAL__N_114CompareFunctorIN3c108BFloat16EEESt5arrayIPcLm3EEEEviT0_T1_.private_seg_size, 0
	.set _ZN2at6native29vectorized_elementwise_kernelILi8ENS0_12_GLOBAL__N_114CompareFunctorIN3c108BFloat16EEESt5arrayIPcLm3EEEEviT0_T1_.uses_vcc, 1
	.set _ZN2at6native29vectorized_elementwise_kernelILi8ENS0_12_GLOBAL__N_114CompareFunctorIN3c108BFloat16EEESt5arrayIPcLm3EEEEviT0_T1_.uses_flat_scratch, 0
	.set _ZN2at6native29vectorized_elementwise_kernelILi8ENS0_12_GLOBAL__N_114CompareFunctorIN3c108BFloat16EEESt5arrayIPcLm3EEEEviT0_T1_.has_dyn_sized_stack, 0
	.set _ZN2at6native29vectorized_elementwise_kernelILi8ENS0_12_GLOBAL__N_114CompareFunctorIN3c108BFloat16EEESt5arrayIPcLm3EEEEviT0_T1_.has_recursion, 0
	.set _ZN2at6native29vectorized_elementwise_kernelILi8ENS0_12_GLOBAL__N_114CompareFunctorIN3c108BFloat16EEESt5arrayIPcLm3EEEEviT0_T1_.has_indirect_call, 0
	.section	.AMDGPU.csdata,"",@progbits
; Kernel info:
; codeLenInByte = 8732
; TotalNumSgprs: 54
; NumVgprs: 38
; ScratchSize: 0
; MemoryBound: 0
; FloatMode: 240
; IeeeMode: 1
; LDSByteSize: 0 bytes/workgroup (compile time only)
; SGPRBlocks: 6
; VGPRBlocks: 9
; NumSGPRsForWavesPerEU: 54
; NumVGPRsForWavesPerEU: 38
; Occupancy: 6
; WaveLimiterHint : 1
; COMPUTE_PGM_RSRC2:SCRATCH_EN: 0
; COMPUTE_PGM_RSRC2:USER_SGPR: 6
; COMPUTE_PGM_RSRC2:TRAP_HANDLER: 0
; COMPUTE_PGM_RSRC2:TGID_X_EN: 1
; COMPUTE_PGM_RSRC2:TGID_Y_EN: 0
; COMPUTE_PGM_RSRC2:TGID_Z_EN: 0
; COMPUTE_PGM_RSRC2:TIDIG_COMP_CNT: 0
	.section	.text._ZN2at6native29vectorized_elementwise_kernelILi4ENS0_12_GLOBAL__N_114CompareFunctorIN3c108BFloat16EEESt5arrayIPcLm3EEEEviT0_T1_,"axG",@progbits,_ZN2at6native29vectorized_elementwise_kernelILi4ENS0_12_GLOBAL__N_114CompareFunctorIN3c108BFloat16EEESt5arrayIPcLm3EEEEviT0_T1_,comdat
	.globl	_ZN2at6native29vectorized_elementwise_kernelILi4ENS0_12_GLOBAL__N_114CompareFunctorIN3c108BFloat16EEESt5arrayIPcLm3EEEEviT0_T1_ ; -- Begin function _ZN2at6native29vectorized_elementwise_kernelILi4ENS0_12_GLOBAL__N_114CompareFunctorIN3c108BFloat16EEESt5arrayIPcLm3EEEEviT0_T1_
	.p2align	8
	.type	_ZN2at6native29vectorized_elementwise_kernelILi4ENS0_12_GLOBAL__N_114CompareFunctorIN3c108BFloat16EEESt5arrayIPcLm3EEEEviT0_T1_,@function
_ZN2at6native29vectorized_elementwise_kernelILi4ENS0_12_GLOBAL__N_114CompareFunctorIN3c108BFloat16EEESt5arrayIPcLm3EEEEviT0_T1_: ; @_ZN2at6native29vectorized_elementwise_kernelILi4ENS0_12_GLOBAL__N_114CompareFunctorIN3c108BFloat16EEESt5arrayIPcLm3EEEEviT0_T1_
; %bb.0:
	s_load_dwordx2 s[12:13], s[4:5], 0x0
	s_load_dwordx4 s[8:11], s[4:5], 0x8
	s_load_dwordx2 s[14:15], s[4:5], 0x18
	s_lshl_b32 s2, s6, 12
	s_mov_b64 s[0:1], -1
	s_waitcnt lgkmcnt(0)
	s_sub_i32 s12, s12, s2
	s_cmpk_gt_i32 s12, 0xfff
	s_cbranch_scc0 .LBB138_211
; %bb.1:
	s_ashr_i32 s3, s2, 31
	s_lshl_b64 s[0:1], s[2:3], 1
	s_add_u32 s4, s10, s0
	s_addc_u32 s5, s11, s1
	v_lshlrev_b32_e32 v7, 3, v0
	v_mov_b32_e32 v1, s5
	v_add_co_u32_e32 v2, vcc, s4, v7
	v_addc_co_u32_e32 v1, vcc, 0, v1, vcc
	v_add_co_u32_e32 v3, vcc, 0x1000, v2
	s_add_u32 s0, s14, s0
	v_addc_co_u32_e32 v4, vcc, 0, v1, vcc
	s_addc_u32 s1, s15, s1
	global_load_dwordx2 v[5:6], v[3:4], off
	global_load_dwordx2 v[1:2], v[3:4], off offset:2048
	v_mov_b32_e32 v3, s1
	v_add_co_u32_e32 v4, vcc, s0, v7
	v_addc_co_u32_e32 v3, vcc, 0, v3, vcc
	v_add_co_u32_e32 v17, vcc, 0x1000, v4
	v_addc_co_u32_e32 v18, vcc, 0, v3, vcc
	global_load_dwordx2 v[13:14], v7, s[4:5]
	global_load_dwordx2 v[9:10], v7, s[4:5] offset:2048
	global_load_dwordx2 v[15:16], v7, s[0:1]
	global_load_dwordx2 v[11:12], v7, s[0:1] offset:2048
	s_nop 0
	global_load_dwordx2 v[7:8], v[17:18], off
	global_load_dwordx2 v[3:4], v[17:18], off offset:2048
	s_cmp_lt_i32 s13, 1
	s_mov_b64 s[4:5], 0
	s_waitcnt vmcnt(5)
	v_lshlrev_b32_e32 v17, 16, v13
	s_waitcnt vmcnt(3)
	v_lshlrev_b32_e32 v18, 16, v15
	s_cbranch_scc1 .LBB138_5
; %bb.2:
	s_cmp_gt_i32 s13, 1
	s_cbranch_scc0 .LBB138_6
; %bb.3:
	s_cmp_eq_u32 s13, 2
	s_cbranch_scc0 .LBB138_7
; %bb.4:
	v_cmp_le_f32_e64 s[0:1], v17, v18
	s_mov_b64 s[6:7], 0
	s_branch .LBB138_8
.LBB138_5:
                                        ; implicit-def: $sgpr0_sgpr1
	s_mov_b64 s[6:7], 0
	s_cbranch_execnz .LBB138_11
	s_branch .LBB138_12
.LBB138_6:
	s_mov_b64 s[6:7], 0
                                        ; implicit-def: $sgpr0_sgpr1
	s_cbranch_execnz .LBB138_9
	s_branch .LBB138_10
.LBB138_7:
	s_mov_b64 s[6:7], -1
                                        ; implicit-def: $sgpr0_sgpr1
.LBB138_8:
	s_branch .LBB138_10
.LBB138_9:
	v_cmp_gt_f32_e32 vcc, v17, v18
	s_andn2_b64 s[0:1], s[0:1], exec
	s_and_b64 s[16:17], vcc, exec
	s_or_b64 s[0:1], s[0:1], s[16:17]
.LBB138_10:
	s_branch .LBB138_12
.LBB138_11:
	s_cmp_lg_u32 s13, 0
	s_mov_b64 s[4:5], -1
	s_cselect_b64 s[6:7], -1, 0
.LBB138_12:
	s_andn2_b64 vcc, exec, s[6:7]
	s_cbranch_vccz .LBB138_19
; %bb.13:
	s_andn2_b64 vcc, exec, s[4:5]
	s_cbranch_vccnz .LBB138_15
.LBB138_14:
	v_cmp_ge_f32_e32 vcc, v17, v18
	s_andn2_b64 s[0:1], s[0:1], exec
	s_and_b64 s[4:5], vcc, exec
	s_or_b64 s[0:1], s[0:1], s[4:5]
.LBB138_15:
	v_and_b32_e32 v13, 0xffff0000, v13
	v_and_b32_e32 v15, 0xffff0000, v15
	s_cmp_lt_i32 s13, 1
	s_mov_b64 s[6:7], 0
	s_cbranch_scc1 .LBB138_20
; %bb.16:
	s_cmp_gt_i32 s13, 1
	s_cbranch_scc0 .LBB138_21
; %bb.17:
	s_cmp_eq_u32 s13, 2
	s_cbranch_scc0 .LBB138_251
; %bb.18:
	v_cmp_le_f32_e64 s[4:5], v13, v15
	s_mov_b64 s[16:17], 0
	s_branch .LBB138_23
.LBB138_19:
	v_cmp_lt_f32_e32 vcc, v17, v18
	s_andn2_b64 s[0:1], s[0:1], exec
	s_and_b64 s[6:7], vcc, exec
	s_or_b64 s[0:1], s[0:1], s[6:7]
	s_cbranch_execz .LBB138_14
	s_branch .LBB138_15
.LBB138_20:
                                        ; implicit-def: $sgpr4_sgpr5
	s_mov_b64 s[16:17], 0
	s_cbranch_execnz .LBB138_24
	s_branch .LBB138_25
.LBB138_21:
	s_mov_b64 s[16:17], 0
                                        ; implicit-def: $sgpr4_sgpr5
	s_cbranch_execz .LBB138_23
; %bb.22:
	v_cmp_gt_f32_e32 vcc, v13, v15
	s_andn2_b64 s[4:5], s[4:5], exec
	s_and_b64 s[18:19], vcc, exec
	s_or_b64 s[4:5], s[4:5], s[18:19]
.LBB138_23:
	s_branch .LBB138_25
.LBB138_24:
	s_cmp_lg_u32 s13, 0
	s_mov_b64 s[6:7], -1
	s_cselect_b64 s[16:17], -1, 0
.LBB138_25:
	s_andn2_b64 vcc, exec, s[16:17]
	s_cbranch_vccz .LBB138_32
; %bb.26:
	s_andn2_b64 vcc, exec, s[6:7]
	s_cbranch_vccnz .LBB138_28
.LBB138_27:
	v_cmp_ge_f32_e32 vcc, v13, v15
	s_andn2_b64 s[4:5], s[4:5], exec
	s_and_b64 s[6:7], vcc, exec
	s_or_b64 s[4:5], s[4:5], s[6:7]
.LBB138_28:
	v_lshlrev_b32_e32 v13, 16, v14
	v_lshlrev_b32_e32 v15, 16, v16
	s_cmp_lt_i32 s13, 1
	s_mov_b64 s[16:17], 0
	s_cbranch_scc1 .LBB138_33
; %bb.29:
	s_cmp_gt_i32 s13, 1
	s_cbranch_scc0 .LBB138_34
; %bb.30:
	s_cmp_eq_u32 s13, 2
	s_cbranch_scc0 .LBB138_252
; %bb.31:
	v_cmp_le_f32_e64 s[6:7], v13, v15
	s_mov_b64 s[18:19], 0
	s_branch .LBB138_36
.LBB138_32:
	v_cmp_lt_f32_e32 vcc, v13, v15
	s_andn2_b64 s[4:5], s[4:5], exec
	s_and_b64 s[16:17], vcc, exec
	s_or_b64 s[4:5], s[4:5], s[16:17]
	s_cbranch_execz .LBB138_27
	s_branch .LBB138_28
.LBB138_33:
                                        ; implicit-def: $sgpr6_sgpr7
	s_mov_b64 s[18:19], 0
	s_cbranch_execnz .LBB138_37
	s_branch .LBB138_38
.LBB138_34:
	s_mov_b64 s[18:19], 0
                                        ; implicit-def: $sgpr6_sgpr7
	s_cbranch_execz .LBB138_36
; %bb.35:
	v_cmp_gt_f32_e32 vcc, v13, v15
	s_andn2_b64 s[6:7], s[6:7], exec
	s_and_b64 s[20:21], vcc, exec
	s_or_b64 s[6:7], s[6:7], s[20:21]
.LBB138_36:
	s_branch .LBB138_38
.LBB138_37:
	s_cmp_lg_u32 s13, 0
	s_mov_b64 s[16:17], -1
	s_cselect_b64 s[18:19], -1, 0
.LBB138_38:
	s_andn2_b64 vcc, exec, s[18:19]
	s_cbranch_vccz .LBB138_45
; %bb.39:
	s_andn2_b64 vcc, exec, s[16:17]
	s_cbranch_vccnz .LBB138_41
.LBB138_40:
	v_cmp_ge_f32_e32 vcc, v13, v15
	s_andn2_b64 s[6:7], s[6:7], exec
	s_and_b64 s[16:17], vcc, exec
	s_or_b64 s[6:7], s[6:7], s[16:17]
.LBB138_41:
	v_and_b32_e32 v13, 0xffff0000, v14
	v_and_b32_e32 v14, 0xffff0000, v16
	s_cmp_lt_i32 s13, 1
	s_mov_b64 s[18:19], 0
	s_cbranch_scc1 .LBB138_46
; %bb.42:
	s_cmp_gt_i32 s13, 1
	s_cbranch_scc0 .LBB138_47
; %bb.43:
	s_cmp_eq_u32 s13, 2
	s_cbranch_scc0 .LBB138_253
; %bb.44:
	v_cmp_le_f32_e64 s[16:17], v13, v14
	s_mov_b64 s[20:21], 0
	s_branch .LBB138_49
.LBB138_45:
	v_cmp_lt_f32_e32 vcc, v13, v15
	s_andn2_b64 s[6:7], s[6:7], exec
	s_and_b64 s[18:19], vcc, exec
	s_or_b64 s[6:7], s[6:7], s[18:19]
	s_cbranch_execz .LBB138_40
	s_branch .LBB138_41
.LBB138_46:
                                        ; implicit-def: $sgpr16_sgpr17
	s_mov_b64 s[20:21], 0
	s_cbranch_execnz .LBB138_50
	s_branch .LBB138_51
.LBB138_47:
	s_mov_b64 s[20:21], 0
                                        ; implicit-def: $sgpr16_sgpr17
	s_cbranch_execz .LBB138_49
; %bb.48:
	v_cmp_gt_f32_e32 vcc, v13, v14
	s_andn2_b64 s[16:17], s[16:17], exec
	s_and_b64 s[22:23], vcc, exec
	s_or_b64 s[16:17], s[16:17], s[22:23]
.LBB138_49:
	s_branch .LBB138_51
.LBB138_50:
	s_cmp_lg_u32 s13, 0
	s_mov_b64 s[18:19], -1
	s_cselect_b64 s[20:21], -1, 0
.LBB138_51:
	s_andn2_b64 vcc, exec, s[20:21]
	s_cbranch_vccz .LBB138_58
; %bb.52:
	s_andn2_b64 vcc, exec, s[18:19]
	s_cbranch_vccnz .LBB138_54
.LBB138_53:
	v_cmp_ge_f32_e32 vcc, v13, v14
	s_andn2_b64 s[16:17], s[16:17], exec
	s_and_b64 s[18:19], vcc, exec
	s_or_b64 s[16:17], s[16:17], s[18:19]
.LBB138_54:
	v_lshlrev_b32_e32 v13, 16, v9
	s_waitcnt vmcnt(2)
	v_lshlrev_b32_e32 v14, 16, v11
	s_cmp_lt_i32 s13, 1
	s_mov_b64 s[20:21], 0
	s_cbranch_scc1 .LBB138_59
; %bb.55:
	s_cmp_gt_i32 s13, 1
	s_cbranch_scc0 .LBB138_60
; %bb.56:
	s_cmp_eq_u32 s13, 2
	s_cbranch_scc0 .LBB138_254
; %bb.57:
	v_cmp_le_f32_e64 s[18:19], v13, v14
	s_mov_b64 s[22:23], 0
	s_branch .LBB138_62
.LBB138_58:
	v_cmp_lt_f32_e32 vcc, v13, v14
	s_andn2_b64 s[16:17], s[16:17], exec
	s_and_b64 s[20:21], vcc, exec
	s_or_b64 s[16:17], s[16:17], s[20:21]
	s_cbranch_execz .LBB138_53
	s_branch .LBB138_54
.LBB138_59:
                                        ; implicit-def: $sgpr18_sgpr19
	s_mov_b64 s[22:23], 0
	s_cbranch_execnz .LBB138_63
	s_branch .LBB138_64
.LBB138_60:
	s_mov_b64 s[22:23], 0
                                        ; implicit-def: $sgpr18_sgpr19
	s_cbranch_execz .LBB138_62
; %bb.61:
	v_cmp_gt_f32_e32 vcc, v13, v14
	s_andn2_b64 s[18:19], s[18:19], exec
	s_and_b64 s[24:25], vcc, exec
	s_or_b64 s[18:19], s[18:19], s[24:25]
.LBB138_62:
	s_branch .LBB138_64
.LBB138_63:
	s_cmp_lg_u32 s13, 0
	s_mov_b64 s[20:21], -1
	s_cselect_b64 s[22:23], -1, 0
.LBB138_64:
	s_andn2_b64 vcc, exec, s[22:23]
	s_cbranch_vccz .LBB138_71
; %bb.65:
	s_andn2_b64 vcc, exec, s[20:21]
	s_cbranch_vccnz .LBB138_67
.LBB138_66:
	v_cmp_ge_f32_e32 vcc, v13, v14
	s_andn2_b64 s[18:19], s[18:19], exec
	s_and_b64 s[20:21], vcc, exec
	s_or_b64 s[18:19], s[18:19], s[20:21]
.LBB138_67:
	v_and_b32_e32 v9, 0xffff0000, v9
	v_and_b32_e32 v11, 0xffff0000, v11
	s_cmp_lt_i32 s13, 1
	s_mov_b64 s[22:23], 0
	s_cbranch_scc1 .LBB138_72
; %bb.68:
	s_cmp_gt_i32 s13, 1
	s_cbranch_scc0 .LBB138_73
; %bb.69:
	s_cmp_eq_u32 s13, 2
	s_cbranch_scc0 .LBB138_255
; %bb.70:
	v_cmp_le_f32_e64 s[20:21], v9, v11
	s_mov_b64 s[24:25], 0
	s_branch .LBB138_75
.LBB138_71:
	v_cmp_lt_f32_e32 vcc, v13, v14
	s_andn2_b64 s[18:19], s[18:19], exec
	s_and_b64 s[22:23], vcc, exec
	s_or_b64 s[18:19], s[18:19], s[22:23]
	s_cbranch_execz .LBB138_66
	s_branch .LBB138_67
.LBB138_72:
                                        ; implicit-def: $sgpr20_sgpr21
	s_mov_b64 s[24:25], 0
	s_cbranch_execnz .LBB138_76
	s_branch .LBB138_77
.LBB138_73:
	s_mov_b64 s[24:25], 0
                                        ; implicit-def: $sgpr20_sgpr21
	s_cbranch_execz .LBB138_75
; %bb.74:
	v_cmp_gt_f32_e32 vcc, v9, v11
	s_andn2_b64 s[20:21], s[20:21], exec
	s_and_b64 s[26:27], vcc, exec
	s_or_b64 s[20:21], s[20:21], s[26:27]
.LBB138_75:
	s_branch .LBB138_77
.LBB138_76:
	s_cmp_lg_u32 s13, 0
	s_mov_b64 s[22:23], -1
	s_cselect_b64 s[24:25], -1, 0
.LBB138_77:
	s_andn2_b64 vcc, exec, s[24:25]
	s_cbranch_vccz .LBB138_84
; %bb.78:
	s_andn2_b64 vcc, exec, s[22:23]
	s_cbranch_vccnz .LBB138_80
.LBB138_79:
	v_cmp_ge_f32_e32 vcc, v9, v11
	s_andn2_b64 s[20:21], s[20:21], exec
	s_and_b64 s[22:23], vcc, exec
	s_or_b64 s[20:21], s[20:21], s[22:23]
.LBB138_80:
	v_lshlrev_b32_e32 v9, 16, v10
	v_lshlrev_b32_e32 v11, 16, v12
	s_cmp_lt_i32 s13, 1
	s_mov_b64 s[24:25], 0
	s_cbranch_scc1 .LBB138_85
; %bb.81:
	s_cmp_gt_i32 s13, 1
	s_cbranch_scc0 .LBB138_86
; %bb.82:
	s_cmp_eq_u32 s13, 2
	s_cbranch_scc0 .LBB138_256
; %bb.83:
	v_cmp_le_f32_e64 s[22:23], v9, v11
	s_mov_b64 s[26:27], 0
	s_branch .LBB138_88
.LBB138_84:
	v_cmp_lt_f32_e32 vcc, v9, v11
	s_andn2_b64 s[20:21], s[20:21], exec
	s_and_b64 s[24:25], vcc, exec
	s_or_b64 s[20:21], s[20:21], s[24:25]
	s_cbranch_execz .LBB138_79
	s_branch .LBB138_80
.LBB138_85:
                                        ; implicit-def: $sgpr22_sgpr23
	s_mov_b64 s[26:27], 0
	s_cbranch_execnz .LBB138_89
	s_branch .LBB138_90
.LBB138_86:
	s_mov_b64 s[26:27], 0
                                        ; implicit-def: $sgpr22_sgpr23
	s_cbranch_execz .LBB138_88
; %bb.87:
	v_cmp_gt_f32_e32 vcc, v9, v11
	s_andn2_b64 s[22:23], s[22:23], exec
	s_and_b64 s[28:29], vcc, exec
	s_or_b64 s[22:23], s[22:23], s[28:29]
.LBB138_88:
	s_branch .LBB138_90
.LBB138_89:
	s_cmp_lg_u32 s13, 0
	s_mov_b64 s[24:25], -1
	s_cselect_b64 s[26:27], -1, 0
.LBB138_90:
	s_andn2_b64 vcc, exec, s[26:27]
	s_cbranch_vccz .LBB138_97
; %bb.91:
	s_andn2_b64 vcc, exec, s[24:25]
	s_cbranch_vccnz .LBB138_93
.LBB138_92:
	v_cmp_ge_f32_e32 vcc, v9, v11
	s_andn2_b64 s[22:23], s[22:23], exec
	s_and_b64 s[24:25], vcc, exec
	s_or_b64 s[22:23], s[22:23], s[24:25]
.LBB138_93:
	v_and_b32_e32 v9, 0xffff0000, v10
	v_and_b32_e32 v10, 0xffff0000, v12
	s_cmp_lt_i32 s13, 1
	s_mov_b64 s[26:27], 0
	s_cbranch_scc1 .LBB138_98
; %bb.94:
	s_cmp_gt_i32 s13, 1
	s_cbranch_scc0 .LBB138_99
; %bb.95:
	s_cmp_eq_u32 s13, 2
	s_cbranch_scc0 .LBB138_257
; %bb.96:
	v_cmp_le_f32_e64 s[24:25], v9, v10
	s_mov_b64 s[28:29], 0
	s_branch .LBB138_101
.LBB138_97:
	v_cmp_lt_f32_e32 vcc, v9, v11
	s_andn2_b64 s[22:23], s[22:23], exec
	s_and_b64 s[26:27], vcc, exec
	s_or_b64 s[22:23], s[22:23], s[26:27]
	s_cbranch_execz .LBB138_92
	s_branch .LBB138_93
.LBB138_98:
                                        ; implicit-def: $sgpr24_sgpr25
	s_mov_b64 s[28:29], 0
	s_cbranch_execnz .LBB138_102
	s_branch .LBB138_103
.LBB138_99:
	s_mov_b64 s[28:29], 0
                                        ; implicit-def: $sgpr24_sgpr25
	s_cbranch_execz .LBB138_101
; %bb.100:
	v_cmp_gt_f32_e32 vcc, v9, v10
	s_andn2_b64 s[24:25], s[24:25], exec
	s_and_b64 s[30:31], vcc, exec
	s_or_b64 s[24:25], s[24:25], s[30:31]
.LBB138_101:
	s_branch .LBB138_103
.LBB138_102:
	s_cmp_lg_u32 s13, 0
	s_mov_b64 s[26:27], -1
	s_cselect_b64 s[28:29], -1, 0
.LBB138_103:
	s_andn2_b64 vcc, exec, s[28:29]
	s_cbranch_vccz .LBB138_110
; %bb.104:
	s_andn2_b64 vcc, exec, s[26:27]
	s_cbranch_vccnz .LBB138_106
.LBB138_105:
	v_cmp_ge_f32_e32 vcc, v9, v10
	s_andn2_b64 s[24:25], s[24:25], exec
	s_and_b64 s[26:27], vcc, exec
	s_or_b64 s[24:25], s[24:25], s[26:27]
.LBB138_106:
	v_lshlrev_b32_e32 v9, 16, v5
	s_waitcnt vmcnt(1)
	v_lshlrev_b32_e32 v10, 16, v7
	s_cmp_lt_i32 s13, 1
	s_mov_b64 s[28:29], 0
	s_cbranch_scc1 .LBB138_111
; %bb.107:
	s_cmp_gt_i32 s13, 1
	s_cbranch_scc0 .LBB138_112
; %bb.108:
	s_cmp_eq_u32 s13, 2
	s_cbranch_scc0 .LBB138_258
; %bb.109:
	v_cmp_le_f32_e64 s[26:27], v9, v10
	s_mov_b64 s[30:31], 0
	s_branch .LBB138_114
.LBB138_110:
	v_cmp_lt_f32_e32 vcc, v9, v10
	s_andn2_b64 s[24:25], s[24:25], exec
	s_and_b64 s[28:29], vcc, exec
	s_or_b64 s[24:25], s[24:25], s[28:29]
	s_cbranch_execz .LBB138_105
	s_branch .LBB138_106
.LBB138_111:
                                        ; implicit-def: $sgpr26_sgpr27
	s_mov_b64 s[30:31], 0
	s_cbranch_execnz .LBB138_115
	s_branch .LBB138_116
.LBB138_112:
	s_mov_b64 s[30:31], 0
                                        ; implicit-def: $sgpr26_sgpr27
	s_cbranch_execz .LBB138_114
; %bb.113:
	v_cmp_gt_f32_e32 vcc, v9, v10
	s_andn2_b64 s[26:27], s[26:27], exec
	s_and_b64 s[34:35], vcc, exec
	s_or_b64 s[26:27], s[26:27], s[34:35]
.LBB138_114:
	s_branch .LBB138_116
.LBB138_115:
	s_cmp_lg_u32 s13, 0
	s_mov_b64 s[28:29], -1
	s_cselect_b64 s[30:31], -1, 0
.LBB138_116:
	s_andn2_b64 vcc, exec, s[30:31]
	s_cbranch_vccz .LBB138_123
; %bb.117:
	s_andn2_b64 vcc, exec, s[28:29]
	s_cbranch_vccnz .LBB138_119
.LBB138_118:
	v_cmp_ge_f32_e32 vcc, v9, v10
	s_andn2_b64 s[26:27], s[26:27], exec
	s_and_b64 s[28:29], vcc, exec
	s_or_b64 s[26:27], s[26:27], s[28:29]
.LBB138_119:
	v_and_b32_e32 v5, 0xffff0000, v5
	v_and_b32_e32 v7, 0xffff0000, v7
	s_cmp_lt_i32 s13, 1
	s_mov_b64 s[30:31], 0
	s_cbranch_scc1 .LBB138_124
; %bb.120:
	s_cmp_gt_i32 s13, 1
	s_cbranch_scc0 .LBB138_125
; %bb.121:
	s_cmp_eq_u32 s13, 2
	s_cbranch_scc0 .LBB138_259
; %bb.122:
	v_cmp_le_f32_e64 s[28:29], v5, v7
	s_mov_b64 s[34:35], 0
	s_branch .LBB138_127
.LBB138_123:
	v_cmp_lt_f32_e32 vcc, v9, v10
	s_andn2_b64 s[26:27], s[26:27], exec
	s_and_b64 s[30:31], vcc, exec
	s_or_b64 s[26:27], s[26:27], s[30:31]
	s_cbranch_execz .LBB138_118
	s_branch .LBB138_119
.LBB138_124:
                                        ; implicit-def: $sgpr28_sgpr29
	s_mov_b64 s[34:35], 0
	s_cbranch_execnz .LBB138_128
	s_branch .LBB138_129
.LBB138_125:
	s_mov_b64 s[34:35], 0
                                        ; implicit-def: $sgpr28_sgpr29
	s_cbranch_execz .LBB138_127
; %bb.126:
	v_cmp_gt_f32_e32 vcc, v5, v7
	s_andn2_b64 s[28:29], s[28:29], exec
	s_and_b64 s[36:37], vcc, exec
	s_or_b64 s[28:29], s[28:29], s[36:37]
.LBB138_127:
	s_branch .LBB138_129
.LBB138_128:
	s_cmp_lg_u32 s13, 0
	s_mov_b64 s[30:31], -1
	s_cselect_b64 s[34:35], -1, 0
.LBB138_129:
	s_andn2_b64 vcc, exec, s[34:35]
	s_cbranch_vccz .LBB138_136
; %bb.130:
	s_andn2_b64 vcc, exec, s[30:31]
	s_cbranch_vccnz .LBB138_132
.LBB138_131:
	v_cmp_ge_f32_e32 vcc, v5, v7
	s_andn2_b64 s[28:29], s[28:29], exec
	s_and_b64 s[30:31], vcc, exec
	s_or_b64 s[28:29], s[28:29], s[30:31]
.LBB138_132:
	v_lshlrev_b32_e32 v5, 16, v6
	v_lshlrev_b32_e32 v7, 16, v8
	s_cmp_lt_i32 s13, 1
	s_mov_b64 s[34:35], 0
	s_cbranch_scc1 .LBB138_137
; %bb.133:
	s_cmp_gt_i32 s13, 1
	s_cbranch_scc0 .LBB138_138
; %bb.134:
	s_cmp_eq_u32 s13, 2
	s_cbranch_scc0 .LBB138_260
; %bb.135:
	v_cmp_le_f32_e64 s[30:31], v5, v7
	s_mov_b64 s[36:37], 0
	s_branch .LBB138_140
.LBB138_136:
	v_cmp_lt_f32_e32 vcc, v5, v7
	s_andn2_b64 s[28:29], s[28:29], exec
	s_and_b64 s[34:35], vcc, exec
	s_or_b64 s[28:29], s[28:29], s[34:35]
	s_cbranch_execz .LBB138_131
	s_branch .LBB138_132
.LBB138_137:
                                        ; implicit-def: $sgpr30_sgpr31
	s_mov_b64 s[36:37], 0
	s_cbranch_execnz .LBB138_141
	s_branch .LBB138_142
.LBB138_138:
	s_mov_b64 s[36:37], 0
                                        ; implicit-def: $sgpr30_sgpr31
	s_cbranch_execz .LBB138_140
; %bb.139:
	v_cmp_gt_f32_e32 vcc, v5, v7
	s_andn2_b64 s[30:31], s[30:31], exec
	s_and_b64 s[38:39], vcc, exec
	s_or_b64 s[30:31], s[30:31], s[38:39]
.LBB138_140:
	s_branch .LBB138_142
.LBB138_141:
	s_cmp_lg_u32 s13, 0
	s_mov_b64 s[34:35], -1
	s_cselect_b64 s[36:37], -1, 0
.LBB138_142:
	s_andn2_b64 vcc, exec, s[36:37]
	s_cbranch_vccz .LBB138_149
; %bb.143:
	s_andn2_b64 vcc, exec, s[34:35]
	s_cbranch_vccnz .LBB138_145
.LBB138_144:
	v_cmp_ge_f32_e32 vcc, v5, v7
	s_andn2_b64 s[30:31], s[30:31], exec
	s_and_b64 s[34:35], vcc, exec
	s_or_b64 s[30:31], s[30:31], s[34:35]
.LBB138_145:
	v_and_b32_e32 v5, 0xffff0000, v6
	v_and_b32_e32 v6, 0xffff0000, v8
	s_cmp_lt_i32 s13, 1
	s_mov_b64 s[36:37], 0
	s_cbranch_scc1 .LBB138_150
; %bb.146:
	s_cmp_gt_i32 s13, 1
	s_cbranch_scc0 .LBB138_151
; %bb.147:
	s_cmp_eq_u32 s13, 2
	s_cbranch_scc0 .LBB138_261
; %bb.148:
	v_cmp_le_f32_e64 s[34:35], v5, v6
	s_mov_b64 s[38:39], 0
	s_branch .LBB138_153
.LBB138_149:
	v_cmp_lt_f32_e32 vcc, v5, v7
	s_andn2_b64 s[30:31], s[30:31], exec
	s_and_b64 s[36:37], vcc, exec
	s_or_b64 s[30:31], s[30:31], s[36:37]
	s_cbranch_execz .LBB138_144
	s_branch .LBB138_145
.LBB138_150:
                                        ; implicit-def: $sgpr34_sgpr35
	s_mov_b64 s[38:39], 0
	s_cbranch_execnz .LBB138_154
	s_branch .LBB138_155
.LBB138_151:
	s_mov_b64 s[38:39], 0
                                        ; implicit-def: $sgpr34_sgpr35
	s_cbranch_execz .LBB138_153
; %bb.152:
	v_cmp_gt_f32_e32 vcc, v5, v6
	s_andn2_b64 s[34:35], s[34:35], exec
	s_and_b64 s[40:41], vcc, exec
	s_or_b64 s[34:35], s[34:35], s[40:41]
.LBB138_153:
	s_branch .LBB138_155
.LBB138_154:
	s_cmp_lg_u32 s13, 0
	s_mov_b64 s[36:37], -1
	s_cselect_b64 s[38:39], -1, 0
.LBB138_155:
	s_andn2_b64 vcc, exec, s[38:39]
	s_cbranch_vccz .LBB138_162
; %bb.156:
	s_andn2_b64 vcc, exec, s[36:37]
	s_cbranch_vccnz .LBB138_158
.LBB138_157:
	v_cmp_ge_f32_e32 vcc, v5, v6
	s_andn2_b64 s[34:35], s[34:35], exec
	s_and_b64 s[36:37], vcc, exec
	s_or_b64 s[34:35], s[34:35], s[36:37]
.LBB138_158:
	v_lshlrev_b32_e32 v5, 16, v1
	s_waitcnt vmcnt(0)
	v_lshlrev_b32_e32 v6, 16, v3
	s_cmp_lt_i32 s13, 1
	s_mov_b64 s[38:39], 0
	s_cbranch_scc1 .LBB138_163
; %bb.159:
	s_cmp_gt_i32 s13, 1
	s_cbranch_scc0 .LBB138_164
; %bb.160:
	s_cmp_eq_u32 s13, 2
	s_cbranch_scc0 .LBB138_262
; %bb.161:
	v_cmp_le_f32_e64 s[36:37], v5, v6
	s_mov_b64 s[40:41], 0
	s_branch .LBB138_166
.LBB138_162:
	v_cmp_lt_f32_e32 vcc, v5, v6
	s_andn2_b64 s[34:35], s[34:35], exec
	s_and_b64 s[38:39], vcc, exec
	s_or_b64 s[34:35], s[34:35], s[38:39]
	s_cbranch_execz .LBB138_157
	s_branch .LBB138_158
.LBB138_163:
                                        ; implicit-def: $sgpr36_sgpr37
	s_mov_b64 s[40:41], 0
	s_cbranch_execnz .LBB138_167
	s_branch .LBB138_168
.LBB138_164:
	s_mov_b64 s[40:41], 0
                                        ; implicit-def: $sgpr36_sgpr37
	s_cbranch_execz .LBB138_166
; %bb.165:
	v_cmp_gt_f32_e32 vcc, v5, v6
	s_andn2_b64 s[36:37], s[36:37], exec
	s_and_b64 s[42:43], vcc, exec
	s_or_b64 s[36:37], s[36:37], s[42:43]
.LBB138_166:
	s_branch .LBB138_168
.LBB138_167:
	s_cmp_lg_u32 s13, 0
	s_mov_b64 s[38:39], -1
	s_cselect_b64 s[40:41], -1, 0
.LBB138_168:
	s_andn2_b64 vcc, exec, s[40:41]
	s_cbranch_vccz .LBB138_175
; %bb.169:
	s_andn2_b64 vcc, exec, s[38:39]
	s_cbranch_vccnz .LBB138_171
.LBB138_170:
	v_cmp_ge_f32_e32 vcc, v5, v6
	s_andn2_b64 s[36:37], s[36:37], exec
	s_and_b64 s[38:39], vcc, exec
	s_or_b64 s[36:37], s[36:37], s[38:39]
.LBB138_171:
	v_and_b32_e32 v1, 0xffff0000, v1
	v_and_b32_e32 v3, 0xffff0000, v3
	s_cmp_lt_i32 s13, 1
	s_mov_b64 s[40:41], 0
	s_cbranch_scc1 .LBB138_176
; %bb.172:
	s_cmp_gt_i32 s13, 1
	s_cbranch_scc0 .LBB138_177
; %bb.173:
	s_cmp_eq_u32 s13, 2
	s_cbranch_scc0 .LBB138_263
; %bb.174:
	v_cmp_le_f32_e64 s[38:39], v1, v3
	s_mov_b64 s[42:43], 0
	s_branch .LBB138_179
.LBB138_175:
	v_cmp_lt_f32_e32 vcc, v5, v6
	s_andn2_b64 s[36:37], s[36:37], exec
	s_and_b64 s[40:41], vcc, exec
	s_or_b64 s[36:37], s[36:37], s[40:41]
	s_cbranch_execz .LBB138_170
	s_branch .LBB138_171
.LBB138_176:
                                        ; implicit-def: $sgpr38_sgpr39
	s_mov_b64 s[42:43], 0
	s_cbranch_execnz .LBB138_180
	s_branch .LBB138_181
.LBB138_177:
	s_mov_b64 s[42:43], 0
                                        ; implicit-def: $sgpr38_sgpr39
	s_cbranch_execz .LBB138_179
; %bb.178:
	v_cmp_gt_f32_e32 vcc, v1, v3
	s_andn2_b64 s[38:39], s[38:39], exec
	s_and_b64 s[44:45], vcc, exec
	s_or_b64 s[38:39], s[38:39], s[44:45]
.LBB138_179:
	s_branch .LBB138_181
.LBB138_180:
	s_cmp_lg_u32 s13, 0
	s_mov_b64 s[40:41], -1
	s_cselect_b64 s[42:43], -1, 0
.LBB138_181:
	s_andn2_b64 vcc, exec, s[42:43]
	s_cbranch_vccz .LBB138_188
; %bb.182:
	s_andn2_b64 vcc, exec, s[40:41]
	s_cbranch_vccnz .LBB138_184
.LBB138_183:
	v_cmp_ge_f32_e32 vcc, v1, v3
	s_andn2_b64 s[38:39], s[38:39], exec
	s_and_b64 s[40:41], vcc, exec
	s_or_b64 s[38:39], s[38:39], s[40:41]
.LBB138_184:
	v_lshlrev_b32_e32 v1, 16, v2
	v_lshlrev_b32_e32 v3, 16, v4
	s_cmp_lt_i32 s13, 1
	s_mov_b64 s[42:43], 0
	s_cbranch_scc1 .LBB138_189
; %bb.185:
	s_cmp_gt_i32 s13, 1
	s_cbranch_scc0 .LBB138_190
; %bb.186:
	s_cmp_eq_u32 s13, 2
	s_cbranch_scc0 .LBB138_264
; %bb.187:
	v_cmp_le_f32_e64 s[40:41], v1, v3
	s_mov_b64 s[44:45], 0
	s_branch .LBB138_192
.LBB138_188:
	v_cmp_lt_f32_e32 vcc, v1, v3
	s_andn2_b64 s[38:39], s[38:39], exec
	s_and_b64 s[42:43], vcc, exec
	s_or_b64 s[38:39], s[38:39], s[42:43]
	s_cbranch_execz .LBB138_183
	s_branch .LBB138_184
.LBB138_189:
                                        ; implicit-def: $sgpr40_sgpr41
	s_mov_b64 s[44:45], 0
	s_cbranch_execnz .LBB138_193
	s_branch .LBB138_194
.LBB138_190:
	s_mov_b64 s[44:45], 0
                                        ; implicit-def: $sgpr40_sgpr41
	s_cbranch_execz .LBB138_192
; %bb.191:
	v_cmp_gt_f32_e32 vcc, v1, v3
	s_andn2_b64 s[40:41], s[40:41], exec
	s_and_b64 s[46:47], vcc, exec
	s_or_b64 s[40:41], s[40:41], s[46:47]
.LBB138_192:
	s_branch .LBB138_194
.LBB138_193:
	s_cmp_lg_u32 s13, 0
	s_mov_b64 s[42:43], -1
	s_cselect_b64 s[44:45], -1, 0
.LBB138_194:
	s_andn2_b64 vcc, exec, s[44:45]
	s_cbranch_vccz .LBB138_201
; %bb.195:
	s_andn2_b64 vcc, exec, s[42:43]
	s_cbranch_vccnz .LBB138_197
.LBB138_196:
	v_cmp_ge_f32_e32 vcc, v1, v3
	s_andn2_b64 s[40:41], s[40:41], exec
	s_and_b64 s[42:43], vcc, exec
	s_or_b64 s[40:41], s[40:41], s[42:43]
.LBB138_197:
	v_and_b32_e32 v1, 0xffff0000, v2
	v_and_b32_e32 v2, 0xffff0000, v4
	s_cmp_lt_i32 s13, 1
	s_mov_b64 s[44:45], 0
	s_cbranch_scc1 .LBB138_202
; %bb.198:
	s_cmp_gt_i32 s13, 1
	s_cbranch_scc0 .LBB138_203
; %bb.199:
	s_cmp_eq_u32 s13, 2
	s_cbranch_scc0 .LBB138_265
; %bb.200:
	v_cmp_le_f32_e64 s[42:43], v1, v2
	s_mov_b64 s[46:47], 0
	s_branch .LBB138_205
.LBB138_201:
	v_cmp_lt_f32_e32 vcc, v1, v3
	s_andn2_b64 s[40:41], s[40:41], exec
	s_and_b64 s[44:45], vcc, exec
	s_or_b64 s[40:41], s[40:41], s[44:45]
	s_cbranch_execz .LBB138_196
	s_branch .LBB138_197
.LBB138_202:
                                        ; implicit-def: $sgpr42_sgpr43
	s_mov_b64 s[46:47], 0
	s_cbranch_execnz .LBB138_206
	s_branch .LBB138_207
.LBB138_203:
	s_mov_b64 s[46:47], 0
                                        ; implicit-def: $sgpr42_sgpr43
	s_cbranch_execz .LBB138_205
; %bb.204:
	v_cmp_gt_f32_e32 vcc, v1, v2
	s_andn2_b64 s[42:43], s[42:43], exec
	s_and_b64 s[48:49], vcc, exec
	s_or_b64 s[42:43], s[42:43], s[48:49]
.LBB138_205:
	s_branch .LBB138_207
.LBB138_206:
	s_cmp_lg_u32 s13, 0
	s_mov_b64 s[44:45], -1
	s_cselect_b64 s[46:47], -1, 0
.LBB138_207:
	s_andn2_b64 vcc, exec, s[46:47]
	s_cbranch_vccz .LBB138_249
; %bb.208:
	s_andn2_b64 vcc, exec, s[44:45]
	s_cbranch_vccnz .LBB138_210
.LBB138_209:
	v_cmp_ge_f32_e32 vcc, v1, v2
	s_andn2_b64 s[42:43], s[42:43], exec
	s_and_b64 s[44:45], vcc, exec
	s_or_b64 s[42:43], s[42:43], s[44:45]
.LBB138_210:
	v_mov_b32_e32 v1, 0x100
	v_cndmask_b32_e64 v2, 0, v1, s[38:39]
	v_cndmask_b32_e64 v3, 0, 1, s[36:37]
	v_or_b32_e32 v2, v2, v3
	v_mov_b32_e32 v3, 0x10000
	v_cndmask_b32_e64 v5, 0, v1, s[28:29]
	v_cndmask_b32_e64 v6, 0, 1, s[26:27]
	v_mov_b32_e32 v7, 0x1000000
	v_or_b32_e32 v5, v5, v6
	v_cndmask_b32_e64 v6, 0, v3, s[30:31]
	v_cndmask_b32_e64 v8, 0, v7, s[34:35]
	v_or3_b32 v5, v5, v6, v8
	v_cndmask_b32_e64 v6, 0, v1, s[20:21]
	v_cndmask_b32_e64 v8, 0, 1, s[18:19]
	v_or_b32_e32 v6, v6, v8
	v_cndmask_b32_e64 v8, 0, v3, s[22:23]
	v_cndmask_b32_e64 v9, 0, v7, s[24:25]
	v_or3_b32 v6, v6, v8, v9
	v_cndmask_b32_e64 v1, 0, v1, s[4:5]
	v_cndmask_b32_e64 v8, 0, 1, s[0:1]
	;; [unrolled: 1-line block ×3, first 2 shown]
	v_or_b32_e32 v1, v1, v8
	v_cndmask_b32_e64 v3, 0, v3, s[6:7]
	v_cndmask_b32_e64 v8, 0, v7, s[16:17]
	v_or3_b32 v1, v1, v3, v8
	v_cndmask_b32_e64 v3, 0, v7, s[42:43]
	s_add_u32 s0, s8, s2
	v_or3_b32 v2, v2, v4, v3
	s_addc_u32 s1, s9, s3
	v_lshlrev_b32_e32 v3, 2, v0
	global_store_dword v3, v1, s[0:1]
	global_store_dword v3, v6, s[0:1] offset:1024
	global_store_dword v3, v5, s[0:1] offset:2048
	;; [unrolled: 1-line block ×3, first 2 shown]
	s_mov_b64 s[0:1], 0
.LBB138_211:
	s_and_b64 vcc, exec, s[0:1]
	s_cbranch_vccz .LBB138_519
; %bb.212:
	v_cmp_gt_i32_e64 s[0:1], s12, v0
	v_mov_b32_e32 v14, 0
	v_or_b32_e32 v1, s2, v0
	v_mov_b32_e32 v6, v0
	v_mov_b32_e32 v7, 0
	;; [unrolled: 1-line block ×3, first 2 shown]
	s_and_saveexec_b64 s[4:5], s[0:1]
	s_cbranch_execz .LBB138_214
; %bb.213:
	v_mov_b32_e32 v2, 0
	v_lshlrev_b64 v[2:3], 1, v[1:2]
	v_mov_b32_e32 v5, s15
	v_add_co_u32_e32 v4, vcc, s14, v2
	v_addc_co_u32_e32 v5, vcc, v5, v3, vcc
	v_mov_b32_e32 v6, s11
	v_add_co_u32_e32 v2, vcc, s10, v2
	v_addc_co_u32_e32 v3, vcc, v6, v3, vcc
	global_load_ushort v7, v[2:3], off
	global_load_ushort v8, v[4:5], off
	v_or_b32_e32 v6, 0x100, v0
	s_waitcnt vmcnt(1)
	v_lshlrev_b32_e32 v7, 16, v7
	s_waitcnt vmcnt(0)
	v_lshlrev_b32_e32 v10, 16, v8
.LBB138_214:
	s_or_b64 exec, exec, s[4:5]
	v_cmp_gt_i32_e32 vcc, s12, v6
	v_mov_b32_e32 v34, 0
	s_and_saveexec_b64 s[4:5], vcc
	s_cbranch_execz .LBB138_216
; %bb.215:
	v_add_u32_e32 v2, s2, v6
	v_mov_b32_e32 v3, 0
	v_lshlrev_b64 v[2:3], 1, v[2:3]
	v_mov_b32_e32 v5, s15
	v_add_co_u32_e32 v4, vcc, s14, v2
	v_addc_co_u32_e32 v5, vcc, v5, v3, vcc
	v_mov_b32_e32 v8, s11
	v_add_co_u32_e32 v2, vcc, s10, v2
	v_addc_co_u32_e32 v3, vcc, v8, v3, vcc
	global_load_ushort v8, v[2:3], off
	global_load_ushort v9, v[4:5], off
	v_add_u32_e32 v6, 0x100, v6
	s_waitcnt vmcnt(1)
	v_lshlrev_b32_e32 v14, 16, v8
	s_waitcnt vmcnt(0)
	v_lshlrev_b32_e32 v34, 16, v9
.LBB138_216:
	s_or_b64 exec, exec, s[4:5]
	v_cmp_gt_i32_e32 vcc, s12, v6
	v_mov_b32_e32 v21, 0
	v_mov_b32_e32 v18, 0
	v_mov_b32_e32 v33, 0
	s_and_saveexec_b64 s[4:5], vcc
	s_cbranch_execz .LBB138_218
; %bb.217:
	v_add_u32_e32 v2, s2, v6
	v_mov_b32_e32 v3, 0
	v_lshlrev_b64 v[2:3], 1, v[2:3]
	v_mov_b32_e32 v5, s15
	v_add_co_u32_e32 v4, vcc, s14, v2
	v_addc_co_u32_e32 v5, vcc, v5, v3, vcc
	v_mov_b32_e32 v8, s11
	v_add_co_u32_e32 v2, vcc, s10, v2
	v_addc_co_u32_e32 v3, vcc, v8, v3, vcc
	global_load_ushort v8, v[2:3], off
	global_load_ushort v9, v[4:5], off
	v_add_u32_e32 v6, 0x100, v6
	s_waitcnt vmcnt(1)
	v_lshlrev_b32_e32 v18, 16, v8
	s_waitcnt vmcnt(0)
	v_lshlrev_b32_e32 v33, 16, v9
.LBB138_218:
	s_or_b64 exec, exec, s[4:5]
	v_cmp_gt_i32_e32 vcc, s12, v6
	v_mov_b32_e32 v32, 0
	s_and_saveexec_b64 s[4:5], vcc
	s_cbranch_execz .LBB138_220
; %bb.219:
	v_add_u32_e32 v2, s2, v6
	v_mov_b32_e32 v3, 0
	v_lshlrev_b64 v[2:3], 1, v[2:3]
	v_mov_b32_e32 v5, s15
	v_add_co_u32_e32 v4, vcc, s14, v2
	v_addc_co_u32_e32 v5, vcc, v5, v3, vcc
	v_mov_b32_e32 v8, s11
	v_add_co_u32_e32 v2, vcc, s10, v2
	v_addc_co_u32_e32 v3, vcc, v8, v3, vcc
	global_load_ushort v8, v[2:3], off
	global_load_ushort v9, v[4:5], off
	v_add_u32_e32 v6, 0x100, v6
	s_waitcnt vmcnt(1)
	v_lshlrev_b32_e32 v21, 16, v8
	s_waitcnt vmcnt(0)
	v_lshlrev_b32_e32 v32, 16, v9
.LBB138_220:
	s_or_b64 exec, exec, s[4:5]
	v_cmp_gt_i32_e32 vcc, s12, v6
	v_mov_b32_e32 v27, 0
	v_mov_b32_e32 v25, 0
	v_mov_b32_e32 v31, 0
	s_and_saveexec_b64 s[4:5], vcc
	s_cbranch_execz .LBB138_222
; %bb.221:
	v_add_u32_e32 v2, s2, v6
	v_mov_b32_e32 v3, 0
	v_lshlrev_b64 v[2:3], 1, v[2:3]
	v_mov_b32_e32 v5, s15
	v_add_co_u32_e32 v4, vcc, s14, v2
	v_addc_co_u32_e32 v5, vcc, v5, v3, vcc
	v_mov_b32_e32 v8, s11
	v_add_co_u32_e32 v2, vcc, s10, v2
	v_addc_co_u32_e32 v3, vcc, v8, v3, vcc
	global_load_ushort v8, v[2:3], off
	global_load_ushort v9, v[4:5], off
	v_add_u32_e32 v6, 0x100, v6
	s_waitcnt vmcnt(1)
	v_lshlrev_b32_e32 v25, 16, v8
	s_waitcnt vmcnt(0)
	v_lshlrev_b32_e32 v31, 16, v9
.LBB138_222:
	;; [unrolled: 48-line block ×7, first 2 shown]
	s_or_b64 exec, exec, s[4:5]
	v_cmp_gt_i32_e32 vcc, s12, v6
	v_mov_b32_e32 v3, 0
	s_and_saveexec_b64 s[4:5], vcc
	s_cbranch_execz .LBB138_244
; %bb.243:
	v_add_u32_e32 v2, s2, v6
	v_mov_b32_e32 v3, 0
	v_lshlrev_b64 v[2:3], 1, v[2:3]
	v_mov_b32_e32 v6, s15
	v_add_co_u32_e32 v35, vcc, s14, v2
	v_addc_co_u32_e32 v36, vcc, v6, v3, vcc
	v_mov_b32_e32 v6, s11
	v_add_co_u32_e32 v2, vcc, s10, v2
	v_addc_co_u32_e32 v3, vcc, v6, v3, vcc
	global_load_ushort v6, v[2:3], off
	global_load_ushort v37, v[35:36], off
	s_waitcnt vmcnt(1)
	v_lshlrev_b32_e32 v2, 16, v6
	s_waitcnt vmcnt(0)
	v_lshlrev_b32_e32 v3, 16, v37
.LBB138_244:
	s_or_b64 exec, exec, s[4:5]
                                        ; implicit-def: $vgpr6
	s_and_saveexec_b64 s[4:5], s[0:1]
	s_cbranch_execz .LBB138_276
; %bb.245:
	s_cmp_lt_i32 s13, 1
	s_mov_b64 s[6:7], 0
	s_cbranch_scc1 .LBB138_250
; %bb.246:
	s_cmp_gt_i32 s13, 1
	s_cbranch_scc0 .LBB138_266
; %bb.247:
	s_cmp_eq_u32 s13, 2
	s_cbranch_scc0 .LBB138_267
; %bb.248:
	v_cmp_le_f32_e64 s[10:11], v7, v10
	s_mov_b64 s[14:15], 0
	s_branch .LBB138_268
.LBB138_249:
	v_cmp_lt_f32_e32 vcc, v1, v2
	s_andn2_b64 s[42:43], s[42:43], exec
	s_and_b64 s[46:47], vcc, exec
	s_or_b64 s[42:43], s[42:43], s[46:47]
	s_cbranch_execz .LBB138_209
	s_branch .LBB138_210
.LBB138_250:
                                        ; implicit-def: $sgpr10_sgpr11
	s_mov_b64 s[14:15], 0
	s_cbranch_execnz .LBB138_271
	s_branch .LBB138_272
.LBB138_251:
	s_mov_b64 s[16:17], -1
                                        ; implicit-def: $sgpr4_sgpr5
	s_branch .LBB138_23
.LBB138_252:
	s_mov_b64 s[18:19], -1
                                        ; implicit-def: $sgpr6_sgpr7
	s_branch .LBB138_36
.LBB138_253:
	s_mov_b64 s[20:21], -1
                                        ; implicit-def: $sgpr16_sgpr17
	s_branch .LBB138_49
.LBB138_254:
	s_mov_b64 s[22:23], -1
                                        ; implicit-def: $sgpr18_sgpr19
	s_branch .LBB138_62
.LBB138_255:
	s_mov_b64 s[24:25], -1
                                        ; implicit-def: $sgpr20_sgpr21
	s_branch .LBB138_75
.LBB138_256:
	s_mov_b64 s[26:27], -1
                                        ; implicit-def: $sgpr22_sgpr23
	s_branch .LBB138_88
.LBB138_257:
	s_mov_b64 s[28:29], -1
                                        ; implicit-def: $sgpr24_sgpr25
	s_branch .LBB138_101
.LBB138_258:
	s_mov_b64 s[30:31], -1
                                        ; implicit-def: $sgpr26_sgpr27
	s_branch .LBB138_114
.LBB138_259:
	s_mov_b64 s[34:35], -1
                                        ; implicit-def: $sgpr28_sgpr29
	s_branch .LBB138_127
.LBB138_260:
	s_mov_b64 s[36:37], -1
                                        ; implicit-def: $sgpr30_sgpr31
	s_branch .LBB138_140
.LBB138_261:
	s_mov_b64 s[38:39], -1
                                        ; implicit-def: $sgpr34_sgpr35
	s_branch .LBB138_153
.LBB138_262:
	s_mov_b64 s[40:41], -1
                                        ; implicit-def: $sgpr36_sgpr37
	s_branch .LBB138_166
.LBB138_263:
	s_mov_b64 s[42:43], -1
                                        ; implicit-def: $sgpr38_sgpr39
	s_branch .LBB138_179
.LBB138_264:
	s_mov_b64 s[44:45], -1
                                        ; implicit-def: $sgpr40_sgpr41
	s_branch .LBB138_192
.LBB138_265:
	s_mov_b64 s[46:47], -1
                                        ; implicit-def: $sgpr42_sgpr43
	s_branch .LBB138_205
.LBB138_266:
	s_mov_b64 s[14:15], 0
                                        ; implicit-def: $sgpr10_sgpr11
	s_cbranch_execnz .LBB138_269
	s_branch .LBB138_270
.LBB138_267:
	s_mov_b64 s[14:15], -1
                                        ; implicit-def: $sgpr10_sgpr11
.LBB138_268:
	s_branch .LBB138_270
.LBB138_269:
	v_cmp_gt_f32_e32 vcc, v7, v10
	s_andn2_b64 s[10:11], s[10:11], exec
	s_and_b64 s[16:17], vcc, exec
	s_or_b64 s[10:11], s[10:11], s[16:17]
.LBB138_270:
	s_branch .LBB138_272
.LBB138_271:
	s_cmp_lg_u32 s13, 0
	s_mov_b64 s[6:7], -1
	s_cselect_b64 s[14:15], -1, 0
.LBB138_272:
	s_andn2_b64 vcc, exec, s[14:15]
	s_cbranch_vccz .LBB138_281
; %bb.273:
	s_andn2_b64 vcc, exec, s[6:7]
	s_cbranch_vccnz .LBB138_275
.LBB138_274:
	v_cmp_ge_f32_e32 vcc, v7, v10
	s_andn2_b64 s[6:7], s[10:11], exec
	s_and_b64 s[10:11], vcc, exec
	s_or_b64 s[10:11], s[6:7], s[10:11]
.LBB138_275:
	v_cndmask_b32_e64 v6, 0, 1, s[10:11]
.LBB138_276:
	s_or_b64 exec, exec, s[4:5]
	v_or_b32_e32 v7, 0x100, v0
	v_cmp_gt_i32_e32 vcc, s12, v7
                                        ; implicit-def: $vgpr10
	s_and_saveexec_b64 s[4:5], vcc
	s_cbranch_execz .LBB138_291
; %bb.277:
	s_cmp_lt_i32 s13, 1
	s_mov_b64 s[6:7], 0
	s_cbranch_scc1 .LBB138_282
; %bb.278:
	s_cmp_gt_i32 s13, 1
	s_cbranch_scc0 .LBB138_283
; %bb.279:
	s_cmp_eq_u32 s13, 2
	s_cbranch_scc0 .LBB138_535
; %bb.280:
	v_cmp_le_f32_e64 s[10:11], v14, v34
	s_mov_b64 s[14:15], 0
	s_branch .LBB138_285
.LBB138_281:
	v_cmp_lt_f32_e32 vcc, v7, v10
	s_andn2_b64 s[10:11], s[10:11], exec
	s_and_b64 s[14:15], vcc, exec
	s_or_b64 s[10:11], s[10:11], s[14:15]
	s_cbranch_execz .LBB138_274
	s_branch .LBB138_275
.LBB138_282:
                                        ; implicit-def: $sgpr10_sgpr11
	s_mov_b64 s[14:15], 0
	s_cbranch_execnz .LBB138_286
	s_branch .LBB138_287
.LBB138_283:
	s_mov_b64 s[14:15], 0
                                        ; implicit-def: $sgpr10_sgpr11
	s_cbranch_execz .LBB138_285
; %bb.284:
	v_cmp_gt_f32_e32 vcc, v14, v34
	s_andn2_b64 s[10:11], s[10:11], exec
	s_and_b64 s[16:17], vcc, exec
	s_or_b64 s[10:11], s[10:11], s[16:17]
.LBB138_285:
	s_branch .LBB138_287
.LBB138_286:
	s_cmp_lg_u32 s13, 0
	s_mov_b64 s[6:7], -1
	s_cselect_b64 s[14:15], -1, 0
.LBB138_287:
	s_andn2_b64 vcc, exec, s[14:15]
	s_cbranch_vccz .LBB138_296
; %bb.288:
	s_andn2_b64 vcc, exec, s[6:7]
	s_cbranch_vccnz .LBB138_290
.LBB138_289:
	v_cmp_ge_f32_e32 vcc, v14, v34
	s_andn2_b64 s[6:7], s[10:11], exec
	s_and_b64 s[10:11], vcc, exec
	s_or_b64 s[10:11], s[6:7], s[10:11]
.LBB138_290:
	v_cndmask_b32_e64 v10, 0, 1, s[10:11]
.LBB138_291:
	s_or_b64 exec, exec, s[4:5]
	v_or_b32_e32 v14, 0x200, v0
	v_cmp_gt_i32_e32 vcc, s12, v14
                                        ; implicit-def: $vgpr14
	s_and_saveexec_b64 s[4:5], vcc
	s_cbranch_execz .LBB138_306
; %bb.292:
	s_cmp_lt_i32 s13, 1
	s_mov_b64 s[6:7], 0
	s_cbranch_scc1 .LBB138_297
; %bb.293:
	s_cmp_gt_i32 s13, 1
	s_cbranch_scc0 .LBB138_298
; %bb.294:
	s_cmp_eq_u32 s13, 2
	s_cbranch_scc0 .LBB138_536
; %bb.295:
	v_cmp_le_f32_e64 s[10:11], v18, v33
	s_mov_b64 s[14:15], 0
	s_branch .LBB138_300
.LBB138_296:
	v_cmp_lt_f32_e32 vcc, v14, v34
	s_andn2_b64 s[10:11], s[10:11], exec
	s_and_b64 s[14:15], vcc, exec
	s_or_b64 s[10:11], s[10:11], s[14:15]
	s_cbranch_execz .LBB138_289
	s_branch .LBB138_290
.LBB138_297:
                                        ; implicit-def: $sgpr10_sgpr11
	s_mov_b64 s[14:15], 0
	s_cbranch_execnz .LBB138_301
	s_branch .LBB138_302
.LBB138_298:
	s_mov_b64 s[14:15], 0
                                        ; implicit-def: $sgpr10_sgpr11
	s_cbranch_execz .LBB138_300
; %bb.299:
	v_cmp_gt_f32_e32 vcc, v18, v33
	s_andn2_b64 s[10:11], s[10:11], exec
	s_and_b64 s[16:17], vcc, exec
	s_or_b64 s[10:11], s[10:11], s[16:17]
.LBB138_300:
	s_branch .LBB138_302
.LBB138_301:
	s_cmp_lg_u32 s13, 0
	s_mov_b64 s[6:7], -1
	s_cselect_b64 s[14:15], -1, 0
.LBB138_302:
	s_andn2_b64 vcc, exec, s[14:15]
	s_cbranch_vccz .LBB138_311
; %bb.303:
	s_andn2_b64 vcc, exec, s[6:7]
	s_cbranch_vccnz .LBB138_305
.LBB138_304:
	v_cmp_ge_f32_e32 vcc, v18, v33
	s_andn2_b64 s[6:7], s[10:11], exec
	s_and_b64 s[10:11], vcc, exec
	s_or_b64 s[10:11], s[6:7], s[10:11]
.LBB138_305:
	v_cndmask_b32_e64 v14, 0, 1, s[10:11]
.LBB138_306:
	s_or_b64 exec, exec, s[4:5]
	v_or_b32_e32 v18, 0x300, v0
	v_cmp_gt_i32_e32 vcc, s12, v18
                                        ; implicit-def: $vgpr18
	s_and_saveexec_b64 s[4:5], vcc
	s_cbranch_execz .LBB138_321
; %bb.307:
	s_cmp_lt_i32 s13, 1
	s_mov_b64 s[6:7], 0
	s_cbranch_scc1 .LBB138_312
; %bb.308:
	s_cmp_gt_i32 s13, 1
	s_cbranch_scc0 .LBB138_313
; %bb.309:
	s_cmp_eq_u32 s13, 2
	s_cbranch_scc0 .LBB138_537
; %bb.310:
	v_cmp_le_f32_e64 s[10:11], v21, v32
	s_mov_b64 s[14:15], 0
	s_branch .LBB138_315
.LBB138_311:
	v_cmp_lt_f32_e32 vcc, v18, v33
	s_andn2_b64 s[10:11], s[10:11], exec
	s_and_b64 s[14:15], vcc, exec
	s_or_b64 s[10:11], s[10:11], s[14:15]
	s_cbranch_execz .LBB138_304
	s_branch .LBB138_305
.LBB138_312:
                                        ; implicit-def: $sgpr10_sgpr11
	s_mov_b64 s[14:15], 0
	s_cbranch_execnz .LBB138_316
	s_branch .LBB138_317
.LBB138_313:
	s_mov_b64 s[14:15], 0
                                        ; implicit-def: $sgpr10_sgpr11
	s_cbranch_execz .LBB138_315
; %bb.314:
	v_cmp_gt_f32_e32 vcc, v21, v32
	s_andn2_b64 s[10:11], s[10:11], exec
	s_and_b64 s[16:17], vcc, exec
	s_or_b64 s[10:11], s[10:11], s[16:17]
.LBB138_315:
	s_branch .LBB138_317
.LBB138_316:
	s_cmp_lg_u32 s13, 0
	s_mov_b64 s[6:7], -1
	s_cselect_b64 s[14:15], -1, 0
.LBB138_317:
	s_andn2_b64 vcc, exec, s[14:15]
	s_cbranch_vccz .LBB138_326
; %bb.318:
	s_andn2_b64 vcc, exec, s[6:7]
	s_cbranch_vccnz .LBB138_320
.LBB138_319:
	v_cmp_ge_f32_e32 vcc, v21, v32
	s_andn2_b64 s[6:7], s[10:11], exec
	s_and_b64 s[10:11], vcc, exec
	s_or_b64 s[10:11], s[6:7], s[10:11]
.LBB138_320:
	v_cndmask_b32_e64 v18, 0, 1, s[10:11]
.LBB138_321:
	s_or_b64 exec, exec, s[4:5]
	v_or_b32_e32 v21, 0x400, v0
	v_cmp_gt_i32_e32 vcc, s12, v21
                                        ; implicit-def: $vgpr21
	s_and_saveexec_b64 s[4:5], vcc
	s_cbranch_execz .LBB138_336
; %bb.322:
	s_cmp_lt_i32 s13, 1
	s_mov_b64 s[6:7], 0
	s_cbranch_scc1 .LBB138_327
; %bb.323:
	s_cmp_gt_i32 s13, 1
	s_cbranch_scc0 .LBB138_328
; %bb.324:
	s_cmp_eq_u32 s13, 2
	s_cbranch_scc0 .LBB138_538
; %bb.325:
	v_cmp_le_f32_e64 s[10:11], v25, v31
	s_mov_b64 s[14:15], 0
	s_branch .LBB138_330
.LBB138_326:
	v_cmp_lt_f32_e32 vcc, v21, v32
	s_andn2_b64 s[10:11], s[10:11], exec
	s_and_b64 s[14:15], vcc, exec
	s_or_b64 s[10:11], s[10:11], s[14:15]
	s_cbranch_execz .LBB138_319
	s_branch .LBB138_320
.LBB138_327:
                                        ; implicit-def: $sgpr10_sgpr11
	s_mov_b64 s[14:15], 0
	s_cbranch_execnz .LBB138_331
	s_branch .LBB138_332
.LBB138_328:
	s_mov_b64 s[14:15], 0
                                        ; implicit-def: $sgpr10_sgpr11
	s_cbranch_execz .LBB138_330
; %bb.329:
	v_cmp_gt_f32_e32 vcc, v25, v31
	s_andn2_b64 s[10:11], s[10:11], exec
	s_and_b64 s[16:17], vcc, exec
	s_or_b64 s[10:11], s[10:11], s[16:17]
.LBB138_330:
	s_branch .LBB138_332
.LBB138_331:
	s_cmp_lg_u32 s13, 0
	s_mov_b64 s[6:7], -1
	s_cselect_b64 s[14:15], -1, 0
.LBB138_332:
	s_andn2_b64 vcc, exec, s[14:15]
	s_cbranch_vccz .LBB138_341
; %bb.333:
	s_andn2_b64 vcc, exec, s[6:7]
	s_cbranch_vccnz .LBB138_335
.LBB138_334:
	v_cmp_ge_f32_e32 vcc, v25, v31
	s_andn2_b64 s[6:7], s[10:11], exec
	s_and_b64 s[10:11], vcc, exec
	s_or_b64 s[10:11], s[6:7], s[10:11]
.LBB138_335:
	v_cndmask_b32_e64 v21, 0, 1, s[10:11]
.LBB138_336:
	s_or_b64 exec, exec, s[4:5]
	v_or_b32_e32 v25, 0x500, v0
	v_cmp_gt_i32_e32 vcc, s12, v25
                                        ; implicit-def: $vgpr25
	s_and_saveexec_b64 s[4:5], vcc
	s_cbranch_execz .LBB138_351
; %bb.337:
	s_cmp_lt_i32 s13, 1
	s_mov_b64 s[6:7], 0
	s_cbranch_scc1 .LBB138_342
; %bb.338:
	s_cmp_gt_i32 s13, 1
	s_cbranch_scc0 .LBB138_343
; %bb.339:
	s_cmp_eq_u32 s13, 2
	s_cbranch_scc0 .LBB138_539
; %bb.340:
	v_cmp_le_f32_e64 s[10:11], v27, v30
	s_mov_b64 s[14:15], 0
	s_branch .LBB138_345
.LBB138_341:
	v_cmp_lt_f32_e32 vcc, v25, v31
	s_andn2_b64 s[10:11], s[10:11], exec
	s_and_b64 s[14:15], vcc, exec
	s_or_b64 s[10:11], s[10:11], s[14:15]
	s_cbranch_execz .LBB138_334
	s_branch .LBB138_335
.LBB138_342:
                                        ; implicit-def: $sgpr10_sgpr11
	s_mov_b64 s[14:15], 0
	s_cbranch_execnz .LBB138_346
	s_branch .LBB138_347
.LBB138_343:
	s_mov_b64 s[14:15], 0
                                        ; implicit-def: $sgpr10_sgpr11
	s_cbranch_execz .LBB138_345
; %bb.344:
	v_cmp_gt_f32_e32 vcc, v27, v30
	s_andn2_b64 s[10:11], s[10:11], exec
	s_and_b64 s[16:17], vcc, exec
	s_or_b64 s[10:11], s[10:11], s[16:17]
.LBB138_345:
	s_branch .LBB138_347
.LBB138_346:
	s_cmp_lg_u32 s13, 0
	s_mov_b64 s[6:7], -1
	s_cselect_b64 s[14:15], -1, 0
.LBB138_347:
	s_andn2_b64 vcc, exec, s[14:15]
	s_cbranch_vccz .LBB138_356
; %bb.348:
	s_andn2_b64 vcc, exec, s[6:7]
	s_cbranch_vccnz .LBB138_350
.LBB138_349:
	v_cmp_ge_f32_e32 vcc, v27, v30
	s_andn2_b64 s[6:7], s[10:11], exec
	s_and_b64 s[10:11], vcc, exec
	s_or_b64 s[10:11], s[6:7], s[10:11]
.LBB138_350:
	v_cndmask_b32_e64 v25, 0, 1, s[10:11]
.LBB138_351:
	s_or_b64 exec, exec, s[4:5]
	v_or_b32_e32 v27, 0x600, v0
	v_cmp_gt_i32_e32 vcc, s12, v27
                                        ; implicit-def: $vgpr27
	s_and_saveexec_b64 s[4:5], vcc
	s_cbranch_execz .LBB138_366
; %bb.352:
	s_cmp_lt_i32 s13, 1
	s_mov_b64 s[6:7], 0
	s_cbranch_scc1 .LBB138_357
; %bb.353:
	s_cmp_gt_i32 s13, 1
	s_cbranch_scc0 .LBB138_358
; %bb.354:
	s_cmp_eq_u32 s13, 2
	s_cbranch_scc0 .LBB138_540
; %bb.355:
	v_cmp_le_f32_e64 s[10:11], v28, v29
	s_mov_b64 s[14:15], 0
	s_branch .LBB138_360
.LBB138_356:
	v_cmp_lt_f32_e32 vcc, v27, v30
	s_andn2_b64 s[10:11], s[10:11], exec
	s_and_b64 s[14:15], vcc, exec
	s_or_b64 s[10:11], s[10:11], s[14:15]
	s_cbranch_execz .LBB138_349
	s_branch .LBB138_350
.LBB138_357:
                                        ; implicit-def: $sgpr10_sgpr11
	s_mov_b64 s[14:15], 0
	s_cbranch_execnz .LBB138_361
	s_branch .LBB138_362
.LBB138_358:
	s_mov_b64 s[14:15], 0
                                        ; implicit-def: $sgpr10_sgpr11
	s_cbranch_execz .LBB138_360
; %bb.359:
	v_cmp_gt_f32_e32 vcc, v28, v29
	s_andn2_b64 s[10:11], s[10:11], exec
	s_and_b64 s[16:17], vcc, exec
	s_or_b64 s[10:11], s[10:11], s[16:17]
.LBB138_360:
	s_branch .LBB138_362
.LBB138_361:
	s_cmp_lg_u32 s13, 0
	s_mov_b64 s[6:7], -1
	s_cselect_b64 s[14:15], -1, 0
.LBB138_362:
	s_andn2_b64 vcc, exec, s[14:15]
	s_cbranch_vccz .LBB138_371
; %bb.363:
	s_andn2_b64 vcc, exec, s[6:7]
	s_cbranch_vccnz .LBB138_365
.LBB138_364:
	v_cmp_ge_f32_e32 vcc, v28, v29
	s_andn2_b64 s[6:7], s[10:11], exec
	s_and_b64 s[10:11], vcc, exec
	s_or_b64 s[10:11], s[6:7], s[10:11]
.LBB138_365:
	v_cndmask_b32_e64 v27, 0, 1, s[10:11]
.LBB138_366:
	s_or_b64 exec, exec, s[4:5]
	v_or_b32_e32 v28, 0x700, v0
	v_cmp_gt_i32_e32 vcc, s12, v28
                                        ; implicit-def: $vgpr28
	s_and_saveexec_b64 s[4:5], vcc
	s_cbranch_execz .LBB138_381
; %bb.367:
	s_cmp_lt_i32 s13, 1
	s_mov_b64 s[6:7], 0
	s_cbranch_scc1 .LBB138_372
; %bb.368:
	s_cmp_gt_i32 s13, 1
	s_cbranch_scc0 .LBB138_373
; %bb.369:
	s_cmp_eq_u32 s13, 2
	s_cbranch_scc0 .LBB138_541
; %bb.370:
	v_cmp_le_f32_e64 s[10:11], v24, v26
	s_mov_b64 s[14:15], 0
	s_branch .LBB138_375
.LBB138_371:
	v_cmp_lt_f32_e32 vcc, v28, v29
	s_andn2_b64 s[10:11], s[10:11], exec
	s_and_b64 s[14:15], vcc, exec
	s_or_b64 s[10:11], s[10:11], s[14:15]
	s_cbranch_execz .LBB138_364
	s_branch .LBB138_365
.LBB138_372:
                                        ; implicit-def: $sgpr10_sgpr11
	s_mov_b64 s[14:15], 0
	s_cbranch_execnz .LBB138_376
	s_branch .LBB138_377
.LBB138_373:
	s_mov_b64 s[14:15], 0
                                        ; implicit-def: $sgpr10_sgpr11
	s_cbranch_execz .LBB138_375
; %bb.374:
	v_cmp_gt_f32_e32 vcc, v24, v26
	s_andn2_b64 s[10:11], s[10:11], exec
	s_and_b64 s[16:17], vcc, exec
	s_or_b64 s[10:11], s[10:11], s[16:17]
.LBB138_375:
	s_branch .LBB138_377
.LBB138_376:
	s_cmp_lg_u32 s13, 0
	s_mov_b64 s[6:7], -1
	s_cselect_b64 s[14:15], -1, 0
.LBB138_377:
	s_andn2_b64 vcc, exec, s[14:15]
	s_cbranch_vccz .LBB138_386
; %bb.378:
	s_andn2_b64 vcc, exec, s[6:7]
	s_cbranch_vccnz .LBB138_380
.LBB138_379:
	v_cmp_ge_f32_e32 vcc, v24, v26
	s_andn2_b64 s[6:7], s[10:11], exec
	s_and_b64 s[10:11], vcc, exec
	s_or_b64 s[10:11], s[6:7], s[10:11]
.LBB138_380:
	v_cndmask_b32_e64 v28, 0, 1, s[10:11]
.LBB138_381:
	s_or_b64 exec, exec, s[4:5]
	v_or_b32_e32 v24, 0x800, v0
	v_cmp_gt_i32_e32 vcc, s12, v24
                                        ; implicit-def: $vgpr24
	s_and_saveexec_b64 s[4:5], vcc
	s_cbranch_execz .LBB138_396
; %bb.382:
	s_cmp_lt_i32 s13, 1
	s_mov_b64 s[6:7], 0
	s_cbranch_scc1 .LBB138_387
; %bb.383:
	s_cmp_gt_i32 s13, 1
	s_cbranch_scc0 .LBB138_388
; %bb.384:
	s_cmp_eq_u32 s13, 2
	s_cbranch_scc0 .LBB138_542
; %bb.385:
	v_cmp_le_f32_e64 s[10:11], v22, v23
	s_mov_b64 s[14:15], 0
	s_branch .LBB138_390
.LBB138_386:
	v_cmp_lt_f32_e32 vcc, v24, v26
	s_andn2_b64 s[10:11], s[10:11], exec
	s_and_b64 s[14:15], vcc, exec
	s_or_b64 s[10:11], s[10:11], s[14:15]
	s_cbranch_execz .LBB138_379
	s_branch .LBB138_380
.LBB138_387:
                                        ; implicit-def: $sgpr10_sgpr11
	s_mov_b64 s[14:15], 0
	s_cbranch_execnz .LBB138_391
	s_branch .LBB138_392
.LBB138_388:
	s_mov_b64 s[14:15], 0
                                        ; implicit-def: $sgpr10_sgpr11
	s_cbranch_execz .LBB138_390
; %bb.389:
	v_cmp_gt_f32_e32 vcc, v22, v23
	s_andn2_b64 s[10:11], s[10:11], exec
	s_and_b64 s[16:17], vcc, exec
	s_or_b64 s[10:11], s[10:11], s[16:17]
.LBB138_390:
	s_branch .LBB138_392
.LBB138_391:
	s_cmp_lg_u32 s13, 0
	s_mov_b64 s[6:7], -1
	s_cselect_b64 s[14:15], -1, 0
.LBB138_392:
	s_andn2_b64 vcc, exec, s[14:15]
	s_cbranch_vccz .LBB138_401
; %bb.393:
	s_andn2_b64 vcc, exec, s[6:7]
	s_cbranch_vccnz .LBB138_395
.LBB138_394:
	v_cmp_ge_f32_e32 vcc, v22, v23
	s_andn2_b64 s[6:7], s[10:11], exec
	s_and_b64 s[10:11], vcc, exec
	s_or_b64 s[10:11], s[6:7], s[10:11]
.LBB138_395:
	v_cndmask_b32_e64 v24, 0, 1, s[10:11]
.LBB138_396:
	s_or_b64 exec, exec, s[4:5]
	v_or_b32_e32 v22, 0x900, v0
	v_cmp_gt_i32_e32 vcc, s12, v22
                                        ; implicit-def: $vgpr22
	s_and_saveexec_b64 s[4:5], vcc
	s_cbranch_execz .LBB138_411
; %bb.397:
	s_cmp_lt_i32 s13, 1
	s_mov_b64 s[6:7], 0
	s_cbranch_scc1 .LBB138_402
; %bb.398:
	s_cmp_gt_i32 s13, 1
	s_cbranch_scc0 .LBB138_403
; %bb.399:
	s_cmp_eq_u32 s13, 2
	s_cbranch_scc0 .LBB138_543
; %bb.400:
	v_cmp_le_f32_e64 s[10:11], v19, v20
	s_mov_b64 s[14:15], 0
	s_branch .LBB138_405
.LBB138_401:
	v_cmp_lt_f32_e32 vcc, v22, v23
	s_andn2_b64 s[10:11], s[10:11], exec
	s_and_b64 s[14:15], vcc, exec
	s_or_b64 s[10:11], s[10:11], s[14:15]
	s_cbranch_execz .LBB138_394
	s_branch .LBB138_395
.LBB138_402:
                                        ; implicit-def: $sgpr10_sgpr11
	s_mov_b64 s[14:15], 0
	s_cbranch_execnz .LBB138_406
	s_branch .LBB138_407
.LBB138_403:
	s_mov_b64 s[14:15], 0
                                        ; implicit-def: $sgpr10_sgpr11
	s_cbranch_execz .LBB138_405
; %bb.404:
	v_cmp_gt_f32_e32 vcc, v19, v20
	s_andn2_b64 s[10:11], s[10:11], exec
	s_and_b64 s[16:17], vcc, exec
	s_or_b64 s[10:11], s[10:11], s[16:17]
.LBB138_405:
	s_branch .LBB138_407
.LBB138_406:
	s_cmp_lg_u32 s13, 0
	s_mov_b64 s[6:7], -1
	s_cselect_b64 s[14:15], -1, 0
.LBB138_407:
	s_andn2_b64 vcc, exec, s[14:15]
	s_cbranch_vccz .LBB138_416
; %bb.408:
	s_andn2_b64 vcc, exec, s[6:7]
	s_cbranch_vccnz .LBB138_410
.LBB138_409:
	v_cmp_ge_f32_e32 vcc, v19, v20
	s_andn2_b64 s[6:7], s[10:11], exec
	s_and_b64 s[10:11], vcc, exec
	s_or_b64 s[10:11], s[6:7], s[10:11]
.LBB138_410:
	v_cndmask_b32_e64 v22, 0, 1, s[10:11]
.LBB138_411:
	s_or_b64 exec, exec, s[4:5]
	v_or_b32_e32 v19, 0xa00, v0
	v_cmp_gt_i32_e32 vcc, s12, v19
                                        ; implicit-def: $vgpr19
	s_and_saveexec_b64 s[4:5], vcc
	s_cbranch_execz .LBB138_426
; %bb.412:
	s_cmp_lt_i32 s13, 1
	s_mov_b64 s[6:7], 0
	s_cbranch_scc1 .LBB138_417
; %bb.413:
	s_cmp_gt_i32 s13, 1
	s_cbranch_scc0 .LBB138_418
; %bb.414:
	s_cmp_eq_u32 s13, 2
	s_cbranch_scc0 .LBB138_544
; %bb.415:
	v_cmp_le_f32_e64 s[10:11], v16, v17
	s_mov_b64 s[14:15], 0
	s_branch .LBB138_420
.LBB138_416:
	v_cmp_lt_f32_e32 vcc, v19, v20
	s_andn2_b64 s[10:11], s[10:11], exec
	s_and_b64 s[14:15], vcc, exec
	s_or_b64 s[10:11], s[10:11], s[14:15]
	s_cbranch_execz .LBB138_409
	s_branch .LBB138_410
.LBB138_417:
                                        ; implicit-def: $sgpr10_sgpr11
	s_mov_b64 s[14:15], 0
	s_cbranch_execnz .LBB138_421
	s_branch .LBB138_422
.LBB138_418:
	s_mov_b64 s[14:15], 0
                                        ; implicit-def: $sgpr10_sgpr11
	s_cbranch_execz .LBB138_420
; %bb.419:
	v_cmp_gt_f32_e32 vcc, v16, v17
	s_andn2_b64 s[10:11], s[10:11], exec
	s_and_b64 s[16:17], vcc, exec
	s_or_b64 s[10:11], s[10:11], s[16:17]
.LBB138_420:
	s_branch .LBB138_422
.LBB138_421:
	s_cmp_lg_u32 s13, 0
	s_mov_b64 s[6:7], -1
	s_cselect_b64 s[14:15], -1, 0
.LBB138_422:
	s_andn2_b64 vcc, exec, s[14:15]
	s_cbranch_vccz .LBB138_431
; %bb.423:
	s_andn2_b64 vcc, exec, s[6:7]
	s_cbranch_vccnz .LBB138_425
.LBB138_424:
	v_cmp_ge_f32_e32 vcc, v16, v17
	s_andn2_b64 s[6:7], s[10:11], exec
	s_and_b64 s[10:11], vcc, exec
	s_or_b64 s[10:11], s[6:7], s[10:11]
.LBB138_425:
	v_cndmask_b32_e64 v19, 0, 1, s[10:11]
.LBB138_426:
	s_or_b64 exec, exec, s[4:5]
	v_or_b32_e32 v16, 0xb00, v0
	v_cmp_gt_i32_e32 vcc, s12, v16
                                        ; implicit-def: $vgpr16
	s_and_saveexec_b64 s[4:5], vcc
	s_cbranch_execz .LBB138_441
; %bb.427:
	s_cmp_lt_i32 s13, 1
	s_mov_b64 s[6:7], 0
	s_cbranch_scc1 .LBB138_432
; %bb.428:
	s_cmp_gt_i32 s13, 1
	s_cbranch_scc0 .LBB138_433
; %bb.429:
	s_cmp_eq_u32 s13, 2
	s_cbranch_scc0 .LBB138_545
; %bb.430:
	v_cmp_le_f32_e64 s[10:11], v13, v15
	s_mov_b64 s[14:15], 0
	s_branch .LBB138_435
.LBB138_431:
	v_cmp_lt_f32_e32 vcc, v16, v17
	s_andn2_b64 s[10:11], s[10:11], exec
	s_and_b64 s[14:15], vcc, exec
	s_or_b64 s[10:11], s[10:11], s[14:15]
	s_cbranch_execz .LBB138_424
	s_branch .LBB138_425
.LBB138_432:
                                        ; implicit-def: $sgpr10_sgpr11
	s_mov_b64 s[14:15], 0
	s_cbranch_execnz .LBB138_436
	s_branch .LBB138_437
.LBB138_433:
	s_mov_b64 s[14:15], 0
                                        ; implicit-def: $sgpr10_sgpr11
	s_cbranch_execz .LBB138_435
; %bb.434:
	v_cmp_gt_f32_e32 vcc, v13, v15
	s_andn2_b64 s[10:11], s[10:11], exec
	s_and_b64 s[16:17], vcc, exec
	s_or_b64 s[10:11], s[10:11], s[16:17]
.LBB138_435:
	s_branch .LBB138_437
.LBB138_436:
	s_cmp_lg_u32 s13, 0
	s_mov_b64 s[6:7], -1
	s_cselect_b64 s[14:15], -1, 0
.LBB138_437:
	s_andn2_b64 vcc, exec, s[14:15]
	s_cbranch_vccz .LBB138_446
; %bb.438:
	s_andn2_b64 vcc, exec, s[6:7]
	s_cbranch_vccnz .LBB138_440
.LBB138_439:
	v_cmp_ge_f32_e32 vcc, v13, v15
	s_andn2_b64 s[6:7], s[10:11], exec
	s_and_b64 s[10:11], vcc, exec
	s_or_b64 s[10:11], s[6:7], s[10:11]
.LBB138_440:
	v_cndmask_b32_e64 v16, 0, 1, s[10:11]
.LBB138_441:
	s_or_b64 exec, exec, s[4:5]
	v_or_b32_e32 v13, 0xc00, v0
	v_cmp_gt_i32_e32 vcc, s12, v13
                                        ; implicit-def: $vgpr13
	s_and_saveexec_b64 s[4:5], vcc
	s_cbranch_execz .LBB138_456
; %bb.442:
	s_cmp_lt_i32 s13, 1
	s_mov_b64 s[6:7], 0
	s_cbranch_scc1 .LBB138_447
; %bb.443:
	s_cmp_gt_i32 s13, 1
	s_cbranch_scc0 .LBB138_448
; %bb.444:
	s_cmp_eq_u32 s13, 2
	s_cbranch_scc0 .LBB138_546
; %bb.445:
	v_cmp_le_f32_e64 s[10:11], v11, v12
	s_mov_b64 s[14:15], 0
	s_branch .LBB138_450
.LBB138_446:
	v_cmp_lt_f32_e32 vcc, v13, v15
	s_andn2_b64 s[10:11], s[10:11], exec
	s_and_b64 s[14:15], vcc, exec
	s_or_b64 s[10:11], s[10:11], s[14:15]
	s_cbranch_execz .LBB138_439
	s_branch .LBB138_440
.LBB138_447:
                                        ; implicit-def: $sgpr10_sgpr11
	s_mov_b64 s[14:15], 0
	s_cbranch_execnz .LBB138_451
	s_branch .LBB138_452
.LBB138_448:
	s_mov_b64 s[14:15], 0
                                        ; implicit-def: $sgpr10_sgpr11
	s_cbranch_execz .LBB138_450
; %bb.449:
	v_cmp_gt_f32_e32 vcc, v11, v12
	s_andn2_b64 s[10:11], s[10:11], exec
	s_and_b64 s[16:17], vcc, exec
	s_or_b64 s[10:11], s[10:11], s[16:17]
.LBB138_450:
	s_branch .LBB138_452
.LBB138_451:
	s_cmp_lg_u32 s13, 0
	s_mov_b64 s[6:7], -1
	s_cselect_b64 s[14:15], -1, 0
.LBB138_452:
	s_andn2_b64 vcc, exec, s[14:15]
	s_cbranch_vccz .LBB138_461
; %bb.453:
	s_andn2_b64 vcc, exec, s[6:7]
	s_cbranch_vccnz .LBB138_455
.LBB138_454:
	v_cmp_ge_f32_e32 vcc, v11, v12
	s_andn2_b64 s[6:7], s[10:11], exec
	s_and_b64 s[10:11], vcc, exec
	s_or_b64 s[10:11], s[6:7], s[10:11]
.LBB138_455:
	v_cndmask_b32_e64 v13, 0, 1, s[10:11]
.LBB138_456:
	s_or_b64 exec, exec, s[4:5]
	v_or_b32_e32 v11, 0xd00, v0
	v_cmp_gt_i32_e32 vcc, s12, v11
                                        ; implicit-def: $vgpr11
	s_and_saveexec_b64 s[4:5], vcc
	s_cbranch_execz .LBB138_471
; %bb.457:
	s_cmp_lt_i32 s13, 1
	s_mov_b64 s[6:7], 0
	s_cbranch_scc1 .LBB138_462
; %bb.458:
	s_cmp_gt_i32 s13, 1
	s_cbranch_scc0 .LBB138_463
; %bb.459:
	s_cmp_eq_u32 s13, 2
	s_cbranch_scc0 .LBB138_547
; %bb.460:
	v_cmp_le_f32_e64 s[10:11], v8, v9
	s_mov_b64 s[14:15], 0
	s_branch .LBB138_465
.LBB138_461:
	v_cmp_lt_f32_e32 vcc, v11, v12
	s_andn2_b64 s[10:11], s[10:11], exec
	s_and_b64 s[14:15], vcc, exec
	s_or_b64 s[10:11], s[10:11], s[14:15]
	s_cbranch_execz .LBB138_454
	s_branch .LBB138_455
.LBB138_462:
                                        ; implicit-def: $sgpr10_sgpr11
	s_mov_b64 s[14:15], 0
	s_cbranch_execnz .LBB138_466
	s_branch .LBB138_467
.LBB138_463:
	s_mov_b64 s[14:15], 0
                                        ; implicit-def: $sgpr10_sgpr11
	s_cbranch_execz .LBB138_465
; %bb.464:
	v_cmp_gt_f32_e32 vcc, v8, v9
	s_andn2_b64 s[10:11], s[10:11], exec
	s_and_b64 s[16:17], vcc, exec
	s_or_b64 s[10:11], s[10:11], s[16:17]
.LBB138_465:
	s_branch .LBB138_467
.LBB138_466:
	s_cmp_lg_u32 s13, 0
	s_mov_b64 s[6:7], -1
	s_cselect_b64 s[14:15], -1, 0
.LBB138_467:
	s_andn2_b64 vcc, exec, s[14:15]
	s_cbranch_vccz .LBB138_476
; %bb.468:
	s_andn2_b64 vcc, exec, s[6:7]
	s_cbranch_vccnz .LBB138_470
.LBB138_469:
	v_cmp_ge_f32_e32 vcc, v8, v9
	s_andn2_b64 s[6:7], s[10:11], exec
	s_and_b64 s[10:11], vcc, exec
	s_or_b64 s[10:11], s[6:7], s[10:11]
.LBB138_470:
	v_cndmask_b32_e64 v11, 0, 1, s[10:11]
.LBB138_471:
	s_or_b64 exec, exec, s[4:5]
	v_or_b32_e32 v8, 0xe00, v0
	v_cmp_gt_i32_e32 vcc, s12, v8
                                        ; implicit-def: $vgpr8
	s_and_saveexec_b64 s[4:5], vcc
	s_cbranch_execz .LBB138_486
; %bb.472:
	s_cmp_lt_i32 s13, 1
	s_mov_b64 s[6:7], 0
	s_cbranch_scc1 .LBB138_477
; %bb.473:
	s_cmp_gt_i32 s13, 1
	s_cbranch_scc0 .LBB138_478
; %bb.474:
	s_cmp_eq_u32 s13, 2
	s_cbranch_scc0 .LBB138_548
; %bb.475:
	v_cmp_le_f32_e64 s[10:11], v4, v5
	s_mov_b64 s[14:15], 0
	s_branch .LBB138_480
.LBB138_476:
	v_cmp_lt_f32_e32 vcc, v8, v9
	s_andn2_b64 s[10:11], s[10:11], exec
	s_and_b64 s[14:15], vcc, exec
	s_or_b64 s[10:11], s[10:11], s[14:15]
	s_cbranch_execz .LBB138_469
	s_branch .LBB138_470
.LBB138_477:
                                        ; implicit-def: $sgpr10_sgpr11
	s_mov_b64 s[14:15], 0
	s_cbranch_execnz .LBB138_481
	s_branch .LBB138_482
.LBB138_478:
	s_mov_b64 s[14:15], 0
                                        ; implicit-def: $sgpr10_sgpr11
	s_cbranch_execz .LBB138_480
; %bb.479:
	v_cmp_gt_f32_e32 vcc, v4, v5
	s_andn2_b64 s[10:11], s[10:11], exec
	s_and_b64 s[16:17], vcc, exec
	s_or_b64 s[10:11], s[10:11], s[16:17]
.LBB138_480:
	s_branch .LBB138_482
.LBB138_481:
	s_cmp_lg_u32 s13, 0
	s_mov_b64 s[6:7], -1
	s_cselect_b64 s[14:15], -1, 0
.LBB138_482:
	s_andn2_b64 vcc, exec, s[14:15]
	s_cbranch_vccz .LBB138_491
; %bb.483:
	s_andn2_b64 vcc, exec, s[6:7]
	s_cbranch_vccnz .LBB138_485
.LBB138_484:
	v_cmp_ge_f32_e32 vcc, v4, v5
	s_andn2_b64 s[6:7], s[10:11], exec
	s_and_b64 s[10:11], vcc, exec
	s_or_b64 s[10:11], s[6:7], s[10:11]
.LBB138_485:
	v_cndmask_b32_e64 v8, 0, 1, s[10:11]
.LBB138_486:
	s_or_b64 exec, exec, s[4:5]
	v_or_b32_e32 v4, 0xf00, v0
	v_cmp_gt_i32_e32 vcc, s12, v4
                                        ; implicit-def: $vgpr4
	s_and_saveexec_b64 s[4:5], vcc
	s_cbranch_execz .LBB138_501
; %bb.487:
	s_cmp_lt_i32 s13, 1
	s_mov_b64 s[6:7], 0
	s_cbranch_scc1 .LBB138_492
; %bb.488:
	s_cmp_gt_i32 s13, 1
	s_cbranch_scc0 .LBB138_493
; %bb.489:
	s_cmp_eq_u32 s13, 2
	s_cbranch_scc0 .LBB138_549
; %bb.490:
	v_cmp_le_f32_e64 s[10:11], v2, v3
	s_mov_b64 s[14:15], 0
	s_branch .LBB138_495
.LBB138_491:
	v_cmp_lt_f32_e32 vcc, v4, v5
	s_andn2_b64 s[10:11], s[10:11], exec
	s_and_b64 s[14:15], vcc, exec
	s_or_b64 s[10:11], s[10:11], s[14:15]
	s_cbranch_execz .LBB138_484
	s_branch .LBB138_485
.LBB138_492:
                                        ; implicit-def: $sgpr10_sgpr11
	s_mov_b64 s[14:15], 0
	s_cbranch_execnz .LBB138_496
	s_branch .LBB138_497
.LBB138_493:
	s_mov_b64 s[14:15], 0
                                        ; implicit-def: $sgpr10_sgpr11
	s_cbranch_execz .LBB138_495
; %bb.494:
	v_cmp_gt_f32_e32 vcc, v2, v3
	s_andn2_b64 s[10:11], s[10:11], exec
	s_and_b64 s[16:17], vcc, exec
	s_or_b64 s[10:11], s[10:11], s[16:17]
.LBB138_495:
	s_branch .LBB138_497
.LBB138_496:
	s_cmp_lg_u32 s13, 0
	s_mov_b64 s[6:7], -1
	s_cselect_b64 s[14:15], -1, 0
.LBB138_497:
	s_andn2_b64 vcc, exec, s[14:15]
	s_cbranch_vccz .LBB138_534
; %bb.498:
	s_andn2_b64 vcc, exec, s[6:7]
	s_cbranch_vccnz .LBB138_500
.LBB138_499:
	v_cmp_ge_f32_e32 vcc, v2, v3
	s_andn2_b64 s[6:7], s[10:11], exec
	s_and_b64 s[10:11], vcc, exec
	s_or_b64 s[10:11], s[6:7], s[10:11]
.LBB138_500:
	v_cndmask_b32_e64 v4, 0, 1, s[10:11]
.LBB138_501:
	s_or_b64 exec, exec, s[4:5]
	s_and_saveexec_b64 s[4:5], s[0:1]
	s_xor_b64 s[0:1], exec, s[4:5]
	s_cbranch_execz .LBB138_503
; %bb.502:
	v_mov_b32_e32 v0, v7
	global_store_byte v1, v6, s[8:9]
.LBB138_503:
	s_or_b64 exec, exec, s[0:1]
	v_cmp_gt_i32_e32 vcc, s12, v0
	s_and_saveexec_b64 s[0:1], vcc
	s_cbranch_execnz .LBB138_520
; %bb.504:
	s_or_b64 exec, exec, s[0:1]
	v_cmp_gt_i32_e32 vcc, s12, v0
	s_and_saveexec_b64 s[0:1], vcc
	s_cbranch_execnz .LBB138_521
.LBB138_505:
	s_or_b64 exec, exec, s[0:1]
	v_cmp_gt_i32_e32 vcc, s12, v0
	s_and_saveexec_b64 s[0:1], vcc
	s_cbranch_execnz .LBB138_522
.LBB138_506:
	s_or_b64 exec, exec, s[0:1]
	v_cmp_gt_i32_e32 vcc, s12, v0
	s_and_saveexec_b64 s[0:1], vcc
	s_cbranch_execnz .LBB138_523
.LBB138_507:
	s_or_b64 exec, exec, s[0:1]
	v_cmp_gt_i32_e32 vcc, s12, v0
	s_and_saveexec_b64 s[0:1], vcc
	s_cbranch_execnz .LBB138_524
.LBB138_508:
	s_or_b64 exec, exec, s[0:1]
	v_cmp_gt_i32_e32 vcc, s12, v0
	s_and_saveexec_b64 s[0:1], vcc
	s_cbranch_execnz .LBB138_525
.LBB138_509:
	s_or_b64 exec, exec, s[0:1]
	v_cmp_gt_i32_e32 vcc, s12, v0
	s_and_saveexec_b64 s[0:1], vcc
	s_cbranch_execnz .LBB138_526
.LBB138_510:
	s_or_b64 exec, exec, s[0:1]
	v_cmp_gt_i32_e32 vcc, s12, v0
	s_and_saveexec_b64 s[0:1], vcc
	s_cbranch_execnz .LBB138_527
.LBB138_511:
	s_or_b64 exec, exec, s[0:1]
	v_cmp_gt_i32_e32 vcc, s12, v0
	s_and_saveexec_b64 s[0:1], vcc
	s_cbranch_execnz .LBB138_528
.LBB138_512:
	s_or_b64 exec, exec, s[0:1]
	v_cmp_gt_i32_e32 vcc, s12, v0
	s_and_saveexec_b64 s[0:1], vcc
	s_cbranch_execnz .LBB138_529
.LBB138_513:
	s_or_b64 exec, exec, s[0:1]
	v_cmp_gt_i32_e32 vcc, s12, v0
	s_and_saveexec_b64 s[0:1], vcc
	s_cbranch_execnz .LBB138_530
.LBB138_514:
	s_or_b64 exec, exec, s[0:1]
	v_cmp_gt_i32_e32 vcc, s12, v0
	s_and_saveexec_b64 s[0:1], vcc
	s_cbranch_execnz .LBB138_531
.LBB138_515:
	s_or_b64 exec, exec, s[0:1]
	v_cmp_gt_i32_e32 vcc, s12, v0
	s_and_saveexec_b64 s[0:1], vcc
	s_cbranch_execnz .LBB138_532
.LBB138_516:
	s_or_b64 exec, exec, s[0:1]
	v_cmp_gt_i32_e32 vcc, s12, v0
	s_and_saveexec_b64 s[0:1], vcc
	s_cbranch_execnz .LBB138_533
.LBB138_517:
	s_or_b64 exec, exec, s[0:1]
	v_cmp_gt_i32_e32 vcc, s12, v0
	s_and_saveexec_b64 s[0:1], vcc
	s_cbranch_execz .LBB138_519
.LBB138_518:
	v_add_u32_e32 v0, s2, v0
	global_store_byte v0, v4, s[8:9]
.LBB138_519:
	s_endpgm
.LBB138_520:
	v_add_u32_e32 v1, s2, v0
	v_add_u32_e32 v0, 0x100, v0
	global_store_byte v1, v10, s[8:9]
	s_or_b64 exec, exec, s[0:1]
	v_cmp_gt_i32_e32 vcc, s12, v0
	s_and_saveexec_b64 s[0:1], vcc
	s_cbranch_execz .LBB138_505
.LBB138_521:
	v_add_u32_e32 v1, s2, v0
	v_add_u32_e32 v0, 0x100, v0
	global_store_byte v1, v14, s[8:9]
	s_or_b64 exec, exec, s[0:1]
	v_cmp_gt_i32_e32 vcc, s12, v0
	s_and_saveexec_b64 s[0:1], vcc
	s_cbranch_execz .LBB138_506
.LBB138_522:
	v_add_u32_e32 v1, s2, v0
	v_add_u32_e32 v0, 0x100, v0
	global_store_byte v1, v18, s[8:9]
	s_or_b64 exec, exec, s[0:1]
	v_cmp_gt_i32_e32 vcc, s12, v0
	s_and_saveexec_b64 s[0:1], vcc
	s_cbranch_execz .LBB138_507
.LBB138_523:
	v_add_u32_e32 v1, s2, v0
	v_add_u32_e32 v0, 0x100, v0
	global_store_byte v1, v21, s[8:9]
	s_or_b64 exec, exec, s[0:1]
	v_cmp_gt_i32_e32 vcc, s12, v0
	s_and_saveexec_b64 s[0:1], vcc
	s_cbranch_execz .LBB138_508
.LBB138_524:
	v_add_u32_e32 v1, s2, v0
	v_add_u32_e32 v0, 0x100, v0
	global_store_byte v1, v25, s[8:9]
	s_or_b64 exec, exec, s[0:1]
	v_cmp_gt_i32_e32 vcc, s12, v0
	s_and_saveexec_b64 s[0:1], vcc
	s_cbranch_execz .LBB138_509
.LBB138_525:
	v_add_u32_e32 v1, s2, v0
	v_add_u32_e32 v0, 0x100, v0
	global_store_byte v1, v27, s[8:9]
	s_or_b64 exec, exec, s[0:1]
	v_cmp_gt_i32_e32 vcc, s12, v0
	s_and_saveexec_b64 s[0:1], vcc
	s_cbranch_execz .LBB138_510
.LBB138_526:
	v_add_u32_e32 v1, s2, v0
	v_add_u32_e32 v0, 0x100, v0
	global_store_byte v1, v28, s[8:9]
	s_or_b64 exec, exec, s[0:1]
	v_cmp_gt_i32_e32 vcc, s12, v0
	s_and_saveexec_b64 s[0:1], vcc
	s_cbranch_execz .LBB138_511
.LBB138_527:
	v_add_u32_e32 v1, s2, v0
	v_add_u32_e32 v0, 0x100, v0
	global_store_byte v1, v24, s[8:9]
	s_or_b64 exec, exec, s[0:1]
	v_cmp_gt_i32_e32 vcc, s12, v0
	s_and_saveexec_b64 s[0:1], vcc
	s_cbranch_execz .LBB138_512
.LBB138_528:
	v_add_u32_e32 v1, s2, v0
	v_add_u32_e32 v0, 0x100, v0
	global_store_byte v1, v22, s[8:9]
	s_or_b64 exec, exec, s[0:1]
	v_cmp_gt_i32_e32 vcc, s12, v0
	s_and_saveexec_b64 s[0:1], vcc
	s_cbranch_execz .LBB138_513
.LBB138_529:
	v_add_u32_e32 v1, s2, v0
	v_add_u32_e32 v0, 0x100, v0
	global_store_byte v1, v19, s[8:9]
	s_or_b64 exec, exec, s[0:1]
	v_cmp_gt_i32_e32 vcc, s12, v0
	s_and_saveexec_b64 s[0:1], vcc
	s_cbranch_execz .LBB138_514
.LBB138_530:
	v_add_u32_e32 v1, s2, v0
	v_add_u32_e32 v0, 0x100, v0
	global_store_byte v1, v16, s[8:9]
	s_or_b64 exec, exec, s[0:1]
	v_cmp_gt_i32_e32 vcc, s12, v0
	s_and_saveexec_b64 s[0:1], vcc
	s_cbranch_execz .LBB138_515
.LBB138_531:
	v_add_u32_e32 v1, s2, v0
	v_add_u32_e32 v0, 0x100, v0
	global_store_byte v1, v13, s[8:9]
	s_or_b64 exec, exec, s[0:1]
	v_cmp_gt_i32_e32 vcc, s12, v0
	s_and_saveexec_b64 s[0:1], vcc
	s_cbranch_execz .LBB138_516
.LBB138_532:
	v_add_u32_e32 v1, s2, v0
	v_add_u32_e32 v0, 0x100, v0
	global_store_byte v1, v11, s[8:9]
	s_or_b64 exec, exec, s[0:1]
	v_cmp_gt_i32_e32 vcc, s12, v0
	s_and_saveexec_b64 s[0:1], vcc
	s_cbranch_execz .LBB138_517
.LBB138_533:
	v_add_u32_e32 v1, s2, v0
	v_add_u32_e32 v0, 0x100, v0
	global_store_byte v1, v8, s[8:9]
	s_or_b64 exec, exec, s[0:1]
	v_cmp_gt_i32_e32 vcc, s12, v0
	s_and_saveexec_b64 s[0:1], vcc
	s_cbranch_execnz .LBB138_518
	s_branch .LBB138_519
.LBB138_534:
	v_cmp_lt_f32_e32 vcc, v2, v3
	s_andn2_b64 s[10:11], s[10:11], exec
	s_and_b64 s[14:15], vcc, exec
	s_or_b64 s[10:11], s[10:11], s[14:15]
	s_cbranch_execz .LBB138_499
	s_branch .LBB138_500
.LBB138_535:
	s_mov_b64 s[14:15], -1
                                        ; implicit-def: $sgpr10_sgpr11
	s_branch .LBB138_285
.LBB138_536:
	s_mov_b64 s[14:15], -1
                                        ; implicit-def: $sgpr10_sgpr11
	s_branch .LBB138_300
.LBB138_537:
	s_mov_b64 s[14:15], -1
                                        ; implicit-def: $sgpr10_sgpr11
	s_branch .LBB138_315
.LBB138_538:
	s_mov_b64 s[14:15], -1
                                        ; implicit-def: $sgpr10_sgpr11
	s_branch .LBB138_330
.LBB138_539:
	s_mov_b64 s[14:15], -1
                                        ; implicit-def: $sgpr10_sgpr11
	s_branch .LBB138_345
.LBB138_540:
	s_mov_b64 s[14:15], -1
                                        ; implicit-def: $sgpr10_sgpr11
	s_branch .LBB138_360
.LBB138_541:
	s_mov_b64 s[14:15], -1
                                        ; implicit-def: $sgpr10_sgpr11
	s_branch .LBB138_375
.LBB138_542:
	s_mov_b64 s[14:15], -1
                                        ; implicit-def: $sgpr10_sgpr11
	s_branch .LBB138_390
.LBB138_543:
	s_mov_b64 s[14:15], -1
                                        ; implicit-def: $sgpr10_sgpr11
	s_branch .LBB138_405
.LBB138_544:
	s_mov_b64 s[14:15], -1
                                        ; implicit-def: $sgpr10_sgpr11
	s_branch .LBB138_420
.LBB138_545:
	s_mov_b64 s[14:15], -1
                                        ; implicit-def: $sgpr10_sgpr11
	s_branch .LBB138_435
.LBB138_546:
	s_mov_b64 s[14:15], -1
                                        ; implicit-def: $sgpr10_sgpr11
	s_branch .LBB138_450
.LBB138_547:
	s_mov_b64 s[14:15], -1
                                        ; implicit-def: $sgpr10_sgpr11
	s_branch .LBB138_465
.LBB138_548:
	s_mov_b64 s[14:15], -1
                                        ; implicit-def: $sgpr10_sgpr11
	s_branch .LBB138_480
.LBB138_549:
	s_mov_b64 s[14:15], -1
                                        ; implicit-def: $sgpr10_sgpr11
	s_branch .LBB138_495
	.section	.rodata,"a",@progbits
	.p2align	6, 0x0
	.amdhsa_kernel _ZN2at6native29vectorized_elementwise_kernelILi4ENS0_12_GLOBAL__N_114CompareFunctorIN3c108BFloat16EEESt5arrayIPcLm3EEEEviT0_T1_
		.amdhsa_group_segment_fixed_size 0
		.amdhsa_private_segment_fixed_size 0
		.amdhsa_kernarg_size 32
		.amdhsa_user_sgpr_count 6
		.amdhsa_user_sgpr_private_segment_buffer 1
		.amdhsa_user_sgpr_dispatch_ptr 0
		.amdhsa_user_sgpr_queue_ptr 0
		.amdhsa_user_sgpr_kernarg_segment_ptr 1
		.amdhsa_user_sgpr_dispatch_id 0
		.amdhsa_user_sgpr_flat_scratch_init 0
		.amdhsa_user_sgpr_private_segment_size 0
		.amdhsa_uses_dynamic_stack 0
		.amdhsa_system_sgpr_private_segment_wavefront_offset 0
		.amdhsa_system_sgpr_workgroup_id_x 1
		.amdhsa_system_sgpr_workgroup_id_y 0
		.amdhsa_system_sgpr_workgroup_id_z 0
		.amdhsa_system_sgpr_workgroup_info 0
		.amdhsa_system_vgpr_workitem_id 0
		.amdhsa_next_free_vgpr 38
		.amdhsa_next_free_sgpr 50
		.amdhsa_reserve_vcc 1
		.amdhsa_reserve_flat_scratch 0
		.amdhsa_float_round_mode_32 0
		.amdhsa_float_round_mode_16_64 0
		.amdhsa_float_denorm_mode_32 3
		.amdhsa_float_denorm_mode_16_64 3
		.amdhsa_dx10_clamp 1
		.amdhsa_ieee_mode 1
		.amdhsa_fp16_overflow 0
		.amdhsa_exception_fp_ieee_invalid_op 0
		.amdhsa_exception_fp_denorm_src 0
		.amdhsa_exception_fp_ieee_div_zero 0
		.amdhsa_exception_fp_ieee_overflow 0
		.amdhsa_exception_fp_ieee_underflow 0
		.amdhsa_exception_fp_ieee_inexact 0
		.amdhsa_exception_int_div_zero 0
	.end_amdhsa_kernel
	.section	.text._ZN2at6native29vectorized_elementwise_kernelILi4ENS0_12_GLOBAL__N_114CompareFunctorIN3c108BFloat16EEESt5arrayIPcLm3EEEEviT0_T1_,"axG",@progbits,_ZN2at6native29vectorized_elementwise_kernelILi4ENS0_12_GLOBAL__N_114CompareFunctorIN3c108BFloat16EEESt5arrayIPcLm3EEEEviT0_T1_,comdat
.Lfunc_end138:
	.size	_ZN2at6native29vectorized_elementwise_kernelILi4ENS0_12_GLOBAL__N_114CompareFunctorIN3c108BFloat16EEESt5arrayIPcLm3EEEEviT0_T1_, .Lfunc_end138-_ZN2at6native29vectorized_elementwise_kernelILi4ENS0_12_GLOBAL__N_114CompareFunctorIN3c108BFloat16EEESt5arrayIPcLm3EEEEviT0_T1_
                                        ; -- End function
	.set _ZN2at6native29vectorized_elementwise_kernelILi4ENS0_12_GLOBAL__N_114CompareFunctorIN3c108BFloat16EEESt5arrayIPcLm3EEEEviT0_T1_.num_vgpr, 38
	.set _ZN2at6native29vectorized_elementwise_kernelILi4ENS0_12_GLOBAL__N_114CompareFunctorIN3c108BFloat16EEESt5arrayIPcLm3EEEEviT0_T1_.num_agpr, 0
	.set _ZN2at6native29vectorized_elementwise_kernelILi4ENS0_12_GLOBAL__N_114CompareFunctorIN3c108BFloat16EEESt5arrayIPcLm3EEEEviT0_T1_.numbered_sgpr, 50
	.set _ZN2at6native29vectorized_elementwise_kernelILi4ENS0_12_GLOBAL__N_114CompareFunctorIN3c108BFloat16EEESt5arrayIPcLm3EEEEviT0_T1_.num_named_barrier, 0
	.set _ZN2at6native29vectorized_elementwise_kernelILi4ENS0_12_GLOBAL__N_114CompareFunctorIN3c108BFloat16EEESt5arrayIPcLm3EEEEviT0_T1_.private_seg_size, 0
	.set _ZN2at6native29vectorized_elementwise_kernelILi4ENS0_12_GLOBAL__N_114CompareFunctorIN3c108BFloat16EEESt5arrayIPcLm3EEEEviT0_T1_.uses_vcc, 1
	.set _ZN2at6native29vectorized_elementwise_kernelILi4ENS0_12_GLOBAL__N_114CompareFunctorIN3c108BFloat16EEESt5arrayIPcLm3EEEEviT0_T1_.uses_flat_scratch, 0
	.set _ZN2at6native29vectorized_elementwise_kernelILi4ENS0_12_GLOBAL__N_114CompareFunctorIN3c108BFloat16EEESt5arrayIPcLm3EEEEviT0_T1_.has_dyn_sized_stack, 0
	.set _ZN2at6native29vectorized_elementwise_kernelILi4ENS0_12_GLOBAL__N_114CompareFunctorIN3c108BFloat16EEESt5arrayIPcLm3EEEEviT0_T1_.has_recursion, 0
	.set _ZN2at6native29vectorized_elementwise_kernelILi4ENS0_12_GLOBAL__N_114CompareFunctorIN3c108BFloat16EEESt5arrayIPcLm3EEEEviT0_T1_.has_indirect_call, 0
	.section	.AMDGPU.csdata,"",@progbits
; Kernel info:
; codeLenInByte = 8740
; TotalNumSgprs: 54
; NumVgprs: 38
; ScratchSize: 0
; MemoryBound: 0
; FloatMode: 240
; IeeeMode: 1
; LDSByteSize: 0 bytes/workgroup (compile time only)
; SGPRBlocks: 6
; VGPRBlocks: 9
; NumSGPRsForWavesPerEU: 54
; NumVGPRsForWavesPerEU: 38
; Occupancy: 6
; WaveLimiterHint : 1
; COMPUTE_PGM_RSRC2:SCRATCH_EN: 0
; COMPUTE_PGM_RSRC2:USER_SGPR: 6
; COMPUTE_PGM_RSRC2:TRAP_HANDLER: 0
; COMPUTE_PGM_RSRC2:TGID_X_EN: 1
; COMPUTE_PGM_RSRC2:TGID_Y_EN: 0
; COMPUTE_PGM_RSRC2:TGID_Z_EN: 0
; COMPUTE_PGM_RSRC2:TIDIG_COMP_CNT: 0
	.section	.text._ZN2at6native29vectorized_elementwise_kernelILi2ENS0_12_GLOBAL__N_114CompareFunctorIN3c108BFloat16EEESt5arrayIPcLm3EEEEviT0_T1_,"axG",@progbits,_ZN2at6native29vectorized_elementwise_kernelILi2ENS0_12_GLOBAL__N_114CompareFunctorIN3c108BFloat16EEESt5arrayIPcLm3EEEEviT0_T1_,comdat
	.globl	_ZN2at6native29vectorized_elementwise_kernelILi2ENS0_12_GLOBAL__N_114CompareFunctorIN3c108BFloat16EEESt5arrayIPcLm3EEEEviT0_T1_ ; -- Begin function _ZN2at6native29vectorized_elementwise_kernelILi2ENS0_12_GLOBAL__N_114CompareFunctorIN3c108BFloat16EEESt5arrayIPcLm3EEEEviT0_T1_
	.p2align	8
	.type	_ZN2at6native29vectorized_elementwise_kernelILi2ENS0_12_GLOBAL__N_114CompareFunctorIN3c108BFloat16EEESt5arrayIPcLm3EEEEviT0_T1_,@function
_ZN2at6native29vectorized_elementwise_kernelILi2ENS0_12_GLOBAL__N_114CompareFunctorIN3c108BFloat16EEESt5arrayIPcLm3EEEEviT0_T1_: ; @_ZN2at6native29vectorized_elementwise_kernelILi2ENS0_12_GLOBAL__N_114CompareFunctorIN3c108BFloat16EEESt5arrayIPcLm3EEEEviT0_T1_
; %bb.0:
	s_load_dwordx2 s[12:13], s[4:5], 0x0
	s_load_dwordx4 s[8:11], s[4:5], 0x8
	s_load_dwordx2 s[14:15], s[4:5], 0x18
	s_lshl_b32 s2, s6, 12
	s_mov_b64 s[0:1], -1
	s_waitcnt lgkmcnt(0)
	s_sub_i32 s12, s12, s2
	s_cmpk_gt_i32 s12, 0xfff
	s_cbranch_scc0 .LBB139_211
; %bb.1:
	s_ashr_i32 s3, s2, 31
	s_lshl_b64 s[0:1], s[2:3], 1
	s_add_u32 s4, s10, s0
	s_addc_u32 s5, s11, s1
	v_lshlrev_b32_e32 v2, 2, v0
	v_mov_b32_e32 v1, s5
	v_add_co_u32_e32 v3, vcc, s4, v2
	v_addc_co_u32_e32 v1, vcc, 0, v1, vcc
	v_add_co_u32_e32 v8, vcc, 0x1000, v3
	s_add_u32 s0, s14, s0
	v_addc_co_u32_e32 v9, vcc, 0, v1, vcc
	s_addc_u32 s1, s15, s1
	v_mov_b32_e32 v4, s1
	v_add_co_u32_e32 v6, vcc, s0, v2
	v_addc_co_u32_e32 v4, vcc, 0, v4, vcc
	v_add_co_u32_e32 v17, vcc, 0x1000, v6
	v_addc_co_u32_e32 v18, vcc, 0, v4, vcc
	global_load_dword v7, v[8:9], off
	global_load_dword v5, v[8:9], off offset:1024
	global_load_dword v3, v[8:9], off offset:2048
	;; [unrolled: 1-line block ×3, first 2 shown]
	global_load_dword v15, v2, s[4:5]
	global_load_dword v13, v2, s[4:5] offset:1024
	global_load_dword v11, v2, s[4:5] offset:2048
	s_nop 0
	global_load_dword v9, v2, s[4:5] offset:3072
	global_load_dword v16, v2, s[0:1]
	global_load_dword v14, v2, s[0:1] offset:1024
	global_load_dword v12, v2, s[0:1] offset:2048
	;; [unrolled: 1-line block ×3, first 2 shown]
	global_load_dword v8, v[17:18], off
	global_load_dword v6, v[17:18], off offset:1024
	global_load_dword v4, v[17:18], off offset:2048
	s_nop 0
	global_load_dword v2, v[17:18], off offset:3072
	s_cmp_lt_i32 s13, 1
	s_mov_b64 s[4:5], 0
	s_waitcnt vmcnt(11)
	v_lshlrev_b32_e32 v17, 16, v15
	s_waitcnt vmcnt(7)
	v_lshlrev_b32_e32 v18, 16, v16
	s_cbranch_scc1 .LBB139_5
; %bb.2:
	s_cmp_gt_i32 s13, 1
	s_cbranch_scc0 .LBB139_6
; %bb.3:
	s_cmp_eq_u32 s13, 2
	s_cbranch_scc0 .LBB139_7
; %bb.4:
	v_cmp_le_f32_e64 s[0:1], v17, v18
	s_mov_b64 s[6:7], 0
	s_branch .LBB139_8
.LBB139_5:
                                        ; implicit-def: $sgpr0_sgpr1
	s_mov_b64 s[6:7], 0
	s_cbranch_execnz .LBB139_11
	s_branch .LBB139_12
.LBB139_6:
	s_mov_b64 s[6:7], 0
                                        ; implicit-def: $sgpr0_sgpr1
	s_cbranch_execnz .LBB139_9
	s_branch .LBB139_10
.LBB139_7:
	s_mov_b64 s[6:7], -1
                                        ; implicit-def: $sgpr0_sgpr1
.LBB139_8:
	s_branch .LBB139_10
.LBB139_9:
	v_cmp_gt_f32_e32 vcc, v17, v18
	s_andn2_b64 s[0:1], s[0:1], exec
	s_and_b64 s[16:17], vcc, exec
	s_or_b64 s[0:1], s[0:1], s[16:17]
.LBB139_10:
	s_branch .LBB139_12
.LBB139_11:
	s_cmp_lg_u32 s13, 0
	s_mov_b64 s[4:5], -1
	s_cselect_b64 s[6:7], -1, 0
.LBB139_12:
	s_andn2_b64 vcc, exec, s[6:7]
	s_cbranch_vccz .LBB139_19
; %bb.13:
	s_andn2_b64 vcc, exec, s[4:5]
	s_cbranch_vccnz .LBB139_15
.LBB139_14:
	v_cmp_ge_f32_e32 vcc, v17, v18
	s_andn2_b64 s[0:1], s[0:1], exec
	s_and_b64 s[4:5], vcc, exec
	s_or_b64 s[0:1], s[0:1], s[4:5]
.LBB139_15:
	v_and_b32_e32 v15, 0xffff0000, v15
	v_and_b32_e32 v16, 0xffff0000, v16
	s_cmp_lt_i32 s13, 1
	s_mov_b64 s[6:7], 0
	s_cbranch_scc1 .LBB139_20
; %bb.16:
	s_cmp_gt_i32 s13, 1
	s_cbranch_scc0 .LBB139_21
; %bb.17:
	s_cmp_eq_u32 s13, 2
	s_cbranch_scc0 .LBB139_251
; %bb.18:
	v_cmp_le_f32_e64 s[4:5], v15, v16
	s_mov_b64 s[16:17], 0
	s_branch .LBB139_23
.LBB139_19:
	v_cmp_lt_f32_e32 vcc, v17, v18
	s_andn2_b64 s[0:1], s[0:1], exec
	s_and_b64 s[6:7], vcc, exec
	s_or_b64 s[0:1], s[0:1], s[6:7]
	s_cbranch_execz .LBB139_14
	s_branch .LBB139_15
.LBB139_20:
                                        ; implicit-def: $sgpr4_sgpr5
	s_mov_b64 s[16:17], 0
	s_cbranch_execnz .LBB139_24
	s_branch .LBB139_25
.LBB139_21:
	s_mov_b64 s[16:17], 0
                                        ; implicit-def: $sgpr4_sgpr5
	s_cbranch_execz .LBB139_23
; %bb.22:
	v_cmp_gt_f32_e32 vcc, v15, v16
	s_andn2_b64 s[4:5], s[4:5], exec
	s_and_b64 s[18:19], vcc, exec
	s_or_b64 s[4:5], s[4:5], s[18:19]
.LBB139_23:
	s_branch .LBB139_25
.LBB139_24:
	s_cmp_lg_u32 s13, 0
	s_mov_b64 s[6:7], -1
	s_cselect_b64 s[16:17], -1, 0
.LBB139_25:
	s_andn2_b64 vcc, exec, s[16:17]
	s_cbranch_vccz .LBB139_32
; %bb.26:
	s_andn2_b64 vcc, exec, s[6:7]
	s_cbranch_vccnz .LBB139_28
.LBB139_27:
	v_cmp_ge_f32_e32 vcc, v15, v16
	s_andn2_b64 s[4:5], s[4:5], exec
	s_and_b64 s[6:7], vcc, exec
	s_or_b64 s[4:5], s[4:5], s[6:7]
.LBB139_28:
	v_lshlrev_b32_e32 v15, 16, v13
	s_waitcnt vmcnt(6)
	v_lshlrev_b32_e32 v16, 16, v14
	s_cmp_lt_i32 s13, 1
	s_mov_b64 s[16:17], 0
	s_cbranch_scc1 .LBB139_33
; %bb.29:
	s_cmp_gt_i32 s13, 1
	s_cbranch_scc0 .LBB139_34
; %bb.30:
	s_cmp_eq_u32 s13, 2
	s_cbranch_scc0 .LBB139_252
; %bb.31:
	v_cmp_le_f32_e64 s[6:7], v15, v16
	s_mov_b64 s[18:19], 0
	s_branch .LBB139_36
.LBB139_32:
	v_cmp_lt_f32_e32 vcc, v15, v16
	s_andn2_b64 s[4:5], s[4:5], exec
	s_and_b64 s[16:17], vcc, exec
	s_or_b64 s[4:5], s[4:5], s[16:17]
	s_cbranch_execz .LBB139_27
	s_branch .LBB139_28
.LBB139_33:
                                        ; implicit-def: $sgpr6_sgpr7
	s_mov_b64 s[18:19], 0
	s_cbranch_execnz .LBB139_37
	s_branch .LBB139_38
.LBB139_34:
	s_mov_b64 s[18:19], 0
                                        ; implicit-def: $sgpr6_sgpr7
	s_cbranch_execz .LBB139_36
; %bb.35:
	v_cmp_gt_f32_e32 vcc, v15, v16
	s_andn2_b64 s[6:7], s[6:7], exec
	s_and_b64 s[20:21], vcc, exec
	s_or_b64 s[6:7], s[6:7], s[20:21]
.LBB139_36:
	s_branch .LBB139_38
.LBB139_37:
	s_cmp_lg_u32 s13, 0
	s_mov_b64 s[16:17], -1
	s_cselect_b64 s[18:19], -1, 0
.LBB139_38:
	s_andn2_b64 vcc, exec, s[18:19]
	s_cbranch_vccz .LBB139_45
; %bb.39:
	s_andn2_b64 vcc, exec, s[16:17]
	s_cbranch_vccnz .LBB139_41
.LBB139_40:
	v_cmp_ge_f32_e32 vcc, v15, v16
	s_andn2_b64 s[6:7], s[6:7], exec
	s_and_b64 s[16:17], vcc, exec
	s_or_b64 s[6:7], s[6:7], s[16:17]
.LBB139_41:
	v_and_b32_e32 v13, 0xffff0000, v13
	v_and_b32_e32 v14, 0xffff0000, v14
	s_cmp_lt_i32 s13, 1
	s_mov_b64 s[18:19], 0
	s_cbranch_scc1 .LBB139_46
; %bb.42:
	s_cmp_gt_i32 s13, 1
	s_cbranch_scc0 .LBB139_47
; %bb.43:
	s_cmp_eq_u32 s13, 2
	s_cbranch_scc0 .LBB139_253
; %bb.44:
	v_cmp_le_f32_e64 s[16:17], v13, v14
	s_mov_b64 s[20:21], 0
	s_branch .LBB139_49
.LBB139_45:
	v_cmp_lt_f32_e32 vcc, v15, v16
	s_andn2_b64 s[6:7], s[6:7], exec
	s_and_b64 s[18:19], vcc, exec
	s_or_b64 s[6:7], s[6:7], s[18:19]
	s_cbranch_execz .LBB139_40
	s_branch .LBB139_41
.LBB139_46:
                                        ; implicit-def: $sgpr16_sgpr17
	s_mov_b64 s[20:21], 0
	s_cbranch_execnz .LBB139_50
	s_branch .LBB139_51
.LBB139_47:
	s_mov_b64 s[20:21], 0
                                        ; implicit-def: $sgpr16_sgpr17
	s_cbranch_execz .LBB139_49
; %bb.48:
	v_cmp_gt_f32_e32 vcc, v13, v14
	s_andn2_b64 s[16:17], s[16:17], exec
	s_and_b64 s[22:23], vcc, exec
	s_or_b64 s[16:17], s[16:17], s[22:23]
.LBB139_49:
	s_branch .LBB139_51
.LBB139_50:
	s_cmp_lg_u32 s13, 0
	s_mov_b64 s[18:19], -1
	s_cselect_b64 s[20:21], -1, 0
.LBB139_51:
	s_andn2_b64 vcc, exec, s[20:21]
	s_cbranch_vccz .LBB139_58
; %bb.52:
	s_andn2_b64 vcc, exec, s[18:19]
	s_cbranch_vccnz .LBB139_54
.LBB139_53:
	v_cmp_ge_f32_e32 vcc, v13, v14
	s_andn2_b64 s[16:17], s[16:17], exec
	s_and_b64 s[18:19], vcc, exec
	s_or_b64 s[16:17], s[16:17], s[18:19]
.LBB139_54:
	v_lshlrev_b32_e32 v13, 16, v11
	s_waitcnt vmcnt(5)
	v_lshlrev_b32_e32 v14, 16, v12
	s_cmp_lt_i32 s13, 1
	s_mov_b64 s[20:21], 0
	s_cbranch_scc1 .LBB139_59
; %bb.55:
	s_cmp_gt_i32 s13, 1
	s_cbranch_scc0 .LBB139_60
; %bb.56:
	s_cmp_eq_u32 s13, 2
	s_cbranch_scc0 .LBB139_254
; %bb.57:
	v_cmp_le_f32_e64 s[18:19], v13, v14
	s_mov_b64 s[22:23], 0
	s_branch .LBB139_62
.LBB139_58:
	v_cmp_lt_f32_e32 vcc, v13, v14
	s_andn2_b64 s[16:17], s[16:17], exec
	s_and_b64 s[20:21], vcc, exec
	s_or_b64 s[16:17], s[16:17], s[20:21]
	s_cbranch_execz .LBB139_53
	s_branch .LBB139_54
.LBB139_59:
                                        ; implicit-def: $sgpr18_sgpr19
	s_mov_b64 s[22:23], 0
	s_cbranch_execnz .LBB139_63
	s_branch .LBB139_64
.LBB139_60:
	s_mov_b64 s[22:23], 0
                                        ; implicit-def: $sgpr18_sgpr19
	s_cbranch_execz .LBB139_62
; %bb.61:
	v_cmp_gt_f32_e32 vcc, v13, v14
	s_andn2_b64 s[18:19], s[18:19], exec
	s_and_b64 s[24:25], vcc, exec
	s_or_b64 s[18:19], s[18:19], s[24:25]
.LBB139_62:
	s_branch .LBB139_64
.LBB139_63:
	s_cmp_lg_u32 s13, 0
	s_mov_b64 s[20:21], -1
	s_cselect_b64 s[22:23], -1, 0
.LBB139_64:
	s_andn2_b64 vcc, exec, s[22:23]
	s_cbranch_vccz .LBB139_71
; %bb.65:
	s_andn2_b64 vcc, exec, s[20:21]
	s_cbranch_vccnz .LBB139_67
.LBB139_66:
	v_cmp_ge_f32_e32 vcc, v13, v14
	s_andn2_b64 s[18:19], s[18:19], exec
	s_and_b64 s[20:21], vcc, exec
	s_or_b64 s[18:19], s[18:19], s[20:21]
.LBB139_67:
	v_and_b32_e32 v11, 0xffff0000, v11
	v_and_b32_e32 v12, 0xffff0000, v12
	s_cmp_lt_i32 s13, 1
	s_mov_b64 s[22:23], 0
	s_cbranch_scc1 .LBB139_72
; %bb.68:
	s_cmp_gt_i32 s13, 1
	s_cbranch_scc0 .LBB139_73
; %bb.69:
	s_cmp_eq_u32 s13, 2
	s_cbranch_scc0 .LBB139_255
; %bb.70:
	v_cmp_le_f32_e64 s[20:21], v11, v12
	s_mov_b64 s[24:25], 0
	s_branch .LBB139_75
.LBB139_71:
	v_cmp_lt_f32_e32 vcc, v13, v14
	s_andn2_b64 s[18:19], s[18:19], exec
	s_and_b64 s[22:23], vcc, exec
	s_or_b64 s[18:19], s[18:19], s[22:23]
	s_cbranch_execz .LBB139_66
	s_branch .LBB139_67
.LBB139_72:
                                        ; implicit-def: $sgpr20_sgpr21
	s_mov_b64 s[24:25], 0
	s_cbranch_execnz .LBB139_76
	s_branch .LBB139_77
.LBB139_73:
	s_mov_b64 s[24:25], 0
                                        ; implicit-def: $sgpr20_sgpr21
	s_cbranch_execz .LBB139_75
; %bb.74:
	v_cmp_gt_f32_e32 vcc, v11, v12
	s_andn2_b64 s[20:21], s[20:21], exec
	s_and_b64 s[26:27], vcc, exec
	s_or_b64 s[20:21], s[20:21], s[26:27]
.LBB139_75:
	s_branch .LBB139_77
.LBB139_76:
	s_cmp_lg_u32 s13, 0
	s_mov_b64 s[22:23], -1
	s_cselect_b64 s[24:25], -1, 0
.LBB139_77:
	s_andn2_b64 vcc, exec, s[24:25]
	s_cbranch_vccz .LBB139_84
; %bb.78:
	s_andn2_b64 vcc, exec, s[22:23]
	s_cbranch_vccnz .LBB139_80
.LBB139_79:
	v_cmp_ge_f32_e32 vcc, v11, v12
	s_andn2_b64 s[20:21], s[20:21], exec
	s_and_b64 s[22:23], vcc, exec
	s_or_b64 s[20:21], s[20:21], s[22:23]
.LBB139_80:
	v_lshlrev_b32_e32 v11, 16, v9
	s_waitcnt vmcnt(4)
	v_lshlrev_b32_e32 v12, 16, v10
	s_cmp_lt_i32 s13, 1
	s_mov_b64 s[24:25], 0
	s_cbranch_scc1 .LBB139_85
; %bb.81:
	s_cmp_gt_i32 s13, 1
	s_cbranch_scc0 .LBB139_86
; %bb.82:
	s_cmp_eq_u32 s13, 2
	s_cbranch_scc0 .LBB139_256
; %bb.83:
	v_cmp_le_f32_e64 s[22:23], v11, v12
	s_mov_b64 s[26:27], 0
	s_branch .LBB139_88
.LBB139_84:
	v_cmp_lt_f32_e32 vcc, v11, v12
	s_andn2_b64 s[20:21], s[20:21], exec
	s_and_b64 s[24:25], vcc, exec
	s_or_b64 s[20:21], s[20:21], s[24:25]
	s_cbranch_execz .LBB139_79
	s_branch .LBB139_80
.LBB139_85:
                                        ; implicit-def: $sgpr22_sgpr23
	s_mov_b64 s[26:27], 0
	s_cbranch_execnz .LBB139_89
	s_branch .LBB139_90
.LBB139_86:
	s_mov_b64 s[26:27], 0
                                        ; implicit-def: $sgpr22_sgpr23
	s_cbranch_execz .LBB139_88
; %bb.87:
	v_cmp_gt_f32_e32 vcc, v11, v12
	s_andn2_b64 s[22:23], s[22:23], exec
	s_and_b64 s[28:29], vcc, exec
	s_or_b64 s[22:23], s[22:23], s[28:29]
.LBB139_88:
	s_branch .LBB139_90
.LBB139_89:
	s_cmp_lg_u32 s13, 0
	s_mov_b64 s[24:25], -1
	s_cselect_b64 s[26:27], -1, 0
.LBB139_90:
	s_andn2_b64 vcc, exec, s[26:27]
	s_cbranch_vccz .LBB139_97
; %bb.91:
	s_andn2_b64 vcc, exec, s[24:25]
	s_cbranch_vccnz .LBB139_93
.LBB139_92:
	v_cmp_ge_f32_e32 vcc, v11, v12
	s_andn2_b64 s[22:23], s[22:23], exec
	s_and_b64 s[24:25], vcc, exec
	s_or_b64 s[22:23], s[22:23], s[24:25]
.LBB139_93:
	v_and_b32_e32 v9, 0xffff0000, v9
	v_and_b32_e32 v10, 0xffff0000, v10
	s_cmp_lt_i32 s13, 1
	s_mov_b64 s[26:27], 0
	s_cbranch_scc1 .LBB139_98
; %bb.94:
	s_cmp_gt_i32 s13, 1
	s_cbranch_scc0 .LBB139_99
; %bb.95:
	s_cmp_eq_u32 s13, 2
	s_cbranch_scc0 .LBB139_257
; %bb.96:
	v_cmp_le_f32_e64 s[24:25], v9, v10
	s_mov_b64 s[28:29], 0
	s_branch .LBB139_101
.LBB139_97:
	v_cmp_lt_f32_e32 vcc, v11, v12
	s_andn2_b64 s[22:23], s[22:23], exec
	s_and_b64 s[26:27], vcc, exec
	s_or_b64 s[22:23], s[22:23], s[26:27]
	s_cbranch_execz .LBB139_92
	s_branch .LBB139_93
.LBB139_98:
                                        ; implicit-def: $sgpr24_sgpr25
	s_mov_b64 s[28:29], 0
	s_cbranch_execnz .LBB139_102
	s_branch .LBB139_103
.LBB139_99:
	s_mov_b64 s[28:29], 0
                                        ; implicit-def: $sgpr24_sgpr25
	s_cbranch_execz .LBB139_101
; %bb.100:
	v_cmp_gt_f32_e32 vcc, v9, v10
	s_andn2_b64 s[24:25], s[24:25], exec
	s_and_b64 s[30:31], vcc, exec
	s_or_b64 s[24:25], s[24:25], s[30:31]
.LBB139_101:
	s_branch .LBB139_103
.LBB139_102:
	s_cmp_lg_u32 s13, 0
	s_mov_b64 s[26:27], -1
	s_cselect_b64 s[28:29], -1, 0
.LBB139_103:
	s_andn2_b64 vcc, exec, s[28:29]
	s_cbranch_vccz .LBB139_110
; %bb.104:
	s_andn2_b64 vcc, exec, s[26:27]
	s_cbranch_vccnz .LBB139_106
.LBB139_105:
	v_cmp_ge_f32_e32 vcc, v9, v10
	s_andn2_b64 s[24:25], s[24:25], exec
	s_and_b64 s[26:27], vcc, exec
	s_or_b64 s[24:25], s[24:25], s[26:27]
.LBB139_106:
	v_lshlrev_b32_e32 v9, 16, v7
	s_waitcnt vmcnt(3)
	v_lshlrev_b32_e32 v10, 16, v8
	s_cmp_lt_i32 s13, 1
	s_mov_b64 s[28:29], 0
	s_cbranch_scc1 .LBB139_111
; %bb.107:
	s_cmp_gt_i32 s13, 1
	s_cbranch_scc0 .LBB139_112
; %bb.108:
	s_cmp_eq_u32 s13, 2
	s_cbranch_scc0 .LBB139_258
; %bb.109:
	v_cmp_le_f32_e64 s[26:27], v9, v10
	s_mov_b64 s[30:31], 0
	s_branch .LBB139_114
.LBB139_110:
	v_cmp_lt_f32_e32 vcc, v9, v10
	s_andn2_b64 s[24:25], s[24:25], exec
	s_and_b64 s[28:29], vcc, exec
	s_or_b64 s[24:25], s[24:25], s[28:29]
	s_cbranch_execz .LBB139_105
	s_branch .LBB139_106
.LBB139_111:
                                        ; implicit-def: $sgpr26_sgpr27
	s_mov_b64 s[30:31], 0
	s_cbranch_execnz .LBB139_115
	s_branch .LBB139_116
.LBB139_112:
	s_mov_b64 s[30:31], 0
                                        ; implicit-def: $sgpr26_sgpr27
	s_cbranch_execz .LBB139_114
; %bb.113:
	v_cmp_gt_f32_e32 vcc, v9, v10
	s_andn2_b64 s[26:27], s[26:27], exec
	s_and_b64 s[34:35], vcc, exec
	s_or_b64 s[26:27], s[26:27], s[34:35]
.LBB139_114:
	s_branch .LBB139_116
.LBB139_115:
	s_cmp_lg_u32 s13, 0
	s_mov_b64 s[28:29], -1
	s_cselect_b64 s[30:31], -1, 0
.LBB139_116:
	s_andn2_b64 vcc, exec, s[30:31]
	s_cbranch_vccz .LBB139_123
; %bb.117:
	s_andn2_b64 vcc, exec, s[28:29]
	s_cbranch_vccnz .LBB139_119
.LBB139_118:
	v_cmp_ge_f32_e32 vcc, v9, v10
	s_andn2_b64 s[26:27], s[26:27], exec
	s_and_b64 s[28:29], vcc, exec
	s_or_b64 s[26:27], s[26:27], s[28:29]
.LBB139_119:
	v_and_b32_e32 v7, 0xffff0000, v7
	v_and_b32_e32 v8, 0xffff0000, v8
	s_cmp_lt_i32 s13, 1
	s_mov_b64 s[30:31], 0
	s_cbranch_scc1 .LBB139_124
; %bb.120:
	s_cmp_gt_i32 s13, 1
	s_cbranch_scc0 .LBB139_125
; %bb.121:
	s_cmp_eq_u32 s13, 2
	s_cbranch_scc0 .LBB139_259
; %bb.122:
	v_cmp_le_f32_e64 s[28:29], v7, v8
	s_mov_b64 s[34:35], 0
	s_branch .LBB139_127
.LBB139_123:
	v_cmp_lt_f32_e32 vcc, v9, v10
	s_andn2_b64 s[26:27], s[26:27], exec
	s_and_b64 s[30:31], vcc, exec
	s_or_b64 s[26:27], s[26:27], s[30:31]
	s_cbranch_execz .LBB139_118
	s_branch .LBB139_119
.LBB139_124:
                                        ; implicit-def: $sgpr28_sgpr29
	s_mov_b64 s[34:35], 0
	s_cbranch_execnz .LBB139_128
	s_branch .LBB139_129
.LBB139_125:
	s_mov_b64 s[34:35], 0
                                        ; implicit-def: $sgpr28_sgpr29
	s_cbranch_execz .LBB139_127
; %bb.126:
	v_cmp_gt_f32_e32 vcc, v7, v8
	s_andn2_b64 s[28:29], s[28:29], exec
	s_and_b64 s[36:37], vcc, exec
	s_or_b64 s[28:29], s[28:29], s[36:37]
.LBB139_127:
	s_branch .LBB139_129
.LBB139_128:
	s_cmp_lg_u32 s13, 0
	s_mov_b64 s[30:31], -1
	s_cselect_b64 s[34:35], -1, 0
.LBB139_129:
	s_andn2_b64 vcc, exec, s[34:35]
	s_cbranch_vccz .LBB139_136
; %bb.130:
	s_andn2_b64 vcc, exec, s[30:31]
	s_cbranch_vccnz .LBB139_132
.LBB139_131:
	v_cmp_ge_f32_e32 vcc, v7, v8
	s_andn2_b64 s[28:29], s[28:29], exec
	s_and_b64 s[30:31], vcc, exec
	s_or_b64 s[28:29], s[28:29], s[30:31]
.LBB139_132:
	v_lshlrev_b32_e32 v7, 16, v5
	s_waitcnt vmcnt(2)
	v_lshlrev_b32_e32 v8, 16, v6
	s_cmp_lt_i32 s13, 1
	s_mov_b64 s[34:35], 0
	s_cbranch_scc1 .LBB139_137
; %bb.133:
	s_cmp_gt_i32 s13, 1
	s_cbranch_scc0 .LBB139_138
; %bb.134:
	s_cmp_eq_u32 s13, 2
	s_cbranch_scc0 .LBB139_260
; %bb.135:
	v_cmp_le_f32_e64 s[30:31], v7, v8
	s_mov_b64 s[36:37], 0
	s_branch .LBB139_140
.LBB139_136:
	v_cmp_lt_f32_e32 vcc, v7, v8
	s_andn2_b64 s[28:29], s[28:29], exec
	s_and_b64 s[34:35], vcc, exec
	s_or_b64 s[28:29], s[28:29], s[34:35]
	s_cbranch_execz .LBB139_131
	s_branch .LBB139_132
.LBB139_137:
                                        ; implicit-def: $sgpr30_sgpr31
	s_mov_b64 s[36:37], 0
	s_cbranch_execnz .LBB139_141
	s_branch .LBB139_142
.LBB139_138:
	s_mov_b64 s[36:37], 0
                                        ; implicit-def: $sgpr30_sgpr31
	s_cbranch_execz .LBB139_140
; %bb.139:
	v_cmp_gt_f32_e32 vcc, v7, v8
	s_andn2_b64 s[30:31], s[30:31], exec
	s_and_b64 s[38:39], vcc, exec
	s_or_b64 s[30:31], s[30:31], s[38:39]
.LBB139_140:
	s_branch .LBB139_142
.LBB139_141:
	s_cmp_lg_u32 s13, 0
	s_mov_b64 s[34:35], -1
	s_cselect_b64 s[36:37], -1, 0
.LBB139_142:
	s_andn2_b64 vcc, exec, s[36:37]
	s_cbranch_vccz .LBB139_149
; %bb.143:
	s_andn2_b64 vcc, exec, s[34:35]
	s_cbranch_vccnz .LBB139_145
.LBB139_144:
	v_cmp_ge_f32_e32 vcc, v7, v8
	s_andn2_b64 s[30:31], s[30:31], exec
	s_and_b64 s[34:35], vcc, exec
	s_or_b64 s[30:31], s[30:31], s[34:35]
.LBB139_145:
	v_and_b32_e32 v5, 0xffff0000, v5
	v_and_b32_e32 v6, 0xffff0000, v6
	s_cmp_lt_i32 s13, 1
	s_mov_b64 s[36:37], 0
	s_cbranch_scc1 .LBB139_150
; %bb.146:
	s_cmp_gt_i32 s13, 1
	s_cbranch_scc0 .LBB139_151
; %bb.147:
	s_cmp_eq_u32 s13, 2
	s_cbranch_scc0 .LBB139_261
; %bb.148:
	v_cmp_le_f32_e64 s[34:35], v5, v6
	s_mov_b64 s[38:39], 0
	s_branch .LBB139_153
.LBB139_149:
	v_cmp_lt_f32_e32 vcc, v7, v8
	s_andn2_b64 s[30:31], s[30:31], exec
	s_and_b64 s[36:37], vcc, exec
	s_or_b64 s[30:31], s[30:31], s[36:37]
	s_cbranch_execz .LBB139_144
	s_branch .LBB139_145
.LBB139_150:
                                        ; implicit-def: $sgpr34_sgpr35
	s_mov_b64 s[38:39], 0
	s_cbranch_execnz .LBB139_154
	s_branch .LBB139_155
.LBB139_151:
	s_mov_b64 s[38:39], 0
                                        ; implicit-def: $sgpr34_sgpr35
	s_cbranch_execz .LBB139_153
; %bb.152:
	v_cmp_gt_f32_e32 vcc, v5, v6
	s_andn2_b64 s[34:35], s[34:35], exec
	s_and_b64 s[40:41], vcc, exec
	s_or_b64 s[34:35], s[34:35], s[40:41]
.LBB139_153:
	s_branch .LBB139_155
.LBB139_154:
	s_cmp_lg_u32 s13, 0
	s_mov_b64 s[36:37], -1
	s_cselect_b64 s[38:39], -1, 0
.LBB139_155:
	s_andn2_b64 vcc, exec, s[38:39]
	s_cbranch_vccz .LBB139_162
; %bb.156:
	s_andn2_b64 vcc, exec, s[36:37]
	s_cbranch_vccnz .LBB139_158
.LBB139_157:
	v_cmp_ge_f32_e32 vcc, v5, v6
	s_andn2_b64 s[34:35], s[34:35], exec
	s_and_b64 s[36:37], vcc, exec
	s_or_b64 s[34:35], s[34:35], s[36:37]
.LBB139_158:
	v_lshlrev_b32_e32 v5, 16, v3
	s_waitcnt vmcnt(1)
	v_lshlrev_b32_e32 v6, 16, v4
	s_cmp_lt_i32 s13, 1
	s_mov_b64 s[38:39], 0
	s_cbranch_scc1 .LBB139_163
; %bb.159:
	s_cmp_gt_i32 s13, 1
	s_cbranch_scc0 .LBB139_164
; %bb.160:
	s_cmp_eq_u32 s13, 2
	s_cbranch_scc0 .LBB139_262
; %bb.161:
	v_cmp_le_f32_e64 s[36:37], v5, v6
	s_mov_b64 s[40:41], 0
	s_branch .LBB139_166
.LBB139_162:
	v_cmp_lt_f32_e32 vcc, v5, v6
	s_andn2_b64 s[34:35], s[34:35], exec
	s_and_b64 s[38:39], vcc, exec
	s_or_b64 s[34:35], s[34:35], s[38:39]
	s_cbranch_execz .LBB139_157
	s_branch .LBB139_158
.LBB139_163:
                                        ; implicit-def: $sgpr36_sgpr37
	s_mov_b64 s[40:41], 0
	s_cbranch_execnz .LBB139_167
	s_branch .LBB139_168
.LBB139_164:
	s_mov_b64 s[40:41], 0
                                        ; implicit-def: $sgpr36_sgpr37
	s_cbranch_execz .LBB139_166
; %bb.165:
	v_cmp_gt_f32_e32 vcc, v5, v6
	s_andn2_b64 s[36:37], s[36:37], exec
	s_and_b64 s[42:43], vcc, exec
	s_or_b64 s[36:37], s[36:37], s[42:43]
.LBB139_166:
	s_branch .LBB139_168
.LBB139_167:
	s_cmp_lg_u32 s13, 0
	s_mov_b64 s[38:39], -1
	s_cselect_b64 s[40:41], -1, 0
.LBB139_168:
	s_andn2_b64 vcc, exec, s[40:41]
	s_cbranch_vccz .LBB139_175
; %bb.169:
	s_andn2_b64 vcc, exec, s[38:39]
	s_cbranch_vccnz .LBB139_171
.LBB139_170:
	v_cmp_ge_f32_e32 vcc, v5, v6
	s_andn2_b64 s[36:37], s[36:37], exec
	s_and_b64 s[38:39], vcc, exec
	s_or_b64 s[36:37], s[36:37], s[38:39]
.LBB139_171:
	v_and_b32_e32 v3, 0xffff0000, v3
	v_and_b32_e32 v4, 0xffff0000, v4
	s_cmp_lt_i32 s13, 1
	s_mov_b64 s[40:41], 0
	s_cbranch_scc1 .LBB139_176
; %bb.172:
	s_cmp_gt_i32 s13, 1
	s_cbranch_scc0 .LBB139_177
; %bb.173:
	s_cmp_eq_u32 s13, 2
	s_cbranch_scc0 .LBB139_263
; %bb.174:
	v_cmp_le_f32_e64 s[38:39], v3, v4
	s_mov_b64 s[42:43], 0
	s_branch .LBB139_179
.LBB139_175:
	v_cmp_lt_f32_e32 vcc, v5, v6
	s_andn2_b64 s[36:37], s[36:37], exec
	s_and_b64 s[40:41], vcc, exec
	s_or_b64 s[36:37], s[36:37], s[40:41]
	s_cbranch_execz .LBB139_170
	s_branch .LBB139_171
.LBB139_176:
                                        ; implicit-def: $sgpr38_sgpr39
	s_mov_b64 s[42:43], 0
	s_cbranch_execnz .LBB139_180
	s_branch .LBB139_181
.LBB139_177:
	s_mov_b64 s[42:43], 0
                                        ; implicit-def: $sgpr38_sgpr39
	s_cbranch_execz .LBB139_179
; %bb.178:
	v_cmp_gt_f32_e32 vcc, v3, v4
	s_andn2_b64 s[38:39], s[38:39], exec
	s_and_b64 s[44:45], vcc, exec
	s_or_b64 s[38:39], s[38:39], s[44:45]
.LBB139_179:
	s_branch .LBB139_181
.LBB139_180:
	s_cmp_lg_u32 s13, 0
	s_mov_b64 s[40:41], -1
	s_cselect_b64 s[42:43], -1, 0
.LBB139_181:
	s_andn2_b64 vcc, exec, s[42:43]
	s_cbranch_vccz .LBB139_188
; %bb.182:
	s_andn2_b64 vcc, exec, s[40:41]
	s_cbranch_vccnz .LBB139_184
.LBB139_183:
	v_cmp_ge_f32_e32 vcc, v3, v4
	s_andn2_b64 s[38:39], s[38:39], exec
	s_and_b64 s[40:41], vcc, exec
	s_or_b64 s[38:39], s[38:39], s[40:41]
.LBB139_184:
	v_lshlrev_b32_e32 v3, 16, v1
	s_waitcnt vmcnt(0)
	v_lshlrev_b32_e32 v4, 16, v2
	s_cmp_lt_i32 s13, 1
	s_mov_b64 s[42:43], 0
	s_cbranch_scc1 .LBB139_189
; %bb.185:
	s_cmp_gt_i32 s13, 1
	s_cbranch_scc0 .LBB139_190
; %bb.186:
	s_cmp_eq_u32 s13, 2
	s_cbranch_scc0 .LBB139_264
; %bb.187:
	v_cmp_le_f32_e64 s[40:41], v3, v4
	s_mov_b64 s[44:45], 0
	s_branch .LBB139_192
.LBB139_188:
	v_cmp_lt_f32_e32 vcc, v3, v4
	s_andn2_b64 s[38:39], s[38:39], exec
	s_and_b64 s[42:43], vcc, exec
	s_or_b64 s[38:39], s[38:39], s[42:43]
	s_cbranch_execz .LBB139_183
	s_branch .LBB139_184
.LBB139_189:
                                        ; implicit-def: $sgpr40_sgpr41
	s_mov_b64 s[44:45], 0
	s_cbranch_execnz .LBB139_193
	s_branch .LBB139_194
.LBB139_190:
	s_mov_b64 s[44:45], 0
                                        ; implicit-def: $sgpr40_sgpr41
	s_cbranch_execz .LBB139_192
; %bb.191:
	v_cmp_gt_f32_e32 vcc, v3, v4
	s_andn2_b64 s[40:41], s[40:41], exec
	s_and_b64 s[46:47], vcc, exec
	s_or_b64 s[40:41], s[40:41], s[46:47]
.LBB139_192:
	s_branch .LBB139_194
.LBB139_193:
	s_cmp_lg_u32 s13, 0
	s_mov_b64 s[42:43], -1
	s_cselect_b64 s[44:45], -1, 0
.LBB139_194:
	s_andn2_b64 vcc, exec, s[44:45]
	s_cbranch_vccz .LBB139_201
; %bb.195:
	s_andn2_b64 vcc, exec, s[42:43]
	s_cbranch_vccnz .LBB139_197
.LBB139_196:
	v_cmp_ge_f32_e32 vcc, v3, v4
	s_andn2_b64 s[40:41], s[40:41], exec
	s_and_b64 s[42:43], vcc, exec
	s_or_b64 s[40:41], s[40:41], s[42:43]
.LBB139_197:
	v_and_b32_e32 v1, 0xffff0000, v1
	v_and_b32_e32 v2, 0xffff0000, v2
	s_cmp_lt_i32 s13, 1
	s_mov_b64 s[44:45], 0
	s_cbranch_scc1 .LBB139_202
; %bb.198:
	s_cmp_gt_i32 s13, 1
	s_cbranch_scc0 .LBB139_203
; %bb.199:
	s_cmp_eq_u32 s13, 2
	s_cbranch_scc0 .LBB139_265
; %bb.200:
	v_cmp_le_f32_e64 s[42:43], v1, v2
	s_mov_b64 s[46:47], 0
	s_branch .LBB139_205
.LBB139_201:
	v_cmp_lt_f32_e32 vcc, v3, v4
	s_andn2_b64 s[40:41], s[40:41], exec
	s_and_b64 s[44:45], vcc, exec
	s_or_b64 s[40:41], s[40:41], s[44:45]
	s_cbranch_execz .LBB139_196
	s_branch .LBB139_197
.LBB139_202:
                                        ; implicit-def: $sgpr42_sgpr43
	s_mov_b64 s[46:47], 0
	s_cbranch_execnz .LBB139_206
	s_branch .LBB139_207
.LBB139_203:
	s_mov_b64 s[46:47], 0
                                        ; implicit-def: $sgpr42_sgpr43
	s_cbranch_execz .LBB139_205
; %bb.204:
	v_cmp_gt_f32_e32 vcc, v1, v2
	s_andn2_b64 s[42:43], s[42:43], exec
	s_and_b64 s[48:49], vcc, exec
	s_or_b64 s[42:43], s[42:43], s[48:49]
.LBB139_205:
	s_branch .LBB139_207
.LBB139_206:
	s_cmp_lg_u32 s13, 0
	s_mov_b64 s[44:45], -1
	s_cselect_b64 s[46:47], -1, 0
.LBB139_207:
	s_andn2_b64 vcc, exec, s[46:47]
	s_cbranch_vccz .LBB139_249
; %bb.208:
	s_andn2_b64 vcc, exec, s[44:45]
	s_cbranch_vccnz .LBB139_210
.LBB139_209:
	v_cmp_ge_f32_e32 vcc, v1, v2
	s_andn2_b64 s[42:43], s[42:43], exec
	s_and_b64 s[44:45], vcc, exec
	s_or_b64 s[42:43], s[42:43], s[44:45]
.LBB139_210:
	v_mov_b32_e32 v3, 0x100
	v_cndmask_b32_e64 v2, 0, 1, s[36:37]
	v_cndmask_b32_e64 v4, 0, v3, s[38:39]
	v_or_b32_e32 v2, v4, v2
	v_cndmask_b32_e64 v4, 0, 1, s[30:31]
	v_cndmask_b32_e64 v5, 0, v3, s[34:35]
	v_or_b32_e32 v4, v5, v4
	;; [unrolled: 3-line block ×5, first 2 shown]
	v_cndmask_b32_e64 v8, 0, 1, s[6:7]
	v_cndmask_b32_e64 v9, 0, v3, s[16:17]
	;; [unrolled: 1-line block ×3, first 2 shown]
	v_or_b32_e32 v8, v9, v8
	v_cndmask_b32_e64 v9, 0, 1, s[0:1]
	v_cndmask_b32_e64 v10, 0, v3, s[4:5]
	;; [unrolled: 1-line block ×3, first 2 shown]
	s_add_u32 s0, s8, s2
	v_or_b32_e32 v9, v10, v9
	v_or_b32_e32 v1, v3, v1
	s_addc_u32 s1, s9, s3
	v_lshlrev_b32_e32 v3, 1, v0
	global_store_short v3, v9, s[0:1]
	global_store_short v3, v8, s[0:1] offset:512
	global_store_short v3, v7, s[0:1] offset:1024
	global_store_short v3, v6, s[0:1] offset:1536
	global_store_short v3, v5, s[0:1] offset:2048
	global_store_short v3, v4, s[0:1] offset:2560
	global_store_short v3, v2, s[0:1] offset:3072
	global_store_short v3, v1, s[0:1] offset:3584
	s_mov_b64 s[0:1], 0
.LBB139_211:
	s_and_b64 vcc, exec, s[0:1]
	s_cbranch_vccz .LBB139_519
; %bb.212:
	v_cmp_gt_i32_e64 s[0:1], s12, v0
	v_mov_b32_e32 v14, 0
	v_or_b32_e32 v1, s2, v0
	v_mov_b32_e32 v6, v0
	v_mov_b32_e32 v7, 0
	;; [unrolled: 1-line block ×3, first 2 shown]
	s_and_saveexec_b64 s[4:5], s[0:1]
	s_cbranch_execz .LBB139_214
; %bb.213:
	v_mov_b32_e32 v2, 0
	v_lshlrev_b64 v[2:3], 1, v[1:2]
	v_mov_b32_e32 v5, s15
	v_add_co_u32_e32 v4, vcc, s14, v2
	v_addc_co_u32_e32 v5, vcc, v5, v3, vcc
	v_mov_b32_e32 v6, s11
	v_add_co_u32_e32 v2, vcc, s10, v2
	v_addc_co_u32_e32 v3, vcc, v6, v3, vcc
	global_load_ushort v7, v[2:3], off
	global_load_ushort v8, v[4:5], off
	v_or_b32_e32 v6, 0x100, v0
	s_waitcnt vmcnt(1)
	v_lshlrev_b32_e32 v7, 16, v7
	s_waitcnt vmcnt(0)
	v_lshlrev_b32_e32 v10, 16, v8
.LBB139_214:
	s_or_b64 exec, exec, s[4:5]
	v_cmp_gt_i32_e32 vcc, s12, v6
	v_mov_b32_e32 v34, 0
	s_and_saveexec_b64 s[4:5], vcc
	s_cbranch_execz .LBB139_216
; %bb.215:
	v_add_u32_e32 v2, s2, v6
	v_mov_b32_e32 v3, 0
	v_lshlrev_b64 v[2:3], 1, v[2:3]
	v_mov_b32_e32 v5, s15
	v_add_co_u32_e32 v4, vcc, s14, v2
	v_addc_co_u32_e32 v5, vcc, v5, v3, vcc
	v_mov_b32_e32 v8, s11
	v_add_co_u32_e32 v2, vcc, s10, v2
	v_addc_co_u32_e32 v3, vcc, v8, v3, vcc
	global_load_ushort v8, v[2:3], off
	global_load_ushort v9, v[4:5], off
	v_add_u32_e32 v6, 0x100, v6
	s_waitcnt vmcnt(1)
	v_lshlrev_b32_e32 v14, 16, v8
	s_waitcnt vmcnt(0)
	v_lshlrev_b32_e32 v34, 16, v9
.LBB139_216:
	s_or_b64 exec, exec, s[4:5]
	v_cmp_gt_i32_e32 vcc, s12, v6
	v_mov_b32_e32 v21, 0
	v_mov_b32_e32 v18, 0
	v_mov_b32_e32 v33, 0
	s_and_saveexec_b64 s[4:5], vcc
	s_cbranch_execz .LBB139_218
; %bb.217:
	v_add_u32_e32 v2, s2, v6
	v_mov_b32_e32 v3, 0
	v_lshlrev_b64 v[2:3], 1, v[2:3]
	v_mov_b32_e32 v5, s15
	v_add_co_u32_e32 v4, vcc, s14, v2
	v_addc_co_u32_e32 v5, vcc, v5, v3, vcc
	v_mov_b32_e32 v8, s11
	v_add_co_u32_e32 v2, vcc, s10, v2
	v_addc_co_u32_e32 v3, vcc, v8, v3, vcc
	global_load_ushort v8, v[2:3], off
	global_load_ushort v9, v[4:5], off
	v_add_u32_e32 v6, 0x100, v6
	s_waitcnt vmcnt(1)
	v_lshlrev_b32_e32 v18, 16, v8
	s_waitcnt vmcnt(0)
	v_lshlrev_b32_e32 v33, 16, v9
.LBB139_218:
	s_or_b64 exec, exec, s[4:5]
	v_cmp_gt_i32_e32 vcc, s12, v6
	v_mov_b32_e32 v32, 0
	s_and_saveexec_b64 s[4:5], vcc
	s_cbranch_execz .LBB139_220
; %bb.219:
	v_add_u32_e32 v2, s2, v6
	v_mov_b32_e32 v3, 0
	v_lshlrev_b64 v[2:3], 1, v[2:3]
	v_mov_b32_e32 v5, s15
	v_add_co_u32_e32 v4, vcc, s14, v2
	v_addc_co_u32_e32 v5, vcc, v5, v3, vcc
	v_mov_b32_e32 v8, s11
	v_add_co_u32_e32 v2, vcc, s10, v2
	v_addc_co_u32_e32 v3, vcc, v8, v3, vcc
	global_load_ushort v8, v[2:3], off
	global_load_ushort v9, v[4:5], off
	v_add_u32_e32 v6, 0x100, v6
	s_waitcnt vmcnt(1)
	v_lshlrev_b32_e32 v21, 16, v8
	s_waitcnt vmcnt(0)
	v_lshlrev_b32_e32 v32, 16, v9
.LBB139_220:
	s_or_b64 exec, exec, s[4:5]
	v_cmp_gt_i32_e32 vcc, s12, v6
	v_mov_b32_e32 v27, 0
	v_mov_b32_e32 v25, 0
	v_mov_b32_e32 v31, 0
	s_and_saveexec_b64 s[4:5], vcc
	s_cbranch_execz .LBB139_222
; %bb.221:
	v_add_u32_e32 v2, s2, v6
	v_mov_b32_e32 v3, 0
	v_lshlrev_b64 v[2:3], 1, v[2:3]
	v_mov_b32_e32 v5, s15
	v_add_co_u32_e32 v4, vcc, s14, v2
	v_addc_co_u32_e32 v5, vcc, v5, v3, vcc
	v_mov_b32_e32 v8, s11
	v_add_co_u32_e32 v2, vcc, s10, v2
	v_addc_co_u32_e32 v3, vcc, v8, v3, vcc
	global_load_ushort v8, v[2:3], off
	global_load_ushort v9, v[4:5], off
	v_add_u32_e32 v6, 0x100, v6
	s_waitcnt vmcnt(1)
	v_lshlrev_b32_e32 v25, 16, v8
	s_waitcnt vmcnt(0)
	v_lshlrev_b32_e32 v31, 16, v9
.LBB139_222:
	;; [unrolled: 48-line block ×7, first 2 shown]
	s_or_b64 exec, exec, s[4:5]
	v_cmp_gt_i32_e32 vcc, s12, v6
	v_mov_b32_e32 v3, 0
	s_and_saveexec_b64 s[4:5], vcc
	s_cbranch_execz .LBB139_244
; %bb.243:
	v_add_u32_e32 v2, s2, v6
	v_mov_b32_e32 v3, 0
	v_lshlrev_b64 v[2:3], 1, v[2:3]
	v_mov_b32_e32 v6, s15
	v_add_co_u32_e32 v35, vcc, s14, v2
	v_addc_co_u32_e32 v36, vcc, v6, v3, vcc
	v_mov_b32_e32 v6, s11
	v_add_co_u32_e32 v2, vcc, s10, v2
	v_addc_co_u32_e32 v3, vcc, v6, v3, vcc
	global_load_ushort v6, v[2:3], off
	global_load_ushort v37, v[35:36], off
	s_waitcnt vmcnt(1)
	v_lshlrev_b32_e32 v2, 16, v6
	s_waitcnt vmcnt(0)
	v_lshlrev_b32_e32 v3, 16, v37
.LBB139_244:
	s_or_b64 exec, exec, s[4:5]
                                        ; implicit-def: $vgpr6
	s_and_saveexec_b64 s[4:5], s[0:1]
	s_cbranch_execz .LBB139_276
; %bb.245:
	s_cmp_lt_i32 s13, 1
	s_mov_b64 s[6:7], 0
	s_cbranch_scc1 .LBB139_250
; %bb.246:
	s_cmp_gt_i32 s13, 1
	s_cbranch_scc0 .LBB139_266
; %bb.247:
	s_cmp_eq_u32 s13, 2
	s_cbranch_scc0 .LBB139_267
; %bb.248:
	v_cmp_le_f32_e64 s[10:11], v7, v10
	s_mov_b64 s[14:15], 0
	s_branch .LBB139_268
.LBB139_249:
	v_cmp_lt_f32_e32 vcc, v1, v2
	s_andn2_b64 s[42:43], s[42:43], exec
	s_and_b64 s[46:47], vcc, exec
	s_or_b64 s[42:43], s[42:43], s[46:47]
	s_cbranch_execz .LBB139_209
	s_branch .LBB139_210
.LBB139_250:
                                        ; implicit-def: $sgpr10_sgpr11
	s_mov_b64 s[14:15], 0
	s_cbranch_execnz .LBB139_271
	s_branch .LBB139_272
.LBB139_251:
	s_mov_b64 s[16:17], -1
                                        ; implicit-def: $sgpr4_sgpr5
	s_branch .LBB139_23
.LBB139_252:
	s_mov_b64 s[18:19], -1
                                        ; implicit-def: $sgpr6_sgpr7
	s_branch .LBB139_36
.LBB139_253:
	s_mov_b64 s[20:21], -1
                                        ; implicit-def: $sgpr16_sgpr17
	s_branch .LBB139_49
.LBB139_254:
	s_mov_b64 s[22:23], -1
                                        ; implicit-def: $sgpr18_sgpr19
	s_branch .LBB139_62
.LBB139_255:
	s_mov_b64 s[24:25], -1
                                        ; implicit-def: $sgpr20_sgpr21
	s_branch .LBB139_75
.LBB139_256:
	s_mov_b64 s[26:27], -1
                                        ; implicit-def: $sgpr22_sgpr23
	s_branch .LBB139_88
.LBB139_257:
	s_mov_b64 s[28:29], -1
                                        ; implicit-def: $sgpr24_sgpr25
	s_branch .LBB139_101
.LBB139_258:
	s_mov_b64 s[30:31], -1
                                        ; implicit-def: $sgpr26_sgpr27
	s_branch .LBB139_114
.LBB139_259:
	s_mov_b64 s[34:35], -1
                                        ; implicit-def: $sgpr28_sgpr29
	s_branch .LBB139_127
.LBB139_260:
	s_mov_b64 s[36:37], -1
                                        ; implicit-def: $sgpr30_sgpr31
	s_branch .LBB139_140
.LBB139_261:
	s_mov_b64 s[38:39], -1
                                        ; implicit-def: $sgpr34_sgpr35
	s_branch .LBB139_153
.LBB139_262:
	s_mov_b64 s[40:41], -1
                                        ; implicit-def: $sgpr36_sgpr37
	s_branch .LBB139_166
.LBB139_263:
	s_mov_b64 s[42:43], -1
                                        ; implicit-def: $sgpr38_sgpr39
	s_branch .LBB139_179
.LBB139_264:
	s_mov_b64 s[44:45], -1
                                        ; implicit-def: $sgpr40_sgpr41
	s_branch .LBB139_192
.LBB139_265:
	s_mov_b64 s[46:47], -1
                                        ; implicit-def: $sgpr42_sgpr43
	s_branch .LBB139_205
.LBB139_266:
	s_mov_b64 s[14:15], 0
                                        ; implicit-def: $sgpr10_sgpr11
	s_cbranch_execnz .LBB139_269
	s_branch .LBB139_270
.LBB139_267:
	s_mov_b64 s[14:15], -1
                                        ; implicit-def: $sgpr10_sgpr11
.LBB139_268:
	s_branch .LBB139_270
.LBB139_269:
	v_cmp_gt_f32_e32 vcc, v7, v10
	s_andn2_b64 s[10:11], s[10:11], exec
	s_and_b64 s[16:17], vcc, exec
	s_or_b64 s[10:11], s[10:11], s[16:17]
.LBB139_270:
	s_branch .LBB139_272
.LBB139_271:
	s_cmp_lg_u32 s13, 0
	s_mov_b64 s[6:7], -1
	s_cselect_b64 s[14:15], -1, 0
.LBB139_272:
	s_andn2_b64 vcc, exec, s[14:15]
	s_cbranch_vccz .LBB139_281
; %bb.273:
	s_andn2_b64 vcc, exec, s[6:7]
	s_cbranch_vccnz .LBB139_275
.LBB139_274:
	v_cmp_ge_f32_e32 vcc, v7, v10
	s_andn2_b64 s[6:7], s[10:11], exec
	s_and_b64 s[10:11], vcc, exec
	s_or_b64 s[10:11], s[6:7], s[10:11]
.LBB139_275:
	v_cndmask_b32_e64 v6, 0, 1, s[10:11]
.LBB139_276:
	s_or_b64 exec, exec, s[4:5]
	v_or_b32_e32 v7, 0x100, v0
	v_cmp_gt_i32_e32 vcc, s12, v7
                                        ; implicit-def: $vgpr10
	s_and_saveexec_b64 s[4:5], vcc
	s_cbranch_execz .LBB139_291
; %bb.277:
	s_cmp_lt_i32 s13, 1
	s_mov_b64 s[6:7], 0
	s_cbranch_scc1 .LBB139_282
; %bb.278:
	s_cmp_gt_i32 s13, 1
	s_cbranch_scc0 .LBB139_283
; %bb.279:
	s_cmp_eq_u32 s13, 2
	s_cbranch_scc0 .LBB139_535
; %bb.280:
	v_cmp_le_f32_e64 s[10:11], v14, v34
	s_mov_b64 s[14:15], 0
	s_branch .LBB139_285
.LBB139_281:
	v_cmp_lt_f32_e32 vcc, v7, v10
	s_andn2_b64 s[10:11], s[10:11], exec
	s_and_b64 s[14:15], vcc, exec
	s_or_b64 s[10:11], s[10:11], s[14:15]
	s_cbranch_execz .LBB139_274
	s_branch .LBB139_275
.LBB139_282:
                                        ; implicit-def: $sgpr10_sgpr11
	s_mov_b64 s[14:15], 0
	s_cbranch_execnz .LBB139_286
	s_branch .LBB139_287
.LBB139_283:
	s_mov_b64 s[14:15], 0
                                        ; implicit-def: $sgpr10_sgpr11
	s_cbranch_execz .LBB139_285
; %bb.284:
	v_cmp_gt_f32_e32 vcc, v14, v34
	s_andn2_b64 s[10:11], s[10:11], exec
	s_and_b64 s[16:17], vcc, exec
	s_or_b64 s[10:11], s[10:11], s[16:17]
.LBB139_285:
	s_branch .LBB139_287
.LBB139_286:
	s_cmp_lg_u32 s13, 0
	s_mov_b64 s[6:7], -1
	s_cselect_b64 s[14:15], -1, 0
.LBB139_287:
	s_andn2_b64 vcc, exec, s[14:15]
	s_cbranch_vccz .LBB139_296
; %bb.288:
	s_andn2_b64 vcc, exec, s[6:7]
	s_cbranch_vccnz .LBB139_290
.LBB139_289:
	v_cmp_ge_f32_e32 vcc, v14, v34
	s_andn2_b64 s[6:7], s[10:11], exec
	s_and_b64 s[10:11], vcc, exec
	s_or_b64 s[10:11], s[6:7], s[10:11]
.LBB139_290:
	v_cndmask_b32_e64 v10, 0, 1, s[10:11]
.LBB139_291:
	s_or_b64 exec, exec, s[4:5]
	v_or_b32_e32 v14, 0x200, v0
	v_cmp_gt_i32_e32 vcc, s12, v14
                                        ; implicit-def: $vgpr14
	s_and_saveexec_b64 s[4:5], vcc
	s_cbranch_execz .LBB139_306
; %bb.292:
	s_cmp_lt_i32 s13, 1
	s_mov_b64 s[6:7], 0
	s_cbranch_scc1 .LBB139_297
; %bb.293:
	s_cmp_gt_i32 s13, 1
	s_cbranch_scc0 .LBB139_298
; %bb.294:
	s_cmp_eq_u32 s13, 2
	s_cbranch_scc0 .LBB139_536
; %bb.295:
	v_cmp_le_f32_e64 s[10:11], v18, v33
	s_mov_b64 s[14:15], 0
	s_branch .LBB139_300
.LBB139_296:
	v_cmp_lt_f32_e32 vcc, v14, v34
	s_andn2_b64 s[10:11], s[10:11], exec
	s_and_b64 s[14:15], vcc, exec
	s_or_b64 s[10:11], s[10:11], s[14:15]
	s_cbranch_execz .LBB139_289
	s_branch .LBB139_290
.LBB139_297:
                                        ; implicit-def: $sgpr10_sgpr11
	s_mov_b64 s[14:15], 0
	s_cbranch_execnz .LBB139_301
	s_branch .LBB139_302
.LBB139_298:
	s_mov_b64 s[14:15], 0
                                        ; implicit-def: $sgpr10_sgpr11
	s_cbranch_execz .LBB139_300
; %bb.299:
	v_cmp_gt_f32_e32 vcc, v18, v33
	s_andn2_b64 s[10:11], s[10:11], exec
	s_and_b64 s[16:17], vcc, exec
	s_or_b64 s[10:11], s[10:11], s[16:17]
.LBB139_300:
	s_branch .LBB139_302
.LBB139_301:
	s_cmp_lg_u32 s13, 0
	s_mov_b64 s[6:7], -1
	s_cselect_b64 s[14:15], -1, 0
.LBB139_302:
	s_andn2_b64 vcc, exec, s[14:15]
	s_cbranch_vccz .LBB139_311
; %bb.303:
	s_andn2_b64 vcc, exec, s[6:7]
	s_cbranch_vccnz .LBB139_305
.LBB139_304:
	v_cmp_ge_f32_e32 vcc, v18, v33
	s_andn2_b64 s[6:7], s[10:11], exec
	s_and_b64 s[10:11], vcc, exec
	s_or_b64 s[10:11], s[6:7], s[10:11]
.LBB139_305:
	v_cndmask_b32_e64 v14, 0, 1, s[10:11]
.LBB139_306:
	s_or_b64 exec, exec, s[4:5]
	v_or_b32_e32 v18, 0x300, v0
	v_cmp_gt_i32_e32 vcc, s12, v18
                                        ; implicit-def: $vgpr18
	s_and_saveexec_b64 s[4:5], vcc
	s_cbranch_execz .LBB139_321
; %bb.307:
	s_cmp_lt_i32 s13, 1
	s_mov_b64 s[6:7], 0
	s_cbranch_scc1 .LBB139_312
; %bb.308:
	s_cmp_gt_i32 s13, 1
	s_cbranch_scc0 .LBB139_313
; %bb.309:
	s_cmp_eq_u32 s13, 2
	s_cbranch_scc0 .LBB139_537
; %bb.310:
	v_cmp_le_f32_e64 s[10:11], v21, v32
	s_mov_b64 s[14:15], 0
	s_branch .LBB139_315
.LBB139_311:
	v_cmp_lt_f32_e32 vcc, v18, v33
	s_andn2_b64 s[10:11], s[10:11], exec
	s_and_b64 s[14:15], vcc, exec
	s_or_b64 s[10:11], s[10:11], s[14:15]
	s_cbranch_execz .LBB139_304
	s_branch .LBB139_305
.LBB139_312:
                                        ; implicit-def: $sgpr10_sgpr11
	s_mov_b64 s[14:15], 0
	s_cbranch_execnz .LBB139_316
	s_branch .LBB139_317
.LBB139_313:
	s_mov_b64 s[14:15], 0
                                        ; implicit-def: $sgpr10_sgpr11
	s_cbranch_execz .LBB139_315
; %bb.314:
	v_cmp_gt_f32_e32 vcc, v21, v32
	s_andn2_b64 s[10:11], s[10:11], exec
	s_and_b64 s[16:17], vcc, exec
	s_or_b64 s[10:11], s[10:11], s[16:17]
.LBB139_315:
	s_branch .LBB139_317
.LBB139_316:
	s_cmp_lg_u32 s13, 0
	s_mov_b64 s[6:7], -1
	s_cselect_b64 s[14:15], -1, 0
.LBB139_317:
	s_andn2_b64 vcc, exec, s[14:15]
	s_cbranch_vccz .LBB139_326
; %bb.318:
	s_andn2_b64 vcc, exec, s[6:7]
	s_cbranch_vccnz .LBB139_320
.LBB139_319:
	v_cmp_ge_f32_e32 vcc, v21, v32
	s_andn2_b64 s[6:7], s[10:11], exec
	s_and_b64 s[10:11], vcc, exec
	s_or_b64 s[10:11], s[6:7], s[10:11]
.LBB139_320:
	v_cndmask_b32_e64 v18, 0, 1, s[10:11]
.LBB139_321:
	s_or_b64 exec, exec, s[4:5]
	v_or_b32_e32 v21, 0x400, v0
	v_cmp_gt_i32_e32 vcc, s12, v21
                                        ; implicit-def: $vgpr21
	s_and_saveexec_b64 s[4:5], vcc
	s_cbranch_execz .LBB139_336
; %bb.322:
	s_cmp_lt_i32 s13, 1
	s_mov_b64 s[6:7], 0
	s_cbranch_scc1 .LBB139_327
; %bb.323:
	s_cmp_gt_i32 s13, 1
	s_cbranch_scc0 .LBB139_328
; %bb.324:
	s_cmp_eq_u32 s13, 2
	s_cbranch_scc0 .LBB139_538
; %bb.325:
	v_cmp_le_f32_e64 s[10:11], v25, v31
	s_mov_b64 s[14:15], 0
	s_branch .LBB139_330
.LBB139_326:
	v_cmp_lt_f32_e32 vcc, v21, v32
	s_andn2_b64 s[10:11], s[10:11], exec
	s_and_b64 s[14:15], vcc, exec
	s_or_b64 s[10:11], s[10:11], s[14:15]
	s_cbranch_execz .LBB139_319
	s_branch .LBB139_320
.LBB139_327:
                                        ; implicit-def: $sgpr10_sgpr11
	s_mov_b64 s[14:15], 0
	s_cbranch_execnz .LBB139_331
	s_branch .LBB139_332
.LBB139_328:
	s_mov_b64 s[14:15], 0
                                        ; implicit-def: $sgpr10_sgpr11
	s_cbranch_execz .LBB139_330
; %bb.329:
	v_cmp_gt_f32_e32 vcc, v25, v31
	s_andn2_b64 s[10:11], s[10:11], exec
	s_and_b64 s[16:17], vcc, exec
	s_or_b64 s[10:11], s[10:11], s[16:17]
.LBB139_330:
	s_branch .LBB139_332
.LBB139_331:
	s_cmp_lg_u32 s13, 0
	s_mov_b64 s[6:7], -1
	s_cselect_b64 s[14:15], -1, 0
.LBB139_332:
	s_andn2_b64 vcc, exec, s[14:15]
	s_cbranch_vccz .LBB139_341
; %bb.333:
	s_andn2_b64 vcc, exec, s[6:7]
	s_cbranch_vccnz .LBB139_335
.LBB139_334:
	v_cmp_ge_f32_e32 vcc, v25, v31
	s_andn2_b64 s[6:7], s[10:11], exec
	s_and_b64 s[10:11], vcc, exec
	s_or_b64 s[10:11], s[6:7], s[10:11]
.LBB139_335:
	v_cndmask_b32_e64 v21, 0, 1, s[10:11]
.LBB139_336:
	s_or_b64 exec, exec, s[4:5]
	v_or_b32_e32 v25, 0x500, v0
	v_cmp_gt_i32_e32 vcc, s12, v25
                                        ; implicit-def: $vgpr25
	s_and_saveexec_b64 s[4:5], vcc
	s_cbranch_execz .LBB139_351
; %bb.337:
	s_cmp_lt_i32 s13, 1
	s_mov_b64 s[6:7], 0
	s_cbranch_scc1 .LBB139_342
; %bb.338:
	s_cmp_gt_i32 s13, 1
	s_cbranch_scc0 .LBB139_343
; %bb.339:
	s_cmp_eq_u32 s13, 2
	s_cbranch_scc0 .LBB139_539
; %bb.340:
	v_cmp_le_f32_e64 s[10:11], v27, v30
	s_mov_b64 s[14:15], 0
	s_branch .LBB139_345
.LBB139_341:
	v_cmp_lt_f32_e32 vcc, v25, v31
	s_andn2_b64 s[10:11], s[10:11], exec
	s_and_b64 s[14:15], vcc, exec
	s_or_b64 s[10:11], s[10:11], s[14:15]
	s_cbranch_execz .LBB139_334
	s_branch .LBB139_335
.LBB139_342:
                                        ; implicit-def: $sgpr10_sgpr11
	s_mov_b64 s[14:15], 0
	s_cbranch_execnz .LBB139_346
	s_branch .LBB139_347
.LBB139_343:
	s_mov_b64 s[14:15], 0
                                        ; implicit-def: $sgpr10_sgpr11
	s_cbranch_execz .LBB139_345
; %bb.344:
	v_cmp_gt_f32_e32 vcc, v27, v30
	s_andn2_b64 s[10:11], s[10:11], exec
	s_and_b64 s[16:17], vcc, exec
	s_or_b64 s[10:11], s[10:11], s[16:17]
.LBB139_345:
	s_branch .LBB139_347
.LBB139_346:
	s_cmp_lg_u32 s13, 0
	s_mov_b64 s[6:7], -1
	s_cselect_b64 s[14:15], -1, 0
.LBB139_347:
	s_andn2_b64 vcc, exec, s[14:15]
	s_cbranch_vccz .LBB139_356
; %bb.348:
	s_andn2_b64 vcc, exec, s[6:7]
	s_cbranch_vccnz .LBB139_350
.LBB139_349:
	v_cmp_ge_f32_e32 vcc, v27, v30
	s_andn2_b64 s[6:7], s[10:11], exec
	s_and_b64 s[10:11], vcc, exec
	s_or_b64 s[10:11], s[6:7], s[10:11]
.LBB139_350:
	v_cndmask_b32_e64 v25, 0, 1, s[10:11]
.LBB139_351:
	s_or_b64 exec, exec, s[4:5]
	v_or_b32_e32 v27, 0x600, v0
	v_cmp_gt_i32_e32 vcc, s12, v27
                                        ; implicit-def: $vgpr27
	s_and_saveexec_b64 s[4:5], vcc
	s_cbranch_execz .LBB139_366
; %bb.352:
	s_cmp_lt_i32 s13, 1
	s_mov_b64 s[6:7], 0
	s_cbranch_scc1 .LBB139_357
; %bb.353:
	s_cmp_gt_i32 s13, 1
	s_cbranch_scc0 .LBB139_358
; %bb.354:
	s_cmp_eq_u32 s13, 2
	s_cbranch_scc0 .LBB139_540
; %bb.355:
	v_cmp_le_f32_e64 s[10:11], v28, v29
	s_mov_b64 s[14:15], 0
	s_branch .LBB139_360
.LBB139_356:
	v_cmp_lt_f32_e32 vcc, v27, v30
	s_andn2_b64 s[10:11], s[10:11], exec
	s_and_b64 s[14:15], vcc, exec
	s_or_b64 s[10:11], s[10:11], s[14:15]
	s_cbranch_execz .LBB139_349
	s_branch .LBB139_350
.LBB139_357:
                                        ; implicit-def: $sgpr10_sgpr11
	s_mov_b64 s[14:15], 0
	s_cbranch_execnz .LBB139_361
	s_branch .LBB139_362
.LBB139_358:
	s_mov_b64 s[14:15], 0
                                        ; implicit-def: $sgpr10_sgpr11
	s_cbranch_execz .LBB139_360
; %bb.359:
	v_cmp_gt_f32_e32 vcc, v28, v29
	s_andn2_b64 s[10:11], s[10:11], exec
	s_and_b64 s[16:17], vcc, exec
	s_or_b64 s[10:11], s[10:11], s[16:17]
.LBB139_360:
	s_branch .LBB139_362
.LBB139_361:
	s_cmp_lg_u32 s13, 0
	s_mov_b64 s[6:7], -1
	s_cselect_b64 s[14:15], -1, 0
.LBB139_362:
	s_andn2_b64 vcc, exec, s[14:15]
	s_cbranch_vccz .LBB139_371
; %bb.363:
	s_andn2_b64 vcc, exec, s[6:7]
	s_cbranch_vccnz .LBB139_365
.LBB139_364:
	v_cmp_ge_f32_e32 vcc, v28, v29
	s_andn2_b64 s[6:7], s[10:11], exec
	s_and_b64 s[10:11], vcc, exec
	s_or_b64 s[10:11], s[6:7], s[10:11]
.LBB139_365:
	v_cndmask_b32_e64 v27, 0, 1, s[10:11]
.LBB139_366:
	s_or_b64 exec, exec, s[4:5]
	v_or_b32_e32 v28, 0x700, v0
	v_cmp_gt_i32_e32 vcc, s12, v28
                                        ; implicit-def: $vgpr28
	s_and_saveexec_b64 s[4:5], vcc
	s_cbranch_execz .LBB139_381
; %bb.367:
	s_cmp_lt_i32 s13, 1
	s_mov_b64 s[6:7], 0
	s_cbranch_scc1 .LBB139_372
; %bb.368:
	s_cmp_gt_i32 s13, 1
	s_cbranch_scc0 .LBB139_373
; %bb.369:
	s_cmp_eq_u32 s13, 2
	s_cbranch_scc0 .LBB139_541
; %bb.370:
	v_cmp_le_f32_e64 s[10:11], v24, v26
	s_mov_b64 s[14:15], 0
	s_branch .LBB139_375
.LBB139_371:
	v_cmp_lt_f32_e32 vcc, v28, v29
	s_andn2_b64 s[10:11], s[10:11], exec
	s_and_b64 s[14:15], vcc, exec
	s_or_b64 s[10:11], s[10:11], s[14:15]
	s_cbranch_execz .LBB139_364
	s_branch .LBB139_365
.LBB139_372:
                                        ; implicit-def: $sgpr10_sgpr11
	s_mov_b64 s[14:15], 0
	s_cbranch_execnz .LBB139_376
	s_branch .LBB139_377
.LBB139_373:
	s_mov_b64 s[14:15], 0
                                        ; implicit-def: $sgpr10_sgpr11
	s_cbranch_execz .LBB139_375
; %bb.374:
	v_cmp_gt_f32_e32 vcc, v24, v26
	s_andn2_b64 s[10:11], s[10:11], exec
	s_and_b64 s[16:17], vcc, exec
	s_or_b64 s[10:11], s[10:11], s[16:17]
.LBB139_375:
	s_branch .LBB139_377
.LBB139_376:
	s_cmp_lg_u32 s13, 0
	s_mov_b64 s[6:7], -1
	s_cselect_b64 s[14:15], -1, 0
.LBB139_377:
	s_andn2_b64 vcc, exec, s[14:15]
	s_cbranch_vccz .LBB139_386
; %bb.378:
	s_andn2_b64 vcc, exec, s[6:7]
	s_cbranch_vccnz .LBB139_380
.LBB139_379:
	v_cmp_ge_f32_e32 vcc, v24, v26
	s_andn2_b64 s[6:7], s[10:11], exec
	s_and_b64 s[10:11], vcc, exec
	s_or_b64 s[10:11], s[6:7], s[10:11]
.LBB139_380:
	v_cndmask_b32_e64 v28, 0, 1, s[10:11]
.LBB139_381:
	s_or_b64 exec, exec, s[4:5]
	v_or_b32_e32 v24, 0x800, v0
	v_cmp_gt_i32_e32 vcc, s12, v24
                                        ; implicit-def: $vgpr24
	s_and_saveexec_b64 s[4:5], vcc
	s_cbranch_execz .LBB139_396
; %bb.382:
	s_cmp_lt_i32 s13, 1
	s_mov_b64 s[6:7], 0
	s_cbranch_scc1 .LBB139_387
; %bb.383:
	s_cmp_gt_i32 s13, 1
	s_cbranch_scc0 .LBB139_388
; %bb.384:
	s_cmp_eq_u32 s13, 2
	s_cbranch_scc0 .LBB139_542
; %bb.385:
	v_cmp_le_f32_e64 s[10:11], v22, v23
	s_mov_b64 s[14:15], 0
	s_branch .LBB139_390
.LBB139_386:
	v_cmp_lt_f32_e32 vcc, v24, v26
	s_andn2_b64 s[10:11], s[10:11], exec
	s_and_b64 s[14:15], vcc, exec
	s_or_b64 s[10:11], s[10:11], s[14:15]
	s_cbranch_execz .LBB139_379
	s_branch .LBB139_380
.LBB139_387:
                                        ; implicit-def: $sgpr10_sgpr11
	s_mov_b64 s[14:15], 0
	s_cbranch_execnz .LBB139_391
	s_branch .LBB139_392
.LBB139_388:
	s_mov_b64 s[14:15], 0
                                        ; implicit-def: $sgpr10_sgpr11
	s_cbranch_execz .LBB139_390
; %bb.389:
	v_cmp_gt_f32_e32 vcc, v22, v23
	s_andn2_b64 s[10:11], s[10:11], exec
	s_and_b64 s[16:17], vcc, exec
	s_or_b64 s[10:11], s[10:11], s[16:17]
.LBB139_390:
	s_branch .LBB139_392
.LBB139_391:
	s_cmp_lg_u32 s13, 0
	s_mov_b64 s[6:7], -1
	s_cselect_b64 s[14:15], -1, 0
.LBB139_392:
	s_andn2_b64 vcc, exec, s[14:15]
	s_cbranch_vccz .LBB139_401
; %bb.393:
	s_andn2_b64 vcc, exec, s[6:7]
	s_cbranch_vccnz .LBB139_395
.LBB139_394:
	v_cmp_ge_f32_e32 vcc, v22, v23
	s_andn2_b64 s[6:7], s[10:11], exec
	s_and_b64 s[10:11], vcc, exec
	s_or_b64 s[10:11], s[6:7], s[10:11]
.LBB139_395:
	v_cndmask_b32_e64 v24, 0, 1, s[10:11]
.LBB139_396:
	s_or_b64 exec, exec, s[4:5]
	v_or_b32_e32 v22, 0x900, v0
	v_cmp_gt_i32_e32 vcc, s12, v22
                                        ; implicit-def: $vgpr22
	s_and_saveexec_b64 s[4:5], vcc
	s_cbranch_execz .LBB139_411
; %bb.397:
	s_cmp_lt_i32 s13, 1
	s_mov_b64 s[6:7], 0
	s_cbranch_scc1 .LBB139_402
; %bb.398:
	s_cmp_gt_i32 s13, 1
	s_cbranch_scc0 .LBB139_403
; %bb.399:
	s_cmp_eq_u32 s13, 2
	s_cbranch_scc0 .LBB139_543
; %bb.400:
	v_cmp_le_f32_e64 s[10:11], v19, v20
	s_mov_b64 s[14:15], 0
	s_branch .LBB139_405
.LBB139_401:
	v_cmp_lt_f32_e32 vcc, v22, v23
	s_andn2_b64 s[10:11], s[10:11], exec
	s_and_b64 s[14:15], vcc, exec
	s_or_b64 s[10:11], s[10:11], s[14:15]
	s_cbranch_execz .LBB139_394
	s_branch .LBB139_395
.LBB139_402:
                                        ; implicit-def: $sgpr10_sgpr11
	s_mov_b64 s[14:15], 0
	s_cbranch_execnz .LBB139_406
	s_branch .LBB139_407
.LBB139_403:
	s_mov_b64 s[14:15], 0
                                        ; implicit-def: $sgpr10_sgpr11
	s_cbranch_execz .LBB139_405
; %bb.404:
	v_cmp_gt_f32_e32 vcc, v19, v20
	s_andn2_b64 s[10:11], s[10:11], exec
	s_and_b64 s[16:17], vcc, exec
	s_or_b64 s[10:11], s[10:11], s[16:17]
.LBB139_405:
	s_branch .LBB139_407
.LBB139_406:
	s_cmp_lg_u32 s13, 0
	s_mov_b64 s[6:7], -1
	s_cselect_b64 s[14:15], -1, 0
.LBB139_407:
	s_andn2_b64 vcc, exec, s[14:15]
	s_cbranch_vccz .LBB139_416
; %bb.408:
	s_andn2_b64 vcc, exec, s[6:7]
	s_cbranch_vccnz .LBB139_410
.LBB139_409:
	v_cmp_ge_f32_e32 vcc, v19, v20
	s_andn2_b64 s[6:7], s[10:11], exec
	s_and_b64 s[10:11], vcc, exec
	s_or_b64 s[10:11], s[6:7], s[10:11]
.LBB139_410:
	v_cndmask_b32_e64 v22, 0, 1, s[10:11]
.LBB139_411:
	s_or_b64 exec, exec, s[4:5]
	v_or_b32_e32 v19, 0xa00, v0
	v_cmp_gt_i32_e32 vcc, s12, v19
                                        ; implicit-def: $vgpr19
	s_and_saveexec_b64 s[4:5], vcc
	s_cbranch_execz .LBB139_426
; %bb.412:
	s_cmp_lt_i32 s13, 1
	s_mov_b64 s[6:7], 0
	s_cbranch_scc1 .LBB139_417
; %bb.413:
	s_cmp_gt_i32 s13, 1
	s_cbranch_scc0 .LBB139_418
; %bb.414:
	s_cmp_eq_u32 s13, 2
	s_cbranch_scc0 .LBB139_544
; %bb.415:
	v_cmp_le_f32_e64 s[10:11], v16, v17
	s_mov_b64 s[14:15], 0
	s_branch .LBB139_420
.LBB139_416:
	v_cmp_lt_f32_e32 vcc, v19, v20
	s_andn2_b64 s[10:11], s[10:11], exec
	s_and_b64 s[14:15], vcc, exec
	s_or_b64 s[10:11], s[10:11], s[14:15]
	s_cbranch_execz .LBB139_409
	s_branch .LBB139_410
.LBB139_417:
                                        ; implicit-def: $sgpr10_sgpr11
	s_mov_b64 s[14:15], 0
	s_cbranch_execnz .LBB139_421
	s_branch .LBB139_422
.LBB139_418:
	s_mov_b64 s[14:15], 0
                                        ; implicit-def: $sgpr10_sgpr11
	s_cbranch_execz .LBB139_420
; %bb.419:
	v_cmp_gt_f32_e32 vcc, v16, v17
	s_andn2_b64 s[10:11], s[10:11], exec
	s_and_b64 s[16:17], vcc, exec
	s_or_b64 s[10:11], s[10:11], s[16:17]
.LBB139_420:
	s_branch .LBB139_422
.LBB139_421:
	s_cmp_lg_u32 s13, 0
	s_mov_b64 s[6:7], -1
	s_cselect_b64 s[14:15], -1, 0
.LBB139_422:
	s_andn2_b64 vcc, exec, s[14:15]
	s_cbranch_vccz .LBB139_431
; %bb.423:
	s_andn2_b64 vcc, exec, s[6:7]
	s_cbranch_vccnz .LBB139_425
.LBB139_424:
	v_cmp_ge_f32_e32 vcc, v16, v17
	s_andn2_b64 s[6:7], s[10:11], exec
	s_and_b64 s[10:11], vcc, exec
	s_or_b64 s[10:11], s[6:7], s[10:11]
.LBB139_425:
	v_cndmask_b32_e64 v19, 0, 1, s[10:11]
.LBB139_426:
	s_or_b64 exec, exec, s[4:5]
	v_or_b32_e32 v16, 0xb00, v0
	v_cmp_gt_i32_e32 vcc, s12, v16
                                        ; implicit-def: $vgpr16
	s_and_saveexec_b64 s[4:5], vcc
	s_cbranch_execz .LBB139_441
; %bb.427:
	s_cmp_lt_i32 s13, 1
	s_mov_b64 s[6:7], 0
	s_cbranch_scc1 .LBB139_432
; %bb.428:
	s_cmp_gt_i32 s13, 1
	s_cbranch_scc0 .LBB139_433
; %bb.429:
	s_cmp_eq_u32 s13, 2
	s_cbranch_scc0 .LBB139_545
; %bb.430:
	v_cmp_le_f32_e64 s[10:11], v13, v15
	s_mov_b64 s[14:15], 0
	s_branch .LBB139_435
.LBB139_431:
	v_cmp_lt_f32_e32 vcc, v16, v17
	s_andn2_b64 s[10:11], s[10:11], exec
	s_and_b64 s[14:15], vcc, exec
	s_or_b64 s[10:11], s[10:11], s[14:15]
	s_cbranch_execz .LBB139_424
	s_branch .LBB139_425
.LBB139_432:
                                        ; implicit-def: $sgpr10_sgpr11
	s_mov_b64 s[14:15], 0
	s_cbranch_execnz .LBB139_436
	s_branch .LBB139_437
.LBB139_433:
	s_mov_b64 s[14:15], 0
                                        ; implicit-def: $sgpr10_sgpr11
	s_cbranch_execz .LBB139_435
; %bb.434:
	v_cmp_gt_f32_e32 vcc, v13, v15
	s_andn2_b64 s[10:11], s[10:11], exec
	s_and_b64 s[16:17], vcc, exec
	s_or_b64 s[10:11], s[10:11], s[16:17]
.LBB139_435:
	s_branch .LBB139_437
.LBB139_436:
	s_cmp_lg_u32 s13, 0
	s_mov_b64 s[6:7], -1
	s_cselect_b64 s[14:15], -1, 0
.LBB139_437:
	s_andn2_b64 vcc, exec, s[14:15]
	s_cbranch_vccz .LBB139_446
; %bb.438:
	s_andn2_b64 vcc, exec, s[6:7]
	s_cbranch_vccnz .LBB139_440
.LBB139_439:
	v_cmp_ge_f32_e32 vcc, v13, v15
	s_andn2_b64 s[6:7], s[10:11], exec
	s_and_b64 s[10:11], vcc, exec
	s_or_b64 s[10:11], s[6:7], s[10:11]
.LBB139_440:
	v_cndmask_b32_e64 v16, 0, 1, s[10:11]
.LBB139_441:
	s_or_b64 exec, exec, s[4:5]
	v_or_b32_e32 v13, 0xc00, v0
	v_cmp_gt_i32_e32 vcc, s12, v13
                                        ; implicit-def: $vgpr13
	s_and_saveexec_b64 s[4:5], vcc
	s_cbranch_execz .LBB139_456
; %bb.442:
	s_cmp_lt_i32 s13, 1
	s_mov_b64 s[6:7], 0
	s_cbranch_scc1 .LBB139_447
; %bb.443:
	s_cmp_gt_i32 s13, 1
	s_cbranch_scc0 .LBB139_448
; %bb.444:
	s_cmp_eq_u32 s13, 2
	s_cbranch_scc0 .LBB139_546
; %bb.445:
	v_cmp_le_f32_e64 s[10:11], v11, v12
	s_mov_b64 s[14:15], 0
	s_branch .LBB139_450
.LBB139_446:
	v_cmp_lt_f32_e32 vcc, v13, v15
	s_andn2_b64 s[10:11], s[10:11], exec
	s_and_b64 s[14:15], vcc, exec
	s_or_b64 s[10:11], s[10:11], s[14:15]
	s_cbranch_execz .LBB139_439
	s_branch .LBB139_440
.LBB139_447:
                                        ; implicit-def: $sgpr10_sgpr11
	s_mov_b64 s[14:15], 0
	s_cbranch_execnz .LBB139_451
	s_branch .LBB139_452
.LBB139_448:
	s_mov_b64 s[14:15], 0
                                        ; implicit-def: $sgpr10_sgpr11
	s_cbranch_execz .LBB139_450
; %bb.449:
	v_cmp_gt_f32_e32 vcc, v11, v12
	s_andn2_b64 s[10:11], s[10:11], exec
	s_and_b64 s[16:17], vcc, exec
	s_or_b64 s[10:11], s[10:11], s[16:17]
.LBB139_450:
	s_branch .LBB139_452
.LBB139_451:
	s_cmp_lg_u32 s13, 0
	s_mov_b64 s[6:7], -1
	s_cselect_b64 s[14:15], -1, 0
.LBB139_452:
	s_andn2_b64 vcc, exec, s[14:15]
	s_cbranch_vccz .LBB139_461
; %bb.453:
	s_andn2_b64 vcc, exec, s[6:7]
	s_cbranch_vccnz .LBB139_455
.LBB139_454:
	v_cmp_ge_f32_e32 vcc, v11, v12
	s_andn2_b64 s[6:7], s[10:11], exec
	s_and_b64 s[10:11], vcc, exec
	s_or_b64 s[10:11], s[6:7], s[10:11]
.LBB139_455:
	v_cndmask_b32_e64 v13, 0, 1, s[10:11]
.LBB139_456:
	s_or_b64 exec, exec, s[4:5]
	v_or_b32_e32 v11, 0xd00, v0
	v_cmp_gt_i32_e32 vcc, s12, v11
                                        ; implicit-def: $vgpr11
	s_and_saveexec_b64 s[4:5], vcc
	s_cbranch_execz .LBB139_471
; %bb.457:
	s_cmp_lt_i32 s13, 1
	s_mov_b64 s[6:7], 0
	s_cbranch_scc1 .LBB139_462
; %bb.458:
	s_cmp_gt_i32 s13, 1
	s_cbranch_scc0 .LBB139_463
; %bb.459:
	s_cmp_eq_u32 s13, 2
	s_cbranch_scc0 .LBB139_547
; %bb.460:
	v_cmp_le_f32_e64 s[10:11], v8, v9
	s_mov_b64 s[14:15], 0
	s_branch .LBB139_465
.LBB139_461:
	v_cmp_lt_f32_e32 vcc, v11, v12
	s_andn2_b64 s[10:11], s[10:11], exec
	s_and_b64 s[14:15], vcc, exec
	s_or_b64 s[10:11], s[10:11], s[14:15]
	s_cbranch_execz .LBB139_454
	s_branch .LBB139_455
.LBB139_462:
                                        ; implicit-def: $sgpr10_sgpr11
	s_mov_b64 s[14:15], 0
	s_cbranch_execnz .LBB139_466
	s_branch .LBB139_467
.LBB139_463:
	s_mov_b64 s[14:15], 0
                                        ; implicit-def: $sgpr10_sgpr11
	s_cbranch_execz .LBB139_465
; %bb.464:
	v_cmp_gt_f32_e32 vcc, v8, v9
	s_andn2_b64 s[10:11], s[10:11], exec
	s_and_b64 s[16:17], vcc, exec
	s_or_b64 s[10:11], s[10:11], s[16:17]
.LBB139_465:
	s_branch .LBB139_467
.LBB139_466:
	s_cmp_lg_u32 s13, 0
	s_mov_b64 s[6:7], -1
	s_cselect_b64 s[14:15], -1, 0
.LBB139_467:
	s_andn2_b64 vcc, exec, s[14:15]
	s_cbranch_vccz .LBB139_476
; %bb.468:
	s_andn2_b64 vcc, exec, s[6:7]
	s_cbranch_vccnz .LBB139_470
.LBB139_469:
	v_cmp_ge_f32_e32 vcc, v8, v9
	s_andn2_b64 s[6:7], s[10:11], exec
	s_and_b64 s[10:11], vcc, exec
	s_or_b64 s[10:11], s[6:7], s[10:11]
.LBB139_470:
	v_cndmask_b32_e64 v11, 0, 1, s[10:11]
.LBB139_471:
	s_or_b64 exec, exec, s[4:5]
	v_or_b32_e32 v8, 0xe00, v0
	v_cmp_gt_i32_e32 vcc, s12, v8
                                        ; implicit-def: $vgpr8
	s_and_saveexec_b64 s[4:5], vcc
	s_cbranch_execz .LBB139_486
; %bb.472:
	s_cmp_lt_i32 s13, 1
	s_mov_b64 s[6:7], 0
	s_cbranch_scc1 .LBB139_477
; %bb.473:
	s_cmp_gt_i32 s13, 1
	s_cbranch_scc0 .LBB139_478
; %bb.474:
	s_cmp_eq_u32 s13, 2
	s_cbranch_scc0 .LBB139_548
; %bb.475:
	v_cmp_le_f32_e64 s[10:11], v4, v5
	s_mov_b64 s[14:15], 0
	s_branch .LBB139_480
.LBB139_476:
	v_cmp_lt_f32_e32 vcc, v8, v9
	s_andn2_b64 s[10:11], s[10:11], exec
	s_and_b64 s[14:15], vcc, exec
	s_or_b64 s[10:11], s[10:11], s[14:15]
	s_cbranch_execz .LBB139_469
	s_branch .LBB139_470
.LBB139_477:
                                        ; implicit-def: $sgpr10_sgpr11
	s_mov_b64 s[14:15], 0
	s_cbranch_execnz .LBB139_481
	s_branch .LBB139_482
.LBB139_478:
	s_mov_b64 s[14:15], 0
                                        ; implicit-def: $sgpr10_sgpr11
	s_cbranch_execz .LBB139_480
; %bb.479:
	v_cmp_gt_f32_e32 vcc, v4, v5
	s_andn2_b64 s[10:11], s[10:11], exec
	s_and_b64 s[16:17], vcc, exec
	s_or_b64 s[10:11], s[10:11], s[16:17]
.LBB139_480:
	s_branch .LBB139_482
.LBB139_481:
	s_cmp_lg_u32 s13, 0
	s_mov_b64 s[6:7], -1
	s_cselect_b64 s[14:15], -1, 0
.LBB139_482:
	s_andn2_b64 vcc, exec, s[14:15]
	s_cbranch_vccz .LBB139_491
; %bb.483:
	s_andn2_b64 vcc, exec, s[6:7]
	s_cbranch_vccnz .LBB139_485
.LBB139_484:
	v_cmp_ge_f32_e32 vcc, v4, v5
	s_andn2_b64 s[6:7], s[10:11], exec
	s_and_b64 s[10:11], vcc, exec
	s_or_b64 s[10:11], s[6:7], s[10:11]
.LBB139_485:
	v_cndmask_b32_e64 v8, 0, 1, s[10:11]
.LBB139_486:
	s_or_b64 exec, exec, s[4:5]
	v_or_b32_e32 v4, 0xf00, v0
	v_cmp_gt_i32_e32 vcc, s12, v4
                                        ; implicit-def: $vgpr4
	s_and_saveexec_b64 s[4:5], vcc
	s_cbranch_execz .LBB139_501
; %bb.487:
	s_cmp_lt_i32 s13, 1
	s_mov_b64 s[6:7], 0
	s_cbranch_scc1 .LBB139_492
; %bb.488:
	s_cmp_gt_i32 s13, 1
	s_cbranch_scc0 .LBB139_493
; %bb.489:
	s_cmp_eq_u32 s13, 2
	s_cbranch_scc0 .LBB139_549
; %bb.490:
	v_cmp_le_f32_e64 s[10:11], v2, v3
	s_mov_b64 s[14:15], 0
	s_branch .LBB139_495
.LBB139_491:
	v_cmp_lt_f32_e32 vcc, v4, v5
	s_andn2_b64 s[10:11], s[10:11], exec
	s_and_b64 s[14:15], vcc, exec
	s_or_b64 s[10:11], s[10:11], s[14:15]
	s_cbranch_execz .LBB139_484
	s_branch .LBB139_485
.LBB139_492:
                                        ; implicit-def: $sgpr10_sgpr11
	s_mov_b64 s[14:15], 0
	s_cbranch_execnz .LBB139_496
	s_branch .LBB139_497
.LBB139_493:
	s_mov_b64 s[14:15], 0
                                        ; implicit-def: $sgpr10_sgpr11
	s_cbranch_execz .LBB139_495
; %bb.494:
	v_cmp_gt_f32_e32 vcc, v2, v3
	s_andn2_b64 s[10:11], s[10:11], exec
	s_and_b64 s[16:17], vcc, exec
	s_or_b64 s[10:11], s[10:11], s[16:17]
.LBB139_495:
	s_branch .LBB139_497
.LBB139_496:
	s_cmp_lg_u32 s13, 0
	s_mov_b64 s[6:7], -1
	s_cselect_b64 s[14:15], -1, 0
.LBB139_497:
	s_andn2_b64 vcc, exec, s[14:15]
	s_cbranch_vccz .LBB139_534
; %bb.498:
	s_andn2_b64 vcc, exec, s[6:7]
	s_cbranch_vccnz .LBB139_500
.LBB139_499:
	v_cmp_ge_f32_e32 vcc, v2, v3
	s_andn2_b64 s[6:7], s[10:11], exec
	s_and_b64 s[10:11], vcc, exec
	s_or_b64 s[10:11], s[6:7], s[10:11]
.LBB139_500:
	v_cndmask_b32_e64 v4, 0, 1, s[10:11]
.LBB139_501:
	s_or_b64 exec, exec, s[4:5]
	s_and_saveexec_b64 s[4:5], s[0:1]
	s_xor_b64 s[0:1], exec, s[4:5]
	s_cbranch_execz .LBB139_503
; %bb.502:
	v_mov_b32_e32 v0, v7
	global_store_byte v1, v6, s[8:9]
.LBB139_503:
	s_or_b64 exec, exec, s[0:1]
	v_cmp_gt_i32_e32 vcc, s12, v0
	s_and_saveexec_b64 s[0:1], vcc
	s_cbranch_execnz .LBB139_520
; %bb.504:
	s_or_b64 exec, exec, s[0:1]
	v_cmp_gt_i32_e32 vcc, s12, v0
	s_and_saveexec_b64 s[0:1], vcc
	s_cbranch_execnz .LBB139_521
.LBB139_505:
	s_or_b64 exec, exec, s[0:1]
	v_cmp_gt_i32_e32 vcc, s12, v0
	s_and_saveexec_b64 s[0:1], vcc
	s_cbranch_execnz .LBB139_522
.LBB139_506:
	s_or_b64 exec, exec, s[0:1]
	v_cmp_gt_i32_e32 vcc, s12, v0
	s_and_saveexec_b64 s[0:1], vcc
	s_cbranch_execnz .LBB139_523
.LBB139_507:
	s_or_b64 exec, exec, s[0:1]
	v_cmp_gt_i32_e32 vcc, s12, v0
	s_and_saveexec_b64 s[0:1], vcc
	s_cbranch_execnz .LBB139_524
.LBB139_508:
	s_or_b64 exec, exec, s[0:1]
	v_cmp_gt_i32_e32 vcc, s12, v0
	s_and_saveexec_b64 s[0:1], vcc
	s_cbranch_execnz .LBB139_525
.LBB139_509:
	s_or_b64 exec, exec, s[0:1]
	v_cmp_gt_i32_e32 vcc, s12, v0
	s_and_saveexec_b64 s[0:1], vcc
	s_cbranch_execnz .LBB139_526
.LBB139_510:
	s_or_b64 exec, exec, s[0:1]
	v_cmp_gt_i32_e32 vcc, s12, v0
	s_and_saveexec_b64 s[0:1], vcc
	s_cbranch_execnz .LBB139_527
.LBB139_511:
	s_or_b64 exec, exec, s[0:1]
	v_cmp_gt_i32_e32 vcc, s12, v0
	s_and_saveexec_b64 s[0:1], vcc
	s_cbranch_execnz .LBB139_528
.LBB139_512:
	s_or_b64 exec, exec, s[0:1]
	v_cmp_gt_i32_e32 vcc, s12, v0
	s_and_saveexec_b64 s[0:1], vcc
	s_cbranch_execnz .LBB139_529
.LBB139_513:
	s_or_b64 exec, exec, s[0:1]
	v_cmp_gt_i32_e32 vcc, s12, v0
	s_and_saveexec_b64 s[0:1], vcc
	s_cbranch_execnz .LBB139_530
.LBB139_514:
	s_or_b64 exec, exec, s[0:1]
	v_cmp_gt_i32_e32 vcc, s12, v0
	s_and_saveexec_b64 s[0:1], vcc
	s_cbranch_execnz .LBB139_531
.LBB139_515:
	s_or_b64 exec, exec, s[0:1]
	v_cmp_gt_i32_e32 vcc, s12, v0
	s_and_saveexec_b64 s[0:1], vcc
	s_cbranch_execnz .LBB139_532
.LBB139_516:
	s_or_b64 exec, exec, s[0:1]
	v_cmp_gt_i32_e32 vcc, s12, v0
	s_and_saveexec_b64 s[0:1], vcc
	s_cbranch_execnz .LBB139_533
.LBB139_517:
	s_or_b64 exec, exec, s[0:1]
	v_cmp_gt_i32_e32 vcc, s12, v0
	s_and_saveexec_b64 s[0:1], vcc
	s_cbranch_execz .LBB139_519
.LBB139_518:
	v_add_u32_e32 v0, s2, v0
	global_store_byte v0, v4, s[8:9]
.LBB139_519:
	s_endpgm
.LBB139_520:
	v_add_u32_e32 v1, s2, v0
	v_add_u32_e32 v0, 0x100, v0
	global_store_byte v1, v10, s[8:9]
	s_or_b64 exec, exec, s[0:1]
	v_cmp_gt_i32_e32 vcc, s12, v0
	s_and_saveexec_b64 s[0:1], vcc
	s_cbranch_execz .LBB139_505
.LBB139_521:
	v_add_u32_e32 v1, s2, v0
	v_add_u32_e32 v0, 0x100, v0
	global_store_byte v1, v14, s[8:9]
	s_or_b64 exec, exec, s[0:1]
	v_cmp_gt_i32_e32 vcc, s12, v0
	s_and_saveexec_b64 s[0:1], vcc
	s_cbranch_execz .LBB139_506
.LBB139_522:
	v_add_u32_e32 v1, s2, v0
	v_add_u32_e32 v0, 0x100, v0
	global_store_byte v1, v18, s[8:9]
	s_or_b64 exec, exec, s[0:1]
	v_cmp_gt_i32_e32 vcc, s12, v0
	s_and_saveexec_b64 s[0:1], vcc
	s_cbranch_execz .LBB139_507
.LBB139_523:
	v_add_u32_e32 v1, s2, v0
	v_add_u32_e32 v0, 0x100, v0
	global_store_byte v1, v21, s[8:9]
	s_or_b64 exec, exec, s[0:1]
	v_cmp_gt_i32_e32 vcc, s12, v0
	s_and_saveexec_b64 s[0:1], vcc
	s_cbranch_execz .LBB139_508
.LBB139_524:
	v_add_u32_e32 v1, s2, v0
	v_add_u32_e32 v0, 0x100, v0
	global_store_byte v1, v25, s[8:9]
	s_or_b64 exec, exec, s[0:1]
	v_cmp_gt_i32_e32 vcc, s12, v0
	s_and_saveexec_b64 s[0:1], vcc
	s_cbranch_execz .LBB139_509
.LBB139_525:
	v_add_u32_e32 v1, s2, v0
	v_add_u32_e32 v0, 0x100, v0
	global_store_byte v1, v27, s[8:9]
	s_or_b64 exec, exec, s[0:1]
	v_cmp_gt_i32_e32 vcc, s12, v0
	s_and_saveexec_b64 s[0:1], vcc
	s_cbranch_execz .LBB139_510
.LBB139_526:
	v_add_u32_e32 v1, s2, v0
	v_add_u32_e32 v0, 0x100, v0
	global_store_byte v1, v28, s[8:9]
	s_or_b64 exec, exec, s[0:1]
	v_cmp_gt_i32_e32 vcc, s12, v0
	s_and_saveexec_b64 s[0:1], vcc
	s_cbranch_execz .LBB139_511
.LBB139_527:
	v_add_u32_e32 v1, s2, v0
	v_add_u32_e32 v0, 0x100, v0
	global_store_byte v1, v24, s[8:9]
	s_or_b64 exec, exec, s[0:1]
	v_cmp_gt_i32_e32 vcc, s12, v0
	s_and_saveexec_b64 s[0:1], vcc
	s_cbranch_execz .LBB139_512
.LBB139_528:
	v_add_u32_e32 v1, s2, v0
	v_add_u32_e32 v0, 0x100, v0
	global_store_byte v1, v22, s[8:9]
	s_or_b64 exec, exec, s[0:1]
	v_cmp_gt_i32_e32 vcc, s12, v0
	s_and_saveexec_b64 s[0:1], vcc
	s_cbranch_execz .LBB139_513
.LBB139_529:
	v_add_u32_e32 v1, s2, v0
	v_add_u32_e32 v0, 0x100, v0
	global_store_byte v1, v19, s[8:9]
	s_or_b64 exec, exec, s[0:1]
	v_cmp_gt_i32_e32 vcc, s12, v0
	s_and_saveexec_b64 s[0:1], vcc
	s_cbranch_execz .LBB139_514
.LBB139_530:
	v_add_u32_e32 v1, s2, v0
	v_add_u32_e32 v0, 0x100, v0
	global_store_byte v1, v16, s[8:9]
	s_or_b64 exec, exec, s[0:1]
	v_cmp_gt_i32_e32 vcc, s12, v0
	s_and_saveexec_b64 s[0:1], vcc
	s_cbranch_execz .LBB139_515
.LBB139_531:
	v_add_u32_e32 v1, s2, v0
	v_add_u32_e32 v0, 0x100, v0
	global_store_byte v1, v13, s[8:9]
	s_or_b64 exec, exec, s[0:1]
	v_cmp_gt_i32_e32 vcc, s12, v0
	s_and_saveexec_b64 s[0:1], vcc
	s_cbranch_execz .LBB139_516
.LBB139_532:
	v_add_u32_e32 v1, s2, v0
	v_add_u32_e32 v0, 0x100, v0
	global_store_byte v1, v11, s[8:9]
	s_or_b64 exec, exec, s[0:1]
	v_cmp_gt_i32_e32 vcc, s12, v0
	s_and_saveexec_b64 s[0:1], vcc
	s_cbranch_execz .LBB139_517
.LBB139_533:
	v_add_u32_e32 v1, s2, v0
	v_add_u32_e32 v0, 0x100, v0
	global_store_byte v1, v8, s[8:9]
	s_or_b64 exec, exec, s[0:1]
	v_cmp_gt_i32_e32 vcc, s12, v0
	s_and_saveexec_b64 s[0:1], vcc
	s_cbranch_execnz .LBB139_518
	s_branch .LBB139_519
.LBB139_534:
	v_cmp_lt_f32_e32 vcc, v2, v3
	s_andn2_b64 s[10:11], s[10:11], exec
	s_and_b64 s[14:15], vcc, exec
	s_or_b64 s[10:11], s[10:11], s[14:15]
	s_cbranch_execz .LBB139_499
	s_branch .LBB139_500
.LBB139_535:
	s_mov_b64 s[14:15], -1
                                        ; implicit-def: $sgpr10_sgpr11
	s_branch .LBB139_285
.LBB139_536:
	s_mov_b64 s[14:15], -1
                                        ; implicit-def: $sgpr10_sgpr11
	s_branch .LBB139_300
.LBB139_537:
	s_mov_b64 s[14:15], -1
                                        ; implicit-def: $sgpr10_sgpr11
	s_branch .LBB139_315
.LBB139_538:
	s_mov_b64 s[14:15], -1
                                        ; implicit-def: $sgpr10_sgpr11
	s_branch .LBB139_330
.LBB139_539:
	s_mov_b64 s[14:15], -1
                                        ; implicit-def: $sgpr10_sgpr11
	s_branch .LBB139_345
.LBB139_540:
	s_mov_b64 s[14:15], -1
                                        ; implicit-def: $sgpr10_sgpr11
	s_branch .LBB139_360
.LBB139_541:
	s_mov_b64 s[14:15], -1
                                        ; implicit-def: $sgpr10_sgpr11
	s_branch .LBB139_375
.LBB139_542:
	s_mov_b64 s[14:15], -1
                                        ; implicit-def: $sgpr10_sgpr11
	s_branch .LBB139_390
.LBB139_543:
	s_mov_b64 s[14:15], -1
                                        ; implicit-def: $sgpr10_sgpr11
	s_branch .LBB139_405
.LBB139_544:
	s_mov_b64 s[14:15], -1
                                        ; implicit-def: $sgpr10_sgpr11
	s_branch .LBB139_420
.LBB139_545:
	s_mov_b64 s[14:15], -1
                                        ; implicit-def: $sgpr10_sgpr11
	s_branch .LBB139_435
.LBB139_546:
	s_mov_b64 s[14:15], -1
                                        ; implicit-def: $sgpr10_sgpr11
	s_branch .LBB139_450
.LBB139_547:
	s_mov_b64 s[14:15], -1
                                        ; implicit-def: $sgpr10_sgpr11
	s_branch .LBB139_465
.LBB139_548:
	s_mov_b64 s[14:15], -1
                                        ; implicit-def: $sgpr10_sgpr11
	s_branch .LBB139_480
.LBB139_549:
	s_mov_b64 s[14:15], -1
                                        ; implicit-def: $sgpr10_sgpr11
	s_branch .LBB139_495
	.section	.rodata,"a",@progbits
	.p2align	6, 0x0
	.amdhsa_kernel _ZN2at6native29vectorized_elementwise_kernelILi2ENS0_12_GLOBAL__N_114CompareFunctorIN3c108BFloat16EEESt5arrayIPcLm3EEEEviT0_T1_
		.amdhsa_group_segment_fixed_size 0
		.amdhsa_private_segment_fixed_size 0
		.amdhsa_kernarg_size 32
		.amdhsa_user_sgpr_count 6
		.amdhsa_user_sgpr_private_segment_buffer 1
		.amdhsa_user_sgpr_dispatch_ptr 0
		.amdhsa_user_sgpr_queue_ptr 0
		.amdhsa_user_sgpr_kernarg_segment_ptr 1
		.amdhsa_user_sgpr_dispatch_id 0
		.amdhsa_user_sgpr_flat_scratch_init 0
		.amdhsa_user_sgpr_private_segment_size 0
		.amdhsa_uses_dynamic_stack 0
		.amdhsa_system_sgpr_private_segment_wavefront_offset 0
		.amdhsa_system_sgpr_workgroup_id_x 1
		.amdhsa_system_sgpr_workgroup_id_y 0
		.amdhsa_system_sgpr_workgroup_id_z 0
		.amdhsa_system_sgpr_workgroup_info 0
		.amdhsa_system_vgpr_workitem_id 0
		.amdhsa_next_free_vgpr 38
		.amdhsa_next_free_sgpr 50
		.amdhsa_reserve_vcc 1
		.amdhsa_reserve_flat_scratch 0
		.amdhsa_float_round_mode_32 0
		.amdhsa_float_round_mode_16_64 0
		.amdhsa_float_denorm_mode_32 3
		.amdhsa_float_denorm_mode_16_64 3
		.amdhsa_dx10_clamp 1
		.amdhsa_ieee_mode 1
		.amdhsa_fp16_overflow 0
		.amdhsa_exception_fp_ieee_invalid_op 0
		.amdhsa_exception_fp_denorm_src 0
		.amdhsa_exception_fp_ieee_div_zero 0
		.amdhsa_exception_fp_ieee_overflow 0
		.amdhsa_exception_fp_ieee_underflow 0
		.amdhsa_exception_fp_ieee_inexact 0
		.amdhsa_exception_int_div_zero 0
	.end_amdhsa_kernel
	.section	.text._ZN2at6native29vectorized_elementwise_kernelILi2ENS0_12_GLOBAL__N_114CompareFunctorIN3c108BFloat16EEESt5arrayIPcLm3EEEEviT0_T1_,"axG",@progbits,_ZN2at6native29vectorized_elementwise_kernelILi2ENS0_12_GLOBAL__N_114CompareFunctorIN3c108BFloat16EEESt5arrayIPcLm3EEEEviT0_T1_,comdat
.Lfunc_end139:
	.size	_ZN2at6native29vectorized_elementwise_kernelILi2ENS0_12_GLOBAL__N_114CompareFunctorIN3c108BFloat16EEESt5arrayIPcLm3EEEEviT0_T1_, .Lfunc_end139-_ZN2at6native29vectorized_elementwise_kernelILi2ENS0_12_GLOBAL__N_114CompareFunctorIN3c108BFloat16EEESt5arrayIPcLm3EEEEviT0_T1_
                                        ; -- End function
	.set _ZN2at6native29vectorized_elementwise_kernelILi2ENS0_12_GLOBAL__N_114CompareFunctorIN3c108BFloat16EEESt5arrayIPcLm3EEEEviT0_T1_.num_vgpr, 38
	.set _ZN2at6native29vectorized_elementwise_kernelILi2ENS0_12_GLOBAL__N_114CompareFunctorIN3c108BFloat16EEESt5arrayIPcLm3EEEEviT0_T1_.num_agpr, 0
	.set _ZN2at6native29vectorized_elementwise_kernelILi2ENS0_12_GLOBAL__N_114CompareFunctorIN3c108BFloat16EEESt5arrayIPcLm3EEEEviT0_T1_.numbered_sgpr, 50
	.set _ZN2at6native29vectorized_elementwise_kernelILi2ENS0_12_GLOBAL__N_114CompareFunctorIN3c108BFloat16EEESt5arrayIPcLm3EEEEviT0_T1_.num_named_barrier, 0
	.set _ZN2at6native29vectorized_elementwise_kernelILi2ENS0_12_GLOBAL__N_114CompareFunctorIN3c108BFloat16EEESt5arrayIPcLm3EEEEviT0_T1_.private_seg_size, 0
	.set _ZN2at6native29vectorized_elementwise_kernelILi2ENS0_12_GLOBAL__N_114CompareFunctorIN3c108BFloat16EEESt5arrayIPcLm3EEEEviT0_T1_.uses_vcc, 1
	.set _ZN2at6native29vectorized_elementwise_kernelILi2ENS0_12_GLOBAL__N_114CompareFunctorIN3c108BFloat16EEESt5arrayIPcLm3EEEEviT0_T1_.uses_flat_scratch, 0
	.set _ZN2at6native29vectorized_elementwise_kernelILi2ENS0_12_GLOBAL__N_114CompareFunctorIN3c108BFloat16EEESt5arrayIPcLm3EEEEviT0_T1_.has_dyn_sized_stack, 0
	.set _ZN2at6native29vectorized_elementwise_kernelILi2ENS0_12_GLOBAL__N_114CompareFunctorIN3c108BFloat16EEESt5arrayIPcLm3EEEEviT0_T1_.has_recursion, 0
	.set _ZN2at6native29vectorized_elementwise_kernelILi2ENS0_12_GLOBAL__N_114CompareFunctorIN3c108BFloat16EEESt5arrayIPcLm3EEEEviT0_T1_.has_indirect_call, 0
	.section	.AMDGPU.csdata,"",@progbits
; Kernel info:
; codeLenInByte = 8824
; TotalNumSgprs: 54
; NumVgprs: 38
; ScratchSize: 0
; MemoryBound: 0
; FloatMode: 240
; IeeeMode: 1
; LDSByteSize: 0 bytes/workgroup (compile time only)
; SGPRBlocks: 6
; VGPRBlocks: 9
; NumSGPRsForWavesPerEU: 54
; NumVGPRsForWavesPerEU: 38
; Occupancy: 6
; WaveLimiterHint : 1
; COMPUTE_PGM_RSRC2:SCRATCH_EN: 0
; COMPUTE_PGM_RSRC2:USER_SGPR: 6
; COMPUTE_PGM_RSRC2:TRAP_HANDLER: 0
; COMPUTE_PGM_RSRC2:TGID_X_EN: 1
; COMPUTE_PGM_RSRC2:TGID_Y_EN: 0
; COMPUTE_PGM_RSRC2:TGID_Z_EN: 0
; COMPUTE_PGM_RSRC2:TIDIG_COMP_CNT: 0
	.section	.text._ZN2at6native27unrolled_elementwise_kernelINS0_12_GLOBAL__N_114CompareFunctorIN3c108BFloat16EEESt5arrayIPcLm3EELi4E23TrivialOffsetCalculatorILi2EjESA_ILi1EjENS0_6memory15LoadWithoutCastENSD_16StoreWithoutCastEEEviT_T0_T2_T3_T4_T5_,"axG",@progbits,_ZN2at6native27unrolled_elementwise_kernelINS0_12_GLOBAL__N_114CompareFunctorIN3c108BFloat16EEESt5arrayIPcLm3EELi4E23TrivialOffsetCalculatorILi2EjESA_ILi1EjENS0_6memory15LoadWithoutCastENSD_16StoreWithoutCastEEEviT_T0_T2_T3_T4_T5_,comdat
	.globl	_ZN2at6native27unrolled_elementwise_kernelINS0_12_GLOBAL__N_114CompareFunctorIN3c108BFloat16EEESt5arrayIPcLm3EELi4E23TrivialOffsetCalculatorILi2EjESA_ILi1EjENS0_6memory15LoadWithoutCastENSD_16StoreWithoutCastEEEviT_T0_T2_T3_T4_T5_ ; -- Begin function _ZN2at6native27unrolled_elementwise_kernelINS0_12_GLOBAL__N_114CompareFunctorIN3c108BFloat16EEESt5arrayIPcLm3EELi4E23TrivialOffsetCalculatorILi2EjESA_ILi1EjENS0_6memory15LoadWithoutCastENSD_16StoreWithoutCastEEEviT_T0_T2_T3_T4_T5_
	.p2align	8
	.type	_ZN2at6native27unrolled_elementwise_kernelINS0_12_GLOBAL__N_114CompareFunctorIN3c108BFloat16EEESt5arrayIPcLm3EELi4E23TrivialOffsetCalculatorILi2EjESA_ILi1EjENS0_6memory15LoadWithoutCastENSD_16StoreWithoutCastEEEviT_T0_T2_T3_T4_T5_,@function
_ZN2at6native27unrolled_elementwise_kernelINS0_12_GLOBAL__N_114CompareFunctorIN3c108BFloat16EEESt5arrayIPcLm3EELi4E23TrivialOffsetCalculatorILi2EjESA_ILi1EjENS0_6memory15LoadWithoutCastENSD_16StoreWithoutCastEEEviT_T0_T2_T3_T4_T5_: ; @_ZN2at6native27unrolled_elementwise_kernelINS0_12_GLOBAL__N_114CompareFunctorIN3c108BFloat16EEESt5arrayIPcLm3EELi4E23TrivialOffsetCalculatorILi2EjESA_ILi1EjENS0_6memory15LoadWithoutCastENSD_16StoreWithoutCastEEEviT_T0_T2_T3_T4_T5_
; %bb.0:
	s_load_dwordx2 s[2:3], s[4:5], 0x0
	s_load_dwordx4 s[8:11], s[4:5], 0x8
	s_load_dwordx2 s[12:13], s[4:5], 0x18
	s_lshl_b32 s16, s6, 10
	v_mov_b32_e32 v8, 0
	s_waitcnt lgkmcnt(0)
	s_sub_i32 s2, s2, s16
	v_cmp_gt_i32_e64 s[0:1], s2, v0
	v_or_b32_e32 v1, s16, v0
	v_mov_b32_e32 v4, v0
	v_mov_b32_e32 v7, 0
	;; [unrolled: 1-line block ×3, first 2 shown]
	s_and_saveexec_b64 s[4:5], s[0:1]
	s_cbranch_execz .LBB140_2
; %bb.1:
	v_mov_b32_e32 v2, 0
	v_lshlrev_b64 v[2:3], 1, v[1:2]
	v_mov_b32_e32 v5, s13
	v_add_co_u32_e32 v4, vcc, s12, v2
	v_addc_co_u32_e32 v5, vcc, v5, v3, vcc
	v_mov_b32_e32 v6, s11
	v_add_co_u32_e32 v2, vcc, s10, v2
	v_addc_co_u32_e32 v3, vcc, v6, v3, vcc
	global_load_ushort v6, v[2:3], off
	global_load_ushort v9, v[4:5], off
	v_or_b32_e32 v4, 0x100, v0
	s_waitcnt vmcnt(1)
	v_lshlrev_b32_e32 v7, 16, v6
	s_waitcnt vmcnt(0)
	v_lshlrev_b32_e32 v10, 16, v9
.LBB140_2:
	s_or_b64 exec, exec, s[4:5]
	v_cmp_gt_i32_e32 vcc, s2, v4
	v_mov_b32_e32 v9, 0
	s_and_saveexec_b64 s[4:5], vcc
	s_cbranch_execz .LBB140_4
; %bb.3:
	v_add_u32_e32 v2, s16, v4
	v_mov_b32_e32 v3, 0
	v_lshlrev_b64 v[2:3], 1, v[2:3]
	v_mov_b32_e32 v6, s13
	v_add_co_u32_e32 v5, vcc, s12, v2
	v_addc_co_u32_e32 v6, vcc, v6, v3, vcc
	v_mov_b32_e32 v8, s11
	v_add_co_u32_e32 v2, vcc, s10, v2
	v_addc_co_u32_e32 v3, vcc, v8, v3, vcc
	global_load_ushort v8, v[2:3], off
	global_load_ushort v9, v[5:6], off
	v_add_u32_e32 v4, 0x100, v4
	s_waitcnt vmcnt(1)
	v_lshlrev_b32_e32 v8, 16, v8
	s_waitcnt vmcnt(0)
	v_lshlrev_b32_e32 v9, 16, v9
.LBB140_4:
	s_or_b64 exec, exec, s[4:5]
	v_cmp_gt_i32_e32 vcc, s2, v4
	v_mov_b32_e32 v2, 0
	v_mov_b32_e32 v5, 0
	;; [unrolled: 1-line block ×3, first 2 shown]
	s_and_saveexec_b64 s[4:5], vcc
	s_cbranch_execz .LBB140_6
; %bb.5:
	v_add_u32_e32 v5, s16, v4
	v_mov_b32_e32 v6, 0
	v_lshlrev_b64 v[5:6], 1, v[5:6]
	v_mov_b32_e32 v3, s13
	v_add_co_u32_e32 v11, vcc, s12, v5
	v_addc_co_u32_e32 v12, vcc, v3, v6, vcc
	v_mov_b32_e32 v3, s11
	v_add_co_u32_e32 v5, vcc, s10, v5
	v_addc_co_u32_e32 v6, vcc, v3, v6, vcc
	global_load_ushort v3, v[5:6], off
	global_load_ushort v13, v[11:12], off
	v_add_u32_e32 v4, 0x100, v4
	s_waitcnt vmcnt(1)
	v_lshlrev_b32_e32 v5, 16, v3
	s_waitcnt vmcnt(0)
	v_lshlrev_b32_e32 v6, 16, v13
.LBB140_6:
	s_or_b64 exec, exec, s[4:5]
	v_cmp_gt_i32_e32 vcc, s2, v4
	v_mov_b32_e32 v3, 0
	s_and_saveexec_b64 s[4:5], vcc
	s_cbranch_execz .LBB140_8
; %bb.7:
	v_add_u32_e32 v2, s16, v4
	v_mov_b32_e32 v3, 0
	v_lshlrev_b64 v[2:3], 1, v[2:3]
	v_mov_b32_e32 v4, s13
	v_add_co_u32_e32 v11, vcc, s12, v2
	v_addc_co_u32_e32 v12, vcc, v4, v3, vcc
	v_mov_b32_e32 v4, s11
	v_add_co_u32_e32 v2, vcc, s10, v2
	v_addc_co_u32_e32 v3, vcc, v4, v3, vcc
	global_load_ushort v4, v[2:3], off
	global_load_ushort v13, v[11:12], off
	s_waitcnt vmcnt(1)
	v_lshlrev_b32_e32 v2, 16, v4
	s_waitcnt vmcnt(0)
	v_lshlrev_b32_e32 v3, 16, v13
.LBB140_8:
	s_or_b64 exec, exec, s[4:5]
	v_mov_b32_e32 v4, 0
	s_and_saveexec_b64 s[4:5], s[0:1]
	s_cbranch_execz .LBB140_24
; %bb.9:
	s_cmp_lt_i32 s3, 1
	s_mov_b64 s[6:7], 0
	s_cbranch_scc1 .LBB140_13
; %bb.10:
	s_cmp_gt_i32 s3, 1
	s_cbranch_scc0 .LBB140_14
; %bb.11:
	s_cmp_eq_u32 s3, 2
	s_cbranch_scc0 .LBB140_15
; %bb.12:
	v_cmp_le_f32_e64 s[10:11], v7, v10
	s_mov_b64 s[12:13], 0
	s_branch .LBB140_16
.LBB140_13:
                                        ; implicit-def: $sgpr10_sgpr11
	s_mov_b64 s[12:13], 0
	s_cbranch_execnz .LBB140_19
	s_branch .LBB140_20
.LBB140_14:
	s_mov_b64 s[12:13], 0
                                        ; implicit-def: $sgpr10_sgpr11
	s_cbranch_execnz .LBB140_17
	s_branch .LBB140_18
.LBB140_15:
	s_mov_b64 s[12:13], -1
                                        ; implicit-def: $sgpr10_sgpr11
.LBB140_16:
	s_branch .LBB140_18
.LBB140_17:
	v_cmp_gt_f32_e32 vcc, v7, v10
	s_andn2_b64 s[10:11], s[10:11], exec
	s_and_b64 s[14:15], vcc, exec
	s_or_b64 s[10:11], s[10:11], s[14:15]
.LBB140_18:
	s_branch .LBB140_20
.LBB140_19:
	s_cmp_lg_u32 s3, 0
	s_mov_b64 s[6:7], -1
	s_cselect_b64 s[12:13], -1, 0
.LBB140_20:
	s_andn2_b64 vcc, exec, s[12:13]
	s_cbranch_vccz .LBB140_29
; %bb.21:
	s_andn2_b64 vcc, exec, s[6:7]
	s_cbranch_vccnz .LBB140_23
.LBB140_22:
	v_cmp_ge_f32_e32 vcc, v7, v10
	s_andn2_b64 s[6:7], s[10:11], exec
	s_and_b64 s[10:11], vcc, exec
	s_or_b64 s[10:11], s[6:7], s[10:11]
.LBB140_23:
	v_cndmask_b32_e64 v4, 0, 1, s[10:11]
.LBB140_24:
	s_or_b64 exec, exec, s[4:5]
	v_or_b32_e32 v7, 0x100, v0
	v_cmp_gt_i32_e32 vcc, s2, v7
	s_and_saveexec_b64 s[4:5], vcc
	s_cbranch_execz .LBB140_39
; %bb.25:
	s_cmp_lt_i32 s3, 1
	s_mov_b64 s[6:7], 0
	s_cbranch_scc1 .LBB140_30
; %bb.26:
	s_cmp_gt_i32 s3, 1
	s_cbranch_scc0 .LBB140_31
; %bb.27:
	s_cmp_eq_u32 s3, 2
	s_cbranch_scc0 .LBB140_79
; %bb.28:
	v_cmp_le_f32_e64 s[10:11], v8, v9
	s_mov_b64 s[12:13], 0
	s_branch .LBB140_33
.LBB140_29:
	v_cmp_lt_f32_e32 vcc, v7, v10
	s_andn2_b64 s[10:11], s[10:11], exec
	s_and_b64 s[12:13], vcc, exec
	s_or_b64 s[10:11], s[10:11], s[12:13]
	s_cbranch_execz .LBB140_22
	s_branch .LBB140_23
.LBB140_30:
                                        ; implicit-def: $sgpr10_sgpr11
	s_mov_b64 s[12:13], 0
	s_cbranch_execnz .LBB140_34
	s_branch .LBB140_35
.LBB140_31:
	s_mov_b64 s[12:13], 0
                                        ; implicit-def: $sgpr10_sgpr11
	s_cbranch_execz .LBB140_33
; %bb.32:
	v_cmp_gt_f32_e32 vcc, v8, v9
	s_andn2_b64 s[10:11], s[10:11], exec
	s_and_b64 s[14:15], vcc, exec
	s_or_b64 s[10:11], s[10:11], s[14:15]
.LBB140_33:
	s_branch .LBB140_35
.LBB140_34:
	s_cmp_lg_u32 s3, 0
	s_mov_b64 s[6:7], -1
	s_cselect_b64 s[12:13], -1, 0
.LBB140_35:
	s_andn2_b64 vcc, exec, s[12:13]
	s_cbranch_vccz .LBB140_44
; %bb.36:
	s_andn2_b64 vcc, exec, s[6:7]
	s_cbranch_vccnz .LBB140_38
.LBB140_37:
	v_cmp_ge_f32_e32 vcc, v8, v9
	s_andn2_b64 s[6:7], s[10:11], exec
	s_and_b64 s[10:11], vcc, exec
	s_or_b64 s[10:11], s[6:7], s[10:11]
.LBB140_38:
	v_cndmask_b32_e64 v8, 0, 1, s[10:11]
	v_lshlrev_b16_e32 v8, 8, v8
	v_or_b32_e32 v4, v4, v8
	v_and_b32_e32 v4, 0xffff, v4
.LBB140_39:
	s_or_b64 exec, exec, s[4:5]
	v_or_b32_e32 v8, 0x200, v0
	v_cmp_gt_i32_e32 vcc, s2, v8
	s_and_saveexec_b64 s[4:5], vcc
	s_cbranch_execz .LBB140_54
; %bb.40:
	s_cmp_lt_i32 s3, 1
	s_mov_b64 s[6:7], 0
	s_cbranch_scc1 .LBB140_45
; %bb.41:
	s_cmp_gt_i32 s3, 1
	s_cbranch_scc0 .LBB140_46
; %bb.42:
	s_cmp_eq_u32 s3, 2
	s_cbranch_scc0 .LBB140_80
; %bb.43:
	v_cmp_le_f32_e64 s[10:11], v5, v6
	s_mov_b64 s[12:13], 0
	s_branch .LBB140_48
.LBB140_44:
	v_cmp_lt_f32_e32 vcc, v8, v9
	s_andn2_b64 s[10:11], s[10:11], exec
	s_and_b64 s[12:13], vcc, exec
	s_or_b64 s[10:11], s[10:11], s[12:13]
	s_cbranch_execz .LBB140_37
	s_branch .LBB140_38
.LBB140_45:
                                        ; implicit-def: $sgpr10_sgpr11
	s_mov_b64 s[12:13], 0
	s_cbranch_execnz .LBB140_49
	s_branch .LBB140_50
.LBB140_46:
	s_mov_b64 s[12:13], 0
                                        ; implicit-def: $sgpr10_sgpr11
	s_cbranch_execz .LBB140_48
; %bb.47:
	v_cmp_gt_f32_e32 vcc, v5, v6
	s_andn2_b64 s[10:11], s[10:11], exec
	s_and_b64 s[14:15], vcc, exec
	s_or_b64 s[10:11], s[10:11], s[14:15]
.LBB140_48:
	s_branch .LBB140_50
.LBB140_49:
	s_cmp_lg_u32 s3, 0
	s_mov_b64 s[6:7], -1
	s_cselect_b64 s[12:13], -1, 0
.LBB140_50:
	s_andn2_b64 vcc, exec, s[12:13]
	s_cbranch_vccz .LBB140_59
; %bb.51:
	s_andn2_b64 vcc, exec, s[6:7]
	s_cbranch_vccnz .LBB140_53
.LBB140_52:
	v_cmp_ge_f32_e32 vcc, v5, v6
	s_andn2_b64 s[6:7], s[10:11], exec
	s_and_b64 s[10:11], vcc, exec
	s_or_b64 s[10:11], s[6:7], s[10:11]
.LBB140_53:
	v_cndmask_b32_e64 v5, 0, 1, s[10:11]
	v_lshl_or_b32 v4, v5, 16, v4
.LBB140_54:
	s_or_b64 exec, exec, s[4:5]
	v_or_b32_e32 v5, 0x300, v0
	v_cmp_gt_i32_e32 vcc, s2, v5
	s_and_saveexec_b64 s[4:5], vcc
	s_cbranch_execz .LBB140_69
; %bb.55:
	s_cmp_lt_i32 s3, 1
	s_mov_b64 s[6:7], 0
	s_cbranch_scc1 .LBB140_60
; %bb.56:
	s_cmp_gt_i32 s3, 1
	s_cbranch_scc0 .LBB140_61
; %bb.57:
	s_cmp_eq_u32 s3, 2
	s_cbranch_scc0 .LBB140_81
; %bb.58:
	v_cmp_le_f32_e64 s[10:11], v2, v3
	s_mov_b64 s[12:13], 0
	s_branch .LBB140_63
.LBB140_59:
	v_cmp_lt_f32_e32 vcc, v5, v6
	s_andn2_b64 s[10:11], s[10:11], exec
	s_and_b64 s[12:13], vcc, exec
	s_or_b64 s[10:11], s[10:11], s[12:13]
	s_cbranch_execz .LBB140_52
	s_branch .LBB140_53
.LBB140_60:
                                        ; implicit-def: $sgpr10_sgpr11
	s_mov_b64 s[12:13], 0
	s_cbranch_execnz .LBB140_64
	s_branch .LBB140_65
.LBB140_61:
	s_mov_b64 s[12:13], 0
                                        ; implicit-def: $sgpr10_sgpr11
	s_cbranch_execz .LBB140_63
; %bb.62:
	v_cmp_gt_f32_e32 vcc, v2, v3
	s_andn2_b64 s[10:11], s[10:11], exec
	s_and_b64 s[14:15], vcc, exec
	s_or_b64 s[10:11], s[10:11], s[14:15]
.LBB140_63:
	s_branch .LBB140_65
.LBB140_64:
	s_cmp_lg_u32 s3, 0
	s_mov_b64 s[6:7], -1
	s_cselect_b64 s[12:13], -1, 0
.LBB140_65:
	s_andn2_b64 vcc, exec, s[12:13]
	s_cbranch_vccz .LBB140_78
; %bb.66:
	s_andn2_b64 vcc, exec, s[6:7]
	s_cbranch_vccnz .LBB140_68
.LBB140_67:
	v_cmp_ge_f32_e32 vcc, v2, v3
	s_andn2_b64 s[6:7], s[10:11], exec
	s_and_b64 s[10:11], vcc, exec
	s_or_b64 s[10:11], s[6:7], s[10:11]
.LBB140_68:
	v_cndmask_b32_e64 v2, 0, 1, s[10:11]
	v_lshlrev_b16_e32 v2, 8, v2
	v_or_b32_sdwa v2, v4, v2 dst_sel:WORD_1 dst_unused:UNUSED_PAD src0_sel:WORD_1 src1_sel:DWORD
	s_mov_b32 s3, 0xffff
	v_and_or_b32 v4, v4, s3, v2
.LBB140_69:
	s_or_b64 exec, exec, s[4:5]
	s_and_saveexec_b64 s[4:5], s[0:1]
	s_xor_b64 s[0:1], exec, s[4:5]
	s_cbranch_execz .LBB140_71
; %bb.70:
	v_mov_b32_e32 v0, v7
	global_store_byte v1, v4, s[8:9]
.LBB140_71:
	s_or_b64 exec, exec, s[0:1]
	v_cmp_gt_i32_e32 vcc, s2, v0
	s_and_saveexec_b64 s[0:1], vcc
	s_cbranch_execnz .LBB140_75
; %bb.72:
	s_or_b64 exec, exec, s[0:1]
	v_cmp_gt_i32_e32 vcc, s2, v0
	s_and_saveexec_b64 s[0:1], vcc
	s_cbranch_execnz .LBB140_76
.LBB140_73:
	s_or_b64 exec, exec, s[0:1]
	v_cmp_gt_i32_e32 vcc, s2, v0
	s_and_saveexec_b64 s[0:1], vcc
	s_cbranch_execnz .LBB140_77
.LBB140_74:
	s_endpgm
.LBB140_75:
	v_add_u32_e32 v1, 0x100, v0
	v_add_u32_e32 v0, s16, v0
	v_lshrrev_b32_e32 v2, 8, v4
	global_store_byte v0, v2, s[8:9]
	v_mov_b32_e32 v0, v1
	s_or_b64 exec, exec, s[0:1]
	v_cmp_gt_i32_e32 vcc, s2, v0
	s_and_saveexec_b64 s[0:1], vcc
	s_cbranch_execz .LBB140_73
.LBB140_76:
	v_add_u32_e32 v1, 0x100, v0
	v_add_u32_e32 v0, s16, v0
	global_store_byte_d16_hi v0, v4, s[8:9]
	v_mov_b32_e32 v0, v1
	s_or_b64 exec, exec, s[0:1]
	v_cmp_gt_i32_e32 vcc, s2, v0
	s_and_saveexec_b64 s[0:1], vcc
	s_cbranch_execz .LBB140_74
.LBB140_77:
	v_add_u32_e32 v0, s16, v0
	v_lshrrev_b32_e32 v1, 24, v4
	global_store_byte v0, v1, s[8:9]
	s_endpgm
.LBB140_78:
	v_cmp_lt_f32_e32 vcc, v2, v3
	s_andn2_b64 s[10:11], s[10:11], exec
	s_and_b64 s[12:13], vcc, exec
	s_or_b64 s[10:11], s[10:11], s[12:13]
	s_cbranch_execz .LBB140_67
	s_branch .LBB140_68
.LBB140_79:
	s_mov_b64 s[12:13], -1
                                        ; implicit-def: $sgpr10_sgpr11
	s_branch .LBB140_33
.LBB140_80:
	s_mov_b64 s[12:13], -1
                                        ; implicit-def: $sgpr10_sgpr11
	s_branch .LBB140_48
.LBB140_81:
	s_mov_b64 s[12:13], -1
                                        ; implicit-def: $sgpr10_sgpr11
	s_branch .LBB140_63
	.section	.rodata,"a",@progbits
	.p2align	6, 0x0
	.amdhsa_kernel _ZN2at6native27unrolled_elementwise_kernelINS0_12_GLOBAL__N_114CompareFunctorIN3c108BFloat16EEESt5arrayIPcLm3EELi4E23TrivialOffsetCalculatorILi2EjESA_ILi1EjENS0_6memory15LoadWithoutCastENSD_16StoreWithoutCastEEEviT_T0_T2_T3_T4_T5_
		.amdhsa_group_segment_fixed_size 0
		.amdhsa_private_segment_fixed_size 0
		.amdhsa_kernarg_size 36
		.amdhsa_user_sgpr_count 6
		.amdhsa_user_sgpr_private_segment_buffer 1
		.amdhsa_user_sgpr_dispatch_ptr 0
		.amdhsa_user_sgpr_queue_ptr 0
		.amdhsa_user_sgpr_kernarg_segment_ptr 1
		.amdhsa_user_sgpr_dispatch_id 0
		.amdhsa_user_sgpr_flat_scratch_init 0
		.amdhsa_user_sgpr_private_segment_size 0
		.amdhsa_uses_dynamic_stack 0
		.amdhsa_system_sgpr_private_segment_wavefront_offset 0
		.amdhsa_system_sgpr_workgroup_id_x 1
		.amdhsa_system_sgpr_workgroup_id_y 0
		.amdhsa_system_sgpr_workgroup_id_z 0
		.amdhsa_system_sgpr_workgroup_info 0
		.amdhsa_system_vgpr_workitem_id 0
		.amdhsa_next_free_vgpr 14
		.amdhsa_next_free_sgpr 17
		.amdhsa_reserve_vcc 1
		.amdhsa_reserve_flat_scratch 0
		.amdhsa_float_round_mode_32 0
		.amdhsa_float_round_mode_16_64 0
		.amdhsa_float_denorm_mode_32 3
		.amdhsa_float_denorm_mode_16_64 3
		.amdhsa_dx10_clamp 1
		.amdhsa_ieee_mode 1
		.amdhsa_fp16_overflow 0
		.amdhsa_exception_fp_ieee_invalid_op 0
		.amdhsa_exception_fp_denorm_src 0
		.amdhsa_exception_fp_ieee_div_zero 0
		.amdhsa_exception_fp_ieee_overflow 0
		.amdhsa_exception_fp_ieee_underflow 0
		.amdhsa_exception_fp_ieee_inexact 0
		.amdhsa_exception_int_div_zero 0
	.end_amdhsa_kernel
	.section	.text._ZN2at6native27unrolled_elementwise_kernelINS0_12_GLOBAL__N_114CompareFunctorIN3c108BFloat16EEESt5arrayIPcLm3EELi4E23TrivialOffsetCalculatorILi2EjESA_ILi1EjENS0_6memory15LoadWithoutCastENSD_16StoreWithoutCastEEEviT_T0_T2_T3_T4_T5_,"axG",@progbits,_ZN2at6native27unrolled_elementwise_kernelINS0_12_GLOBAL__N_114CompareFunctorIN3c108BFloat16EEESt5arrayIPcLm3EELi4E23TrivialOffsetCalculatorILi2EjESA_ILi1EjENS0_6memory15LoadWithoutCastENSD_16StoreWithoutCastEEEviT_T0_T2_T3_T4_T5_,comdat
.Lfunc_end140:
	.size	_ZN2at6native27unrolled_elementwise_kernelINS0_12_GLOBAL__N_114CompareFunctorIN3c108BFloat16EEESt5arrayIPcLm3EELi4E23TrivialOffsetCalculatorILi2EjESA_ILi1EjENS0_6memory15LoadWithoutCastENSD_16StoreWithoutCastEEEviT_T0_T2_T3_T4_T5_, .Lfunc_end140-_ZN2at6native27unrolled_elementwise_kernelINS0_12_GLOBAL__N_114CompareFunctorIN3c108BFloat16EEESt5arrayIPcLm3EELi4E23TrivialOffsetCalculatorILi2EjESA_ILi1EjENS0_6memory15LoadWithoutCastENSD_16StoreWithoutCastEEEviT_T0_T2_T3_T4_T5_
                                        ; -- End function
	.set _ZN2at6native27unrolled_elementwise_kernelINS0_12_GLOBAL__N_114CompareFunctorIN3c108BFloat16EEESt5arrayIPcLm3EELi4E23TrivialOffsetCalculatorILi2EjESA_ILi1EjENS0_6memory15LoadWithoutCastENSD_16StoreWithoutCastEEEviT_T0_T2_T3_T4_T5_.num_vgpr, 14
	.set _ZN2at6native27unrolled_elementwise_kernelINS0_12_GLOBAL__N_114CompareFunctorIN3c108BFloat16EEESt5arrayIPcLm3EELi4E23TrivialOffsetCalculatorILi2EjESA_ILi1EjENS0_6memory15LoadWithoutCastENSD_16StoreWithoutCastEEEviT_T0_T2_T3_T4_T5_.num_agpr, 0
	.set _ZN2at6native27unrolled_elementwise_kernelINS0_12_GLOBAL__N_114CompareFunctorIN3c108BFloat16EEESt5arrayIPcLm3EELi4E23TrivialOffsetCalculatorILi2EjESA_ILi1EjENS0_6memory15LoadWithoutCastENSD_16StoreWithoutCastEEEviT_T0_T2_T3_T4_T5_.numbered_sgpr, 17
	.set _ZN2at6native27unrolled_elementwise_kernelINS0_12_GLOBAL__N_114CompareFunctorIN3c108BFloat16EEESt5arrayIPcLm3EELi4E23TrivialOffsetCalculatorILi2EjESA_ILi1EjENS0_6memory15LoadWithoutCastENSD_16StoreWithoutCastEEEviT_T0_T2_T3_T4_T5_.num_named_barrier, 0
	.set _ZN2at6native27unrolled_elementwise_kernelINS0_12_GLOBAL__N_114CompareFunctorIN3c108BFloat16EEESt5arrayIPcLm3EELi4E23TrivialOffsetCalculatorILi2EjESA_ILi1EjENS0_6memory15LoadWithoutCastENSD_16StoreWithoutCastEEEviT_T0_T2_T3_T4_T5_.private_seg_size, 0
	.set _ZN2at6native27unrolled_elementwise_kernelINS0_12_GLOBAL__N_114CompareFunctorIN3c108BFloat16EEESt5arrayIPcLm3EELi4E23TrivialOffsetCalculatorILi2EjESA_ILi1EjENS0_6memory15LoadWithoutCastENSD_16StoreWithoutCastEEEviT_T0_T2_T3_T4_T5_.uses_vcc, 1
	.set _ZN2at6native27unrolled_elementwise_kernelINS0_12_GLOBAL__N_114CompareFunctorIN3c108BFloat16EEESt5arrayIPcLm3EELi4E23TrivialOffsetCalculatorILi2EjESA_ILi1EjENS0_6memory15LoadWithoutCastENSD_16StoreWithoutCastEEEviT_T0_T2_T3_T4_T5_.uses_flat_scratch, 0
	.set _ZN2at6native27unrolled_elementwise_kernelINS0_12_GLOBAL__N_114CompareFunctorIN3c108BFloat16EEESt5arrayIPcLm3EELi4E23TrivialOffsetCalculatorILi2EjESA_ILi1EjENS0_6memory15LoadWithoutCastENSD_16StoreWithoutCastEEEviT_T0_T2_T3_T4_T5_.has_dyn_sized_stack, 0
	.set _ZN2at6native27unrolled_elementwise_kernelINS0_12_GLOBAL__N_114CompareFunctorIN3c108BFloat16EEESt5arrayIPcLm3EELi4E23TrivialOffsetCalculatorILi2EjESA_ILi1EjENS0_6memory15LoadWithoutCastENSD_16StoreWithoutCastEEEviT_T0_T2_T3_T4_T5_.has_recursion, 0
	.set _ZN2at6native27unrolled_elementwise_kernelINS0_12_GLOBAL__N_114CompareFunctorIN3c108BFloat16EEESt5arrayIPcLm3EELi4E23TrivialOffsetCalculatorILi2EjESA_ILi1EjENS0_6memory15LoadWithoutCastENSD_16StoreWithoutCastEEEviT_T0_T2_T3_T4_T5_.has_indirect_call, 0
	.section	.AMDGPU.csdata,"",@progbits
; Kernel info:
; codeLenInByte = 1448
; TotalNumSgprs: 21
; NumVgprs: 14
; ScratchSize: 0
; MemoryBound: 0
; FloatMode: 240
; IeeeMode: 1
; LDSByteSize: 0 bytes/workgroup (compile time only)
; SGPRBlocks: 2
; VGPRBlocks: 3
; NumSGPRsForWavesPerEU: 21
; NumVGPRsForWavesPerEU: 14
; Occupancy: 10
; WaveLimiterHint : 0
; COMPUTE_PGM_RSRC2:SCRATCH_EN: 0
; COMPUTE_PGM_RSRC2:USER_SGPR: 6
; COMPUTE_PGM_RSRC2:TRAP_HANDLER: 0
; COMPUTE_PGM_RSRC2:TGID_X_EN: 1
; COMPUTE_PGM_RSRC2:TGID_Y_EN: 0
; COMPUTE_PGM_RSRC2:TGID_Z_EN: 0
; COMPUTE_PGM_RSRC2:TIDIG_COMP_CNT: 0
	.section	.text._ZN2at6native32elementwise_kernel_manual_unrollILi128ELi8EZNS0_22gpu_kernel_impl_nocastINS0_12_GLOBAL__N_114CompareFunctorIN3c108BFloat16EEEEEvRNS_18TensorIteratorBaseERKT_EUlibE_EEviT1_,"axG",@progbits,_ZN2at6native32elementwise_kernel_manual_unrollILi128ELi8EZNS0_22gpu_kernel_impl_nocastINS0_12_GLOBAL__N_114CompareFunctorIN3c108BFloat16EEEEEvRNS_18TensorIteratorBaseERKT_EUlibE_EEviT1_,comdat
	.globl	_ZN2at6native32elementwise_kernel_manual_unrollILi128ELi8EZNS0_22gpu_kernel_impl_nocastINS0_12_GLOBAL__N_114CompareFunctorIN3c108BFloat16EEEEEvRNS_18TensorIteratorBaseERKT_EUlibE_EEviT1_ ; -- Begin function _ZN2at6native32elementwise_kernel_manual_unrollILi128ELi8EZNS0_22gpu_kernel_impl_nocastINS0_12_GLOBAL__N_114CompareFunctorIN3c108BFloat16EEEEEvRNS_18TensorIteratorBaseERKT_EUlibE_EEviT1_
	.p2align	8
	.type	_ZN2at6native32elementwise_kernel_manual_unrollILi128ELi8EZNS0_22gpu_kernel_impl_nocastINS0_12_GLOBAL__N_114CompareFunctorIN3c108BFloat16EEEEEvRNS_18TensorIteratorBaseERKT_EUlibE_EEviT1_,@function
_ZN2at6native32elementwise_kernel_manual_unrollILi128ELi8EZNS0_22gpu_kernel_impl_nocastINS0_12_GLOBAL__N_114CompareFunctorIN3c108BFloat16EEEEEvRNS_18TensorIteratorBaseERKT_EUlibE_EEviT1_: ; @_ZN2at6native32elementwise_kernel_manual_unrollILi128ELi8EZNS0_22gpu_kernel_impl_nocastINS0_12_GLOBAL__N_114CompareFunctorIN3c108BFloat16EEEEEvRNS_18TensorIteratorBaseERKT_EUlibE_EEviT1_
; %bb.0:
	s_load_dword s43, s[4:5], 0x0
	s_load_dword s33, s[4:5], 0x8
	s_add_u32 s12, s4, 8
	s_addc_u32 s13, s5, 0
	v_lshl_or_b32 v21, s6, 10, v0
	v_or_b32_e32 v37, 0x380, v21
	s_waitcnt lgkmcnt(0)
	s_add_i32 s40, s33, -1
	s_cmp_gt_u32 s40, 1
	v_cmp_le_i32_e32 vcc, s43, v37
	s_cselect_b64 s[14:15], -1, 0
	s_and_saveexec_b64 s[0:1], vcc
	s_xor_b64 s[16:17], exec, s[0:1]
	s_cbranch_execz .LBB141_211
; %bb.1:
	s_load_dwordx4 s[8:11], s[12:13], 0x4
	s_load_dwordx2 s[22:23], s[12:13], 0x14
	s_load_dwordx4 s[4:7], s[12:13], 0xc4
	s_load_dwordx2 s[20:21], s[12:13], 0xd4
	s_load_dwordx2 s[18:19], s[12:13], 0x198
	s_load_dwordx4 s[0:3], s[12:13], 0x188
	s_load_dword s41, s[12:13], 0x1a0
	s_cmp_lg_u32 s33, 0
	s_cselect_b64 s[26:27], -1, 0
	s_min_u32 s42, s40, 15
	s_cmp_gt_u32 s33, 1
	s_cselect_b64 s[24:25], -1, 0
	v_cmp_gt_i32_e32 vcc, s43, v21
	s_and_saveexec_b64 s[28:29], vcc
	s_cbranch_execnz .LBB141_9
; %bb.2:
	s_or_b64 exec, exec, s[28:29]
	v_cmp_gt_i32_e32 vcc, s43, v21
	s_and_saveexec_b64 s[28:29], vcc
	s_cbranch_execnz .LBB141_35
.LBB141_3:
	s_or_b64 exec, exec, s[28:29]
	v_cmp_gt_i32_e32 vcc, s43, v21
	s_and_saveexec_b64 s[28:29], vcc
	s_cbranch_execnz .LBB141_60
.LBB141_4:
	s_or_b64 exec, exec, s[28:29]
	v_cmp_gt_i32_e32 vcc, s43, v21
	s_and_saveexec_b64 s[28:29], vcc
	s_cbranch_execnz .LBB141_85
.LBB141_5:
	s_or_b64 exec, exec, s[28:29]
	v_cmp_gt_i32_e32 vcc, s43, v21
	s_and_saveexec_b64 s[28:29], vcc
	s_cbranch_execnz .LBB141_110
.LBB141_6:
	s_or_b64 exec, exec, s[28:29]
	v_cmp_gt_i32_e32 vcc, s43, v21
	s_and_saveexec_b64 s[28:29], vcc
	s_cbranch_execnz .LBB141_135
.LBB141_7:
	s_or_b64 exec, exec, s[28:29]
	v_cmp_gt_i32_e32 vcc, s43, v21
	s_and_saveexec_b64 s[28:29], vcc
	s_cbranch_execnz .LBB141_160
.LBB141_8:
	s_or_b64 exec, exec, s[28:29]
	v_cmp_gt_i32_e32 vcc, s43, v21
	s_and_saveexec_b64 s[28:29], vcc
	s_cbranch_execnz .LBB141_185
	s_branch .LBB141_210
.LBB141_9:
	s_andn2_b64 vcc, exec, s[14:15]
	s_cbranch_vccnz .LBB141_15
; %bb.10:
	s_andn2_b64 vcc, exec, s[26:27]
	s_cbranch_vccnz .LBB141_16
; %bb.11:
	s_add_i32 s30, s42, 1
	s_and_b32 s34, s30, 30
	s_add_u32 s30, s12, 0xffffffe8
	s_addc_u32 s31, s13, -1
	v_mov_b32_e32 v2, 0
	v_mov_b32_e32 v4, 0
	;; [unrolled: 1-line block ×4, first 2 shown]
.LBB141_12:                             ; =>This Inner Loop Header: Depth=1
	s_load_dwordx4 s[36:39], s[30:31], 0x1c
	s_load_dwordx2 s[48:49], s[30:31], 0x2c
	s_load_dwordx2 s[50:51], s[30:31], 0xec
	s_load_dwordx4 s[44:47], s[30:31], 0xdc
	s_add_u32 s30, s30, 24
	s_waitcnt lgkmcnt(0)
	v_mul_hi_u32 v3, s37, v1
	s_addc_u32 s31, s31, 0
	s_add_i32 s34, s34, -2
	s_cmp_lg_u32 s34, 0
	v_add_u32_e32 v3, v1, v3
	v_lshrrev_b32_e32 v3, s38, v3
	v_mul_lo_u32 v5, v3, s36
	v_mul_hi_u32 v6, s48, v3
	v_sub_u32_e32 v5, v1, v5
	v_add_u32_e32 v1, v3, v6
	v_lshrrev_b32_e32 v1, s49, v1
	v_mul_lo_u32 v8, v1, s39
	v_mul_lo_u32 v6, v5, s44
	;; [unrolled: 1-line block ×4, first 2 shown]
	v_sub_u32_e32 v3, v3, v8
	v_mul_lo_u32 v8, v3, s47
	v_mul_lo_u32 v9, v3, s50
	;; [unrolled: 1-line block ×3, first 2 shown]
	v_add3_u32 v0, v6, v0, v8
	v_add3_u32 v4, v7, v4, v9
	;; [unrolled: 1-line block ×3, first 2 shown]
	s_cbranch_scc1 .LBB141_12
; %bb.13:
	s_bitcmp1_b32 s42, 0
	s_cselect_b64 s[34:35], -1, 0
	s_and_b64 vcc, exec, s[34:35]
	s_cbranch_vccnz .LBB141_17
; %bb.14:
	s_load_dwordx2 s[34:35], s[30:31], 0x1c
	s_load_dword s38, s[30:31], 0x24
	s_load_dwordx2 s[36:37], s[30:31], 0xdc
	s_waitcnt lgkmcnt(0)
	v_mul_hi_u32 v3, s35, v1
	v_add_u32_e32 v3, v1, v3
	v_lshrrev_b32_e32 v3, s38, v3
	v_mul_lo_u32 v3, v3, s34
	s_load_dword s34, s[30:31], 0xe4
	v_sub_u32_e32 v3, v1, v3
	v_mad_u64_u32 v[0:1], s[30:31], v3, s36, v[0:1]
	v_mad_u64_u32 v[4:5], s[30:31], v3, s37, v[4:5]
	s_waitcnt lgkmcnt(0)
	v_mad_u64_u32 v[2:3], s[30:31], v3, s34, v[2:3]
	s_cbranch_execz .LBB141_18
	s_branch .LBB141_20
.LBB141_15:
                                        ; implicit-def: $vgpr0
                                        ; implicit-def: $vgpr4
                                        ; implicit-def: $vgpr2
	s_branch .LBB141_18
.LBB141_16:
	v_mov_b32_e32 v0, 0
	v_mov_b32_e32 v4, 0
	;; [unrolled: 1-line block ×3, first 2 shown]
.LBB141_17:
	s_cbranch_execnz .LBB141_20
.LBB141_18:
	s_waitcnt lgkmcnt(0)
	v_mul_hi_u32 v0, s9, v21
	s_andn2_b64 vcc, exec, s[24:25]
	v_add_u32_e32 v0, v21, v0
	v_lshrrev_b32_e32 v1, s10, v0
	v_mul_lo_u32 v0, v1, s8
	v_sub_u32_e32 v2, v21, v0
	v_mul_lo_u32 v0, v2, s4
	v_mul_lo_u32 v4, v2, s5
	;; [unrolled: 1-line block ×3, first 2 shown]
	s_cbranch_vccnz .LBB141_20
; %bb.19:
	v_mul_hi_u32 v3, s22, v1
	v_add_u32_e32 v3, v1, v3
	v_lshrrev_b32_e32 v3, s23, v3
	v_mul_lo_u32 v3, v3, s11
	v_sub_u32_e32 v3, v1, v3
	v_mad_u64_u32 v[0:1], s[30:31], v3, s7, v[0:1]
	v_mad_u64_u32 v[4:5], s[30:31], v3, s20, v[4:5]
	;; [unrolled: 1-line block ×3, first 2 shown]
.LBB141_20:
	s_waitcnt lgkmcnt(0)
	global_load_ushort v1, v4, s[2:3]
	global_load_ushort v3, v2, s[18:19]
	s_cmp_lt_i32 s41, 1
	s_mov_b64 s[30:31], 0
	s_waitcnt vmcnt(1)
	v_lshlrev_b32_e32 v1, 16, v1
	s_waitcnt vmcnt(0)
	v_lshlrev_b32_e32 v2, 16, v3
	s_cbranch_scc1 .LBB141_24
; %bb.21:
	s_cmp_gt_i32 s41, 1
	s_cbranch_scc0 .LBB141_25
; %bb.22:
	s_cmp_eq_u32 s41, 2
	s_cbranch_scc0 .LBB141_26
; %bb.23:
	v_cmp_le_f32_e64 s[34:35], v1, v2
	s_mov_b64 s[36:37], 0
	s_branch .LBB141_27
.LBB141_24:
                                        ; implicit-def: $sgpr34_sgpr35
	s_mov_b64 s[36:37], 0
	s_cbranch_execnz .LBB141_30
	s_branch .LBB141_31
.LBB141_25:
	s_mov_b64 s[36:37], 0
                                        ; implicit-def: $sgpr34_sgpr35
	s_cbranch_execnz .LBB141_28
	s_branch .LBB141_29
.LBB141_26:
	s_mov_b64 s[36:37], -1
                                        ; implicit-def: $sgpr34_sgpr35
.LBB141_27:
	s_branch .LBB141_29
.LBB141_28:
	v_cmp_gt_f32_e32 vcc, v1, v2
	s_andn2_b64 s[34:35], s[34:35], exec
	s_and_b64 s[38:39], vcc, exec
	s_or_b64 s[34:35], s[34:35], s[38:39]
.LBB141_29:
	s_branch .LBB141_31
.LBB141_30:
	s_cmp_lg_u32 s41, 0
	s_mov_b64 s[30:31], -1
	s_cselect_b64 s[36:37], -1, 0
.LBB141_31:
	s_andn2_b64 vcc, exec, s[36:37]
	s_cbranch_vccz .LBB141_41
; %bb.32:
	s_andn2_b64 vcc, exec, s[30:31]
	s_cbranch_vccnz .LBB141_34
.LBB141_33:
	v_cmp_ge_f32_e32 vcc, v1, v2
	s_andn2_b64 s[30:31], s[34:35], exec
	s_and_b64 s[34:35], vcc, exec
	s_or_b64 s[34:35], s[30:31], s[34:35]
.LBB141_34:
	v_cndmask_b32_e64 v1, 0, 1, s[34:35]
	v_add_u32_e32 v21, 0x80, v21
	global_store_byte v0, v1, s[0:1]
	s_or_b64 exec, exec, s[28:29]
	v_cmp_gt_i32_e32 vcc, s43, v21
	s_and_saveexec_b64 s[28:29], vcc
	s_cbranch_execz .LBB141_3
.LBB141_35:
	s_andn2_b64 vcc, exec, s[14:15]
	s_cbranch_vccnz .LBB141_42
; %bb.36:
	s_andn2_b64 vcc, exec, s[26:27]
	s_cbranch_vccnz .LBB141_43
; %bb.37:
	s_add_i32 s30, s42, 1
	s_and_b32 s34, s30, 30
	s_add_u32 s30, s12, 0xffffffe8
	s_addc_u32 s31, s13, -1
	v_mov_b32_e32 v2, 0
	v_mov_b32_e32 v4, 0
	v_mov_b32_e32 v0, 0
	v_mov_b32_e32 v1, v21
.LBB141_38:                             ; =>This Inner Loop Header: Depth=1
	s_load_dwordx4 s[36:39], s[30:31], 0x1c
	s_load_dwordx2 s[48:49], s[30:31], 0x2c
	s_load_dwordx2 s[50:51], s[30:31], 0xec
	s_load_dwordx4 s[44:47], s[30:31], 0xdc
	s_add_u32 s30, s30, 24
	s_waitcnt lgkmcnt(0)
	v_mul_hi_u32 v3, s37, v1
	s_addc_u32 s31, s31, 0
	s_add_i32 s34, s34, -2
	s_cmp_eq_u32 s34, 0
	v_add_u32_e32 v3, v1, v3
	v_lshrrev_b32_e32 v3, s38, v3
	v_mul_lo_u32 v5, v3, s36
	v_mul_hi_u32 v6, s48, v3
	v_sub_u32_e32 v5, v1, v5
	v_add_u32_e32 v1, v3, v6
	v_lshrrev_b32_e32 v1, s49, v1
	v_mul_lo_u32 v8, v1, s39
	v_mul_lo_u32 v6, v5, s44
	;; [unrolled: 1-line block ×4, first 2 shown]
	v_sub_u32_e32 v3, v3, v8
	v_mul_lo_u32 v8, v3, s47
	v_mul_lo_u32 v9, v3, s50
	;; [unrolled: 1-line block ×3, first 2 shown]
	v_add3_u32 v0, v6, v0, v8
	v_add3_u32 v4, v7, v4, v9
	;; [unrolled: 1-line block ×3, first 2 shown]
	s_cbranch_scc0 .LBB141_38
; %bb.39:
	s_bitcmp1_b32 s42, 0
	s_cselect_b64 s[34:35], -1, 0
	s_and_b64 vcc, exec, s[34:35]
	s_cbranch_vccnz .LBB141_44
; %bb.40:
	s_load_dwordx2 s[34:35], s[30:31], 0x1c
	s_load_dword s38, s[30:31], 0x24
	s_load_dwordx2 s[36:37], s[30:31], 0xdc
	s_waitcnt lgkmcnt(0)
	v_mul_hi_u32 v3, s35, v1
	v_add_u32_e32 v3, v1, v3
	v_lshrrev_b32_e32 v3, s38, v3
	v_mul_lo_u32 v3, v3, s34
	s_load_dword s34, s[30:31], 0xe4
	v_sub_u32_e32 v3, v1, v3
	v_mad_u64_u32 v[0:1], s[30:31], v3, s36, v[0:1]
	v_mad_u64_u32 v[4:5], s[30:31], v3, s37, v[4:5]
	s_waitcnt lgkmcnt(0)
	v_mad_u64_u32 v[2:3], s[30:31], v3, s34, v[2:3]
	s_branch .LBB141_44
.LBB141_41:
	v_cmp_lt_f32_e32 vcc, v1, v2
	s_andn2_b64 s[34:35], s[34:35], exec
	s_and_b64 s[36:37], vcc, exec
	s_or_b64 s[34:35], s[34:35], s[36:37]
	s_cbranch_execz .LBB141_33
	s_branch .LBB141_34
.LBB141_42:
                                        ; implicit-def: $vgpr0
                                        ; implicit-def: $vgpr4
                                        ; implicit-def: $vgpr2
	s_branch .LBB141_45
.LBB141_43:
	v_mov_b32_e32 v0, 0
	v_mov_b32_e32 v4, 0
	v_mov_b32_e32 v2, 0
.LBB141_44:
	s_cbranch_execnz .LBB141_47
.LBB141_45:
	s_waitcnt lgkmcnt(0)
	v_mul_hi_u32 v0, s9, v21
	s_andn2_b64 vcc, exec, s[24:25]
	v_add_u32_e32 v0, v21, v0
	v_lshrrev_b32_e32 v1, s10, v0
	v_mul_lo_u32 v0, v1, s8
	v_sub_u32_e32 v2, v21, v0
	v_mul_lo_u32 v0, v2, s4
	v_mul_lo_u32 v4, v2, s5
	;; [unrolled: 1-line block ×3, first 2 shown]
	s_cbranch_vccnz .LBB141_47
; %bb.46:
	v_mul_hi_u32 v3, s22, v1
	v_add_u32_e32 v3, v1, v3
	v_lshrrev_b32_e32 v3, s23, v3
	v_mul_lo_u32 v3, v3, s11
	v_sub_u32_e32 v3, v1, v3
	v_mad_u64_u32 v[0:1], s[30:31], v3, s7, v[0:1]
	v_mad_u64_u32 v[4:5], s[30:31], v3, s20, v[4:5]
	;; [unrolled: 1-line block ×3, first 2 shown]
.LBB141_47:
	s_waitcnt lgkmcnt(0)
	global_load_ushort v1, v4, s[2:3]
	global_load_ushort v3, v2, s[18:19]
	s_cmp_lt_i32 s41, 1
	s_mov_b64 s[30:31], 0
	s_waitcnt vmcnt(1)
	v_lshlrev_b32_e32 v1, 16, v1
	s_waitcnt vmcnt(0)
	v_lshlrev_b32_e32 v2, 16, v3
	s_cbranch_scc1 .LBB141_51
; %bb.48:
	s_cmp_gt_i32 s41, 1
	s_cbranch_scc0 .LBB141_52
; %bb.49:
	s_cmp_eq_u32 s41, 2
	s_cbranch_scc0 .LBB141_423
; %bb.50:
	v_cmp_le_f32_e64 s[34:35], v1, v2
	s_mov_b64 s[36:37], 0
	s_branch .LBB141_54
.LBB141_51:
                                        ; implicit-def: $sgpr34_sgpr35
	s_mov_b64 s[36:37], 0
	s_cbranch_execnz .LBB141_55
	s_branch .LBB141_56
.LBB141_52:
	s_mov_b64 s[36:37], 0
                                        ; implicit-def: $sgpr34_sgpr35
	s_cbranch_execz .LBB141_54
; %bb.53:
	v_cmp_gt_f32_e32 vcc, v1, v2
	s_andn2_b64 s[34:35], s[34:35], exec
	s_and_b64 s[38:39], vcc, exec
	s_or_b64 s[34:35], s[34:35], s[38:39]
.LBB141_54:
	s_branch .LBB141_56
.LBB141_55:
	s_cmp_lg_u32 s41, 0
	s_mov_b64 s[30:31], -1
	s_cselect_b64 s[36:37], -1, 0
.LBB141_56:
	s_andn2_b64 vcc, exec, s[36:37]
	s_cbranch_vccz .LBB141_66
; %bb.57:
	s_andn2_b64 vcc, exec, s[30:31]
	s_cbranch_vccnz .LBB141_59
.LBB141_58:
	v_cmp_ge_f32_e32 vcc, v1, v2
	s_andn2_b64 s[30:31], s[34:35], exec
	s_and_b64 s[34:35], vcc, exec
	s_or_b64 s[34:35], s[30:31], s[34:35]
.LBB141_59:
	v_cndmask_b32_e64 v1, 0, 1, s[34:35]
	v_add_u32_e32 v21, 0x80, v21
	global_store_byte v0, v1, s[0:1]
	s_or_b64 exec, exec, s[28:29]
	v_cmp_gt_i32_e32 vcc, s43, v21
	s_and_saveexec_b64 s[28:29], vcc
	s_cbranch_execz .LBB141_4
.LBB141_60:
	s_andn2_b64 vcc, exec, s[14:15]
	s_cbranch_vccnz .LBB141_67
; %bb.61:
	s_andn2_b64 vcc, exec, s[26:27]
	s_cbranch_vccnz .LBB141_68
; %bb.62:
	s_add_i32 s30, s42, 1
	s_and_b32 s34, s30, 30
	s_add_u32 s30, s12, 0xffffffe8
	s_addc_u32 s31, s13, -1
	v_mov_b32_e32 v2, 0
	v_mov_b32_e32 v4, 0
	;; [unrolled: 1-line block ×4, first 2 shown]
.LBB141_63:                             ; =>This Inner Loop Header: Depth=1
	s_load_dwordx4 s[36:39], s[30:31], 0x1c
	s_load_dwordx2 s[48:49], s[30:31], 0x2c
	s_load_dwordx2 s[50:51], s[30:31], 0xec
	s_load_dwordx4 s[44:47], s[30:31], 0xdc
	s_add_u32 s30, s30, 24
	s_waitcnt lgkmcnt(0)
	v_mul_hi_u32 v3, s37, v1
	s_addc_u32 s31, s31, 0
	s_add_i32 s34, s34, -2
	s_cmp_eq_u32 s34, 0
	v_add_u32_e32 v3, v1, v3
	v_lshrrev_b32_e32 v3, s38, v3
	v_mul_lo_u32 v5, v3, s36
	v_mul_hi_u32 v6, s48, v3
	v_sub_u32_e32 v5, v1, v5
	v_add_u32_e32 v1, v3, v6
	v_lshrrev_b32_e32 v1, s49, v1
	v_mul_lo_u32 v8, v1, s39
	v_mul_lo_u32 v6, v5, s44
	v_mul_lo_u32 v7, v5, s45
	v_mul_lo_u32 v5, v5, s46
	v_sub_u32_e32 v3, v3, v8
	v_mul_lo_u32 v8, v3, s47
	v_mul_lo_u32 v9, v3, s50
	;; [unrolled: 1-line block ×3, first 2 shown]
	v_add3_u32 v0, v6, v0, v8
	v_add3_u32 v4, v7, v4, v9
	;; [unrolled: 1-line block ×3, first 2 shown]
	s_cbranch_scc0 .LBB141_63
; %bb.64:
	s_bitcmp1_b32 s42, 0
	s_cselect_b64 s[34:35], -1, 0
	s_and_b64 vcc, exec, s[34:35]
	s_cbranch_vccnz .LBB141_69
; %bb.65:
	s_load_dwordx2 s[34:35], s[30:31], 0x1c
	s_load_dword s38, s[30:31], 0x24
	s_load_dwordx2 s[36:37], s[30:31], 0xdc
	s_waitcnt lgkmcnt(0)
	v_mul_hi_u32 v3, s35, v1
	v_add_u32_e32 v3, v1, v3
	v_lshrrev_b32_e32 v3, s38, v3
	v_mul_lo_u32 v3, v3, s34
	s_load_dword s34, s[30:31], 0xe4
	v_sub_u32_e32 v3, v1, v3
	v_mad_u64_u32 v[0:1], s[30:31], v3, s36, v[0:1]
	v_mad_u64_u32 v[4:5], s[30:31], v3, s37, v[4:5]
	s_waitcnt lgkmcnt(0)
	v_mad_u64_u32 v[2:3], s[30:31], v3, s34, v[2:3]
	s_branch .LBB141_69
.LBB141_66:
	v_cmp_lt_f32_e32 vcc, v1, v2
	s_andn2_b64 s[34:35], s[34:35], exec
	s_and_b64 s[36:37], vcc, exec
	s_or_b64 s[34:35], s[34:35], s[36:37]
	s_cbranch_execz .LBB141_58
	s_branch .LBB141_59
.LBB141_67:
                                        ; implicit-def: $vgpr0
                                        ; implicit-def: $vgpr4
                                        ; implicit-def: $vgpr2
	s_branch .LBB141_70
.LBB141_68:
	v_mov_b32_e32 v0, 0
	v_mov_b32_e32 v4, 0
	;; [unrolled: 1-line block ×3, first 2 shown]
.LBB141_69:
	s_cbranch_execnz .LBB141_72
.LBB141_70:
	s_waitcnt lgkmcnt(0)
	v_mul_hi_u32 v0, s9, v21
	s_andn2_b64 vcc, exec, s[24:25]
	v_add_u32_e32 v0, v21, v0
	v_lshrrev_b32_e32 v1, s10, v0
	v_mul_lo_u32 v0, v1, s8
	v_sub_u32_e32 v2, v21, v0
	v_mul_lo_u32 v0, v2, s4
	v_mul_lo_u32 v4, v2, s5
	;; [unrolled: 1-line block ×3, first 2 shown]
	s_cbranch_vccnz .LBB141_72
; %bb.71:
	v_mul_hi_u32 v3, s22, v1
	v_add_u32_e32 v3, v1, v3
	v_lshrrev_b32_e32 v3, s23, v3
	v_mul_lo_u32 v3, v3, s11
	v_sub_u32_e32 v3, v1, v3
	v_mad_u64_u32 v[0:1], s[30:31], v3, s7, v[0:1]
	v_mad_u64_u32 v[4:5], s[30:31], v3, s20, v[4:5]
	;; [unrolled: 1-line block ×3, first 2 shown]
.LBB141_72:
	s_waitcnt lgkmcnt(0)
	global_load_ushort v1, v4, s[2:3]
	global_load_ushort v3, v2, s[18:19]
	s_cmp_lt_i32 s41, 1
	s_mov_b64 s[30:31], 0
	s_waitcnt vmcnt(1)
	v_lshlrev_b32_e32 v1, 16, v1
	s_waitcnt vmcnt(0)
	v_lshlrev_b32_e32 v2, 16, v3
	s_cbranch_scc1 .LBB141_76
; %bb.73:
	s_cmp_gt_i32 s41, 1
	s_cbranch_scc0 .LBB141_77
; %bb.74:
	s_cmp_eq_u32 s41, 2
	s_cbranch_scc0 .LBB141_424
; %bb.75:
	v_cmp_le_f32_e64 s[34:35], v1, v2
	s_mov_b64 s[36:37], 0
	s_branch .LBB141_79
.LBB141_76:
                                        ; implicit-def: $sgpr34_sgpr35
	s_mov_b64 s[36:37], 0
	s_cbranch_execnz .LBB141_80
	s_branch .LBB141_81
.LBB141_77:
	s_mov_b64 s[36:37], 0
                                        ; implicit-def: $sgpr34_sgpr35
	s_cbranch_execz .LBB141_79
; %bb.78:
	v_cmp_gt_f32_e32 vcc, v1, v2
	s_andn2_b64 s[34:35], s[34:35], exec
	s_and_b64 s[38:39], vcc, exec
	s_or_b64 s[34:35], s[34:35], s[38:39]
.LBB141_79:
	s_branch .LBB141_81
.LBB141_80:
	s_cmp_lg_u32 s41, 0
	s_mov_b64 s[30:31], -1
	s_cselect_b64 s[36:37], -1, 0
.LBB141_81:
	s_andn2_b64 vcc, exec, s[36:37]
	s_cbranch_vccz .LBB141_91
; %bb.82:
	s_andn2_b64 vcc, exec, s[30:31]
	s_cbranch_vccnz .LBB141_84
.LBB141_83:
	v_cmp_ge_f32_e32 vcc, v1, v2
	s_andn2_b64 s[30:31], s[34:35], exec
	s_and_b64 s[34:35], vcc, exec
	s_or_b64 s[34:35], s[30:31], s[34:35]
.LBB141_84:
	v_cndmask_b32_e64 v1, 0, 1, s[34:35]
	v_add_u32_e32 v21, 0x80, v21
	global_store_byte v0, v1, s[0:1]
	s_or_b64 exec, exec, s[28:29]
	v_cmp_gt_i32_e32 vcc, s43, v21
	s_and_saveexec_b64 s[28:29], vcc
	s_cbranch_execz .LBB141_5
.LBB141_85:
	s_andn2_b64 vcc, exec, s[14:15]
	s_cbranch_vccnz .LBB141_92
; %bb.86:
	s_andn2_b64 vcc, exec, s[26:27]
	s_cbranch_vccnz .LBB141_93
; %bb.87:
	s_add_i32 s30, s42, 1
	s_and_b32 s34, s30, 30
	s_add_u32 s30, s12, 0xffffffe8
	s_addc_u32 s31, s13, -1
	v_mov_b32_e32 v2, 0
	v_mov_b32_e32 v4, 0
	;; [unrolled: 1-line block ×4, first 2 shown]
.LBB141_88:                             ; =>This Inner Loop Header: Depth=1
	s_load_dwordx4 s[36:39], s[30:31], 0x1c
	s_load_dwordx2 s[48:49], s[30:31], 0x2c
	s_load_dwordx2 s[50:51], s[30:31], 0xec
	s_load_dwordx4 s[44:47], s[30:31], 0xdc
	s_add_u32 s30, s30, 24
	s_waitcnt lgkmcnt(0)
	v_mul_hi_u32 v3, s37, v1
	s_addc_u32 s31, s31, 0
	s_add_i32 s34, s34, -2
	s_cmp_eq_u32 s34, 0
	v_add_u32_e32 v3, v1, v3
	v_lshrrev_b32_e32 v3, s38, v3
	v_mul_lo_u32 v5, v3, s36
	v_mul_hi_u32 v6, s48, v3
	v_sub_u32_e32 v5, v1, v5
	v_add_u32_e32 v1, v3, v6
	v_lshrrev_b32_e32 v1, s49, v1
	v_mul_lo_u32 v8, v1, s39
	v_mul_lo_u32 v6, v5, s44
	;; [unrolled: 1-line block ×4, first 2 shown]
	v_sub_u32_e32 v3, v3, v8
	v_mul_lo_u32 v8, v3, s47
	v_mul_lo_u32 v9, v3, s50
	;; [unrolled: 1-line block ×3, first 2 shown]
	v_add3_u32 v0, v6, v0, v8
	v_add3_u32 v4, v7, v4, v9
	;; [unrolled: 1-line block ×3, first 2 shown]
	s_cbranch_scc0 .LBB141_88
; %bb.89:
	s_bitcmp1_b32 s42, 0
	s_cselect_b64 s[34:35], -1, 0
	s_and_b64 vcc, exec, s[34:35]
	s_cbranch_vccnz .LBB141_94
; %bb.90:
	s_load_dwordx2 s[34:35], s[30:31], 0x1c
	s_load_dword s38, s[30:31], 0x24
	s_load_dwordx2 s[36:37], s[30:31], 0xdc
	s_waitcnt lgkmcnt(0)
	v_mul_hi_u32 v3, s35, v1
	v_add_u32_e32 v3, v1, v3
	v_lshrrev_b32_e32 v3, s38, v3
	v_mul_lo_u32 v3, v3, s34
	s_load_dword s34, s[30:31], 0xe4
	v_sub_u32_e32 v3, v1, v3
	v_mad_u64_u32 v[0:1], s[30:31], v3, s36, v[0:1]
	v_mad_u64_u32 v[4:5], s[30:31], v3, s37, v[4:5]
	s_waitcnt lgkmcnt(0)
	v_mad_u64_u32 v[2:3], s[30:31], v3, s34, v[2:3]
	s_branch .LBB141_94
.LBB141_91:
	v_cmp_lt_f32_e32 vcc, v1, v2
	s_andn2_b64 s[34:35], s[34:35], exec
	s_and_b64 s[36:37], vcc, exec
	s_or_b64 s[34:35], s[34:35], s[36:37]
	s_cbranch_execz .LBB141_83
	s_branch .LBB141_84
.LBB141_92:
                                        ; implicit-def: $vgpr0
                                        ; implicit-def: $vgpr4
                                        ; implicit-def: $vgpr2
	s_branch .LBB141_95
.LBB141_93:
	v_mov_b32_e32 v0, 0
	v_mov_b32_e32 v4, 0
	;; [unrolled: 1-line block ×3, first 2 shown]
.LBB141_94:
	s_cbranch_execnz .LBB141_97
.LBB141_95:
	s_waitcnt lgkmcnt(0)
	v_mul_hi_u32 v0, s9, v21
	s_andn2_b64 vcc, exec, s[24:25]
	v_add_u32_e32 v0, v21, v0
	v_lshrrev_b32_e32 v1, s10, v0
	v_mul_lo_u32 v0, v1, s8
	v_sub_u32_e32 v2, v21, v0
	v_mul_lo_u32 v0, v2, s4
	v_mul_lo_u32 v4, v2, s5
	;; [unrolled: 1-line block ×3, first 2 shown]
	s_cbranch_vccnz .LBB141_97
; %bb.96:
	v_mul_hi_u32 v3, s22, v1
	v_add_u32_e32 v3, v1, v3
	v_lshrrev_b32_e32 v3, s23, v3
	v_mul_lo_u32 v3, v3, s11
	v_sub_u32_e32 v3, v1, v3
	v_mad_u64_u32 v[0:1], s[30:31], v3, s7, v[0:1]
	v_mad_u64_u32 v[4:5], s[30:31], v3, s20, v[4:5]
	;; [unrolled: 1-line block ×3, first 2 shown]
.LBB141_97:
	s_waitcnt lgkmcnt(0)
	global_load_ushort v1, v4, s[2:3]
	global_load_ushort v3, v2, s[18:19]
	s_cmp_lt_i32 s41, 1
	s_mov_b64 s[30:31], 0
	s_waitcnt vmcnt(1)
	v_lshlrev_b32_e32 v1, 16, v1
	s_waitcnt vmcnt(0)
	v_lshlrev_b32_e32 v2, 16, v3
	s_cbranch_scc1 .LBB141_101
; %bb.98:
	s_cmp_gt_i32 s41, 1
	s_cbranch_scc0 .LBB141_102
; %bb.99:
	s_cmp_eq_u32 s41, 2
	s_cbranch_scc0 .LBB141_425
; %bb.100:
	v_cmp_le_f32_e64 s[34:35], v1, v2
	s_mov_b64 s[36:37], 0
	s_branch .LBB141_104
.LBB141_101:
                                        ; implicit-def: $sgpr34_sgpr35
	s_mov_b64 s[36:37], 0
	s_cbranch_execnz .LBB141_105
	s_branch .LBB141_106
.LBB141_102:
	s_mov_b64 s[36:37], 0
                                        ; implicit-def: $sgpr34_sgpr35
	s_cbranch_execz .LBB141_104
; %bb.103:
	v_cmp_gt_f32_e32 vcc, v1, v2
	s_andn2_b64 s[34:35], s[34:35], exec
	s_and_b64 s[38:39], vcc, exec
	s_or_b64 s[34:35], s[34:35], s[38:39]
.LBB141_104:
	s_branch .LBB141_106
.LBB141_105:
	s_cmp_lg_u32 s41, 0
	s_mov_b64 s[30:31], -1
	s_cselect_b64 s[36:37], -1, 0
.LBB141_106:
	s_andn2_b64 vcc, exec, s[36:37]
	s_cbranch_vccz .LBB141_116
; %bb.107:
	s_andn2_b64 vcc, exec, s[30:31]
	s_cbranch_vccnz .LBB141_109
.LBB141_108:
	v_cmp_ge_f32_e32 vcc, v1, v2
	s_andn2_b64 s[30:31], s[34:35], exec
	s_and_b64 s[34:35], vcc, exec
	s_or_b64 s[34:35], s[30:31], s[34:35]
.LBB141_109:
	v_cndmask_b32_e64 v1, 0, 1, s[34:35]
	v_add_u32_e32 v21, 0x80, v21
	global_store_byte v0, v1, s[0:1]
	s_or_b64 exec, exec, s[28:29]
	v_cmp_gt_i32_e32 vcc, s43, v21
	s_and_saveexec_b64 s[28:29], vcc
	s_cbranch_execz .LBB141_6
.LBB141_110:
	s_andn2_b64 vcc, exec, s[14:15]
	s_cbranch_vccnz .LBB141_117
; %bb.111:
	s_andn2_b64 vcc, exec, s[26:27]
	s_cbranch_vccnz .LBB141_118
; %bb.112:
	s_add_i32 s30, s42, 1
	s_and_b32 s34, s30, 30
	s_add_u32 s30, s12, 0xffffffe8
	s_addc_u32 s31, s13, -1
	v_mov_b32_e32 v2, 0
	v_mov_b32_e32 v4, 0
	v_mov_b32_e32 v0, 0
	v_mov_b32_e32 v1, v21
.LBB141_113:                            ; =>This Inner Loop Header: Depth=1
	s_load_dwordx4 s[36:39], s[30:31], 0x1c
	s_load_dwordx2 s[48:49], s[30:31], 0x2c
	s_load_dwordx2 s[50:51], s[30:31], 0xec
	s_load_dwordx4 s[44:47], s[30:31], 0xdc
	s_add_u32 s30, s30, 24
	s_waitcnt lgkmcnt(0)
	v_mul_hi_u32 v3, s37, v1
	s_addc_u32 s31, s31, 0
	s_add_i32 s34, s34, -2
	s_cmp_eq_u32 s34, 0
	v_add_u32_e32 v3, v1, v3
	v_lshrrev_b32_e32 v3, s38, v3
	v_mul_lo_u32 v5, v3, s36
	v_mul_hi_u32 v6, s48, v3
	v_sub_u32_e32 v5, v1, v5
	v_add_u32_e32 v1, v3, v6
	v_lshrrev_b32_e32 v1, s49, v1
	v_mul_lo_u32 v8, v1, s39
	v_mul_lo_u32 v6, v5, s44
	;; [unrolled: 1-line block ×4, first 2 shown]
	v_sub_u32_e32 v3, v3, v8
	v_mul_lo_u32 v8, v3, s47
	v_mul_lo_u32 v9, v3, s50
	;; [unrolled: 1-line block ×3, first 2 shown]
	v_add3_u32 v0, v6, v0, v8
	v_add3_u32 v4, v7, v4, v9
	;; [unrolled: 1-line block ×3, first 2 shown]
	s_cbranch_scc0 .LBB141_113
; %bb.114:
	s_bitcmp1_b32 s42, 0
	s_cselect_b64 s[34:35], -1, 0
	s_and_b64 vcc, exec, s[34:35]
	s_cbranch_vccnz .LBB141_119
; %bb.115:
	s_load_dwordx2 s[34:35], s[30:31], 0x1c
	s_load_dword s38, s[30:31], 0x24
	s_load_dwordx2 s[36:37], s[30:31], 0xdc
	s_waitcnt lgkmcnt(0)
	v_mul_hi_u32 v3, s35, v1
	v_add_u32_e32 v3, v1, v3
	v_lshrrev_b32_e32 v3, s38, v3
	v_mul_lo_u32 v3, v3, s34
	s_load_dword s34, s[30:31], 0xe4
	v_sub_u32_e32 v3, v1, v3
	v_mad_u64_u32 v[0:1], s[30:31], v3, s36, v[0:1]
	v_mad_u64_u32 v[4:5], s[30:31], v3, s37, v[4:5]
	s_waitcnt lgkmcnt(0)
	v_mad_u64_u32 v[2:3], s[30:31], v3, s34, v[2:3]
	s_branch .LBB141_119
.LBB141_116:
	v_cmp_lt_f32_e32 vcc, v1, v2
	s_andn2_b64 s[34:35], s[34:35], exec
	s_and_b64 s[36:37], vcc, exec
	s_or_b64 s[34:35], s[34:35], s[36:37]
	s_cbranch_execz .LBB141_108
	s_branch .LBB141_109
.LBB141_117:
                                        ; implicit-def: $vgpr0
                                        ; implicit-def: $vgpr4
                                        ; implicit-def: $vgpr2
	s_branch .LBB141_120
.LBB141_118:
	v_mov_b32_e32 v0, 0
	v_mov_b32_e32 v4, 0
	;; [unrolled: 1-line block ×3, first 2 shown]
.LBB141_119:
	s_cbranch_execnz .LBB141_122
.LBB141_120:
	s_waitcnt lgkmcnt(0)
	v_mul_hi_u32 v0, s9, v21
	s_andn2_b64 vcc, exec, s[24:25]
	v_add_u32_e32 v0, v21, v0
	v_lshrrev_b32_e32 v1, s10, v0
	v_mul_lo_u32 v0, v1, s8
	v_sub_u32_e32 v2, v21, v0
	v_mul_lo_u32 v0, v2, s4
	v_mul_lo_u32 v4, v2, s5
	;; [unrolled: 1-line block ×3, first 2 shown]
	s_cbranch_vccnz .LBB141_122
; %bb.121:
	v_mul_hi_u32 v3, s22, v1
	v_add_u32_e32 v3, v1, v3
	v_lshrrev_b32_e32 v3, s23, v3
	v_mul_lo_u32 v3, v3, s11
	v_sub_u32_e32 v3, v1, v3
	v_mad_u64_u32 v[0:1], s[30:31], v3, s7, v[0:1]
	v_mad_u64_u32 v[4:5], s[30:31], v3, s20, v[4:5]
	;; [unrolled: 1-line block ×3, first 2 shown]
.LBB141_122:
	s_waitcnt lgkmcnt(0)
	global_load_ushort v1, v4, s[2:3]
	global_load_ushort v3, v2, s[18:19]
	s_cmp_lt_i32 s41, 1
	s_mov_b64 s[30:31], 0
	s_waitcnt vmcnt(1)
	v_lshlrev_b32_e32 v1, 16, v1
	s_waitcnt vmcnt(0)
	v_lshlrev_b32_e32 v2, 16, v3
	s_cbranch_scc1 .LBB141_126
; %bb.123:
	s_cmp_gt_i32 s41, 1
	s_cbranch_scc0 .LBB141_127
; %bb.124:
	s_cmp_eq_u32 s41, 2
	s_cbranch_scc0 .LBB141_426
; %bb.125:
	v_cmp_le_f32_e64 s[34:35], v1, v2
	s_mov_b64 s[36:37], 0
	s_branch .LBB141_129
.LBB141_126:
                                        ; implicit-def: $sgpr34_sgpr35
	s_mov_b64 s[36:37], 0
	s_cbranch_execnz .LBB141_130
	s_branch .LBB141_131
.LBB141_127:
	s_mov_b64 s[36:37], 0
                                        ; implicit-def: $sgpr34_sgpr35
	s_cbranch_execz .LBB141_129
; %bb.128:
	v_cmp_gt_f32_e32 vcc, v1, v2
	s_andn2_b64 s[34:35], s[34:35], exec
	s_and_b64 s[38:39], vcc, exec
	s_or_b64 s[34:35], s[34:35], s[38:39]
.LBB141_129:
	s_branch .LBB141_131
.LBB141_130:
	s_cmp_lg_u32 s41, 0
	s_mov_b64 s[30:31], -1
	s_cselect_b64 s[36:37], -1, 0
.LBB141_131:
	s_andn2_b64 vcc, exec, s[36:37]
	s_cbranch_vccz .LBB141_141
; %bb.132:
	s_andn2_b64 vcc, exec, s[30:31]
	s_cbranch_vccnz .LBB141_134
.LBB141_133:
	v_cmp_ge_f32_e32 vcc, v1, v2
	s_andn2_b64 s[30:31], s[34:35], exec
	s_and_b64 s[34:35], vcc, exec
	s_or_b64 s[34:35], s[30:31], s[34:35]
.LBB141_134:
	v_cndmask_b32_e64 v1, 0, 1, s[34:35]
	v_add_u32_e32 v21, 0x80, v21
	global_store_byte v0, v1, s[0:1]
	s_or_b64 exec, exec, s[28:29]
	v_cmp_gt_i32_e32 vcc, s43, v21
	s_and_saveexec_b64 s[28:29], vcc
	s_cbranch_execz .LBB141_7
.LBB141_135:
	s_andn2_b64 vcc, exec, s[14:15]
	s_cbranch_vccnz .LBB141_142
; %bb.136:
	s_andn2_b64 vcc, exec, s[26:27]
	s_cbranch_vccnz .LBB141_143
; %bb.137:
	s_add_i32 s30, s42, 1
	s_and_b32 s34, s30, 30
	s_add_u32 s30, s12, 0xffffffe8
	s_addc_u32 s31, s13, -1
	v_mov_b32_e32 v2, 0
	v_mov_b32_e32 v4, 0
	;; [unrolled: 1-line block ×4, first 2 shown]
.LBB141_138:                            ; =>This Inner Loop Header: Depth=1
	s_load_dwordx4 s[36:39], s[30:31], 0x1c
	s_load_dwordx2 s[48:49], s[30:31], 0x2c
	s_load_dwordx2 s[50:51], s[30:31], 0xec
	s_load_dwordx4 s[44:47], s[30:31], 0xdc
	s_add_u32 s30, s30, 24
	s_waitcnt lgkmcnt(0)
	v_mul_hi_u32 v3, s37, v1
	s_addc_u32 s31, s31, 0
	s_add_i32 s34, s34, -2
	s_cmp_eq_u32 s34, 0
	v_add_u32_e32 v3, v1, v3
	v_lshrrev_b32_e32 v3, s38, v3
	v_mul_lo_u32 v5, v3, s36
	v_mul_hi_u32 v6, s48, v3
	v_sub_u32_e32 v5, v1, v5
	v_add_u32_e32 v1, v3, v6
	v_lshrrev_b32_e32 v1, s49, v1
	v_mul_lo_u32 v8, v1, s39
	v_mul_lo_u32 v6, v5, s44
	;; [unrolled: 1-line block ×4, first 2 shown]
	v_sub_u32_e32 v3, v3, v8
	v_mul_lo_u32 v8, v3, s47
	v_mul_lo_u32 v9, v3, s50
	;; [unrolled: 1-line block ×3, first 2 shown]
	v_add3_u32 v0, v6, v0, v8
	v_add3_u32 v4, v7, v4, v9
	;; [unrolled: 1-line block ×3, first 2 shown]
	s_cbranch_scc0 .LBB141_138
; %bb.139:
	s_bitcmp1_b32 s42, 0
	s_cselect_b64 s[34:35], -1, 0
	s_and_b64 vcc, exec, s[34:35]
	s_cbranch_vccnz .LBB141_144
; %bb.140:
	s_load_dwordx2 s[34:35], s[30:31], 0x1c
	s_load_dword s38, s[30:31], 0x24
	s_load_dwordx2 s[36:37], s[30:31], 0xdc
	s_waitcnt lgkmcnt(0)
	v_mul_hi_u32 v3, s35, v1
	v_add_u32_e32 v3, v1, v3
	v_lshrrev_b32_e32 v3, s38, v3
	v_mul_lo_u32 v3, v3, s34
	s_load_dword s34, s[30:31], 0xe4
	v_sub_u32_e32 v3, v1, v3
	v_mad_u64_u32 v[0:1], s[30:31], v3, s36, v[0:1]
	v_mad_u64_u32 v[4:5], s[30:31], v3, s37, v[4:5]
	s_waitcnt lgkmcnt(0)
	v_mad_u64_u32 v[2:3], s[30:31], v3, s34, v[2:3]
	s_branch .LBB141_144
.LBB141_141:
	v_cmp_lt_f32_e32 vcc, v1, v2
	s_andn2_b64 s[34:35], s[34:35], exec
	s_and_b64 s[36:37], vcc, exec
	s_or_b64 s[34:35], s[34:35], s[36:37]
	s_cbranch_execz .LBB141_133
	s_branch .LBB141_134
.LBB141_142:
                                        ; implicit-def: $vgpr0
                                        ; implicit-def: $vgpr4
                                        ; implicit-def: $vgpr2
	s_branch .LBB141_145
.LBB141_143:
	v_mov_b32_e32 v0, 0
	v_mov_b32_e32 v4, 0
	;; [unrolled: 1-line block ×3, first 2 shown]
.LBB141_144:
	s_cbranch_execnz .LBB141_147
.LBB141_145:
	s_waitcnt lgkmcnt(0)
	v_mul_hi_u32 v0, s9, v21
	s_andn2_b64 vcc, exec, s[24:25]
	v_add_u32_e32 v0, v21, v0
	v_lshrrev_b32_e32 v1, s10, v0
	v_mul_lo_u32 v0, v1, s8
	v_sub_u32_e32 v2, v21, v0
	v_mul_lo_u32 v0, v2, s4
	v_mul_lo_u32 v4, v2, s5
	;; [unrolled: 1-line block ×3, first 2 shown]
	s_cbranch_vccnz .LBB141_147
; %bb.146:
	v_mul_hi_u32 v3, s22, v1
	v_add_u32_e32 v3, v1, v3
	v_lshrrev_b32_e32 v3, s23, v3
	v_mul_lo_u32 v3, v3, s11
	v_sub_u32_e32 v3, v1, v3
	v_mad_u64_u32 v[0:1], s[30:31], v3, s7, v[0:1]
	v_mad_u64_u32 v[4:5], s[30:31], v3, s20, v[4:5]
	;; [unrolled: 1-line block ×3, first 2 shown]
.LBB141_147:
	s_waitcnt lgkmcnt(0)
	global_load_ushort v1, v4, s[2:3]
	global_load_ushort v3, v2, s[18:19]
	s_cmp_lt_i32 s41, 1
	s_mov_b64 s[30:31], 0
	s_waitcnt vmcnt(1)
	v_lshlrev_b32_e32 v1, 16, v1
	s_waitcnt vmcnt(0)
	v_lshlrev_b32_e32 v2, 16, v3
	s_cbranch_scc1 .LBB141_151
; %bb.148:
	s_cmp_gt_i32 s41, 1
	s_cbranch_scc0 .LBB141_152
; %bb.149:
	s_cmp_eq_u32 s41, 2
	s_cbranch_scc0 .LBB141_427
; %bb.150:
	v_cmp_le_f32_e64 s[34:35], v1, v2
	s_mov_b64 s[36:37], 0
	s_branch .LBB141_154
.LBB141_151:
                                        ; implicit-def: $sgpr34_sgpr35
	s_mov_b64 s[36:37], 0
	s_cbranch_execnz .LBB141_155
	s_branch .LBB141_156
.LBB141_152:
	s_mov_b64 s[36:37], 0
                                        ; implicit-def: $sgpr34_sgpr35
	s_cbranch_execz .LBB141_154
; %bb.153:
	v_cmp_gt_f32_e32 vcc, v1, v2
	s_andn2_b64 s[34:35], s[34:35], exec
	s_and_b64 s[38:39], vcc, exec
	s_or_b64 s[34:35], s[34:35], s[38:39]
.LBB141_154:
	s_branch .LBB141_156
.LBB141_155:
	s_cmp_lg_u32 s41, 0
	s_mov_b64 s[30:31], -1
	s_cselect_b64 s[36:37], -1, 0
.LBB141_156:
	s_andn2_b64 vcc, exec, s[36:37]
	s_cbranch_vccz .LBB141_166
; %bb.157:
	s_andn2_b64 vcc, exec, s[30:31]
	s_cbranch_vccnz .LBB141_159
.LBB141_158:
	v_cmp_ge_f32_e32 vcc, v1, v2
	s_andn2_b64 s[30:31], s[34:35], exec
	s_and_b64 s[34:35], vcc, exec
	s_or_b64 s[34:35], s[30:31], s[34:35]
.LBB141_159:
	v_cndmask_b32_e64 v1, 0, 1, s[34:35]
	v_add_u32_e32 v21, 0x80, v21
	global_store_byte v0, v1, s[0:1]
	s_or_b64 exec, exec, s[28:29]
	v_cmp_gt_i32_e32 vcc, s43, v21
	s_and_saveexec_b64 s[28:29], vcc
	s_cbranch_execz .LBB141_8
.LBB141_160:
	s_andn2_b64 vcc, exec, s[14:15]
	s_cbranch_vccnz .LBB141_167
; %bb.161:
	s_andn2_b64 vcc, exec, s[26:27]
	s_cbranch_vccnz .LBB141_168
; %bb.162:
	s_add_i32 s30, s42, 1
	s_and_b32 s34, s30, 30
	s_add_u32 s30, s12, 0xffffffe8
	s_addc_u32 s31, s13, -1
	v_mov_b32_e32 v2, 0
	v_mov_b32_e32 v4, 0
	;; [unrolled: 1-line block ×4, first 2 shown]
.LBB141_163:                            ; =>This Inner Loop Header: Depth=1
	s_load_dwordx4 s[36:39], s[30:31], 0x1c
	s_load_dwordx2 s[48:49], s[30:31], 0x2c
	s_load_dwordx2 s[50:51], s[30:31], 0xec
	s_load_dwordx4 s[44:47], s[30:31], 0xdc
	s_add_u32 s30, s30, 24
	s_waitcnt lgkmcnt(0)
	v_mul_hi_u32 v3, s37, v1
	s_addc_u32 s31, s31, 0
	s_add_i32 s34, s34, -2
	s_cmp_eq_u32 s34, 0
	v_add_u32_e32 v3, v1, v3
	v_lshrrev_b32_e32 v3, s38, v3
	v_mul_lo_u32 v5, v3, s36
	v_mul_hi_u32 v6, s48, v3
	v_sub_u32_e32 v5, v1, v5
	v_add_u32_e32 v1, v3, v6
	v_lshrrev_b32_e32 v1, s49, v1
	v_mul_lo_u32 v8, v1, s39
	v_mul_lo_u32 v6, v5, s44
	v_mul_lo_u32 v7, v5, s45
	v_mul_lo_u32 v5, v5, s46
	v_sub_u32_e32 v3, v3, v8
	v_mul_lo_u32 v8, v3, s47
	v_mul_lo_u32 v9, v3, s50
	;; [unrolled: 1-line block ×3, first 2 shown]
	v_add3_u32 v0, v6, v0, v8
	v_add3_u32 v4, v7, v4, v9
	;; [unrolled: 1-line block ×3, first 2 shown]
	s_cbranch_scc0 .LBB141_163
; %bb.164:
	s_bitcmp1_b32 s42, 0
	s_cselect_b64 s[34:35], -1, 0
	s_and_b64 vcc, exec, s[34:35]
	s_cbranch_vccnz .LBB141_169
; %bb.165:
	s_load_dwordx2 s[34:35], s[30:31], 0x1c
	s_load_dword s38, s[30:31], 0x24
	s_load_dwordx2 s[36:37], s[30:31], 0xdc
	s_waitcnt lgkmcnt(0)
	v_mul_hi_u32 v3, s35, v1
	v_add_u32_e32 v3, v1, v3
	v_lshrrev_b32_e32 v3, s38, v3
	v_mul_lo_u32 v3, v3, s34
	s_load_dword s34, s[30:31], 0xe4
	v_sub_u32_e32 v3, v1, v3
	v_mad_u64_u32 v[0:1], s[30:31], v3, s36, v[0:1]
	v_mad_u64_u32 v[4:5], s[30:31], v3, s37, v[4:5]
	s_waitcnt lgkmcnt(0)
	v_mad_u64_u32 v[2:3], s[30:31], v3, s34, v[2:3]
	s_branch .LBB141_169
.LBB141_166:
	v_cmp_lt_f32_e32 vcc, v1, v2
	s_andn2_b64 s[34:35], s[34:35], exec
	s_and_b64 s[36:37], vcc, exec
	s_or_b64 s[34:35], s[34:35], s[36:37]
	s_cbranch_execz .LBB141_158
	s_branch .LBB141_159
.LBB141_167:
                                        ; implicit-def: $vgpr0
                                        ; implicit-def: $vgpr4
                                        ; implicit-def: $vgpr2
	s_branch .LBB141_170
.LBB141_168:
	v_mov_b32_e32 v0, 0
	v_mov_b32_e32 v4, 0
	v_mov_b32_e32 v2, 0
.LBB141_169:
	s_cbranch_execnz .LBB141_172
.LBB141_170:
	s_waitcnt lgkmcnt(0)
	v_mul_hi_u32 v0, s9, v21
	s_andn2_b64 vcc, exec, s[24:25]
	v_add_u32_e32 v0, v21, v0
	v_lshrrev_b32_e32 v1, s10, v0
	v_mul_lo_u32 v0, v1, s8
	v_sub_u32_e32 v2, v21, v0
	v_mul_lo_u32 v0, v2, s4
	v_mul_lo_u32 v4, v2, s5
	;; [unrolled: 1-line block ×3, first 2 shown]
	s_cbranch_vccnz .LBB141_172
; %bb.171:
	v_mul_hi_u32 v3, s22, v1
	v_add_u32_e32 v3, v1, v3
	v_lshrrev_b32_e32 v3, s23, v3
	v_mul_lo_u32 v3, v3, s11
	v_sub_u32_e32 v3, v1, v3
	v_mad_u64_u32 v[0:1], s[30:31], v3, s7, v[0:1]
	v_mad_u64_u32 v[4:5], s[30:31], v3, s20, v[4:5]
	;; [unrolled: 1-line block ×3, first 2 shown]
.LBB141_172:
	s_waitcnt lgkmcnt(0)
	global_load_ushort v1, v4, s[2:3]
	global_load_ushort v3, v2, s[18:19]
	s_cmp_lt_i32 s41, 1
	s_mov_b64 s[30:31], 0
	s_waitcnt vmcnt(1)
	v_lshlrev_b32_e32 v1, 16, v1
	s_waitcnt vmcnt(0)
	v_lshlrev_b32_e32 v2, 16, v3
	s_cbranch_scc1 .LBB141_176
; %bb.173:
	s_cmp_gt_i32 s41, 1
	s_cbranch_scc0 .LBB141_177
; %bb.174:
	s_cmp_eq_u32 s41, 2
	s_cbranch_scc0 .LBB141_428
; %bb.175:
	v_cmp_le_f32_e64 s[34:35], v1, v2
	s_mov_b64 s[36:37], 0
	s_branch .LBB141_179
.LBB141_176:
                                        ; implicit-def: $sgpr34_sgpr35
	s_mov_b64 s[36:37], 0
	s_cbranch_execnz .LBB141_180
	s_branch .LBB141_181
.LBB141_177:
	s_mov_b64 s[36:37], 0
                                        ; implicit-def: $sgpr34_sgpr35
	s_cbranch_execz .LBB141_179
; %bb.178:
	v_cmp_gt_f32_e32 vcc, v1, v2
	s_andn2_b64 s[34:35], s[34:35], exec
	s_and_b64 s[38:39], vcc, exec
	s_or_b64 s[34:35], s[34:35], s[38:39]
.LBB141_179:
	s_branch .LBB141_181
.LBB141_180:
	s_cmp_lg_u32 s41, 0
	s_mov_b64 s[30:31], -1
	s_cselect_b64 s[36:37], -1, 0
.LBB141_181:
	s_andn2_b64 vcc, exec, s[36:37]
	s_cbranch_vccz .LBB141_191
; %bb.182:
	s_andn2_b64 vcc, exec, s[30:31]
	s_cbranch_vccnz .LBB141_184
.LBB141_183:
	v_cmp_ge_f32_e32 vcc, v1, v2
	s_andn2_b64 s[30:31], s[34:35], exec
	s_and_b64 s[34:35], vcc, exec
	s_or_b64 s[34:35], s[30:31], s[34:35]
.LBB141_184:
	v_cndmask_b32_e64 v1, 0, 1, s[34:35]
	v_add_u32_e32 v21, 0x80, v21
	global_store_byte v0, v1, s[0:1]
	s_or_b64 exec, exec, s[28:29]
	v_cmp_gt_i32_e32 vcc, s43, v21
	s_and_saveexec_b64 s[28:29], vcc
	s_cbranch_execz .LBB141_210
.LBB141_185:
	s_andn2_b64 vcc, exec, s[14:15]
	s_cbranch_vccnz .LBB141_192
; %bb.186:
	s_andn2_b64 vcc, exec, s[26:27]
	s_cbranch_vccnz .LBB141_193
; %bb.187:
	s_add_i32 s26, s42, 1
	s_and_b32 s30, s26, 30
	s_add_u32 s26, s12, 0xffffffe8
	s_addc_u32 s27, s13, -1
	v_mov_b32_e32 v2, 0
	v_mov_b32_e32 v4, 0
	;; [unrolled: 1-line block ×4, first 2 shown]
.LBB141_188:                            ; =>This Inner Loop Header: Depth=1
	s_load_dwordx4 s[36:39], s[26:27], 0x1c
	s_load_dwordx2 s[34:35], s[26:27], 0x2c
	s_load_dwordx2 s[48:49], s[26:27], 0xec
	s_load_dwordx4 s[44:47], s[26:27], 0xdc
	s_add_u32 s26, s26, 24
	s_waitcnt lgkmcnt(0)
	v_mul_hi_u32 v3, s37, v1
	s_addc_u32 s27, s27, 0
	s_add_i32 s30, s30, -2
	s_cmp_eq_u32 s30, 0
	v_add_u32_e32 v3, v1, v3
	v_lshrrev_b32_e32 v3, s38, v3
	v_mul_lo_u32 v5, v3, s36
	v_mul_hi_u32 v6, s34, v3
	v_sub_u32_e32 v5, v1, v5
	v_add_u32_e32 v1, v3, v6
	v_lshrrev_b32_e32 v1, s35, v1
	v_mul_lo_u32 v8, v1, s39
	v_mul_lo_u32 v6, v5, s44
	;; [unrolled: 1-line block ×4, first 2 shown]
	v_sub_u32_e32 v3, v3, v8
	v_mul_lo_u32 v8, v3, s47
	v_mul_lo_u32 v9, v3, s48
	;; [unrolled: 1-line block ×3, first 2 shown]
	v_add3_u32 v0, v6, v0, v8
	v_add3_u32 v4, v7, v4, v9
	;; [unrolled: 1-line block ×3, first 2 shown]
	s_cbranch_scc0 .LBB141_188
; %bb.189:
	s_bitcmp1_b32 s42, 0
	s_cselect_b64 s[30:31], -1, 0
	s_and_b64 vcc, exec, s[30:31]
	s_cbranch_vccnz .LBB141_194
; %bb.190:
	s_load_dwordx2 s[30:31], s[26:27], 0x1c
	s_load_dword s36, s[26:27], 0x24
	s_load_dwordx2 s[34:35], s[26:27], 0xdc
	s_waitcnt lgkmcnt(0)
	v_mul_hi_u32 v3, s31, v1
	v_add_u32_e32 v3, v1, v3
	v_lshrrev_b32_e32 v3, s36, v3
	v_mul_lo_u32 v3, v3, s30
	s_load_dword s30, s[26:27], 0xe4
	v_sub_u32_e32 v3, v1, v3
	v_mad_u64_u32 v[0:1], s[26:27], v3, s34, v[0:1]
	v_mad_u64_u32 v[4:5], s[26:27], v3, s35, v[4:5]
	s_waitcnt lgkmcnt(0)
	v_mad_u64_u32 v[2:3], s[26:27], v3, s30, v[2:3]
	s_branch .LBB141_194
.LBB141_191:
	v_cmp_lt_f32_e32 vcc, v1, v2
	s_andn2_b64 s[34:35], s[34:35], exec
	s_and_b64 s[36:37], vcc, exec
	s_or_b64 s[34:35], s[34:35], s[36:37]
	s_cbranch_execz .LBB141_183
	s_branch .LBB141_184
.LBB141_192:
                                        ; implicit-def: $vgpr0
                                        ; implicit-def: $vgpr4
                                        ; implicit-def: $vgpr2
	s_branch .LBB141_195
.LBB141_193:
	v_mov_b32_e32 v0, 0
	v_mov_b32_e32 v4, 0
	;; [unrolled: 1-line block ×3, first 2 shown]
.LBB141_194:
	s_cbranch_execnz .LBB141_197
.LBB141_195:
	s_waitcnt lgkmcnt(0)
	v_mul_hi_u32 v0, s9, v21
	s_andn2_b64 vcc, exec, s[24:25]
	v_add_u32_e32 v0, v21, v0
	v_lshrrev_b32_e32 v1, s10, v0
	v_mul_lo_u32 v0, v1, s8
	v_sub_u32_e32 v2, v21, v0
	v_mul_lo_u32 v0, v2, s4
	v_mul_lo_u32 v4, v2, s5
	;; [unrolled: 1-line block ×3, first 2 shown]
	s_cbranch_vccnz .LBB141_197
; %bb.196:
	v_mul_hi_u32 v3, s22, v1
	v_add_u32_e32 v3, v1, v3
	v_lshrrev_b32_e32 v3, s23, v3
	v_mul_lo_u32 v3, v3, s11
	v_sub_u32_e32 v3, v1, v3
	v_mad_u64_u32 v[0:1], s[4:5], v3, s7, v[0:1]
	v_mad_u64_u32 v[4:5], s[4:5], v3, s20, v[4:5]
	;; [unrolled: 1-line block ×3, first 2 shown]
.LBB141_197:
	s_waitcnt lgkmcnt(0)
	global_load_ushort v1, v4, s[2:3]
	global_load_ushort v3, v2, s[18:19]
	s_cmp_lt_i32 s41, 1
	s_mov_b64 s[2:3], 0
	s_waitcnt vmcnt(1)
	v_lshlrev_b32_e32 v1, 16, v1
	s_waitcnt vmcnt(0)
	v_lshlrev_b32_e32 v2, 16, v3
	s_cbranch_scc1 .LBB141_201
; %bb.198:
	s_cmp_gt_i32 s41, 1
	s_cbranch_scc0 .LBB141_202
; %bb.199:
	s_cmp_eq_u32 s41, 2
	s_cbranch_scc0 .LBB141_429
; %bb.200:
	v_cmp_le_f32_e64 s[4:5], v1, v2
	s_mov_b64 s[6:7], 0
	s_branch .LBB141_204
.LBB141_201:
                                        ; implicit-def: $sgpr4_sgpr5
	s_mov_b64 s[6:7], 0
	s_cbranch_execnz .LBB141_205
	s_branch .LBB141_206
.LBB141_202:
	s_mov_b64 s[6:7], 0
                                        ; implicit-def: $sgpr4_sgpr5
	s_cbranch_execz .LBB141_204
; %bb.203:
	v_cmp_gt_f32_e32 vcc, v1, v2
	s_andn2_b64 s[4:5], s[4:5], exec
	s_and_b64 s[8:9], vcc, exec
	s_or_b64 s[4:5], s[4:5], s[8:9]
.LBB141_204:
	s_branch .LBB141_206
.LBB141_205:
	s_cmp_lg_u32 s41, 0
	s_mov_b64 s[2:3], -1
	s_cselect_b64 s[6:7], -1, 0
.LBB141_206:
	s_andn2_b64 vcc, exec, s[6:7]
	s_cbranch_vccz .LBB141_220
; %bb.207:
	s_andn2_b64 vcc, exec, s[2:3]
	s_cbranch_vccnz .LBB141_209
.LBB141_208:
	v_cmp_ge_f32_e32 vcc, v1, v2
	s_andn2_b64 s[2:3], s[4:5], exec
	s_and_b64 s[4:5], vcc, exec
	s_or_b64 s[4:5], s[2:3], s[4:5]
.LBB141_209:
	v_cndmask_b32_e64 v1, 0, 1, s[4:5]
	global_store_byte v0, v1, s[0:1]
.LBB141_210:
	s_or_b64 exec, exec, s[28:29]
                                        ; implicit-def: $vgpr37
                                        ; implicit-def: $vgpr21
.LBB141_211:
	s_waitcnt lgkmcnt(0)
	s_andn2_saveexec_b64 s[0:1], s[16:17]
	s_cbranch_execz .LBB141_218
; %bb.212:
	v_cndmask_b32_e64 v0, 0, 1, s[14:15]
	v_cmp_ne_u32_e64 s[0:1], 1, v0
	s_andn2_b64 vcc, exec, s[14:15]
	s_cbranch_vccnz .LBB141_219
; %bb.213:
	s_cmp_lg_u32 s33, 0
	s_cbranch_scc0 .LBB141_221
; %bb.214:
	s_min_u32 s4, s40, 15
	s_add_i32 s2, s4, 1
	s_and_b32 s5, s2, 30
	s_add_u32 s2, s12, 0xffffffe8
	s_addc_u32 s3, s13, -1
	v_mov_b32_e32 v6, 0
	v_mov_b32_e32 v8, 0
	;; [unrolled: 1-line block ×4, first 2 shown]
.LBB141_215:                            ; =>This Inner Loop Header: Depth=1
	s_load_dwordx4 s[8:11], s[2:3], 0x1c
	s_load_dwordx2 s[6:7], s[2:3], 0x2c
	s_load_dwordx2 s[14:15], s[2:3], 0xec
	s_load_dwordx4 s[16:19], s[2:3], 0xdc
	s_add_u32 s2, s2, 24
	s_waitcnt lgkmcnt(0)
	v_mul_hi_u32 v2, s9, v1
	s_addc_u32 s3, s3, 0
	s_add_i32 s5, s5, -2
	s_cmp_lg_u32 s5, 0
	v_add_u32_e32 v2, v1, v2
	v_lshrrev_b32_e32 v2, s10, v2
	v_mul_lo_u32 v3, v2, s8
	v_mul_hi_u32 v4, s6, v2
	v_sub_u32_e32 v3, v1, v3
	v_add_u32_e32 v1, v2, v4
	v_lshrrev_b32_e32 v1, s7, v1
	v_mul_lo_u32 v7, v1, s11
	v_mul_lo_u32 v4, v3, s16
	;; [unrolled: 1-line block ×4, first 2 shown]
	v_sub_u32_e32 v2, v2, v7
	v_mul_lo_u32 v7, v2, s19
	v_mul_lo_u32 v9, v2, s14
	;; [unrolled: 1-line block ×3, first 2 shown]
	v_add3_u32 v0, v4, v0, v7
	v_add3_u32 v8, v5, v8, v9
	;; [unrolled: 1-line block ×3, first 2 shown]
	s_cbranch_scc1 .LBB141_215
; %bb.216:
	s_bitcmp1_b32 s4, 0
	s_cselect_b64 s[4:5], -1, 0
	s_and_b64 vcc, exec, s[4:5]
	s_cbranch_vccnz .LBB141_222
; %bb.217:
	s_load_dwordx2 s[4:5], s[2:3], 0x1c
	s_load_dword s8, s[2:3], 0x24
	s_load_dwordx2 s[6:7], s[2:3], 0xdc
	s_waitcnt lgkmcnt(0)
	v_mul_hi_u32 v2, s5, v1
	v_add_u32_e32 v2, v1, v2
	v_lshrrev_b32_e32 v2, s8, v2
	v_mul_lo_u32 v2, v2, s4
	s_load_dword s4, s[2:3], 0xe4
	v_sub_u32_e32 v2, v1, v2
	v_mad_u64_u32 v[0:1], s[2:3], v2, s6, v[0:1]
	v_mad_u64_u32 v[8:9], s[2:3], v2, s7, v[8:9]
	s_waitcnt lgkmcnt(0)
	v_mad_u64_u32 v[6:7], s[2:3], v2, s4, v[6:7]
	s_cbranch_execz .LBB141_223
	s_branch .LBB141_225
.LBB141_218:
	s_endpgm
.LBB141_219:
                                        ; implicit-def: $vgpr0
                                        ; implicit-def: $vgpr8
                                        ; implicit-def: $vgpr6
	s_branch .LBB141_223
.LBB141_220:
	v_cmp_lt_f32_e32 vcc, v1, v2
	s_andn2_b64 s[4:5], s[4:5], exec
	s_and_b64 s[6:7], vcc, exec
	s_or_b64 s[4:5], s[4:5], s[6:7]
	s_cbranch_execz .LBB141_208
	s_branch .LBB141_209
.LBB141_221:
	v_mov_b32_e32 v0, 0
	v_mov_b32_e32 v8, 0
	;; [unrolled: 1-line block ×3, first 2 shown]
.LBB141_222:
	s_cbranch_execnz .LBB141_225
.LBB141_223:
	s_load_dwordx4 s[4:7], s[12:13], 0x4
	s_load_dwordx4 s[8:11], s[12:13], 0xc4
	s_cmp_lt_u32 s33, 2
	s_waitcnt lgkmcnt(0)
	v_mul_hi_u32 v0, s5, v21
	v_add_u32_e32 v0, v21, v0
	v_lshrrev_b32_e32 v1, s6, v0
	v_mul_lo_u32 v0, v1, s4
	v_sub_u32_e32 v2, v21, v0
	v_mul_lo_u32 v0, v2, s8
	v_mul_lo_u32 v8, v2, s9
	;; [unrolled: 1-line block ×3, first 2 shown]
	s_cbranch_scc1 .LBB141_225
; %bb.224:
	s_load_dwordx4 s[4:7], s[12:13], 0x10
	s_load_dwordx4 s[8:11], s[12:13], 0xd0
	s_waitcnt lgkmcnt(0)
	v_mul_hi_u32 v2, s5, v1
	v_add_u32_e32 v2, v1, v2
	v_lshrrev_b32_e32 v2, s6, v2
	v_mul_lo_u32 v2, v2, s4
	v_sub_u32_e32 v2, v1, v2
	v_mad_u64_u32 v[0:1], s[2:3], v2, s8, v[0:1]
	v_mad_u64_u32 v[8:9], s[2:3], v2, s9, v[8:9]
	;; [unrolled: 1-line block ×3, first 2 shown]
.LBB141_225:
	s_and_b64 vcc, exec, s[0:1]
	v_add_u32_e32 v3, 0x80, v21
	s_cbranch_vccnz .LBB141_231
; %bb.226:
	s_cmp_lg_u32 s33, 0
	s_cbranch_scc0 .LBB141_232
; %bb.227:
	s_min_u32 s4, s40, 15
	s_add_i32 s2, s4, 1
	s_and_b32 s5, s2, 30
	s_add_u32 s2, s12, 0xffffffe8
	s_addc_u32 s3, s13, -1
	v_mov_b32_e32 v11, 0
	v_mov_b32_e32 v13, 0
	v_mov_b32_e32 v1, 0
	v_mov_b32_e32 v2, v3
.LBB141_228:                            ; =>This Inner Loop Header: Depth=1
	s_load_dwordx4 s[8:11], s[2:3], 0x1c
	s_load_dwordx2 s[6:7], s[2:3], 0x2c
	s_load_dwordx2 s[14:15], s[2:3], 0xec
	s_load_dwordx4 s[16:19], s[2:3], 0xdc
	s_add_u32 s2, s2, 24
	s_waitcnt lgkmcnt(0)
	v_mul_hi_u32 v4, s9, v2
	s_addc_u32 s3, s3, 0
	s_add_i32 s5, s5, -2
	s_cmp_lg_u32 s5, 0
	v_add_u32_e32 v4, v2, v4
	v_lshrrev_b32_e32 v4, s10, v4
	v_mul_lo_u32 v5, v4, s8
	v_mul_hi_u32 v7, s6, v4
	v_sub_u32_e32 v5, v2, v5
	v_add_u32_e32 v2, v4, v7
	v_lshrrev_b32_e32 v2, s7, v2
	v_mul_lo_u32 v10, v2, s11
	v_mul_lo_u32 v7, v5, s16
	;; [unrolled: 1-line block ×4, first 2 shown]
	v_sub_u32_e32 v4, v4, v10
	v_mul_lo_u32 v10, v4, s19
	v_mul_lo_u32 v12, v4, s14
	;; [unrolled: 1-line block ×3, first 2 shown]
	v_add3_u32 v1, v7, v1, v10
	v_add3_u32 v13, v9, v13, v12
	;; [unrolled: 1-line block ×3, first 2 shown]
	s_cbranch_scc1 .LBB141_228
; %bb.229:
	s_bitcmp1_b32 s4, 0
	s_cselect_b64 s[4:5], -1, 0
	s_and_b64 vcc, exec, s[4:5]
	s_cbranch_vccnz .LBB141_233
; %bb.230:
	s_load_dwordx2 s[4:5], s[2:3], 0x1c
	s_load_dword s8, s[2:3], 0x24
	s_load_dwordx2 s[6:7], s[2:3], 0xdc
	s_waitcnt lgkmcnt(0)
	v_mul_hi_u32 v4, s5, v2
	v_add_u32_e32 v4, v2, v4
	v_lshrrev_b32_e32 v4, s8, v4
	v_mul_lo_u32 v4, v4, s4
	s_load_dword s4, s[2:3], 0xe4
	v_sub_u32_e32 v4, v2, v4
	v_mad_u64_u32 v[1:2], s[2:3], v4, s6, v[1:2]
	v_mad_u64_u32 v[13:14], s[2:3], v4, s7, v[13:14]
	s_waitcnt lgkmcnt(0)
	v_mad_u64_u32 v[11:12], s[2:3], v4, s4, v[11:12]
	s_cbranch_execz .LBB141_234
	s_branch .LBB141_236
.LBB141_231:
                                        ; implicit-def: $vgpr1
                                        ; implicit-def: $vgpr13
                                        ; implicit-def: $vgpr11
	s_branch .LBB141_234
.LBB141_232:
	v_mov_b32_e32 v1, 0
	v_mov_b32_e32 v13, 0
	;; [unrolled: 1-line block ×3, first 2 shown]
.LBB141_233:
	s_cbranch_execnz .LBB141_236
.LBB141_234:
	s_load_dwordx4 s[4:7], s[12:13], 0x4
	s_load_dwordx4 s[8:11], s[12:13], 0xc4
	s_cmp_lt_u32 s33, 2
	s_waitcnt lgkmcnt(0)
	v_mul_hi_u32 v1, s5, v3
	v_add_u32_e32 v1, v3, v1
	v_lshrrev_b32_e32 v2, s6, v1
	v_mul_lo_u32 v1, v2, s4
	v_sub_u32_e32 v3, v3, v1
	v_mul_lo_u32 v1, v3, s8
	v_mul_lo_u32 v13, v3, s9
	;; [unrolled: 1-line block ×3, first 2 shown]
	s_cbranch_scc1 .LBB141_236
; %bb.235:
	s_load_dwordx4 s[4:7], s[12:13], 0x10
	s_load_dwordx4 s[8:11], s[12:13], 0xd0
	s_waitcnt lgkmcnt(0)
	v_mul_hi_u32 v3, s5, v2
	v_add_u32_e32 v3, v2, v3
	v_lshrrev_b32_e32 v3, s6, v3
	v_mul_lo_u32 v3, v3, s4
	v_sub_u32_e32 v3, v2, v3
	v_mad_u64_u32 v[1:2], s[2:3], v3, s8, v[1:2]
	v_mad_u64_u32 v[13:14], s[2:3], v3, s9, v[13:14]
	;; [unrolled: 1-line block ×3, first 2 shown]
.LBB141_236:
	s_and_b64 vcc, exec, s[0:1]
	v_add_u32_e32 v4, 0x100, v21
	s_cbranch_vccnz .LBB141_242
; %bb.237:
	s_cmp_lg_u32 s33, 0
	s_cbranch_scc0 .LBB141_243
; %bb.238:
	s_min_u32 s4, s40, 15
	s_add_i32 s2, s4, 1
	s_and_b32 s5, s2, 30
	s_add_u32 s2, s12, 0xffffffe8
	s_addc_u32 s3, s13, -1
	v_mov_b32_e32 v14, 0
	v_mov_b32_e32 v16, 0
	;; [unrolled: 1-line block ×4, first 2 shown]
.LBB141_239:                            ; =>This Inner Loop Header: Depth=1
	s_load_dwordx4 s[8:11], s[2:3], 0x1c
	s_load_dwordx2 s[6:7], s[2:3], 0x2c
	s_load_dwordx2 s[14:15], s[2:3], 0xec
	s_load_dwordx4 s[16:19], s[2:3], 0xdc
	s_add_u32 s2, s2, 24
	s_waitcnt lgkmcnt(0)
	v_mul_hi_u32 v5, s9, v3
	s_addc_u32 s3, s3, 0
	s_add_i32 s5, s5, -2
	s_cmp_lg_u32 s5, 0
	v_add_u32_e32 v5, v3, v5
	v_lshrrev_b32_e32 v5, s10, v5
	v_mul_lo_u32 v7, v5, s8
	v_mul_hi_u32 v9, s6, v5
	v_sub_u32_e32 v7, v3, v7
	v_add_u32_e32 v3, v5, v9
	v_lshrrev_b32_e32 v3, s7, v3
	v_mul_lo_u32 v12, v3, s11
	v_mul_lo_u32 v9, v7, s16
	;; [unrolled: 1-line block ×4, first 2 shown]
	v_sub_u32_e32 v5, v5, v12
	v_mul_lo_u32 v12, v5, s19
	v_mul_lo_u32 v15, v5, s14
	;; [unrolled: 1-line block ×3, first 2 shown]
	v_add3_u32 v2, v9, v2, v12
	v_add3_u32 v16, v10, v16, v15
	;; [unrolled: 1-line block ×3, first 2 shown]
	s_cbranch_scc1 .LBB141_239
; %bb.240:
	s_bitcmp1_b32 s4, 0
	s_cselect_b64 s[4:5], -1, 0
	s_and_b64 vcc, exec, s[4:5]
	s_cbranch_vccnz .LBB141_244
; %bb.241:
	s_load_dwordx2 s[4:5], s[2:3], 0x1c
	s_load_dword s8, s[2:3], 0x24
	s_load_dwordx2 s[6:7], s[2:3], 0xdc
	s_waitcnt lgkmcnt(0)
	v_mul_hi_u32 v5, s5, v3
	v_add_u32_e32 v5, v3, v5
	v_lshrrev_b32_e32 v5, s8, v5
	v_mul_lo_u32 v5, v5, s4
	s_load_dword s4, s[2:3], 0xe4
	v_sub_u32_e32 v5, v3, v5
	v_mad_u64_u32 v[2:3], s[2:3], v5, s6, v[2:3]
	v_mad_u64_u32 v[16:17], s[2:3], v5, s7, v[16:17]
	s_waitcnt lgkmcnt(0)
	v_mad_u64_u32 v[14:15], s[2:3], v5, s4, v[14:15]
	s_cbranch_execz .LBB141_245
	s_branch .LBB141_247
.LBB141_242:
                                        ; implicit-def: $vgpr2
                                        ; implicit-def: $vgpr16
                                        ; implicit-def: $vgpr14
	s_branch .LBB141_245
.LBB141_243:
	v_mov_b32_e32 v2, 0
	v_mov_b32_e32 v16, 0
	;; [unrolled: 1-line block ×3, first 2 shown]
.LBB141_244:
	s_cbranch_execnz .LBB141_247
.LBB141_245:
	s_load_dwordx4 s[4:7], s[12:13], 0x4
	s_load_dwordx4 s[8:11], s[12:13], 0xc4
	s_cmp_lt_u32 s33, 2
	s_waitcnt lgkmcnt(0)
	v_mul_hi_u32 v2, s5, v4
	v_add_u32_e32 v2, v4, v2
	v_lshrrev_b32_e32 v3, s6, v2
	v_mul_lo_u32 v2, v3, s4
	v_sub_u32_e32 v4, v4, v2
	v_mul_lo_u32 v2, v4, s8
	v_mul_lo_u32 v16, v4, s9
	;; [unrolled: 1-line block ×3, first 2 shown]
	s_cbranch_scc1 .LBB141_247
; %bb.246:
	s_load_dwordx4 s[4:7], s[12:13], 0x10
	s_load_dwordx4 s[8:11], s[12:13], 0xd0
	s_waitcnt lgkmcnt(0)
	v_mul_hi_u32 v4, s5, v3
	v_add_u32_e32 v4, v3, v4
	v_lshrrev_b32_e32 v4, s6, v4
	v_mul_lo_u32 v4, v4, s4
	v_sub_u32_e32 v4, v3, v4
	v_mad_u64_u32 v[2:3], s[2:3], v4, s8, v[2:3]
	v_mad_u64_u32 v[16:17], s[2:3], v4, s9, v[16:17]
	;; [unrolled: 1-line block ×3, first 2 shown]
.LBB141_247:
	s_and_b64 vcc, exec, s[0:1]
	v_add_u32_e32 v5, 0x180, v21
	s_cbranch_vccnz .LBB141_253
; %bb.248:
	s_cmp_lg_u32 s33, 0
	s_cbranch_scc0 .LBB141_254
; %bb.249:
	s_min_u32 s4, s40, 15
	s_add_i32 s2, s4, 1
	s_and_b32 s5, s2, 30
	s_add_u32 s2, s12, 0xffffffe8
	s_addc_u32 s3, s13, -1
	v_mov_b32_e32 v17, 0
	v_mov_b32_e32 v19, 0
	v_mov_b32_e32 v3, 0
	v_mov_b32_e32 v4, v5
.LBB141_250:                            ; =>This Inner Loop Header: Depth=1
	s_load_dwordx4 s[8:11], s[2:3], 0x1c
	s_load_dwordx2 s[6:7], s[2:3], 0x2c
	s_load_dwordx2 s[14:15], s[2:3], 0xec
	s_load_dwordx4 s[16:19], s[2:3], 0xdc
	s_add_u32 s2, s2, 24
	s_waitcnt lgkmcnt(0)
	v_mul_hi_u32 v7, s9, v4
	s_addc_u32 s3, s3, 0
	s_add_i32 s5, s5, -2
	s_cmp_lg_u32 s5, 0
	v_add_u32_e32 v7, v4, v7
	v_lshrrev_b32_e32 v7, s10, v7
	v_mul_lo_u32 v9, v7, s8
	v_mul_hi_u32 v10, s6, v7
	v_sub_u32_e32 v9, v4, v9
	v_add_u32_e32 v4, v7, v10
	v_lshrrev_b32_e32 v4, s7, v4
	v_mul_lo_u32 v15, v4, s11
	v_mul_lo_u32 v10, v9, s16
	;; [unrolled: 1-line block ×4, first 2 shown]
	v_sub_u32_e32 v7, v7, v15
	v_mul_lo_u32 v15, v7, s19
	v_mul_lo_u32 v18, v7, s14
	;; [unrolled: 1-line block ×3, first 2 shown]
	v_add3_u32 v3, v10, v3, v15
	v_add3_u32 v19, v12, v19, v18
	;; [unrolled: 1-line block ×3, first 2 shown]
	s_cbranch_scc1 .LBB141_250
; %bb.251:
	s_bitcmp1_b32 s4, 0
	s_cselect_b64 s[4:5], -1, 0
	s_and_b64 vcc, exec, s[4:5]
	s_cbranch_vccnz .LBB141_255
; %bb.252:
	s_load_dwordx2 s[4:5], s[2:3], 0x1c
	s_load_dword s8, s[2:3], 0x24
	s_load_dwordx2 s[6:7], s[2:3], 0xdc
	s_waitcnt lgkmcnt(0)
	v_mul_hi_u32 v7, s5, v4
	v_add_u32_e32 v7, v4, v7
	v_lshrrev_b32_e32 v7, s8, v7
	v_mul_lo_u32 v7, v7, s4
	s_load_dword s4, s[2:3], 0xe4
	v_sub_u32_e32 v7, v4, v7
	v_mad_u64_u32 v[3:4], s[2:3], v7, s6, v[3:4]
	v_mad_u64_u32 v[19:20], s[2:3], v7, s7, v[19:20]
	s_waitcnt lgkmcnt(0)
	v_mad_u64_u32 v[17:18], s[2:3], v7, s4, v[17:18]
	s_cbranch_execz .LBB141_256
	s_branch .LBB141_258
.LBB141_253:
                                        ; implicit-def: $vgpr3
                                        ; implicit-def: $vgpr19
                                        ; implicit-def: $vgpr17
	s_branch .LBB141_256
.LBB141_254:
	v_mov_b32_e32 v3, 0
	v_mov_b32_e32 v19, 0
	;; [unrolled: 1-line block ×3, first 2 shown]
.LBB141_255:
	s_cbranch_execnz .LBB141_258
.LBB141_256:
	s_load_dwordx4 s[4:7], s[12:13], 0x4
	s_load_dwordx4 s[8:11], s[12:13], 0xc4
	s_cmp_lt_u32 s33, 2
	s_waitcnt lgkmcnt(0)
	v_mul_hi_u32 v3, s5, v5
	v_add_u32_e32 v3, v5, v3
	v_lshrrev_b32_e32 v4, s6, v3
	v_mul_lo_u32 v3, v4, s4
	v_sub_u32_e32 v5, v5, v3
	v_mul_lo_u32 v3, v5, s8
	v_mul_lo_u32 v19, v5, s9
	;; [unrolled: 1-line block ×3, first 2 shown]
	s_cbranch_scc1 .LBB141_258
; %bb.257:
	s_load_dwordx4 s[4:7], s[12:13], 0x10
	s_load_dwordx4 s[8:11], s[12:13], 0xd0
	s_waitcnt lgkmcnt(0)
	v_mul_hi_u32 v5, s5, v4
	v_add_u32_e32 v5, v4, v5
	v_lshrrev_b32_e32 v5, s6, v5
	v_mul_lo_u32 v5, v5, s4
	v_sub_u32_e32 v5, v4, v5
	v_mad_u64_u32 v[3:4], s[2:3], v5, s8, v[3:4]
	v_mad_u64_u32 v[19:20], s[2:3], v5, s9, v[19:20]
	;; [unrolled: 1-line block ×3, first 2 shown]
.LBB141_258:
	s_and_b64 vcc, exec, s[0:1]
	v_add_u32_e32 v7, 0x200, v21
	s_cbranch_vccnz .LBB141_264
; %bb.259:
	s_cmp_lg_u32 s33, 0
	s_cbranch_scc0 .LBB141_265
; %bb.260:
	s_min_u32 s4, s40, 15
	s_add_i32 s2, s4, 1
	s_and_b32 s5, s2, 30
	s_add_u32 s2, s12, 0xffffffe8
	s_addc_u32 s3, s13, -1
	v_mov_b32_e32 v22, 0
	v_mov_b32_e32 v24, 0
	;; [unrolled: 1-line block ×4, first 2 shown]
.LBB141_261:                            ; =>This Inner Loop Header: Depth=1
	s_load_dwordx4 s[8:11], s[2:3], 0x1c
	s_load_dwordx2 s[6:7], s[2:3], 0x2c
	s_load_dwordx2 s[14:15], s[2:3], 0xec
	s_load_dwordx4 s[16:19], s[2:3], 0xdc
	s_add_u32 s2, s2, 24
	s_waitcnt lgkmcnt(0)
	v_mul_hi_u32 v9, s9, v5
	s_addc_u32 s3, s3, 0
	s_add_i32 s5, s5, -2
	s_cmp_lg_u32 s5, 0
	v_add_u32_e32 v9, v5, v9
	v_lshrrev_b32_e32 v9, s10, v9
	v_mul_lo_u32 v10, v9, s8
	v_mul_hi_u32 v12, s6, v9
	v_sub_u32_e32 v10, v5, v10
	v_add_u32_e32 v5, v9, v12
	v_lshrrev_b32_e32 v5, s7, v5
	v_mul_lo_u32 v18, v5, s11
	v_mul_lo_u32 v12, v10, s16
	;; [unrolled: 1-line block ×4, first 2 shown]
	v_sub_u32_e32 v9, v9, v18
	v_mul_lo_u32 v18, v9, s19
	v_mul_lo_u32 v20, v9, s14
	v_mul_lo_u32 v9, v9, s15
	v_add3_u32 v4, v12, v4, v18
	v_add3_u32 v24, v15, v24, v20
	;; [unrolled: 1-line block ×3, first 2 shown]
	s_cbranch_scc1 .LBB141_261
; %bb.262:
	s_bitcmp1_b32 s4, 0
	s_cselect_b64 s[4:5], -1, 0
	s_and_b64 vcc, exec, s[4:5]
	s_cbranch_vccnz .LBB141_266
; %bb.263:
	s_load_dwordx2 s[4:5], s[2:3], 0x1c
	s_load_dword s8, s[2:3], 0x24
	s_load_dwordx2 s[6:7], s[2:3], 0xdc
	s_waitcnt lgkmcnt(0)
	v_mul_hi_u32 v9, s5, v5
	v_add_u32_e32 v9, v5, v9
	v_lshrrev_b32_e32 v9, s8, v9
	v_mul_lo_u32 v9, v9, s4
	s_load_dword s4, s[2:3], 0xe4
	v_sub_u32_e32 v9, v5, v9
	v_mad_u64_u32 v[4:5], s[2:3], v9, s6, v[4:5]
	v_mad_u64_u32 v[24:25], s[2:3], v9, s7, v[24:25]
	s_waitcnt lgkmcnt(0)
	v_mad_u64_u32 v[22:23], s[2:3], v9, s4, v[22:23]
	s_cbranch_execz .LBB141_267
	s_branch .LBB141_269
.LBB141_264:
                                        ; implicit-def: $vgpr4
                                        ; implicit-def: $vgpr24
                                        ; implicit-def: $vgpr22
	s_branch .LBB141_267
.LBB141_265:
	v_mov_b32_e32 v4, 0
	v_mov_b32_e32 v24, 0
	v_mov_b32_e32 v22, 0
.LBB141_266:
	s_cbranch_execnz .LBB141_269
.LBB141_267:
	s_load_dwordx4 s[4:7], s[12:13], 0x4
	s_load_dwordx4 s[8:11], s[12:13], 0xc4
	s_cmp_lt_u32 s33, 2
	s_waitcnt lgkmcnt(0)
	v_mul_hi_u32 v4, s5, v7
	v_add_u32_e32 v4, v7, v4
	v_lshrrev_b32_e32 v5, s6, v4
	v_mul_lo_u32 v4, v5, s4
	v_sub_u32_e32 v7, v7, v4
	v_mul_lo_u32 v4, v7, s8
	v_mul_lo_u32 v24, v7, s9
	;; [unrolled: 1-line block ×3, first 2 shown]
	s_cbranch_scc1 .LBB141_269
; %bb.268:
	s_load_dwordx4 s[4:7], s[12:13], 0x10
	s_load_dwordx4 s[8:11], s[12:13], 0xd0
	s_waitcnt lgkmcnt(0)
	v_mul_hi_u32 v7, s5, v5
	v_add_u32_e32 v7, v5, v7
	v_lshrrev_b32_e32 v7, s6, v7
	v_mul_lo_u32 v7, v7, s4
	v_sub_u32_e32 v7, v5, v7
	v_mad_u64_u32 v[4:5], s[2:3], v7, s8, v[4:5]
	v_mad_u64_u32 v[24:25], s[2:3], v7, s9, v[24:25]
	;; [unrolled: 1-line block ×3, first 2 shown]
.LBB141_269:
	s_and_b64 vcc, exec, s[0:1]
	v_add_u32_e32 v5, 0x280, v21
	s_cbranch_vccnz .LBB141_275
; %bb.270:
	s_cmp_lg_u32 s33, 0
	s_cbranch_scc0 .LBB141_276
; %bb.271:
	s_min_u32 s4, s40, 15
	s_add_i32 s2, s4, 1
	s_and_b32 s5, s2, 30
	s_add_u32 s2, s12, 0xffffffe8
	s_addc_u32 s3, s13, -1
	v_mov_b32_e32 v25, 0
	v_mov_b32_e32 v27, 0
	v_mov_b32_e32 v9, 0
	v_mov_b32_e32 v7, v5
.LBB141_272:                            ; =>This Inner Loop Header: Depth=1
	s_load_dwordx4 s[8:11], s[2:3], 0x1c
	s_load_dwordx2 s[6:7], s[2:3], 0x2c
	s_load_dwordx2 s[14:15], s[2:3], 0xec
	s_load_dwordx4 s[16:19], s[2:3], 0xdc
	s_add_u32 s2, s2, 24
	s_waitcnt lgkmcnt(0)
	v_mul_hi_u32 v10, s9, v7
	s_addc_u32 s3, s3, 0
	s_add_i32 s5, s5, -2
	s_cmp_lg_u32 s5, 0
	v_add_u32_e32 v10, v7, v10
	v_lshrrev_b32_e32 v10, s10, v10
	v_mul_lo_u32 v12, v10, s8
	v_mul_hi_u32 v15, s6, v10
	v_sub_u32_e32 v12, v7, v12
	v_add_u32_e32 v7, v10, v15
	v_lshrrev_b32_e32 v7, s7, v7
	v_mul_lo_u32 v20, v7, s11
	v_mul_lo_u32 v15, v12, s16
	;; [unrolled: 1-line block ×4, first 2 shown]
	v_sub_u32_e32 v10, v10, v20
	v_mul_lo_u32 v20, v10, s19
	v_mul_lo_u32 v23, v10, s14
	v_mul_lo_u32 v10, v10, s15
	v_add3_u32 v9, v15, v9, v20
	v_add3_u32 v27, v18, v27, v23
	v_add3_u32 v25, v12, v25, v10
	s_cbranch_scc1 .LBB141_272
; %bb.273:
	s_bitcmp1_b32 s4, 0
	s_cselect_b64 s[4:5], -1, 0
	s_and_b64 vcc, exec, s[4:5]
	s_cbranch_vccnz .LBB141_277
; %bb.274:
	s_load_dwordx2 s[4:5], s[2:3], 0x1c
	s_load_dword s8, s[2:3], 0x24
	s_load_dwordx2 s[6:7], s[2:3], 0xdc
	s_waitcnt lgkmcnt(0)
	v_mul_hi_u32 v10, s5, v7
	v_add_u32_e32 v10, v7, v10
	v_lshrrev_b32_e32 v10, s8, v10
	v_mul_lo_u32 v10, v10, s4
	s_load_dword s4, s[2:3], 0xe4
	v_sub_u32_e32 v7, v7, v10
	v_mad_u64_u32 v[9:10], s[2:3], v7, s6, v[9:10]
	v_mad_u64_u32 v[27:28], s[2:3], v7, s7, v[27:28]
	s_waitcnt lgkmcnt(0)
	v_mad_u64_u32 v[25:26], s[2:3], v7, s4, v[25:26]
	s_cbranch_execz .LBB141_278
	s_branch .LBB141_280
.LBB141_275:
                                        ; implicit-def: $vgpr9
                                        ; implicit-def: $vgpr27
                                        ; implicit-def: $vgpr25
	s_branch .LBB141_278
.LBB141_276:
	v_mov_b32_e32 v9, 0
	v_mov_b32_e32 v27, 0
	;; [unrolled: 1-line block ×3, first 2 shown]
.LBB141_277:
	s_cbranch_execnz .LBB141_280
.LBB141_278:
	s_load_dwordx4 s[4:7], s[12:13], 0x4
	s_load_dwordx4 s[8:11], s[12:13], 0xc4
	s_cmp_lt_u32 s33, 2
	s_waitcnt lgkmcnt(0)
	v_mul_hi_u32 v7, s5, v5
	v_add_u32_e32 v7, v5, v7
	v_lshrrev_b32_e32 v7, s6, v7
	v_mul_lo_u32 v9, v7, s4
	v_sub_u32_e32 v5, v5, v9
	v_mul_lo_u32 v9, v5, s8
	v_mul_lo_u32 v27, v5, s9
	;; [unrolled: 1-line block ×3, first 2 shown]
	s_cbranch_scc1 .LBB141_280
; %bb.279:
	s_load_dwordx4 s[4:7], s[12:13], 0x10
	s_load_dwordx4 s[8:11], s[12:13], 0xd0
	s_waitcnt lgkmcnt(0)
	v_mul_hi_u32 v5, s5, v7
	v_add_u32_e32 v5, v7, v5
	v_lshrrev_b32_e32 v5, s6, v5
	v_mul_lo_u32 v5, v5, s4
	v_sub_u32_e32 v5, v7, v5
	v_mad_u64_u32 v[9:10], s[2:3], v5, s8, v[9:10]
	v_mad_u64_u32 v[27:28], s[2:3], v5, s9, v[27:28]
	;; [unrolled: 1-line block ×3, first 2 shown]
.LBB141_280:
	s_and_b64 vcc, exec, s[0:1]
	v_add_u32_e32 v5, 0x300, v21
	s_cbranch_vccnz .LBB141_286
; %bb.281:
	s_cmp_lg_u32 s33, 0
	s_cbranch_scc0 .LBB141_287
; %bb.282:
	s_min_u32 s4, s40, 15
	s_add_i32 s2, s4, 1
	s_and_b32 s5, s2, 30
	s_add_u32 s2, s12, 0xffffffe8
	s_addc_u32 s3, s13, -1
	v_mov_b32_e32 v30, 0
	v_mov_b32_e32 v32, 0
	;; [unrolled: 1-line block ×4, first 2 shown]
.LBB141_283:                            ; =>This Inner Loop Header: Depth=1
	s_load_dwordx4 s[8:11], s[2:3], 0x1c
	s_load_dwordx2 s[6:7], s[2:3], 0x2c
	s_load_dwordx2 s[14:15], s[2:3], 0xec
	s_load_dwordx4 s[16:19], s[2:3], 0xdc
	s_add_u32 s2, s2, 24
	s_waitcnt lgkmcnt(0)
	v_mul_hi_u32 v10, s9, v7
	s_addc_u32 s3, s3, 0
	s_add_i32 s5, s5, -2
	s_cmp_lg_u32 s5, 0
	v_add_u32_e32 v10, v7, v10
	v_lshrrev_b32_e32 v10, s10, v10
	v_mul_lo_u32 v12, v10, s8
	v_mul_hi_u32 v15, s6, v10
	v_sub_u32_e32 v12, v7, v12
	v_add_u32_e32 v7, v10, v15
	v_lshrrev_b32_e32 v7, s7, v7
	v_mul_lo_u32 v21, v7, s11
	v_mul_lo_u32 v15, v12, s16
	;; [unrolled: 1-line block ×4, first 2 shown]
	v_sub_u32_e32 v10, v10, v21
	v_mul_lo_u32 v21, v10, s19
	v_mul_lo_u32 v23, v10, s14
	;; [unrolled: 1-line block ×3, first 2 shown]
	v_add3_u32 v20, v15, v20, v21
	v_add3_u32 v32, v18, v32, v23
	;; [unrolled: 1-line block ×3, first 2 shown]
	s_cbranch_scc1 .LBB141_283
; %bb.284:
	s_bitcmp1_b32 s4, 0
	s_cselect_b64 s[4:5], -1, 0
	s_and_b64 vcc, exec, s[4:5]
	s_cbranch_vccnz .LBB141_288
; %bb.285:
	s_load_dwordx2 s[4:5], s[2:3], 0x1c
	s_load_dword s8, s[2:3], 0x24
	s_load_dwordx2 s[6:7], s[2:3], 0xdc
	s_waitcnt lgkmcnt(0)
	v_mul_hi_u32 v10, s5, v7
	v_add_u32_e32 v10, v7, v10
	v_lshrrev_b32_e32 v10, s8, v10
	v_mul_lo_u32 v10, v10, s4
	s_load_dword s4, s[2:3], 0xe4
	v_sub_u32_e32 v7, v7, v10
	v_mad_u64_u32 v[20:21], s[2:3], v7, s6, v[20:21]
	v_mad_u64_u32 v[32:33], s[2:3], v7, s7, v[32:33]
	s_waitcnt lgkmcnt(0)
	v_mad_u64_u32 v[30:31], s[2:3], v7, s4, v[30:31]
	s_cbranch_execz .LBB141_289
	s_branch .LBB141_291
.LBB141_286:
                                        ; implicit-def: $vgpr20
                                        ; implicit-def: $vgpr32
                                        ; implicit-def: $vgpr30
	s_branch .LBB141_289
.LBB141_287:
	v_mov_b32_e32 v20, 0
	v_mov_b32_e32 v32, 0
	;; [unrolled: 1-line block ×3, first 2 shown]
.LBB141_288:
	s_cbranch_execnz .LBB141_291
.LBB141_289:
	s_load_dwordx4 s[4:7], s[12:13], 0x4
	s_load_dwordx4 s[8:11], s[12:13], 0xc4
	s_cmp_lt_u32 s33, 2
	s_waitcnt lgkmcnt(0)
	v_mul_hi_u32 v7, s5, v5
	v_add_u32_e32 v7, v5, v7
	v_lshrrev_b32_e32 v7, s6, v7
	v_mul_lo_u32 v10, v7, s4
	v_sub_u32_e32 v5, v5, v10
	v_mul_lo_u32 v20, v5, s8
	v_mul_lo_u32 v32, v5, s9
	v_mul_lo_u32 v30, v5, s10
	s_cbranch_scc1 .LBB141_291
; %bb.290:
	s_load_dwordx4 s[4:7], s[12:13], 0x10
	s_load_dwordx4 s[8:11], s[12:13], 0xd0
	s_waitcnt lgkmcnt(0)
	v_mul_hi_u32 v5, s5, v7
	v_add_u32_e32 v5, v7, v5
	v_lshrrev_b32_e32 v5, s6, v5
	v_mul_lo_u32 v5, v5, s4
	v_sub_u32_e32 v5, v7, v5
	v_mad_u64_u32 v[20:21], s[2:3], v5, s8, v[20:21]
	v_mad_u64_u32 v[32:33], s[2:3], v5, s9, v[32:33]
	v_mad_u64_u32 v[30:31], s[2:3], v5, s10, v[30:31]
.LBB141_291:
	s_and_b64 vcc, exec, s[0:1]
	s_cbranch_vccnz .LBB141_297
; %bb.292:
	s_cmp_lg_u32 s33, 0
	s_cbranch_scc0 .LBB141_298
; %bb.293:
	s_min_u32 s2, s40, 15
	s_add_i32 s0, s2, 1
	s_and_b32 s3, s0, 30
	s_add_u32 s0, s12, 0xffffffe8
	s_addc_u32 s1, s13, -1
	v_mov_b32_e32 v33, 0
	v_mov_b32_e32 v35, 0
	;; [unrolled: 1-line block ×4, first 2 shown]
.LBB141_294:                            ; =>This Inner Loop Header: Depth=1
	s_load_dwordx4 s[4:7], s[0:1], 0x1c
	s_load_dwordx2 s[14:15], s[0:1], 0x2c
	s_load_dwordx2 s[16:17], s[0:1], 0xec
	s_load_dwordx4 s[8:11], s[0:1], 0xdc
	s_add_u32 s0, s0, 24
	s_waitcnt lgkmcnt(0)
	v_mul_hi_u32 v7, s5, v5
	s_addc_u32 s1, s1, 0
	s_add_i32 s3, s3, -2
	s_cmp_lg_u32 s3, 0
	v_add_u32_e32 v7, v5, v7
	v_lshrrev_b32_e32 v7, s6, v7
	v_mul_lo_u32 v10, v7, s4
	v_mul_hi_u32 v12, s14, v7
	v_sub_u32_e32 v10, v5, v10
	v_add_u32_e32 v5, v7, v12
	v_lshrrev_b32_e32 v5, s15, v5
	v_mul_lo_u32 v18, v5, s7
	v_mul_lo_u32 v12, v10, s8
	;; [unrolled: 1-line block ×4, first 2 shown]
	v_sub_u32_e32 v7, v7, v18
	v_mul_lo_u32 v18, v7, s11
	v_mul_lo_u32 v21, v7, s16
	;; [unrolled: 1-line block ×3, first 2 shown]
	v_add3_u32 v28, v12, v28, v18
	v_add3_u32 v35, v15, v35, v21
	;; [unrolled: 1-line block ×3, first 2 shown]
	s_cbranch_scc1 .LBB141_294
; %bb.295:
	s_bitcmp1_b32 s2, 0
	s_cselect_b64 s[2:3], -1, 0
	s_and_b64 vcc, exec, s[2:3]
	s_cbranch_vccnz .LBB141_299
; %bb.296:
	s_load_dwordx2 s[2:3], s[0:1], 0x1c
	s_load_dword s6, s[0:1], 0x24
	s_load_dwordx2 s[4:5], s[0:1], 0xdc
	s_waitcnt lgkmcnt(0)
	v_mul_hi_u32 v7, s3, v5
	v_add_u32_e32 v7, v5, v7
	v_lshrrev_b32_e32 v7, s6, v7
	v_mul_lo_u32 v7, v7, s2
	s_load_dword s2, s[0:1], 0xe4
	v_sub_u32_e32 v5, v5, v7
	v_mad_u64_u32 v[28:29], s[0:1], v5, s4, v[28:29]
	v_mad_u64_u32 v[35:36], s[0:1], v5, s5, v[35:36]
	s_waitcnt lgkmcnt(0)
	v_mad_u64_u32 v[33:34], s[0:1], v5, s2, v[33:34]
	s_cbranch_execz .LBB141_300
	s_branch .LBB141_302
.LBB141_297:
                                        ; implicit-def: $vgpr28
                                        ; implicit-def: $vgpr35
                                        ; implicit-def: $vgpr33
	s_branch .LBB141_300
.LBB141_298:
	v_mov_b32_e32 v28, 0
	v_mov_b32_e32 v35, 0
	;; [unrolled: 1-line block ×3, first 2 shown]
.LBB141_299:
	s_cbranch_execnz .LBB141_302
.LBB141_300:
	s_load_dwordx4 s[0:3], s[12:13], 0x4
	s_load_dwordx4 s[4:7], s[12:13], 0xc4
	s_cmp_lt_u32 s33, 2
	s_waitcnt lgkmcnt(0)
	v_mul_hi_u32 v5, s1, v37
	v_add_u32_e32 v5, v37, v5
	v_lshrrev_b32_e32 v5, s2, v5
	v_mul_lo_u32 v7, v5, s0
	v_sub_u32_e32 v7, v37, v7
	v_mul_lo_u32 v28, v7, s4
	v_mul_lo_u32 v35, v7, s5
	;; [unrolled: 1-line block ×3, first 2 shown]
	s_cbranch_scc1 .LBB141_302
; %bb.301:
	s_load_dwordx4 s[0:3], s[12:13], 0x10
	s_load_dwordx4 s[4:7], s[12:13], 0xd0
	s_waitcnt lgkmcnt(0)
	v_mul_hi_u32 v7, s1, v5
	v_add_u32_e32 v7, v5, v7
	v_lshrrev_b32_e32 v7, s2, v7
	v_mul_lo_u32 v7, v7, s0
	v_sub_u32_e32 v5, v5, v7
	v_mad_u64_u32 v[28:29], s[0:1], v5, s4, v[28:29]
	v_mad_u64_u32 v[35:36], s[0:1], v5, s5, v[35:36]
	;; [unrolled: 1-line block ×3, first 2 shown]
.LBB141_302:
	s_load_dwordx4 s[0:3], s[12:13], 0x188
	s_load_dwordx2 s[6:7], s[12:13], 0x198
	s_load_dword s26, s[12:13], 0x1a0
	s_mov_b64 s[8:9], 0
	s_waitcnt lgkmcnt(0)
	global_load_ushort v5, v8, s[2:3]
	global_load_ushort v7, v6, s[6:7]
	s_cmp_lt_i32 s26, 1
	s_waitcnt vmcnt(1)
	v_lshlrev_b32_e32 v5, 16, v5
	s_waitcnt vmcnt(0)
	v_lshlrev_b32_e32 v6, 16, v7
	s_cbranch_scc1 .LBB141_306
; %bb.303:
	s_cmp_gt_i32 s26, 1
	s_cbranch_scc0 .LBB141_307
; %bb.304:
	s_cmp_eq_u32 s26, 2
	s_cbranch_scc0 .LBB141_308
; %bb.305:
	v_cmp_le_f32_e64 s[4:5], v5, v6
	s_mov_b64 s[10:11], 0
	s_branch .LBB141_309
.LBB141_306:
                                        ; implicit-def: $sgpr4_sgpr5
	s_mov_b64 s[10:11], 0
	s_cbranch_execnz .LBB141_312
	s_branch .LBB141_313
.LBB141_307:
	s_mov_b64 s[10:11], 0
                                        ; implicit-def: $sgpr4_sgpr5
	s_cbranch_execnz .LBB141_310
	s_branch .LBB141_311
.LBB141_308:
	s_mov_b64 s[10:11], -1
                                        ; implicit-def: $sgpr4_sgpr5
.LBB141_309:
	s_branch .LBB141_311
.LBB141_310:
	v_cmp_gt_f32_e32 vcc, v5, v6
	s_andn2_b64 s[4:5], s[4:5], exec
	s_and_b64 s[12:13], vcc, exec
	s_or_b64 s[4:5], s[4:5], s[12:13]
.LBB141_311:
	s_branch .LBB141_313
.LBB141_312:
	s_cmp_lg_u32 s26, 0
	s_mov_b64 s[8:9], -1
	s_cselect_b64 s[10:11], -1, 0
.LBB141_313:
	s_andn2_b64 vcc, exec, s[10:11]
	s_cbranch_vccz .LBB141_320
; %bb.314:
	s_andn2_b64 vcc, exec, s[8:9]
	s_cbranch_vccnz .LBB141_316
.LBB141_315:
	v_cmp_ge_f32_e32 vcc, v5, v6
	s_andn2_b64 s[4:5], s[4:5], exec
	s_and_b64 s[8:9], vcc, exec
	s_or_b64 s[4:5], s[4:5], s[8:9]
.LBB141_316:
	global_load_ushort v5, v13, s[2:3]
	global_load_ushort v6, v11, s[6:7]
	s_cmp_lt_i32 s26, 1
	s_mov_b64 s[10:11], 0
	s_waitcnt vmcnt(1)
	v_lshlrev_b32_e32 v5, 16, v5
	s_waitcnt vmcnt(0)
	v_lshlrev_b32_e32 v6, 16, v6
	s_cbranch_scc1 .LBB141_321
; %bb.317:
	s_cmp_gt_i32 s26, 1
	s_cbranch_scc0 .LBB141_322
; %bb.318:
	s_cmp_eq_u32 s26, 2
	s_cbranch_scc0 .LBB141_323
; %bb.319:
	v_cmp_le_f32_e64 s[8:9], v5, v6
	s_mov_b64 s[12:13], 0
	s_branch .LBB141_324
.LBB141_320:
	v_cmp_lt_f32_e32 vcc, v5, v6
	s_andn2_b64 s[4:5], s[4:5], exec
	s_and_b64 s[10:11], vcc, exec
	s_or_b64 s[4:5], s[4:5], s[10:11]
	s_cbranch_execz .LBB141_315
	s_branch .LBB141_316
.LBB141_321:
                                        ; implicit-def: $sgpr8_sgpr9
	s_mov_b64 s[12:13], 0
	s_cbranch_execnz .LBB141_327
	s_branch .LBB141_328
.LBB141_322:
	s_mov_b64 s[12:13], 0
                                        ; implicit-def: $sgpr8_sgpr9
	s_cbranch_execnz .LBB141_325
	s_branch .LBB141_326
.LBB141_323:
	s_mov_b64 s[12:13], -1
                                        ; implicit-def: $sgpr8_sgpr9
.LBB141_324:
	s_branch .LBB141_326
.LBB141_325:
	v_cmp_gt_f32_e32 vcc, v5, v6
	s_andn2_b64 s[8:9], s[8:9], exec
	s_and_b64 s[14:15], vcc, exec
	s_or_b64 s[8:9], s[8:9], s[14:15]
.LBB141_326:
	s_branch .LBB141_328
.LBB141_327:
	s_cmp_lg_u32 s26, 0
	s_mov_b64 s[10:11], -1
	s_cselect_b64 s[12:13], -1, 0
.LBB141_328:
	s_andn2_b64 vcc, exec, s[12:13]
	s_cbranch_vccz .LBB141_335
; %bb.329:
	s_andn2_b64 vcc, exec, s[10:11]
	s_cbranch_vccnz .LBB141_331
.LBB141_330:
	v_cmp_ge_f32_e32 vcc, v5, v6
	s_andn2_b64 s[8:9], s[8:9], exec
	s_and_b64 s[10:11], vcc, exec
	s_or_b64 s[8:9], s[8:9], s[10:11]
.LBB141_331:
	global_load_ushort v5, v16, s[2:3]
	global_load_ushort v6, v14, s[6:7]
	s_cmp_lt_i32 s26, 1
	s_mov_b64 s[12:13], 0
	s_waitcnt vmcnt(1)
	v_lshlrev_b32_e32 v5, 16, v5
	s_waitcnt vmcnt(0)
	v_lshlrev_b32_e32 v6, 16, v6
	s_cbranch_scc1 .LBB141_336
; %bb.332:
	s_cmp_gt_i32 s26, 1
	s_cbranch_scc0 .LBB141_337
; %bb.333:
	s_cmp_eq_u32 s26, 2
	s_cbranch_scc0 .LBB141_338
; %bb.334:
	v_cmp_le_f32_e64 s[10:11], v5, v6
	s_mov_b64 s[14:15], 0
	s_branch .LBB141_339
.LBB141_335:
	v_cmp_lt_f32_e32 vcc, v5, v6
	s_andn2_b64 s[8:9], s[8:9], exec
	s_and_b64 s[12:13], vcc, exec
	s_or_b64 s[8:9], s[8:9], s[12:13]
	s_cbranch_execz .LBB141_330
	s_branch .LBB141_331
.LBB141_336:
                                        ; implicit-def: $sgpr10_sgpr11
	s_mov_b64 s[14:15], 0
	s_cbranch_execnz .LBB141_342
	s_branch .LBB141_343
.LBB141_337:
	s_mov_b64 s[14:15], 0
                                        ; implicit-def: $sgpr10_sgpr11
	s_cbranch_execnz .LBB141_340
	s_branch .LBB141_341
.LBB141_338:
	s_mov_b64 s[14:15], -1
                                        ; implicit-def: $sgpr10_sgpr11
.LBB141_339:
	s_branch .LBB141_341
.LBB141_340:
	v_cmp_gt_f32_e32 vcc, v5, v6
	s_andn2_b64 s[10:11], s[10:11], exec
	s_and_b64 s[16:17], vcc, exec
	s_or_b64 s[10:11], s[10:11], s[16:17]
.LBB141_341:
	s_branch .LBB141_343
.LBB141_342:
	s_cmp_lg_u32 s26, 0
	s_mov_b64 s[12:13], -1
	s_cselect_b64 s[14:15], -1, 0
.LBB141_343:
	s_andn2_b64 vcc, exec, s[14:15]
	s_cbranch_vccz .LBB141_350
; %bb.344:
	s_andn2_b64 vcc, exec, s[12:13]
	s_cbranch_vccnz .LBB141_346
.LBB141_345:
	v_cmp_ge_f32_e32 vcc, v5, v6
	s_andn2_b64 s[10:11], s[10:11], exec
	s_and_b64 s[12:13], vcc, exec
	s_or_b64 s[10:11], s[10:11], s[12:13]
.LBB141_346:
	global_load_ushort v5, v19, s[2:3]
	global_load_ushort v6, v17, s[6:7]
	s_cmp_lt_i32 s26, 1
	s_mov_b64 s[14:15], 0
	s_waitcnt vmcnt(1)
	v_lshlrev_b32_e32 v5, 16, v5
	s_waitcnt vmcnt(0)
	v_lshlrev_b32_e32 v6, 16, v6
	s_cbranch_scc1 .LBB141_351
; %bb.347:
	s_cmp_gt_i32 s26, 1
	s_cbranch_scc0 .LBB141_352
; %bb.348:
	s_cmp_eq_u32 s26, 2
	s_cbranch_scc0 .LBB141_353
; %bb.349:
	v_cmp_le_f32_e64 s[12:13], v5, v6
	s_mov_b64 s[16:17], 0
	s_branch .LBB141_354
.LBB141_350:
	v_cmp_lt_f32_e32 vcc, v5, v6
	s_andn2_b64 s[10:11], s[10:11], exec
	s_and_b64 s[14:15], vcc, exec
	s_or_b64 s[10:11], s[10:11], s[14:15]
	s_cbranch_execz .LBB141_345
	s_branch .LBB141_346
.LBB141_351:
                                        ; implicit-def: $sgpr12_sgpr13
	s_mov_b64 s[16:17], 0
	s_cbranch_execnz .LBB141_357
	s_branch .LBB141_358
.LBB141_352:
	s_mov_b64 s[16:17], 0
                                        ; implicit-def: $sgpr12_sgpr13
	s_cbranch_execnz .LBB141_355
	s_branch .LBB141_356
.LBB141_353:
	s_mov_b64 s[16:17], -1
                                        ; implicit-def: $sgpr12_sgpr13
.LBB141_354:
	s_branch .LBB141_356
.LBB141_355:
	v_cmp_gt_f32_e32 vcc, v5, v6
	s_andn2_b64 s[12:13], s[12:13], exec
	s_and_b64 s[18:19], vcc, exec
	s_or_b64 s[12:13], s[12:13], s[18:19]
.LBB141_356:
	s_branch .LBB141_358
.LBB141_357:
	s_cmp_lg_u32 s26, 0
	s_mov_b64 s[14:15], -1
	s_cselect_b64 s[16:17], -1, 0
.LBB141_358:
	s_andn2_b64 vcc, exec, s[16:17]
	s_cbranch_vccz .LBB141_365
; %bb.359:
	s_andn2_b64 vcc, exec, s[14:15]
	s_cbranch_vccnz .LBB141_361
.LBB141_360:
	v_cmp_ge_f32_e32 vcc, v5, v6
	s_andn2_b64 s[12:13], s[12:13], exec
	s_and_b64 s[14:15], vcc, exec
	s_or_b64 s[12:13], s[12:13], s[14:15]
.LBB141_361:
	global_load_ushort v5, v24, s[2:3]
	global_load_ushort v6, v22, s[6:7]
	s_cmp_lt_i32 s26, 1
	s_mov_b64 s[16:17], 0
	s_waitcnt vmcnt(1)
	v_lshlrev_b32_e32 v5, 16, v5
	s_waitcnt vmcnt(0)
	v_lshlrev_b32_e32 v6, 16, v6
	s_cbranch_scc1 .LBB141_366
; %bb.362:
	s_cmp_gt_i32 s26, 1
	s_cbranch_scc0 .LBB141_367
; %bb.363:
	s_cmp_eq_u32 s26, 2
	s_cbranch_scc0 .LBB141_368
; %bb.364:
	v_cmp_le_f32_e64 s[14:15], v5, v6
	s_mov_b64 s[18:19], 0
	s_branch .LBB141_369
.LBB141_365:
	v_cmp_lt_f32_e32 vcc, v5, v6
	s_andn2_b64 s[12:13], s[12:13], exec
	s_and_b64 s[16:17], vcc, exec
	s_or_b64 s[12:13], s[12:13], s[16:17]
	s_cbranch_execz .LBB141_360
	s_branch .LBB141_361
.LBB141_366:
                                        ; implicit-def: $sgpr14_sgpr15
	s_mov_b64 s[18:19], 0
	s_cbranch_execnz .LBB141_372
	s_branch .LBB141_373
.LBB141_367:
	s_mov_b64 s[18:19], 0
                                        ; implicit-def: $sgpr14_sgpr15
	s_cbranch_execnz .LBB141_370
	s_branch .LBB141_371
.LBB141_368:
	s_mov_b64 s[18:19], -1
                                        ; implicit-def: $sgpr14_sgpr15
.LBB141_369:
	s_branch .LBB141_371
.LBB141_370:
	v_cmp_gt_f32_e32 vcc, v5, v6
	s_andn2_b64 s[14:15], s[14:15], exec
	s_and_b64 s[20:21], vcc, exec
	s_or_b64 s[14:15], s[14:15], s[20:21]
.LBB141_371:
	s_branch .LBB141_373
.LBB141_372:
	s_cmp_lg_u32 s26, 0
	s_mov_b64 s[16:17], -1
	s_cselect_b64 s[18:19], -1, 0
.LBB141_373:
	s_andn2_b64 vcc, exec, s[18:19]
	s_cbranch_vccz .LBB141_380
; %bb.374:
	s_andn2_b64 vcc, exec, s[16:17]
	s_cbranch_vccnz .LBB141_376
.LBB141_375:
	v_cmp_ge_f32_e32 vcc, v5, v6
	s_andn2_b64 s[14:15], s[14:15], exec
	s_and_b64 s[16:17], vcc, exec
	s_or_b64 s[14:15], s[14:15], s[16:17]
.LBB141_376:
	global_load_ushort v5, v27, s[2:3]
	global_load_ushort v6, v25, s[6:7]
	s_cmp_lt_i32 s26, 1
	s_mov_b64 s[18:19], 0
	s_waitcnt vmcnt(1)
	v_lshlrev_b32_e32 v5, 16, v5
	s_waitcnt vmcnt(0)
	v_lshlrev_b32_e32 v6, 16, v6
	s_cbranch_scc1 .LBB141_381
; %bb.377:
	s_cmp_gt_i32 s26, 1
	s_cbranch_scc0 .LBB141_382
; %bb.378:
	s_cmp_eq_u32 s26, 2
	s_cbranch_scc0 .LBB141_383
; %bb.379:
	v_cmp_le_f32_e64 s[16:17], v5, v6
	s_mov_b64 s[20:21], 0
	s_branch .LBB141_384
.LBB141_380:
	v_cmp_lt_f32_e32 vcc, v5, v6
	s_andn2_b64 s[14:15], s[14:15], exec
	s_and_b64 s[18:19], vcc, exec
	s_or_b64 s[14:15], s[14:15], s[18:19]
	s_cbranch_execz .LBB141_375
	s_branch .LBB141_376
.LBB141_381:
                                        ; implicit-def: $sgpr16_sgpr17
	s_mov_b64 s[20:21], 0
	s_cbranch_execnz .LBB141_387
	s_branch .LBB141_388
.LBB141_382:
	s_mov_b64 s[20:21], 0
                                        ; implicit-def: $sgpr16_sgpr17
	s_cbranch_execnz .LBB141_385
	s_branch .LBB141_386
.LBB141_383:
	s_mov_b64 s[20:21], -1
                                        ; implicit-def: $sgpr16_sgpr17
.LBB141_384:
	s_branch .LBB141_386
.LBB141_385:
	v_cmp_gt_f32_e32 vcc, v5, v6
	s_andn2_b64 s[16:17], s[16:17], exec
	s_and_b64 s[22:23], vcc, exec
	s_or_b64 s[16:17], s[16:17], s[22:23]
.LBB141_386:
	s_branch .LBB141_388
.LBB141_387:
	s_cmp_lg_u32 s26, 0
	s_mov_b64 s[18:19], -1
	s_cselect_b64 s[20:21], -1, 0
.LBB141_388:
	s_andn2_b64 vcc, exec, s[20:21]
	s_cbranch_vccz .LBB141_395
; %bb.389:
	s_andn2_b64 vcc, exec, s[18:19]
	s_cbranch_vccnz .LBB141_391
.LBB141_390:
	v_cmp_ge_f32_e32 vcc, v5, v6
	s_andn2_b64 s[16:17], s[16:17], exec
	s_and_b64 s[18:19], vcc, exec
	s_or_b64 s[16:17], s[16:17], s[18:19]
.LBB141_391:
	global_load_ushort v5, v32, s[2:3]
	global_load_ushort v6, v30, s[6:7]
	s_cmp_lt_i32 s26, 1
	s_mov_b64 s[20:21], 0
	s_waitcnt vmcnt(1)
	v_lshlrev_b32_e32 v5, 16, v5
	s_waitcnt vmcnt(0)
	v_lshlrev_b32_e32 v6, 16, v6
	s_cbranch_scc1 .LBB141_396
; %bb.392:
	s_cmp_gt_i32 s26, 1
	s_cbranch_scc0 .LBB141_397
; %bb.393:
	s_cmp_eq_u32 s26, 2
	s_cbranch_scc0 .LBB141_398
; %bb.394:
	v_cmp_le_f32_e64 s[18:19], v5, v6
	s_mov_b64 s[22:23], 0
	s_branch .LBB141_399
.LBB141_395:
	v_cmp_lt_f32_e32 vcc, v5, v6
	s_andn2_b64 s[16:17], s[16:17], exec
	s_and_b64 s[20:21], vcc, exec
	s_or_b64 s[16:17], s[16:17], s[20:21]
	s_cbranch_execz .LBB141_390
	s_branch .LBB141_391
.LBB141_396:
                                        ; implicit-def: $sgpr18_sgpr19
	s_mov_b64 s[22:23], 0
	s_cbranch_execnz .LBB141_402
	s_branch .LBB141_403
.LBB141_397:
	s_mov_b64 s[22:23], 0
                                        ; implicit-def: $sgpr18_sgpr19
	s_cbranch_execnz .LBB141_400
	s_branch .LBB141_401
.LBB141_398:
	s_mov_b64 s[22:23], -1
                                        ; implicit-def: $sgpr18_sgpr19
.LBB141_399:
	s_branch .LBB141_401
.LBB141_400:
	v_cmp_gt_f32_e32 vcc, v5, v6
	s_andn2_b64 s[18:19], s[18:19], exec
	s_and_b64 s[24:25], vcc, exec
	s_or_b64 s[18:19], s[18:19], s[24:25]
.LBB141_401:
	s_branch .LBB141_403
.LBB141_402:
	s_cmp_lg_u32 s26, 0
	s_mov_b64 s[20:21], -1
	s_cselect_b64 s[22:23], -1, 0
.LBB141_403:
	s_andn2_b64 vcc, exec, s[22:23]
	s_cbranch_vccz .LBB141_410
; %bb.404:
	s_andn2_b64 vcc, exec, s[20:21]
	s_cbranch_vccnz .LBB141_406
.LBB141_405:
	v_cmp_ge_f32_e32 vcc, v5, v6
	s_andn2_b64 s[18:19], s[18:19], exec
	s_and_b64 s[20:21], vcc, exec
	s_or_b64 s[18:19], s[18:19], s[20:21]
.LBB141_406:
	global_load_ushort v5, v35, s[2:3]
	global_load_ushort v6, v33, s[6:7]
	s_cmp_lt_i32 s26, 1
	s_mov_b64 s[6:7], 0
	s_waitcnt vmcnt(1)
	v_lshlrev_b32_e32 v5, 16, v5
	s_waitcnt vmcnt(0)
	v_lshlrev_b32_e32 v6, 16, v6
	s_cbranch_scc1 .LBB141_411
; %bb.407:
	s_cmp_gt_i32 s26, 1
	s_cbranch_scc0 .LBB141_412
; %bb.408:
	s_cmp_eq_u32 s26, 2
	s_cbranch_scc0 .LBB141_413
; %bb.409:
	v_cmp_le_f32_e64 s[2:3], v5, v6
	s_mov_b64 s[20:21], 0
	s_branch .LBB141_414
.LBB141_410:
	v_cmp_lt_f32_e32 vcc, v5, v6
	s_andn2_b64 s[18:19], s[18:19], exec
	s_and_b64 s[22:23], vcc, exec
	s_or_b64 s[18:19], s[18:19], s[22:23]
	s_cbranch_execz .LBB141_405
	s_branch .LBB141_406
.LBB141_411:
                                        ; implicit-def: $sgpr2_sgpr3
	s_mov_b64 s[20:21], 0
	s_cbranch_execnz .LBB141_417
	s_branch .LBB141_418
.LBB141_412:
	s_mov_b64 s[20:21], 0
                                        ; implicit-def: $sgpr2_sgpr3
	s_cbranch_execnz .LBB141_415
	s_branch .LBB141_416
.LBB141_413:
	s_mov_b64 s[20:21], -1
                                        ; implicit-def: $sgpr2_sgpr3
.LBB141_414:
	s_branch .LBB141_416
.LBB141_415:
	v_cmp_gt_f32_e32 vcc, v5, v6
	s_andn2_b64 s[2:3], s[2:3], exec
	s_and_b64 s[22:23], vcc, exec
	s_or_b64 s[2:3], s[2:3], s[22:23]
.LBB141_416:
	s_branch .LBB141_418
.LBB141_417:
	s_cmp_lg_u32 s26, 0
	s_mov_b64 s[6:7], -1
	s_cselect_b64 s[20:21], -1, 0
.LBB141_418:
	s_andn2_b64 vcc, exec, s[20:21]
	s_cbranch_vccz .LBB141_422
; %bb.419:
	s_andn2_b64 vcc, exec, s[6:7]
	s_cbranch_vccnz .LBB141_421
.LBB141_420:
	v_cmp_ge_f32_e32 vcc, v5, v6
	s_andn2_b64 s[2:3], s[2:3], exec
	s_and_b64 s[6:7], vcc, exec
	s_or_b64 s[2:3], s[2:3], s[6:7]
.LBB141_421:
	v_cndmask_b32_e64 v12, 0, 1, s[4:5]
	v_cndmask_b32_e64 v5, 0, 1, s[18:19]
	;; [unrolled: 1-line block ×8, first 2 shown]
	global_store_byte v0, v12, s[0:1]
	global_store_byte v1, v11, s[0:1]
	;; [unrolled: 1-line block ×8, first 2 shown]
	s_endpgm
.LBB141_422:
	v_cmp_lt_f32_e32 vcc, v5, v6
	s_andn2_b64 s[2:3], s[2:3], exec
	s_and_b64 s[20:21], vcc, exec
	s_or_b64 s[2:3], s[2:3], s[20:21]
	s_cbranch_execz .LBB141_420
	s_branch .LBB141_421
.LBB141_423:
	s_mov_b64 s[36:37], -1
                                        ; implicit-def: $sgpr34_sgpr35
	s_branch .LBB141_54
.LBB141_424:
	s_mov_b64 s[36:37], -1
                                        ; implicit-def: $sgpr34_sgpr35
	s_branch .LBB141_79
.LBB141_425:
	s_mov_b64 s[36:37], -1
                                        ; implicit-def: $sgpr34_sgpr35
	s_branch .LBB141_104
.LBB141_426:
	s_mov_b64 s[36:37], -1
                                        ; implicit-def: $sgpr34_sgpr35
	s_branch .LBB141_129
.LBB141_427:
	s_mov_b64 s[36:37], -1
                                        ; implicit-def: $sgpr34_sgpr35
	s_branch .LBB141_154
.LBB141_428:
	s_mov_b64 s[36:37], -1
                                        ; implicit-def: $sgpr34_sgpr35
	s_branch .LBB141_179
.LBB141_429:
	s_mov_b64 s[6:7], -1
                                        ; implicit-def: $sgpr4_sgpr5
	s_branch .LBB141_204
	.section	.rodata,"a",@progbits
	.p2align	6, 0x0
	.amdhsa_kernel _ZN2at6native32elementwise_kernel_manual_unrollILi128ELi8EZNS0_22gpu_kernel_impl_nocastINS0_12_GLOBAL__N_114CompareFunctorIN3c108BFloat16EEEEEvRNS_18TensorIteratorBaseERKT_EUlibE_EEviT1_
		.amdhsa_group_segment_fixed_size 0
		.amdhsa_private_segment_fixed_size 0
		.amdhsa_kernarg_size 432
		.amdhsa_user_sgpr_count 6
		.amdhsa_user_sgpr_private_segment_buffer 1
		.amdhsa_user_sgpr_dispatch_ptr 0
		.amdhsa_user_sgpr_queue_ptr 0
		.amdhsa_user_sgpr_kernarg_segment_ptr 1
		.amdhsa_user_sgpr_dispatch_id 0
		.amdhsa_user_sgpr_flat_scratch_init 0
		.amdhsa_user_sgpr_private_segment_size 0
		.amdhsa_uses_dynamic_stack 0
		.amdhsa_system_sgpr_private_segment_wavefront_offset 0
		.amdhsa_system_sgpr_workgroup_id_x 1
		.amdhsa_system_sgpr_workgroup_id_y 0
		.amdhsa_system_sgpr_workgroup_id_z 0
		.amdhsa_system_sgpr_workgroup_info 0
		.amdhsa_system_vgpr_workitem_id 0
		.amdhsa_next_free_vgpr 38
		.amdhsa_next_free_sgpr 52
		.amdhsa_reserve_vcc 1
		.amdhsa_reserve_flat_scratch 0
		.amdhsa_float_round_mode_32 0
		.amdhsa_float_round_mode_16_64 0
		.amdhsa_float_denorm_mode_32 3
		.amdhsa_float_denorm_mode_16_64 3
		.amdhsa_dx10_clamp 1
		.amdhsa_ieee_mode 1
		.amdhsa_fp16_overflow 0
		.amdhsa_exception_fp_ieee_invalid_op 0
		.amdhsa_exception_fp_denorm_src 0
		.amdhsa_exception_fp_ieee_div_zero 0
		.amdhsa_exception_fp_ieee_overflow 0
		.amdhsa_exception_fp_ieee_underflow 0
		.amdhsa_exception_fp_ieee_inexact 0
		.amdhsa_exception_int_div_zero 0
	.end_amdhsa_kernel
	.section	.text._ZN2at6native32elementwise_kernel_manual_unrollILi128ELi8EZNS0_22gpu_kernel_impl_nocastINS0_12_GLOBAL__N_114CompareFunctorIN3c108BFloat16EEEEEvRNS_18TensorIteratorBaseERKT_EUlibE_EEviT1_,"axG",@progbits,_ZN2at6native32elementwise_kernel_manual_unrollILi128ELi8EZNS0_22gpu_kernel_impl_nocastINS0_12_GLOBAL__N_114CompareFunctorIN3c108BFloat16EEEEEvRNS_18TensorIteratorBaseERKT_EUlibE_EEviT1_,comdat
.Lfunc_end141:
	.size	_ZN2at6native32elementwise_kernel_manual_unrollILi128ELi8EZNS0_22gpu_kernel_impl_nocastINS0_12_GLOBAL__N_114CompareFunctorIN3c108BFloat16EEEEEvRNS_18TensorIteratorBaseERKT_EUlibE_EEviT1_, .Lfunc_end141-_ZN2at6native32elementwise_kernel_manual_unrollILi128ELi8EZNS0_22gpu_kernel_impl_nocastINS0_12_GLOBAL__N_114CompareFunctorIN3c108BFloat16EEEEEvRNS_18TensorIteratorBaseERKT_EUlibE_EEviT1_
                                        ; -- End function
	.set _ZN2at6native32elementwise_kernel_manual_unrollILi128ELi8EZNS0_22gpu_kernel_impl_nocastINS0_12_GLOBAL__N_114CompareFunctorIN3c108BFloat16EEEEEvRNS_18TensorIteratorBaseERKT_EUlibE_EEviT1_.num_vgpr, 38
	.set _ZN2at6native32elementwise_kernel_manual_unrollILi128ELi8EZNS0_22gpu_kernel_impl_nocastINS0_12_GLOBAL__N_114CompareFunctorIN3c108BFloat16EEEEEvRNS_18TensorIteratorBaseERKT_EUlibE_EEviT1_.num_agpr, 0
	.set _ZN2at6native32elementwise_kernel_manual_unrollILi128ELi8EZNS0_22gpu_kernel_impl_nocastINS0_12_GLOBAL__N_114CompareFunctorIN3c108BFloat16EEEEEvRNS_18TensorIteratorBaseERKT_EUlibE_EEviT1_.numbered_sgpr, 52
	.set _ZN2at6native32elementwise_kernel_manual_unrollILi128ELi8EZNS0_22gpu_kernel_impl_nocastINS0_12_GLOBAL__N_114CompareFunctorIN3c108BFloat16EEEEEvRNS_18TensorIteratorBaseERKT_EUlibE_EEviT1_.num_named_barrier, 0
	.set _ZN2at6native32elementwise_kernel_manual_unrollILi128ELi8EZNS0_22gpu_kernel_impl_nocastINS0_12_GLOBAL__N_114CompareFunctorIN3c108BFloat16EEEEEvRNS_18TensorIteratorBaseERKT_EUlibE_EEviT1_.private_seg_size, 0
	.set _ZN2at6native32elementwise_kernel_manual_unrollILi128ELi8EZNS0_22gpu_kernel_impl_nocastINS0_12_GLOBAL__N_114CompareFunctorIN3c108BFloat16EEEEEvRNS_18TensorIteratorBaseERKT_EUlibE_EEviT1_.uses_vcc, 1
	.set _ZN2at6native32elementwise_kernel_manual_unrollILi128ELi8EZNS0_22gpu_kernel_impl_nocastINS0_12_GLOBAL__N_114CompareFunctorIN3c108BFloat16EEEEEvRNS_18TensorIteratorBaseERKT_EUlibE_EEviT1_.uses_flat_scratch, 0
	.set _ZN2at6native32elementwise_kernel_manual_unrollILi128ELi8EZNS0_22gpu_kernel_impl_nocastINS0_12_GLOBAL__N_114CompareFunctorIN3c108BFloat16EEEEEvRNS_18TensorIteratorBaseERKT_EUlibE_EEviT1_.has_dyn_sized_stack, 0
	.set _ZN2at6native32elementwise_kernel_manual_unrollILi128ELi8EZNS0_22gpu_kernel_impl_nocastINS0_12_GLOBAL__N_114CompareFunctorIN3c108BFloat16EEEEEvRNS_18TensorIteratorBaseERKT_EUlibE_EEviT1_.has_recursion, 0
	.set _ZN2at6native32elementwise_kernel_manual_unrollILi128ELi8EZNS0_22gpu_kernel_impl_nocastINS0_12_GLOBAL__N_114CompareFunctorIN3c108BFloat16EEEEEvRNS_18TensorIteratorBaseERKT_EUlibE_EEviT1_.has_indirect_call, 0
	.section	.AMDGPU.csdata,"",@progbits
; Kernel info:
; codeLenInByte = 12056
; TotalNumSgprs: 56
; NumVgprs: 38
; ScratchSize: 0
; MemoryBound: 0
; FloatMode: 240
; IeeeMode: 1
; LDSByteSize: 0 bytes/workgroup (compile time only)
; SGPRBlocks: 6
; VGPRBlocks: 9
; NumSGPRsForWavesPerEU: 56
; NumVGPRsForWavesPerEU: 38
; Occupancy: 6
; WaveLimiterHint : 1
; COMPUTE_PGM_RSRC2:SCRATCH_EN: 0
; COMPUTE_PGM_RSRC2:USER_SGPR: 6
; COMPUTE_PGM_RSRC2:TRAP_HANDLER: 0
; COMPUTE_PGM_RSRC2:TGID_X_EN: 1
; COMPUTE_PGM_RSRC2:TGID_Y_EN: 0
; COMPUTE_PGM_RSRC2:TGID_Z_EN: 0
; COMPUTE_PGM_RSRC2:TIDIG_COMP_CNT: 0
	.section	.text._ZN2at6native32elementwise_kernel_manual_unrollILi128ELi4EZNS0_15gpu_kernel_implINS0_12_GLOBAL__N_114CompareFunctorIN3c108BFloat16EEEEEvRNS_18TensorIteratorBaseERKT_EUlibE_EEviT1_,"axG",@progbits,_ZN2at6native32elementwise_kernel_manual_unrollILi128ELi4EZNS0_15gpu_kernel_implINS0_12_GLOBAL__N_114CompareFunctorIN3c108BFloat16EEEEEvRNS_18TensorIteratorBaseERKT_EUlibE_EEviT1_,comdat
	.globl	_ZN2at6native32elementwise_kernel_manual_unrollILi128ELi4EZNS0_15gpu_kernel_implINS0_12_GLOBAL__N_114CompareFunctorIN3c108BFloat16EEEEEvRNS_18TensorIteratorBaseERKT_EUlibE_EEviT1_ ; -- Begin function _ZN2at6native32elementwise_kernel_manual_unrollILi128ELi4EZNS0_15gpu_kernel_implINS0_12_GLOBAL__N_114CompareFunctorIN3c108BFloat16EEEEEvRNS_18TensorIteratorBaseERKT_EUlibE_EEviT1_
	.p2align	8
	.type	_ZN2at6native32elementwise_kernel_manual_unrollILi128ELi4EZNS0_15gpu_kernel_implINS0_12_GLOBAL__N_114CompareFunctorIN3c108BFloat16EEEEEvRNS_18TensorIteratorBaseERKT_EUlibE_EEviT1_,@function
_ZN2at6native32elementwise_kernel_manual_unrollILi128ELi4EZNS0_15gpu_kernel_implINS0_12_GLOBAL__N_114CompareFunctorIN3c108BFloat16EEEEEvRNS_18TensorIteratorBaseERKT_EUlibE_EEviT1_: ; @_ZN2at6native32elementwise_kernel_manual_unrollILi128ELi4EZNS0_15gpu_kernel_implINS0_12_GLOBAL__N_114CompareFunctorIN3c108BFloat16EEEEEvRNS_18TensorIteratorBaseERKT_EUlibE_EEviT1_
; %bb.0:
	s_load_dword s33, s[4:5], 0x30
	s_load_dword s48, s[4:5], 0x0
	s_load_dwordx4 s[8:11], s[4:5], 0x8
	s_load_dwordx2 s[2:3], s[4:5], 0x18
	s_load_dwordx4 s[12:15], s[4:5], 0x20
	v_lshl_or_b32 v2, s6, 9, v0
	v_or_b32_e32 v0, 0x180, v2
	s_waitcnt lgkmcnt(0)
	s_lshr_b32 s55, s33, 8
	s_lshr_b32 s54, s33, 16
	v_cmp_le_i32_e32 vcc, s48, v0
	s_mov_b64 s[4:5], 0
	s_mov_b64 s[16:17], 0
	s_and_saveexec_b64 s[0:1], vcc
	s_xor_b64 s[6:7], exec, s[0:1]
	s_cbranch_execz .LBB142_1610
; %bb.1:
	v_cmp_gt_i32_e32 vcc, s48, v2
	s_mov_b64 s[0:1], -1
	s_mov_b64 s[26:27], 0
	s_mov_b64 s[20:21], 0
	;; [unrolled: 1-line block ×3, first 2 shown]
	s_and_saveexec_b64 s[22:23], vcc
	s_cbranch_execz .LBB142_399
; %bb.2:
	v_mul_lo_u32 v0, v2, s13
	v_mov_b32_e32 v1, s11
	s_and_b32 s24, s55, 0xff
	s_cmp_lt_i32 s24, 11
	v_ashrrev_i32_e32 v3, 31, v0
	v_add_co_u32_e32 v0, vcc, s10, v0
	v_addc_co_u32_e32 v1, vcc, v1, v3, vcc
	s_cbranch_scc1 .LBB142_9
; %bb.3:
	s_and_b32 s25, 0xffff, s24
	s_cmp_gt_i32 s25, 25
	s_cbranch_scc0 .LBB142_18
; %bb.4:
	s_cmp_gt_i32 s25, 28
	s_cbranch_scc0 .LBB142_25
; %bb.5:
	;; [unrolled: 3-line block ×4, first 2 shown]
	s_cmp_eq_u32 s25, 46
	s_cbranch_scc0 .LBB142_53
; %bb.8:
	global_load_dword v3, v[0:1], off
	s_branch .LBB142_55
.LBB142_9:
                                        ; implicit-def: $vgpr3
	s_mov_b64 s[0:1], 0
	s_cbranch_execnz .LBB142_121
.LBB142_10:
	s_andn2_b64 vcc, exec, s[0:1]
	s_cbranch_vccnz .LBB142_168
.LBB142_11:
	v_mul_lo_u32 v0, v2, s14
	v_mov_b32_e32 v1, s3
	s_and_b32 s28, s54, 0xff
	s_cmp_lt_i32 s28, 11
	v_ashrrev_i32_e32 v4, 31, v0
	v_add_co_u32_e32 v0, vcc, s2, v0
	v_addc_co_u32_e32 v1, vcc, v1, v4, vcc
	s_cbranch_scc1 .LBB142_19
; %bb.12:
	s_and_b32 s29, 0xffff, s28
	s_cmp_gt_i32 s29, 25
	s_cbranch_scc0 .LBB142_26
; %bb.13:
	s_cmp_gt_i32 s29, 28
	s_cbranch_scc0 .LBB142_31
; %bb.14:
	;; [unrolled: 3-line block ×4, first 2 shown]
	s_cmp_eq_u32 s29, 46
	s_mov_b64 s[16:17], 0
	s_cbranch_scc0 .LBB142_169
; %bb.17:
	global_load_dword v4, v[0:1], off
	s_mov_b64 s[0:1], -1
	s_mov_b64 s[18:19], 0
	s_branch .LBB142_171
.LBB142_18:
	s_mov_b64 s[0:1], 0
                                        ; implicit-def: $vgpr3
	s_cbranch_execnz .LBB142_86
	s_branch .LBB142_120
.LBB142_19:
	s_mov_b64 s[18:19], 0
                                        ; implicit-def: $vgpr4
	s_mov_b64 s[0:1], 0
	s_cbranch_execnz .LBB142_348
.LBB142_20:
	s_andn2_b64 vcc, exec, s[0:1]
	s_cbranch_vccnz .LBB142_396
.LBB142_21:
	s_waitcnt vmcnt(0)
	v_lshlrev_b32_e32 v0, 16, v3
	v_lshlrev_b32_e32 v1, 16, v4
	s_cmp_lt_i32 s15, 1
	s_mov_b64 s[0:1], 0
	s_cbranch_scc1 .LBB142_27
; %bb.22:
	s_cmp_gt_i32 s15, 1
	s_cbranch_scc0 .LBB142_32
; %bb.23:
	s_cmp_eq_u32 s15, 2
	s_cbranch_scc0 .LBB142_35
; %bb.24:
	v_cmp_le_f32_e64 s[16:17], v0, v1
	s_mov_b64 s[24:25], 0
	s_branch .LBB142_36
.LBB142_25:
	s_mov_b64 s[16:17], -1
	s_mov_b64 s[0:1], 0
                                        ; implicit-def: $vgpr3
	s_branch .LBB142_67
.LBB142_26:
	s_mov_b64 s[16:17], -1
	s_mov_b64 s[18:19], 0
	s_mov_b64 s[0:1], 0
                                        ; implicit-def: $vgpr4
	s_branch .LBB142_312
.LBB142_27:
                                        ; implicit-def: $sgpr16_sgpr17
	s_mov_b64 s[24:25], 0
	s_cbranch_execnz .LBB142_40
.LBB142_28:
	s_andn2_b64 vcc, exec, s[24:25]
	s_cbranch_vccnz .LBB142_41
.LBB142_29:
	v_cmp_lt_f32_e32 vcc, v0, v1
	s_andn2_b64 s[16:17], s[16:17], exec
	s_and_b64 s[24:25], vcc, exec
	s_or_b64 s[16:17], s[16:17], s[24:25]
	s_cbranch_execz .LBB142_42
	s_branch .LBB142_43
.LBB142_30:
	s_mov_b64 s[16:17], -1
	s_mov_b64 s[0:1], 0
                                        ; implicit-def: $vgpr3
	s_branch .LBB142_62
.LBB142_31:
	s_mov_b64 s[16:17], -1
	s_mov_b64 s[18:19], 0
	s_mov_b64 s[0:1], 0
                                        ; implicit-def: $vgpr4
	s_branch .LBB142_293
.LBB142_32:
	s_mov_b64 s[28:29], -1
	s_mov_b64 s[24:25], 0
                                        ; implicit-def: $sgpr16_sgpr17
	s_branch .LBB142_37
.LBB142_33:
	s_mov_b64 s[16:17], -1
	s_branch .LBB142_54
.LBB142_34:
	s_mov_b64 s[16:17], -1
	s_mov_b64 s[18:19], 0
	s_mov_b64 s[0:1], 0
                                        ; implicit-def: $vgpr4
	s_branch .LBB142_288
.LBB142_35:
	s_mov_b64 s[24:25], -1
                                        ; implicit-def: $sgpr16_sgpr17
.LBB142_36:
	s_mov_b64 s[28:29], 0
.LBB142_37:
	s_and_b64 vcc, exec, s[28:29]
	s_cbranch_vccz .LBB142_39
; %bb.38:
	v_cmp_gt_f32_e32 vcc, v0, v1
	s_andn2_b64 s[16:17], s[16:17], exec
	s_and_b64 s[28:29], vcc, exec
	s_or_b64 s[16:17], s[16:17], s[28:29]
.LBB142_39:
	s_branch .LBB142_28
.LBB142_40:
	s_cmp_lg_u32 s15, 0
	s_mov_b64 s[0:1], -1
	s_cselect_b64 s[24:25], -1, 0
	s_andn2_b64 vcc, exec, s[24:25]
	s_cbranch_vccz .LBB142_29
.LBB142_41:
	s_andn2_b64 vcc, exec, s[0:1]
	s_cbranch_vccnz .LBB142_43
.LBB142_42:
	v_cmp_ge_f32_e32 vcc, v0, v1
	s_andn2_b64 s[0:1], s[16:17], exec
	s_and_b64 s[16:17], vcc, exec
	s_or_b64 s[16:17], s[0:1], s[16:17]
.LBB142_43:
	v_mul_lo_u32 v0, v2, s12
	v_mov_b32_e32 v1, s9
	s_and_b32 s34, s33, 0xff
	s_cmp_lt_i32 s34, 11
	v_ashrrev_i32_e32 v3, 31, v0
	v_add_co_u32_e32 v0, vcc, s8, v0
	v_addc_co_u32_e32 v1, vcc, v1, v3, vcc
	s_cbranch_scc1 .LBB142_50
; %bb.44:
	s_and_b32 s35, 0xffff, s34
	s_cmp_gt_i32 s35, 25
	s_cbranch_scc0 .LBB142_51
; %bb.45:
	s_cmp_gt_i32 s35, 28
	s_cbranch_scc0 .LBB142_52
; %bb.46:
	;; [unrolled: 3-line block ×4, first 2 shown]
	s_mov_b64 s[28:29], 0
	s_mov_b64 s[0:1], -1
	s_cmp_eq_u32 s35, 46
	s_mov_b64 s[24:25], 0
	s_cbranch_scc0 .LBB142_175
; %bb.49:
	v_cndmask_b32_e64 v3, 0, 1.0, s[16:17]
	v_bfe_u32 v4, v3, 16, 1
	s_movk_i32 s0, 0x7fff
	v_add3_u32 v3, v3, v4, s0
	v_lshrrev_b32_e32 v3, 16, v3
	global_store_dword v[0:1], v3, off
	s_mov_b64 s[24:25], -1
	s_mov_b64 s[0:1], 0
	s_branch .LBB142_175
.LBB142_50:
	s_mov_b64 s[28:29], -1
	s_mov_b64 s[0:1], 0
	s_mov_b64 s[24:25], 0
	s_branch .LBB142_244
.LBB142_51:
	s_mov_b64 s[28:29], -1
	s_mov_b64 s[0:1], 0
	s_mov_b64 s[24:25], 0
	s_branch .LBB142_202
.LBB142_52:
	s_mov_b64 s[28:29], -1
	s_mov_b64 s[0:1], 0
	s_mov_b64 s[24:25], 0
	s_branch .LBB142_185
.LBB142_53:
	s_mov_b64 s[20:21], -1
.LBB142_54:
	s_mov_b64 s[0:1], 0
                                        ; implicit-def: $vgpr3
.LBB142_55:
	s_and_b64 vcc, exec, s[16:17]
	s_cbranch_vccz .LBB142_61
; %bb.56:
	s_cmp_eq_u32 s25, 44
	s_cbranch_scc0 .LBB142_60
; %bb.57:
	global_load_ubyte v3, v[0:1], off
	s_movk_i32 s16, 0xff
	v_mov_b32_e32 v4, 0x7f800001
	v_mov_b32_e32 v5, 0x400000
	;; [unrolled: 1-line block ×3, first 2 shown]
	s_mov_b64 s[0:1], -1
	s_mov_b64 s[20:21], 0
	s_waitcnt vmcnt(0)
	v_lshlrev_b32_e32 v7, 23, v3
	v_cmp_ne_u32_e32 vcc, s16, v3
	v_cndmask_b32_e32 v4, v4, v7, vcc
	v_cmp_ne_u32_e32 vcc, 0, v3
	v_cndmask_b32_e32 v3, v5, v4, vcc
	v_add_u32_e32 v4, 0x7fff, v3
	v_cmp_o_f32_e32 vcc, v3, v3
	v_cndmask_b32_sdwa v3, v6, v4, vcc dst_sel:DWORD dst_unused:UNUSED_PAD src0_sel:DWORD src1_sel:WORD_1
	s_branch .LBB142_61
.LBB142_58:
	s_mov_b64 s[16:17], -1
	s_mov_b64 s[18:19], 0
	s_branch .LBB142_170
.LBB142_59:
	s_mov_b64 s[28:29], -1
	s_mov_b64 s[0:1], 0
	s_mov_b64 s[24:25], 0
	s_branch .LBB142_181
.LBB142_60:
	s_mov_b64 s[20:21], -1
                                        ; implicit-def: $vgpr3
.LBB142_61:
	s_mov_b64 s[16:17], 0
.LBB142_62:
	s_and_b64 vcc, exec, s[16:17]
	s_cbranch_vccz .LBB142_66
; %bb.63:
	s_cmp_eq_u32 s25, 29
	s_cbranch_scc0 .LBB142_65
; %bb.64:
	global_load_dwordx2 v[3:4], v[0:1], off
	s_movk_i32 s16, 0x7fff
	s_mov_b64 s[0:1], -1
	s_mov_b64 s[20:21], 0
	s_waitcnt vmcnt(0)
	v_ffbh_u32_e32 v5, v4
	v_min_u32_e32 v5, 32, v5
	v_lshlrev_b64 v[3:4], v5, v[3:4]
	v_min_u32_e32 v3, 1, v3
	v_or_b32_e32 v3, v4, v3
	v_cvt_f32_u32_e32 v3, v3
	v_sub_u32_e32 v4, 32, v5
	v_ldexp_f32 v3, v3, v4
	v_bfe_u32 v4, v3, 16, 1
	v_add3_u32 v3, v3, v4, s16
	v_lshrrev_b32_e32 v3, 16, v3
	s_branch .LBB142_66
.LBB142_65:
	s_mov_b64 s[20:21], -1
                                        ; implicit-def: $vgpr3
.LBB142_66:
	s_mov_b64 s[16:17], 0
.LBB142_67:
	s_and_b64 vcc, exec, s[16:17]
	s_cbranch_vccz .LBB142_85
; %bb.68:
	s_cmp_lt_i32 s25, 27
	s_cbranch_scc1 .LBB142_71
; %bb.69:
	s_cmp_gt_i32 s25, 27
	s_cbranch_scc0 .LBB142_72
; %bb.70:
	global_load_dword v3, v[0:1], off
	s_movk_i32 s0, 0x7fff
	s_waitcnt vmcnt(0)
	v_cvt_f32_u32_e32 v3, v3
	v_bfe_u32 v4, v3, 16, 1
	v_add3_u32 v3, v3, v4, s0
	v_lshrrev_b32_e32 v3, 16, v3
	s_mov_b64 s[0:1], 0
	s_branch .LBB142_73
.LBB142_71:
	s_mov_b64 s[0:1], -1
                                        ; implicit-def: $vgpr3
	s_branch .LBB142_76
.LBB142_72:
	s_mov_b64 s[0:1], -1
                                        ; implicit-def: $vgpr3
.LBB142_73:
	s_andn2_b64 vcc, exec, s[0:1]
	s_cbranch_vccnz .LBB142_75
; %bb.74:
	global_load_ushort v3, v[0:1], off
	s_movk_i32 s0, 0x7fff
	s_waitcnt vmcnt(0)
	v_cvt_f32_u32_e32 v3, v3
	v_bfe_u32 v4, v3, 16, 1
	v_add3_u32 v3, v3, v4, s0
	v_lshrrev_b32_e32 v3, 16, v3
.LBB142_75:
	s_mov_b64 s[0:1], 0
.LBB142_76:
	s_andn2_b64 vcc, exec, s[0:1]
	s_cbranch_vccnz .LBB142_84
; %bb.77:
	global_load_ubyte v3, v[0:1], off
	s_movk_i32 s0, 0x7f
	s_waitcnt vmcnt(0)
	v_cmp_lt_i16_e32 vcc, s0, v3
	s_mov_b64 s[0:1], 0
	s_and_saveexec_b64 s[16:17], vcc
	s_xor_b64 s[16:17], exec, s[16:17]
	s_cbranch_execz .LBB142_97
; %bb.78:
	s_movk_i32 s0, 0x80
	v_cmp_eq_u16_e32 vcc, s0, v3
	s_mov_b64 s[0:1], -1
	s_and_saveexec_b64 s[18:19], vcc
; %bb.79:
	s_xor_b64 s[0:1], exec, -1
; %bb.80:
	s_or_b64 exec, exec, s[18:19]
	s_and_b64 s[0:1], s[0:1], exec
	s_or_saveexec_b64 s[16:17], s[16:17]
	v_mov_b32_e32 v4, 0x7f800001
	s_xor_b64 exec, exec, s[16:17]
	s_cbranch_execnz .LBB142_98
.LBB142_81:
	s_or_b64 exec, exec, s[16:17]
	s_and_saveexec_b64 s[16:17], s[0:1]
	s_cbranch_execz .LBB142_83
.LBB142_82:
	v_lshlrev_b32_e32 v4, 24, v3
	v_and_b32_e32 v3, 0xffff, v3
	v_and_b32_e32 v5, 7, v3
	v_ffbh_u32_e32 v7, v5
	v_min_u32_e32 v7, 32, v7
	v_subrev_u32_e32 v8, 28, v7
	v_bfe_u32 v6, v3, 3, 4
	v_lshlrev_b32_e32 v3, v8, v3
	v_sub_u32_e32 v7, 29, v7
	v_and_b32_e32 v3, 7, v3
	v_cmp_eq_u32_e32 vcc, 0, v6
	v_cndmask_b32_e32 v6, v6, v7, vcc
	v_cndmask_b32_e32 v3, v5, v3, vcc
	v_mov_b32_e32 v5, 0x3b800000
	v_lshlrev_b32_e32 v3, 20, v3
	v_and_b32_e32 v4, 0x80000000, v4
	v_lshl_add_u32 v5, v6, 23, v5
	v_or3_b32 v4, v4, v5, v3
.LBB142_83:
	s_or_b64 exec, exec, s[16:17]
	v_bfe_u32 v3, v4, 16, 1
	s_movk_i32 s0, 0x7fff
	v_add3_u32 v3, v4, v3, s0
	v_cmp_o_f32_e32 vcc, v4, v4
	v_mov_b32_e32 v4, 0x7fc0
	v_cndmask_b32_sdwa v3, v4, v3, vcc dst_sel:DWORD dst_unused:UNUSED_PAD src0_sel:DWORD src1_sel:WORD_1
.LBB142_84:
	s_mov_b64 s[0:1], -1
.LBB142_85:
	s_branch .LBB142_120
.LBB142_86:
	s_cmp_gt_i32 s25, 22
	s_cbranch_scc0 .LBB142_96
; %bb.87:
	s_cmp_lt_i32 s25, 24
	s_cbranch_scc1 .LBB142_99
; %bb.88:
	s_cmp_gt_i32 s25, 24
	s_cbranch_scc0 .LBB142_100
; %bb.89:
	global_load_ubyte v3, v[0:1], off
	s_movk_i32 s0, 0x7f
	s_waitcnt vmcnt(0)
	v_cmp_lt_i16_e32 vcc, s0, v3
	s_mov_b64 s[0:1], 0
	s_and_saveexec_b64 s[16:17], vcc
	s_xor_b64 s[16:17], exec, s[16:17]
	s_cbranch_execz .LBB142_112
; %bb.90:
	s_movk_i32 s0, 0x80
	v_cmp_eq_u16_e32 vcc, s0, v3
	s_mov_b64 s[0:1], -1
	s_and_saveexec_b64 s[18:19], vcc
; %bb.91:
	s_xor_b64 s[0:1], exec, -1
; %bb.92:
	s_or_b64 exec, exec, s[18:19]
	s_and_b64 s[0:1], s[0:1], exec
	s_or_saveexec_b64 s[16:17], s[16:17]
	v_mov_b32_e32 v4, 0x7f800001
	s_xor_b64 exec, exec, s[16:17]
	s_cbranch_execnz .LBB142_113
.LBB142_93:
	s_or_b64 exec, exec, s[16:17]
	s_and_saveexec_b64 s[16:17], s[0:1]
	s_cbranch_execz .LBB142_95
.LBB142_94:
	v_lshlrev_b32_e32 v4, 24, v3
	v_and_b32_e32 v3, 0xffff, v3
	v_and_b32_e32 v5, 3, v3
	v_ffbh_u32_e32 v7, v5
	v_min_u32_e32 v7, 32, v7
	v_subrev_u32_e32 v8, 29, v7
	v_bfe_u32 v6, v3, 2, 5
	v_lshlrev_b32_e32 v3, v8, v3
	v_sub_u32_e32 v7, 30, v7
	v_and_b32_e32 v3, 3, v3
	v_cmp_eq_u32_e32 vcc, 0, v6
	v_cndmask_b32_e32 v6, v6, v7, vcc
	v_cndmask_b32_e32 v3, v5, v3, vcc
	v_mov_b32_e32 v5, 0x37800000
	v_lshlrev_b32_e32 v3, 21, v3
	v_and_b32_e32 v4, 0x80000000, v4
	v_lshl_add_u32 v5, v6, 23, v5
	v_or3_b32 v4, v4, v5, v3
.LBB142_95:
	s_or_b64 exec, exec, s[16:17]
	v_bfe_u32 v3, v4, 16, 1
	s_movk_i32 s0, 0x7fff
	v_add3_u32 v3, v4, v3, s0
	v_cmp_o_f32_e32 vcc, v4, v4
	v_mov_b32_e32 v4, 0x7fc0
	v_cndmask_b32_sdwa v3, v4, v3, vcc dst_sel:DWORD dst_unused:UNUSED_PAD src0_sel:DWORD src1_sel:WORD_1
	s_mov_b64 s[0:1], 0
	s_branch .LBB142_101
.LBB142_96:
	s_mov_b64 s[16:17], -1
                                        ; implicit-def: $vgpr3
	s_branch .LBB142_107
.LBB142_97:
	s_or_saveexec_b64 s[16:17], s[16:17]
	v_mov_b32_e32 v4, 0x7f800001
	s_xor_b64 exec, exec, s[16:17]
	s_cbranch_execz .LBB142_81
.LBB142_98:
	v_cmp_ne_u16_e32 vcc, 0, v3
	s_andn2_b64 s[0:1], s[0:1], exec
	s_and_b64 s[18:19], vcc, exec
	v_mov_b32_e32 v4, 0
	s_or_b64 s[0:1], s[0:1], s[18:19]
	s_or_b64 exec, exec, s[16:17]
	s_and_saveexec_b64 s[16:17], s[0:1]
	s_cbranch_execnz .LBB142_82
	s_branch .LBB142_83
.LBB142_99:
	s_mov_b64 s[0:1], -1
                                        ; implicit-def: $vgpr3
	s_branch .LBB142_104
.LBB142_100:
	s_mov_b64 s[0:1], -1
                                        ; implicit-def: $vgpr3
.LBB142_101:
	s_and_b64 vcc, exec, s[0:1]
	s_cbranch_vccz .LBB142_103
; %bb.102:
	global_load_ubyte v3, v[0:1], off
	s_mov_b32 s0, 0x7f800000
	s_brev_b32 s1, 1
	s_movk_i32 s16, 0x7fff
	s_waitcnt vmcnt(0)
	v_lshlrev_b32_e32 v3, 24, v3
	v_and_b32_e32 v4, 0x7f000000, v3
	v_ffbh_u32_e32 v5, v4
	v_min_u32_e32 v5, 32, v5
	v_sub_u32_e64 v5, v5, 4 clamp
	v_lshlrev_b32_e32 v7, v5, v4
	v_lshlrev_b32_e32 v5, 23, v5
	v_lshrrev_b32_e32 v7, 4, v7
	v_add_u32_e32 v6, 0x1000000, v4
	v_sub_u32_e32 v5, v7, v5
	v_ashrrev_i32_e32 v6, 8, v6
	v_add_u32_e32 v5, 0x3c000000, v5
	v_and_or_b32 v5, v6, s0, v5
	v_cmp_ne_u32_e32 vcc, 0, v4
	v_cndmask_b32_e32 v4, 0, v5, vcc
	v_and_or_b32 v3, v3, s1, v4
	v_bfe_u32 v4, v4, 16, 1
	v_add3_u32 v4, v3, v4, s16
	v_cmp_o_f32_e32 vcc, v3, v3
	v_mov_b32_e32 v3, 0x7fc0
	v_cndmask_b32_sdwa v3, v3, v4, vcc dst_sel:DWORD dst_unused:UNUSED_PAD src0_sel:DWORD src1_sel:WORD_1
.LBB142_103:
	s_mov_b64 s[0:1], 0
.LBB142_104:
	s_andn2_b64 vcc, exec, s[0:1]
	s_cbranch_vccnz .LBB142_106
; %bb.105:
	global_load_ubyte v3, v[0:1], off
	s_movk_i32 s0, 0x7f00
	s_brev_b32 s1, 16
	s_brev_b32 s16, 1
	s_movk_i32 s17, 0x7fff
	s_waitcnt vmcnt(0)
	v_lshlrev_b16_e32 v4, 8, v3
	v_lshlrev_b32_e32 v3, 25, v3
	v_lshrrev_b32_e32 v5, 4, v3
	v_and_or_b32 v6, v4, s0, 0.5
	v_or_b32_e32 v5, 0x70000000, v5
	v_add_f32_e32 v6, -0.5, v6
	v_mul_f32_e32 v5, 0x7800000, v5
	v_cmp_gt_u32_e32 vcc, s1, v3
	v_bfe_i32 v4, v4, 0, 16
	v_cndmask_b32_e32 v3, v5, v6, vcc
	v_and_or_b32 v4, v4, s16, v3
	v_bfe_u32 v3, v3, 16, 1
	v_add3_u32 v3, v4, v3, s17
	v_cmp_o_f32_e32 vcc, v4, v4
	v_mov_b32_e32 v4, 0x7fc0
	v_cndmask_b32_sdwa v3, v4, v3, vcc dst_sel:DWORD dst_unused:UNUSED_PAD src0_sel:DWORD src1_sel:WORD_1
.LBB142_106:
	s_mov_b64 s[16:17], 0
	s_mov_b64 s[0:1], -1
.LBB142_107:
	s_andn2_b64 vcc, exec, s[16:17]
	s_cbranch_vccnz .LBB142_120
; %bb.108:
	s_cmp_gt_i32 s25, 14
	s_cbranch_scc0 .LBB142_111
; %bb.109:
	s_cmp_eq_u32 s25, 15
	s_cbranch_scc0 .LBB142_114
; %bb.110:
	global_load_ushort v3, v[0:1], off
	s_mov_b64 s[0:1], -1
	s_mov_b64 s[20:21], 0
	s_branch .LBB142_115
.LBB142_111:
	s_mov_b64 s[16:17], -1
                                        ; implicit-def: $vgpr3
	s_branch .LBB142_116
.LBB142_112:
	s_or_saveexec_b64 s[16:17], s[16:17]
	v_mov_b32_e32 v4, 0x7f800001
	s_xor_b64 exec, exec, s[16:17]
	s_cbranch_execz .LBB142_93
.LBB142_113:
	v_cmp_ne_u16_e32 vcc, 0, v3
	s_andn2_b64 s[0:1], s[0:1], exec
	s_and_b64 s[18:19], vcc, exec
	v_mov_b32_e32 v4, 0
	s_or_b64 s[0:1], s[0:1], s[18:19]
	s_or_b64 exec, exec, s[16:17]
	s_and_saveexec_b64 s[16:17], s[0:1]
	s_cbranch_execnz .LBB142_94
	s_branch .LBB142_95
.LBB142_114:
	s_mov_b64 s[20:21], -1
                                        ; implicit-def: $vgpr3
.LBB142_115:
	s_mov_b64 s[16:17], 0
.LBB142_116:
	s_and_b64 vcc, exec, s[16:17]
	s_cbranch_vccz .LBB142_120
; %bb.117:
	s_cmp_eq_u32 s25, 11
	s_cbranch_scc0 .LBB142_119
; %bb.118:
	global_load_ubyte v3, v[0:1], off
	s_mov_b64 s[0:1], -1
	s_mov_b64 s[20:21], 0
	s_waitcnt vmcnt(0)
	v_cmp_ne_u16_e32 vcc, 0, v3
	v_cndmask_b32_e64 v3, 0, 1.0, vcc
	v_lshrrev_b32_e32 v3, 16, v3
	s_branch .LBB142_120
.LBB142_119:
	s_mov_b64 s[20:21], -1
                                        ; implicit-def: $vgpr3
.LBB142_120:
	s_branch .LBB142_10
.LBB142_121:
	s_and_b32 s16, 0xffff, s24
	s_cmp_lt_i32 s16, 5
	s_cbranch_scc1 .LBB142_126
; %bb.122:
	s_cmp_lt_i32 s16, 8
	s_cbranch_scc1 .LBB142_127
; %bb.123:
	;; [unrolled: 3-line block ×3, first 2 shown]
	s_cmp_gt_i32 s16, 9
	s_cbranch_scc0 .LBB142_129
; %bb.125:
	global_load_dwordx2 v[3:4], v[0:1], off
	s_movk_i32 s0, 0x7fff
	s_waitcnt vmcnt(0)
	v_cvt_f32_f64_e32 v3, v[3:4]
	v_mov_b32_e32 v4, 0x7fc0
	v_bfe_u32 v5, v3, 16, 1
	v_cmp_o_f32_e32 vcc, v3, v3
	v_add3_u32 v3, v3, v5, s0
	v_cndmask_b32_sdwa v3, v4, v3, vcc dst_sel:DWORD dst_unused:UNUSED_PAD src0_sel:DWORD src1_sel:WORD_1
	s_mov_b64 s[0:1], 0
	s_branch .LBB142_130
.LBB142_126:
                                        ; implicit-def: $vgpr3
	s_branch .LBB142_148
.LBB142_127:
	s_mov_b64 s[0:1], -1
                                        ; implicit-def: $vgpr3
	s_branch .LBB142_136
.LBB142_128:
	s_mov_b64 s[0:1], -1
                                        ; implicit-def: $vgpr3
	s_branch .LBB142_133
.LBB142_129:
	s_mov_b64 s[0:1], -1
                                        ; implicit-def: $vgpr3
.LBB142_130:
	s_andn2_b64 vcc, exec, s[0:1]
	s_cbranch_vccnz .LBB142_132
; %bb.131:
	global_load_dword v3, v[0:1], off
	s_movk_i32 s0, 0x7fff
	v_mov_b32_e32 v4, 0x7fc0
	s_waitcnt vmcnt(0)
	v_bfe_u32 v5, v3, 16, 1
	v_cmp_o_f32_e32 vcc, v3, v3
	v_add3_u32 v3, v3, v5, s0
	v_cndmask_b32_sdwa v3, v4, v3, vcc dst_sel:DWORD dst_unused:UNUSED_PAD src0_sel:DWORD src1_sel:WORD_1
.LBB142_132:
	s_mov_b64 s[0:1], 0
.LBB142_133:
	s_andn2_b64 vcc, exec, s[0:1]
	s_cbranch_vccnz .LBB142_135
; %bb.134:
	global_load_dword v3, v[0:1], off
	s_movk_i32 s0, 0x7fff
	v_mov_b32_e32 v5, 0x7fc0
	s_waitcnt vmcnt(0)
	v_cvt_f32_f16_e32 v4, v3
	v_cmp_o_f16_e32 vcc, v3, v3
	v_bfe_u32 v3, v4, 16, 1
	v_add3_u32 v3, v4, v3, s0
	v_cndmask_b32_sdwa v3, v5, v3, vcc dst_sel:DWORD dst_unused:UNUSED_PAD src0_sel:DWORD src1_sel:WORD_1
.LBB142_135:
	s_mov_b64 s[0:1], 0
.LBB142_136:
	s_andn2_b64 vcc, exec, s[0:1]
	s_cbranch_vccnz .LBB142_147
; %bb.137:
	s_cmp_lt_i32 s16, 6
	s_cbranch_scc1 .LBB142_140
; %bb.138:
	s_cmp_gt_i32 s16, 6
	s_cbranch_scc0 .LBB142_141
; %bb.139:
	global_load_dwordx2 v[3:4], v[0:1], off
	s_movk_i32 s0, 0x7fff
	s_waitcnt vmcnt(0)
	v_cvt_f32_f64_e32 v3, v[3:4]
	v_mov_b32_e32 v4, 0x7fc0
	v_bfe_u32 v5, v3, 16, 1
	v_cmp_o_f32_e32 vcc, v3, v3
	v_add3_u32 v3, v3, v5, s0
	v_cndmask_b32_sdwa v3, v4, v3, vcc dst_sel:DWORD dst_unused:UNUSED_PAD src0_sel:DWORD src1_sel:WORD_1
	s_mov_b64 s[0:1], 0
	s_branch .LBB142_142
.LBB142_140:
	s_mov_b64 s[0:1], -1
                                        ; implicit-def: $vgpr3
	s_branch .LBB142_145
.LBB142_141:
	s_mov_b64 s[0:1], -1
                                        ; implicit-def: $vgpr3
.LBB142_142:
	s_andn2_b64 vcc, exec, s[0:1]
	s_cbranch_vccnz .LBB142_144
; %bb.143:
	global_load_dword v3, v[0:1], off
	s_movk_i32 s0, 0x7fff
	v_mov_b32_e32 v4, 0x7fc0
	s_waitcnt vmcnt(0)
	v_bfe_u32 v5, v3, 16, 1
	v_cmp_o_f32_e32 vcc, v3, v3
	v_add3_u32 v3, v3, v5, s0
	v_cndmask_b32_sdwa v3, v4, v3, vcc dst_sel:DWORD dst_unused:UNUSED_PAD src0_sel:DWORD src1_sel:WORD_1
.LBB142_144:
	s_mov_b64 s[0:1], 0
.LBB142_145:
	s_andn2_b64 vcc, exec, s[0:1]
	s_cbranch_vccnz .LBB142_147
; %bb.146:
	global_load_ushort v3, v[0:1], off
	s_movk_i32 s0, 0x7fff
	v_mov_b32_e32 v5, 0x7fc0
	s_waitcnt vmcnt(0)
	v_cvt_f32_f16_e32 v4, v3
	v_cmp_o_f16_e32 vcc, v3, v3
	v_bfe_u32 v3, v4, 16, 1
	v_add3_u32 v3, v4, v3, s0
	v_cndmask_b32_sdwa v3, v5, v3, vcc dst_sel:DWORD dst_unused:UNUSED_PAD src0_sel:DWORD src1_sel:WORD_1
.LBB142_147:
	s_cbranch_execnz .LBB142_167
.LBB142_148:
	s_cmp_lt_i32 s16, 2
	s_cbranch_scc1 .LBB142_152
; %bb.149:
	s_cmp_lt_i32 s16, 3
	s_cbranch_scc1 .LBB142_153
; %bb.150:
	s_cmp_gt_i32 s16, 3
	s_cbranch_scc0 .LBB142_154
; %bb.151:
	global_load_dwordx2 v[3:4], v[0:1], off
	s_movk_i32 s0, 0x7fff
	s_waitcnt vmcnt(0)
	v_xor_b32_e32 v6, v3, v4
	v_ffbh_i32_e32 v5, v4
	v_ashrrev_i32_e32 v6, 31, v6
	v_add_u32_e32 v5, -1, v5
	v_add_u32_e32 v6, 32, v6
	v_min_u32_e32 v5, v5, v6
	v_lshlrev_b64 v[3:4], v5, v[3:4]
	v_min_u32_e32 v3, 1, v3
	v_or_b32_e32 v3, v4, v3
	v_cvt_f32_i32_e32 v3, v3
	v_sub_u32_e32 v4, 32, v5
	v_ldexp_f32 v3, v3, v4
	v_bfe_u32 v4, v3, 16, 1
	v_add3_u32 v3, v3, v4, s0
	v_lshrrev_b32_e32 v3, 16, v3
	s_mov_b64 s[0:1], 0
	s_branch .LBB142_155
.LBB142_152:
	s_mov_b64 s[0:1], -1
                                        ; implicit-def: $vgpr3
	s_branch .LBB142_161
.LBB142_153:
	s_mov_b64 s[0:1], -1
                                        ; implicit-def: $vgpr3
	s_branch .LBB142_158
.LBB142_154:
	s_mov_b64 s[0:1], -1
                                        ; implicit-def: $vgpr3
.LBB142_155:
	s_andn2_b64 vcc, exec, s[0:1]
	s_cbranch_vccnz .LBB142_157
; %bb.156:
	global_load_dword v3, v[0:1], off
	s_movk_i32 s0, 0x7fff
	s_waitcnt vmcnt(0)
	v_cvt_f32_i32_e32 v3, v3
	v_bfe_u32 v4, v3, 16, 1
	v_add3_u32 v3, v3, v4, s0
	v_lshrrev_b32_e32 v3, 16, v3
.LBB142_157:
	s_mov_b64 s[0:1], 0
.LBB142_158:
	s_andn2_b64 vcc, exec, s[0:1]
	s_cbranch_vccnz .LBB142_160
; %bb.159:
	global_load_sshort v3, v[0:1], off
	s_movk_i32 s0, 0x7fff
	s_waitcnt vmcnt(0)
	v_cvt_f32_i32_e32 v3, v3
	v_bfe_u32 v4, v3, 16, 1
	v_add3_u32 v3, v3, v4, s0
	v_lshrrev_b32_e32 v3, 16, v3
.LBB142_160:
	s_mov_b64 s[0:1], 0
.LBB142_161:
	s_andn2_b64 vcc, exec, s[0:1]
	s_cbranch_vccnz .LBB142_167
; %bb.162:
	s_cmp_gt_i32 s16, 0
	s_cbranch_scc0 .LBB142_164
; %bb.163:
	global_load_sbyte v3, v[0:1], off
	s_movk_i32 s0, 0x7fff
	s_waitcnt vmcnt(0)
	v_cvt_f32_i32_e32 v3, v3
	v_bfe_u32 v4, v3, 16, 1
	v_add3_u32 v3, v3, v4, s0
	v_lshrrev_b32_e32 v3, 16, v3
	s_mov_b64 s[0:1], 0
	s_branch .LBB142_165
.LBB142_164:
	s_mov_b64 s[0:1], -1
                                        ; implicit-def: $vgpr3
.LBB142_165:
	s_andn2_b64 vcc, exec, s[0:1]
	s_cbranch_vccnz .LBB142_167
; %bb.166:
	global_load_ubyte v0, v[0:1], off
	s_movk_i32 s0, 0x7fff
	s_waitcnt vmcnt(0)
	v_cvt_f32_ubyte0_e32 v0, v0
	v_bfe_u32 v1, v0, 16, 1
	v_add3_u32 v0, v0, v1, s0
	v_lshrrev_b32_e32 v3, 16, v0
.LBB142_167:
	s_branch .LBB142_11
.LBB142_168:
	s_mov_b64 s[0:1], 0
	s_mov_b64 s[18:19], 0
	s_branch .LBB142_397
.LBB142_169:
	s_mov_b64 s[18:19], -1
.LBB142_170:
	s_mov_b64 s[0:1], 0
                                        ; implicit-def: $vgpr4
.LBB142_171:
	s_and_b64 vcc, exec, s[16:17]
	s_cbranch_vccz .LBB142_287
; %bb.172:
	s_cmp_eq_u32 s29, 44
	s_cbranch_scc0 .LBB142_286
; %bb.173:
	global_load_ubyte v4, v[0:1], off
	s_movk_i32 s16, 0xff
	v_mov_b32_e32 v5, 0x7f800001
	v_mov_b32_e32 v6, 0x400000
	;; [unrolled: 1-line block ×3, first 2 shown]
	s_mov_b64 s[0:1], -1
	s_mov_b64 s[18:19], 0
	s_waitcnt vmcnt(0)
	v_lshlrev_b32_e32 v8, 23, v4
	v_cmp_ne_u32_e32 vcc, s16, v4
	v_cndmask_b32_e32 v5, v5, v8, vcc
	v_cmp_ne_u32_e32 vcc, 0, v4
	v_cndmask_b32_e32 v4, v6, v5, vcc
	v_add_u32_e32 v5, 0x7fff, v4
	v_cmp_o_f32_e32 vcc, v4, v4
	v_cndmask_b32_sdwa v4, v7, v5, vcc dst_sel:DWORD dst_unused:UNUSED_PAD src0_sel:DWORD src1_sel:WORD_1
	s_branch .LBB142_287
.LBB142_174:
	s_mov_b64 s[28:29], -1
	s_mov_b64 s[0:1], 0
	s_mov_b64 s[24:25], 0
.LBB142_175:
	s_and_b64 vcc, exec, s[28:29]
	s_cbranch_vccz .LBB142_180
; %bb.176:
	s_cmp_eq_u32 s35, 44
	s_mov_b64 s[0:1], -1
	s_cbranch_scc0 .LBB142_180
; %bb.177:
	v_cndmask_b32_e64 v4, 0, 1.0, s[16:17]
	v_lshrrev_b32_e32 v3, 23, v4
	s_movk_i32 s0, 0xff
	v_cmp_ne_u32_e32 vcc, s0, v3
	v_mov_b32_e32 v5, 0xff
	s_and_saveexec_b64 s[24:25], vcc
; %bb.178:
	s_mov_b32 s0, 0x3fffff
	v_and_b32_e32 v5, 0x400000, v4
	v_and_or_b32 v4, v4, s0, v3
	v_cmp_ne_u32_e32 vcc, 0, v5
	v_cmp_ne_u32_e64 s[0:1], 0, v4
	s_and_b64 s[0:1], vcc, s[0:1]
	v_cndmask_b32_e64 v4, 0, 1, s[0:1]
	v_add_u32_e32 v5, v3, v4
; %bb.179:
	s_or_b64 exec, exec, s[24:25]
	s_mov_b64 s[24:25], -1
	s_mov_b64 s[0:1], 0
	global_store_byte v[0:1], v5, off
.LBB142_180:
	s_mov_b64 s[28:29], 0
.LBB142_181:
	s_and_b64 vcc, exec, s[28:29]
	s_cbranch_vccz .LBB142_184
; %bb.182:
	s_cmp_eq_u32 s35, 29
	s_mov_b64 s[0:1], -1
	s_cbranch_scc0 .LBB142_184
; %bb.183:
	s_mov_b32 s0, 0
	v_cndmask_b32_e64 v3, 0, 1, s[16:17]
	v_mov_b32_e32 v4, s0
	global_store_dwordx2 v[0:1], v[3:4], off
	s_mov_b64 s[24:25], -1
	s_mov_b64 s[0:1], 0
.LBB142_184:
	s_mov_b64 s[28:29], 0
.LBB142_185:
	s_and_b64 vcc, exec, s[28:29]
	s_cbranch_vccz .LBB142_201
; %bb.186:
	s_cmp_lt_i32 s35, 27
	s_mov_b64 s[24:25], -1
	s_cbranch_scc1 .LBB142_192
; %bb.187:
	s_cmp_gt_i32 s35, 27
	s_cbranch_scc0 .LBB142_189
; %bb.188:
	v_cndmask_b32_e64 v3, 0, 1, s[16:17]
	s_mov_b64 s[24:25], 0
	global_store_dword v[0:1], v3, off
.LBB142_189:
	s_andn2_b64 vcc, exec, s[24:25]
	s_cbranch_vccnz .LBB142_191
; %bb.190:
	v_cndmask_b32_e64 v3, 0, 1, s[16:17]
	global_store_short v[0:1], v3, off
.LBB142_191:
	s_mov_b64 s[24:25], 0
.LBB142_192:
	s_andn2_b64 vcc, exec, s[24:25]
	s_cbranch_vccnz .LBB142_200
; %bb.193:
	v_cndmask_b32_e64 v4, 0, 1.0, s[16:17]
	s_mov_b32 s24, 0x43800000
	v_cmp_gt_u32_e32 vcc, s24, v4
	v_mov_b32_e32 v5, 0x80
	s_and_saveexec_b64 s[24:25], vcc
	s_cbranch_execz .LBB142_199
; %bb.194:
	s_mov_b32 s28, 0x3bffffff
	v_cmp_lt_u32_e32 vcc, s28, v4
	s_mov_b64 s[28:29], 0
                                        ; implicit-def: $vgpr3
	s_and_saveexec_b64 s[30:31], vcc
	s_xor_b64 s[30:31], exec, s[30:31]
	s_cbranch_execz .LBB142_428
; %bb.195:
	v_bfe_u32 v3, v4, 20, 1
	s_mov_b32 s36, 0x487ffff
	v_add3_u32 v3, v4, v3, s36
	s_mov_b64 s[28:29], exec
	v_lshrrev_b32_e32 v3, 20, v3
                                        ; implicit-def: $vgpr4
	s_andn2_saveexec_b64 s[30:31], s[30:31]
	s_cbranch_execnz .LBB142_429
.LBB142_196:
	s_or_b64 exec, exec, s[30:31]
	v_mov_b32_e32 v5, 0
	s_and_saveexec_b64 s[30:31], s[28:29]
.LBB142_197:
	v_mov_b32_e32 v5, v3
.LBB142_198:
	s_or_b64 exec, exec, s[30:31]
.LBB142_199:
	s_or_b64 exec, exec, s[24:25]
	global_store_byte v[0:1], v5, off
.LBB142_200:
	s_mov_b64 s[24:25], -1
.LBB142_201:
	s_mov_b64 s[28:29], 0
.LBB142_202:
	s_and_b64 vcc, exec, s[28:29]
	s_cbranch_vccz .LBB142_243
; %bb.203:
	s_cmp_gt_i32 s35, 22
	s_mov_b64 s[28:29], -1
	s_cbranch_scc0 .LBB142_235
; %bb.204:
	s_cmp_lt_i32 s35, 24
	s_mov_b64 s[24:25], -1
	s_cbranch_scc1 .LBB142_224
; %bb.205:
	s_cmp_gt_i32 s35, 24
	s_cbranch_scc0 .LBB142_213
; %bb.206:
	v_cndmask_b32_e64 v4, 0, 1.0, s[16:17]
	s_mov_b32 s24, 0x47800000
	v_cmp_gt_u32_e32 vcc, s24, v4
	v_mov_b32_e32 v5, 0x80
	s_and_saveexec_b64 s[24:25], vcc
	s_cbranch_execz .LBB142_212
; %bb.207:
	s_mov_b32 s28, 0x37ffffff
	v_cmp_lt_u32_e32 vcc, s28, v4
	s_mov_b64 s[28:29], 0
                                        ; implicit-def: $vgpr3
	s_and_saveexec_b64 s[30:31], vcc
	s_xor_b64 s[30:31], exec, s[30:31]
	s_cbranch_execz .LBB142_547
; %bb.208:
	v_bfe_u32 v3, v4, 21, 1
	s_mov_b32 s36, 0x88fffff
	v_add3_u32 v3, v4, v3, s36
	s_mov_b64 s[28:29], exec
	v_lshrrev_b32_e32 v3, 21, v3
                                        ; implicit-def: $vgpr4
	s_andn2_saveexec_b64 s[30:31], s[30:31]
	s_cbranch_execnz .LBB142_548
.LBB142_209:
	s_or_b64 exec, exec, s[30:31]
	v_mov_b32_e32 v5, 0
	s_and_saveexec_b64 s[30:31], s[28:29]
.LBB142_210:
	v_mov_b32_e32 v5, v3
.LBB142_211:
	s_or_b64 exec, exec, s[30:31]
.LBB142_212:
	s_or_b64 exec, exec, s[24:25]
	s_mov_b64 s[24:25], 0
	global_store_byte v[0:1], v5, off
.LBB142_213:
	s_and_b64 vcc, exec, s[24:25]
	s_cbranch_vccz .LBB142_223
; %bb.214:
	v_cndmask_b32_e64 v3, 0, 1.0, s[16:17]
	s_mov_b32 s24, 0x43f00000
	v_cmp_gt_u32_e32 vcc, s24, v3
                                        ; implicit-def: $vgpr4
	s_and_saveexec_b64 s[24:25], vcc
	s_xor_b64 s[24:25], exec, s[24:25]
	s_cbranch_execz .LBB142_220
; %bb.215:
	s_mov_b32 s28, 0x3c7fffff
	v_cmp_lt_u32_e32 vcc, s28, v3
                                        ; implicit-def: $vgpr4
	s_and_saveexec_b64 s[28:29], vcc
	s_xor_b64 s[28:29], exec, s[28:29]
; %bb.216:
	v_bfe_u32 v4, v3, 20, 1
	s_mov_b32 s30, 0x407ffff
	v_add3_u32 v3, v3, v4, s30
	v_lshrrev_b32_e32 v4, 20, v3
	v_and_b32_e32 v3, 0xff00000, v3
	s_mov_b32 s30, 0x7f00000
	v_mov_b32_e32 v5, 0x7e
	v_cmp_ne_u32_e32 vcc, s30, v3
	v_cndmask_b32_e32 v4, v5, v4, vcc
                                        ; implicit-def: $vgpr3
; %bb.217:
	s_andn2_saveexec_b64 s[28:29], s[28:29]
; %bb.218:
	v_add_f32_e32 v4, 0x46800000, v3
; %bb.219:
	s_or_b64 exec, exec, s[28:29]
                                        ; implicit-def: $vgpr3
.LBB142_220:
	s_andn2_saveexec_b64 s[24:25], s[24:25]
; %bb.221:
	s_mov_b32 s28, 0x7f800000
	v_mov_b32_e32 v4, 0x7e
	v_mov_b32_e32 v5, 0x7f
	v_cmp_lt_u32_e32 vcc, s28, v3
	v_cndmask_b32_e32 v4, v4, v5, vcc
; %bb.222:
	s_or_b64 exec, exec, s[24:25]
	global_store_byte v[0:1], v4, off
.LBB142_223:
	s_mov_b64 s[24:25], 0
.LBB142_224:
	s_andn2_b64 vcc, exec, s[24:25]
	s_cbranch_vccnz .LBB142_234
; %bb.225:
	v_cndmask_b32_e64 v3, 0, 1.0, s[16:17]
	s_mov_b32 s24, 0x47800000
	v_cmp_gt_u32_e32 vcc, s24, v3
                                        ; implicit-def: $vgpr4
	s_and_saveexec_b64 s[24:25], vcc
	s_xor_b64 s[24:25], exec, s[24:25]
	s_cbranch_execz .LBB142_231
; %bb.226:
	s_mov_b32 s28, 0x387fffff
	v_cmp_lt_u32_e32 vcc, s28, v3
                                        ; implicit-def: $vgpr4
	s_and_saveexec_b64 s[28:29], vcc
	s_xor_b64 s[28:29], exec, s[28:29]
; %bb.227:
	v_bfe_u32 v4, v3, 21, 1
	s_mov_b32 s30, 0x80fffff
	v_add3_u32 v3, v3, v4, s30
	v_lshrrev_b32_e32 v4, 21, v3
                                        ; implicit-def: $vgpr3
; %bb.228:
	s_andn2_saveexec_b64 s[28:29], s[28:29]
; %bb.229:
	v_add_f32_e32 v4, 0x43000000, v3
; %bb.230:
	s_or_b64 exec, exec, s[28:29]
                                        ; implicit-def: $vgpr3
.LBB142_231:
	s_andn2_saveexec_b64 s[24:25], s[24:25]
; %bb.232:
	s_mov_b32 s28, 0x7f800000
	v_mov_b32_e32 v4, 0x7c
	v_mov_b32_e32 v5, 0x7f
	v_cmp_lt_u32_e32 vcc, s28, v3
	v_cndmask_b32_e32 v4, v4, v5, vcc
; %bb.233:
	s_or_b64 exec, exec, s[24:25]
	global_store_byte v[0:1], v4, off
.LBB142_234:
	s_mov_b64 s[28:29], 0
	s_mov_b64 s[24:25], -1
.LBB142_235:
	s_andn2_b64 vcc, exec, s[28:29]
	s_cbranch_vccnz .LBB142_243
; %bb.236:
	s_cmp_gt_i32 s35, 14
	s_mov_b64 s[28:29], -1
	s_cbranch_scc0 .LBB142_240
; %bb.237:
	s_cmp_eq_u32 s35, 15
	s_mov_b64 s[0:1], -1
	s_cbranch_scc0 .LBB142_239
; %bb.238:
	v_cndmask_b32_e64 v3, 0, 1.0, s[16:17]
	v_bfe_u32 v4, v3, 16, 1
	s_movk_i32 s0, 0x7fff
	v_add3_u32 v3, v3, v4, s0
	global_store_short_d16_hi v[0:1], v3, off
	s_mov_b64 s[24:25], -1
	s_mov_b64 s[0:1], 0
.LBB142_239:
	s_mov_b64 s[28:29], 0
.LBB142_240:
	s_and_b64 vcc, exec, s[28:29]
	s_cbranch_vccz .LBB142_243
; %bb.241:
	s_cmp_eq_u32 s35, 11
	s_mov_b64 s[0:1], -1
	s_cbranch_scc0 .LBB142_243
; %bb.242:
	v_cndmask_b32_e64 v3, 0, 1, s[16:17]
	s_mov_b64 s[24:25], -1
	s_mov_b64 s[0:1], 0
	global_store_byte v[0:1], v3, off
.LBB142_243:
	s_mov_b64 s[28:29], 0
.LBB142_244:
	s_and_b64 vcc, exec, s[28:29]
	s_cbranch_vccz .LBB142_283
; %bb.245:
	s_and_b32 s28, 0xffff, s34
	s_cmp_lt_i32 s28, 5
	s_mov_b64 s[24:25], -1
	s_cbranch_scc1 .LBB142_266
; %bb.246:
	s_cmp_lt_i32 s28, 8
	s_cbranch_scc1 .LBB142_256
; %bb.247:
	s_cmp_lt_i32 s28, 9
	s_cbranch_scc1 .LBB142_253
; %bb.248:
	s_cmp_gt_i32 s28, 9
	s_cbranch_scc0 .LBB142_250
; %bb.249:
	v_cndmask_b32_e64 v3, 0, 1, s[16:17]
	v_cvt_f64_u32_e32 v[3:4], v3
	v_mov_b32_e32 v5, 0
	v_mov_b32_e32 v6, v5
	s_mov_b64 s[24:25], 0
	global_store_dwordx4 v[0:1], v[3:6], off
.LBB142_250:
	s_andn2_b64 vcc, exec, s[24:25]
	s_cbranch_vccnz .LBB142_252
; %bb.251:
	v_cndmask_b32_e64 v3, 0, 1.0, s[16:17]
	v_mov_b32_e32 v4, 0
	global_store_dwordx2 v[0:1], v[3:4], off
.LBB142_252:
	s_mov_b64 s[24:25], 0
.LBB142_253:
	s_andn2_b64 vcc, exec, s[24:25]
	s_cbranch_vccnz .LBB142_255
; %bb.254:
	v_cndmask_b32_e64 v3, 0, 1.0, s[16:17]
	v_cvt_f16_f32_e32 v3, v3
	global_store_dword v[0:1], v3, off
.LBB142_255:
	s_mov_b64 s[24:25], 0
.LBB142_256:
	s_andn2_b64 vcc, exec, s[24:25]
	s_cbranch_vccnz .LBB142_265
; %bb.257:
	s_cmp_lt_i32 s28, 6
	s_mov_b64 s[24:25], -1
	s_cbranch_scc1 .LBB142_263
; %bb.258:
	s_cmp_gt_i32 s28, 6
	s_cbranch_scc0 .LBB142_260
; %bb.259:
	v_cndmask_b32_e64 v3, 0, 1, s[16:17]
	v_cvt_f64_u32_e32 v[3:4], v3
	s_mov_b64 s[24:25], 0
	global_store_dwordx2 v[0:1], v[3:4], off
.LBB142_260:
	s_andn2_b64 vcc, exec, s[24:25]
	s_cbranch_vccnz .LBB142_262
; %bb.261:
	v_cndmask_b32_e64 v3, 0, 1.0, s[16:17]
	global_store_dword v[0:1], v3, off
.LBB142_262:
	s_mov_b64 s[24:25], 0
.LBB142_263:
	s_andn2_b64 vcc, exec, s[24:25]
	s_cbranch_vccnz .LBB142_265
; %bb.264:
	v_cndmask_b32_e64 v3, 0, 1.0, s[16:17]
	v_cvt_f16_f32_e32 v3, v3
	global_store_short v[0:1], v3, off
.LBB142_265:
	s_mov_b64 s[24:25], 0
.LBB142_266:
	s_andn2_b64 vcc, exec, s[24:25]
	s_cbranch_vccnz .LBB142_282
; %bb.267:
	s_cmp_lt_i32 s28, 2
	s_mov_b64 s[24:25], -1
	s_cbranch_scc1 .LBB142_277
; %bb.268:
	s_cmp_lt_i32 s28, 3
	s_cbranch_scc1 .LBB142_274
; %bb.269:
	s_cmp_gt_i32 s28, 3
	s_cbranch_scc0 .LBB142_271
; %bb.270:
	s_mov_b32 s24, 0
	v_cndmask_b32_e64 v3, 0, 1, s[16:17]
	v_mov_b32_e32 v4, s24
	global_store_dwordx2 v[0:1], v[3:4], off
	s_mov_b64 s[24:25], 0
.LBB142_271:
	s_andn2_b64 vcc, exec, s[24:25]
	s_cbranch_vccnz .LBB142_273
; %bb.272:
	v_cndmask_b32_e64 v3, 0, 1, s[16:17]
	global_store_dword v[0:1], v3, off
.LBB142_273:
	s_mov_b64 s[24:25], 0
.LBB142_274:
	s_andn2_b64 vcc, exec, s[24:25]
	s_cbranch_vccnz .LBB142_276
; %bb.275:
	v_cndmask_b32_e64 v3, 0, 1, s[16:17]
	global_store_short v[0:1], v3, off
.LBB142_276:
	s_mov_b64 s[24:25], 0
.LBB142_277:
	s_andn2_b64 vcc, exec, s[24:25]
	s_cbranch_vccnz .LBB142_282
; %bb.278:
	s_mov_b64 s[24:25], -1
	s_cmp_gt_i32 s28, 0
	v_cndmask_b32_e64 v3, 0, 1, s[16:17]
	s_cbranch_scc0 .LBB142_280
; %bb.279:
	global_store_byte v[0:1], v3, off
	s_mov_b64 s[24:25], 0
.LBB142_280:
	s_andn2_b64 vcc, exec, s[24:25]
	s_cbranch_vccnz .LBB142_282
; %bb.281:
	global_store_byte v[0:1], v3, off
.LBB142_282:
	s_mov_b64 s[24:25], -1
.LBB142_283:
	s_andn2_b64 vcc, exec, s[24:25]
	s_cbranch_vccnz .LBB142_285
; %bb.284:
	v_add_u32_e32 v2, 0x80, v2
	s_mov_b64 s[24:25], -1
	s_branch .LBB142_398
.LBB142_285:
	s_mov_b64 s[24:25], 0
                                        ; implicit-def: $vgpr2
	s_branch .LBB142_398
.LBB142_286:
	s_mov_b64 s[18:19], -1
                                        ; implicit-def: $vgpr4
.LBB142_287:
	s_mov_b64 s[16:17], 0
.LBB142_288:
	s_and_b64 vcc, exec, s[16:17]
	s_cbranch_vccz .LBB142_292
; %bb.289:
	s_cmp_eq_u32 s29, 29
	s_cbranch_scc0 .LBB142_291
; %bb.290:
	global_load_dwordx2 v[4:5], v[0:1], off
	s_movk_i32 s16, 0x7fff
	s_mov_b64 s[0:1], -1
	s_mov_b64 s[18:19], 0
	s_waitcnt vmcnt(0)
	v_ffbh_u32_e32 v6, v5
	v_min_u32_e32 v6, 32, v6
	v_lshlrev_b64 v[4:5], v6, v[4:5]
	v_min_u32_e32 v4, 1, v4
	v_or_b32_e32 v4, v5, v4
	v_cvt_f32_u32_e32 v4, v4
	v_sub_u32_e32 v5, 32, v6
	v_ldexp_f32 v4, v4, v5
	v_bfe_u32 v5, v4, 16, 1
	v_add3_u32 v4, v4, v5, s16
	v_lshrrev_b32_e32 v4, 16, v4
	s_branch .LBB142_292
.LBB142_291:
	s_mov_b64 s[18:19], -1
                                        ; implicit-def: $vgpr4
.LBB142_292:
	s_mov_b64 s[16:17], 0
.LBB142_293:
	s_and_b64 vcc, exec, s[16:17]
	s_cbranch_vccz .LBB142_311
; %bb.294:
	s_cmp_lt_i32 s29, 27
	s_cbranch_scc1 .LBB142_297
; %bb.295:
	s_cmp_gt_i32 s29, 27
	s_cbranch_scc0 .LBB142_298
; %bb.296:
	global_load_dword v4, v[0:1], off
	s_movk_i32 s0, 0x7fff
	s_waitcnt vmcnt(0)
	v_cvt_f32_u32_e32 v4, v4
	v_bfe_u32 v5, v4, 16, 1
	v_add3_u32 v4, v4, v5, s0
	v_lshrrev_b32_e32 v4, 16, v4
	s_mov_b64 s[0:1], 0
	s_branch .LBB142_299
.LBB142_297:
	s_mov_b64 s[0:1], -1
                                        ; implicit-def: $vgpr4
	s_branch .LBB142_302
.LBB142_298:
	s_mov_b64 s[0:1], -1
                                        ; implicit-def: $vgpr4
.LBB142_299:
	s_andn2_b64 vcc, exec, s[0:1]
	s_cbranch_vccnz .LBB142_301
; %bb.300:
	global_load_ushort v4, v[0:1], off
	s_movk_i32 s0, 0x7fff
	s_waitcnt vmcnt(0)
	v_cvt_f32_u32_e32 v4, v4
	v_bfe_u32 v5, v4, 16, 1
	v_add3_u32 v4, v4, v5, s0
	v_lshrrev_b32_e32 v4, 16, v4
.LBB142_301:
	s_mov_b64 s[0:1], 0
.LBB142_302:
	s_andn2_b64 vcc, exec, s[0:1]
	s_cbranch_vccnz .LBB142_310
; %bb.303:
	global_load_ubyte v4, v[0:1], off
	s_movk_i32 s0, 0x7f
	s_waitcnt vmcnt(0)
	v_cmp_lt_i16_e32 vcc, s0, v4
	s_mov_b64 s[0:1], 0
	s_and_saveexec_b64 s[16:17], vcc
	s_xor_b64 s[16:17], exec, s[16:17]
	s_cbranch_execz .LBB142_324
; %bb.304:
	s_movk_i32 s0, 0x80
	v_cmp_eq_u16_e32 vcc, s0, v4
	s_mov_b64 s[0:1], -1
	s_and_saveexec_b64 s[24:25], vcc
; %bb.305:
	s_xor_b64 s[0:1], exec, -1
; %bb.306:
	s_or_b64 exec, exec, s[24:25]
	s_and_b64 s[0:1], s[0:1], exec
	s_or_saveexec_b64 s[16:17], s[16:17]
	v_mov_b32_e32 v5, 0x7f800001
	s_xor_b64 exec, exec, s[16:17]
	s_cbranch_execnz .LBB142_325
.LBB142_307:
	s_or_b64 exec, exec, s[16:17]
	s_and_saveexec_b64 s[16:17], s[0:1]
	s_cbranch_execz .LBB142_309
.LBB142_308:
	v_lshlrev_b32_e32 v5, 24, v4
	v_and_b32_e32 v4, 0xffff, v4
	v_and_b32_e32 v6, 7, v4
	v_ffbh_u32_e32 v8, v6
	v_min_u32_e32 v8, 32, v8
	v_subrev_u32_e32 v9, 28, v8
	v_bfe_u32 v7, v4, 3, 4
	v_lshlrev_b32_e32 v4, v9, v4
	v_sub_u32_e32 v8, 29, v8
	v_and_b32_e32 v4, 7, v4
	v_cmp_eq_u32_e32 vcc, 0, v7
	v_cndmask_b32_e32 v7, v7, v8, vcc
	v_cndmask_b32_e32 v4, v6, v4, vcc
	v_mov_b32_e32 v6, 0x3b800000
	v_lshlrev_b32_e32 v4, 20, v4
	v_and_b32_e32 v5, 0x80000000, v5
	v_lshl_add_u32 v6, v7, 23, v6
	v_or3_b32 v5, v5, v6, v4
.LBB142_309:
	s_or_b64 exec, exec, s[16:17]
	v_bfe_u32 v4, v5, 16, 1
	s_movk_i32 s0, 0x7fff
	v_add3_u32 v4, v5, v4, s0
	v_cmp_o_f32_e32 vcc, v5, v5
	v_mov_b32_e32 v5, 0x7fc0
	v_cndmask_b32_sdwa v4, v5, v4, vcc dst_sel:DWORD dst_unused:UNUSED_PAD src0_sel:DWORD src1_sel:WORD_1
.LBB142_310:
	s_mov_b64 s[0:1], -1
.LBB142_311:
	s_mov_b64 s[16:17], 0
.LBB142_312:
	s_and_b64 vcc, exec, s[16:17]
	s_cbranch_vccz .LBB142_347
; %bb.313:
	s_cmp_gt_i32 s29, 22
	s_cbranch_scc0 .LBB142_323
; %bb.314:
	s_cmp_lt_i32 s29, 24
	s_cbranch_scc1 .LBB142_326
; %bb.315:
	s_cmp_gt_i32 s29, 24
	s_cbranch_scc0 .LBB142_327
; %bb.316:
	global_load_ubyte v4, v[0:1], off
	s_movk_i32 s0, 0x7f
	s_waitcnt vmcnt(0)
	v_cmp_lt_i16_e32 vcc, s0, v4
	s_mov_b64 s[0:1], 0
	s_and_saveexec_b64 s[16:17], vcc
	s_xor_b64 s[16:17], exec, s[16:17]
	s_cbranch_execz .LBB142_339
; %bb.317:
	s_movk_i32 s0, 0x80
	v_cmp_eq_u16_e32 vcc, s0, v4
	s_mov_b64 s[0:1], -1
	s_and_saveexec_b64 s[24:25], vcc
; %bb.318:
	s_xor_b64 s[0:1], exec, -1
; %bb.319:
	s_or_b64 exec, exec, s[24:25]
	s_and_b64 s[0:1], s[0:1], exec
	s_or_saveexec_b64 s[16:17], s[16:17]
	v_mov_b32_e32 v5, 0x7f800001
	s_xor_b64 exec, exec, s[16:17]
	s_cbranch_execnz .LBB142_340
.LBB142_320:
	s_or_b64 exec, exec, s[16:17]
	s_and_saveexec_b64 s[16:17], s[0:1]
	s_cbranch_execz .LBB142_322
.LBB142_321:
	v_lshlrev_b32_e32 v5, 24, v4
	v_and_b32_e32 v4, 0xffff, v4
	v_and_b32_e32 v6, 3, v4
	v_ffbh_u32_e32 v8, v6
	v_min_u32_e32 v8, 32, v8
	v_subrev_u32_e32 v9, 29, v8
	v_bfe_u32 v7, v4, 2, 5
	v_lshlrev_b32_e32 v4, v9, v4
	v_sub_u32_e32 v8, 30, v8
	v_and_b32_e32 v4, 3, v4
	v_cmp_eq_u32_e32 vcc, 0, v7
	v_cndmask_b32_e32 v7, v7, v8, vcc
	v_cndmask_b32_e32 v4, v6, v4, vcc
	v_mov_b32_e32 v6, 0x37800000
	v_lshlrev_b32_e32 v4, 21, v4
	v_and_b32_e32 v5, 0x80000000, v5
	v_lshl_add_u32 v6, v7, 23, v6
	v_or3_b32 v5, v5, v6, v4
.LBB142_322:
	s_or_b64 exec, exec, s[16:17]
	v_bfe_u32 v4, v5, 16, 1
	s_movk_i32 s0, 0x7fff
	v_add3_u32 v4, v5, v4, s0
	v_cmp_o_f32_e32 vcc, v5, v5
	v_mov_b32_e32 v5, 0x7fc0
	v_cndmask_b32_sdwa v4, v5, v4, vcc dst_sel:DWORD dst_unused:UNUSED_PAD src0_sel:DWORD src1_sel:WORD_1
	s_mov_b64 s[0:1], 0
	s_branch .LBB142_328
.LBB142_323:
	s_mov_b64 s[16:17], -1
                                        ; implicit-def: $vgpr4
	s_branch .LBB142_334
.LBB142_324:
	s_or_saveexec_b64 s[16:17], s[16:17]
	v_mov_b32_e32 v5, 0x7f800001
	s_xor_b64 exec, exec, s[16:17]
	s_cbranch_execz .LBB142_307
.LBB142_325:
	v_cmp_ne_u16_e32 vcc, 0, v4
	s_andn2_b64 s[0:1], s[0:1], exec
	s_and_b64 s[24:25], vcc, exec
	v_mov_b32_e32 v5, 0
	s_or_b64 s[0:1], s[0:1], s[24:25]
	s_or_b64 exec, exec, s[16:17]
	s_and_saveexec_b64 s[16:17], s[0:1]
	s_cbranch_execnz .LBB142_308
	s_branch .LBB142_309
.LBB142_326:
	s_mov_b64 s[0:1], -1
                                        ; implicit-def: $vgpr4
	s_branch .LBB142_331
.LBB142_327:
	s_mov_b64 s[0:1], -1
                                        ; implicit-def: $vgpr4
.LBB142_328:
	s_and_b64 vcc, exec, s[0:1]
	s_cbranch_vccz .LBB142_330
; %bb.329:
	global_load_ubyte v4, v[0:1], off
	s_mov_b32 s0, 0x7f800000
	s_brev_b32 s1, 1
	s_movk_i32 s16, 0x7fff
	s_waitcnt vmcnt(0)
	v_lshlrev_b32_e32 v4, 24, v4
	v_and_b32_e32 v5, 0x7f000000, v4
	v_ffbh_u32_e32 v6, v5
	v_min_u32_e32 v6, 32, v6
	v_sub_u32_e64 v6, v6, 4 clamp
	v_lshlrev_b32_e32 v8, v6, v5
	v_lshlrev_b32_e32 v6, 23, v6
	v_lshrrev_b32_e32 v8, 4, v8
	v_add_u32_e32 v7, 0x1000000, v5
	v_sub_u32_e32 v6, v8, v6
	v_ashrrev_i32_e32 v7, 8, v7
	v_add_u32_e32 v6, 0x3c000000, v6
	v_and_or_b32 v6, v7, s0, v6
	v_cmp_ne_u32_e32 vcc, 0, v5
	v_cndmask_b32_e32 v5, 0, v6, vcc
	v_and_or_b32 v4, v4, s1, v5
	v_bfe_u32 v5, v5, 16, 1
	v_add3_u32 v5, v4, v5, s16
	v_cmp_o_f32_e32 vcc, v4, v4
	v_mov_b32_e32 v4, 0x7fc0
	v_cndmask_b32_sdwa v4, v4, v5, vcc dst_sel:DWORD dst_unused:UNUSED_PAD src0_sel:DWORD src1_sel:WORD_1
.LBB142_330:
	s_mov_b64 s[0:1], 0
.LBB142_331:
	s_andn2_b64 vcc, exec, s[0:1]
	s_cbranch_vccnz .LBB142_333
; %bb.332:
	global_load_ubyte v4, v[0:1], off
	s_movk_i32 s0, 0x7f00
	s_brev_b32 s1, 16
	s_brev_b32 s16, 1
	s_movk_i32 s17, 0x7fff
	s_waitcnt vmcnt(0)
	v_lshlrev_b16_e32 v5, 8, v4
	v_lshlrev_b32_e32 v4, 25, v4
	v_lshrrev_b32_e32 v6, 4, v4
	v_and_or_b32 v7, v5, s0, 0.5
	v_or_b32_e32 v6, 0x70000000, v6
	v_add_f32_e32 v7, -0.5, v7
	v_mul_f32_e32 v6, 0x7800000, v6
	v_cmp_gt_u32_e32 vcc, s1, v4
	v_bfe_i32 v5, v5, 0, 16
	v_cndmask_b32_e32 v4, v6, v7, vcc
	v_and_or_b32 v5, v5, s16, v4
	v_bfe_u32 v4, v4, 16, 1
	v_add3_u32 v4, v5, v4, s17
	v_cmp_o_f32_e32 vcc, v5, v5
	v_mov_b32_e32 v5, 0x7fc0
	v_cndmask_b32_sdwa v4, v5, v4, vcc dst_sel:DWORD dst_unused:UNUSED_PAD src0_sel:DWORD src1_sel:WORD_1
.LBB142_333:
	s_mov_b64 s[16:17], 0
	s_mov_b64 s[0:1], -1
.LBB142_334:
	s_andn2_b64 vcc, exec, s[16:17]
	s_cbranch_vccnz .LBB142_347
; %bb.335:
	s_cmp_gt_i32 s29, 14
	s_cbranch_scc0 .LBB142_338
; %bb.336:
	s_cmp_eq_u32 s29, 15
	s_cbranch_scc0 .LBB142_341
; %bb.337:
	global_load_ushort v4, v[0:1], off
	s_mov_b64 s[0:1], -1
	s_mov_b64 s[18:19], 0
	s_branch .LBB142_342
.LBB142_338:
	s_mov_b64 s[16:17], -1
                                        ; implicit-def: $vgpr4
	s_branch .LBB142_343
.LBB142_339:
	s_or_saveexec_b64 s[16:17], s[16:17]
	v_mov_b32_e32 v5, 0x7f800001
	s_xor_b64 exec, exec, s[16:17]
	s_cbranch_execz .LBB142_320
.LBB142_340:
	v_cmp_ne_u16_e32 vcc, 0, v4
	s_andn2_b64 s[0:1], s[0:1], exec
	s_and_b64 s[24:25], vcc, exec
	v_mov_b32_e32 v5, 0
	s_or_b64 s[0:1], s[0:1], s[24:25]
	s_or_b64 exec, exec, s[16:17]
	s_and_saveexec_b64 s[16:17], s[0:1]
	s_cbranch_execnz .LBB142_321
	s_branch .LBB142_322
.LBB142_341:
	s_mov_b64 s[18:19], -1
                                        ; implicit-def: $vgpr4
.LBB142_342:
	s_mov_b64 s[16:17], 0
.LBB142_343:
	s_and_b64 vcc, exec, s[16:17]
	s_cbranch_vccz .LBB142_347
; %bb.344:
	s_cmp_eq_u32 s29, 11
	s_cbranch_scc0 .LBB142_346
; %bb.345:
	global_load_ubyte v4, v[0:1], off
	s_mov_b64 s[0:1], -1
	s_mov_b64 s[18:19], 0
	s_waitcnt vmcnt(0)
	v_cmp_ne_u16_e32 vcc, 0, v4
	v_cndmask_b32_e64 v4, 0, 1.0, vcc
	v_lshrrev_b32_e32 v4, 16, v4
	s_branch .LBB142_347
.LBB142_346:
	s_mov_b64 s[18:19], -1
                                        ; implicit-def: $vgpr4
.LBB142_347:
	s_branch .LBB142_20
.LBB142_348:
	s_and_b32 s16, 0xffff, s28
	s_cmp_lt_i32 s16, 5
	s_cbranch_scc1 .LBB142_353
; %bb.349:
	s_cmp_lt_i32 s16, 8
	s_cbranch_scc1 .LBB142_354
; %bb.350:
	;; [unrolled: 3-line block ×3, first 2 shown]
	s_cmp_gt_i32 s16, 9
	s_cbranch_scc0 .LBB142_356
; %bb.352:
	global_load_dwordx2 v[4:5], v[0:1], off
	s_movk_i32 s0, 0x7fff
	s_waitcnt vmcnt(0)
	v_cvt_f32_f64_e32 v4, v[4:5]
	v_mov_b32_e32 v5, 0x7fc0
	v_bfe_u32 v6, v4, 16, 1
	v_cmp_o_f32_e32 vcc, v4, v4
	v_add3_u32 v4, v4, v6, s0
	v_cndmask_b32_sdwa v4, v5, v4, vcc dst_sel:DWORD dst_unused:UNUSED_PAD src0_sel:DWORD src1_sel:WORD_1
	s_mov_b64 s[0:1], 0
	s_branch .LBB142_357
.LBB142_353:
	s_mov_b64 s[0:1], -1
                                        ; implicit-def: $vgpr4
	s_branch .LBB142_375
.LBB142_354:
	s_mov_b64 s[0:1], -1
                                        ; implicit-def: $vgpr4
	s_branch .LBB142_363
.LBB142_355:
	s_mov_b64 s[0:1], -1
                                        ; implicit-def: $vgpr4
	s_branch .LBB142_360
.LBB142_356:
	s_mov_b64 s[0:1], -1
                                        ; implicit-def: $vgpr4
.LBB142_357:
	s_andn2_b64 vcc, exec, s[0:1]
	s_cbranch_vccnz .LBB142_359
; %bb.358:
	global_load_dword v4, v[0:1], off
	s_movk_i32 s0, 0x7fff
	v_mov_b32_e32 v5, 0x7fc0
	s_waitcnt vmcnt(0)
	v_bfe_u32 v6, v4, 16, 1
	v_cmp_o_f32_e32 vcc, v4, v4
	v_add3_u32 v4, v4, v6, s0
	v_cndmask_b32_sdwa v4, v5, v4, vcc dst_sel:DWORD dst_unused:UNUSED_PAD src0_sel:DWORD src1_sel:WORD_1
.LBB142_359:
	s_mov_b64 s[0:1], 0
.LBB142_360:
	s_andn2_b64 vcc, exec, s[0:1]
	s_cbranch_vccnz .LBB142_362
; %bb.361:
	global_load_dword v4, v[0:1], off
	s_movk_i32 s0, 0x7fff
	v_mov_b32_e32 v6, 0x7fc0
	s_waitcnt vmcnt(0)
	v_cvt_f32_f16_e32 v5, v4
	v_cmp_o_f16_e32 vcc, v4, v4
	v_bfe_u32 v4, v5, 16, 1
	v_add3_u32 v4, v5, v4, s0
	v_cndmask_b32_sdwa v4, v6, v4, vcc dst_sel:DWORD dst_unused:UNUSED_PAD src0_sel:DWORD src1_sel:WORD_1
.LBB142_362:
	s_mov_b64 s[0:1], 0
.LBB142_363:
	s_andn2_b64 vcc, exec, s[0:1]
	s_cbranch_vccnz .LBB142_374
; %bb.364:
	s_cmp_lt_i32 s16, 6
	s_cbranch_scc1 .LBB142_367
; %bb.365:
	s_cmp_gt_i32 s16, 6
	s_cbranch_scc0 .LBB142_368
; %bb.366:
	global_load_dwordx2 v[4:5], v[0:1], off
	s_movk_i32 s0, 0x7fff
	s_waitcnt vmcnt(0)
	v_cvt_f32_f64_e32 v4, v[4:5]
	v_mov_b32_e32 v5, 0x7fc0
	v_bfe_u32 v6, v4, 16, 1
	v_cmp_o_f32_e32 vcc, v4, v4
	v_add3_u32 v4, v4, v6, s0
	v_cndmask_b32_sdwa v4, v5, v4, vcc dst_sel:DWORD dst_unused:UNUSED_PAD src0_sel:DWORD src1_sel:WORD_1
	s_mov_b64 s[0:1], 0
	s_branch .LBB142_369
.LBB142_367:
	s_mov_b64 s[0:1], -1
                                        ; implicit-def: $vgpr4
	s_branch .LBB142_372
.LBB142_368:
	s_mov_b64 s[0:1], -1
                                        ; implicit-def: $vgpr4
.LBB142_369:
	s_andn2_b64 vcc, exec, s[0:1]
	s_cbranch_vccnz .LBB142_371
; %bb.370:
	global_load_dword v4, v[0:1], off
	s_movk_i32 s0, 0x7fff
	v_mov_b32_e32 v5, 0x7fc0
	s_waitcnt vmcnt(0)
	v_bfe_u32 v6, v4, 16, 1
	v_cmp_o_f32_e32 vcc, v4, v4
	v_add3_u32 v4, v4, v6, s0
	v_cndmask_b32_sdwa v4, v5, v4, vcc dst_sel:DWORD dst_unused:UNUSED_PAD src0_sel:DWORD src1_sel:WORD_1
.LBB142_371:
	s_mov_b64 s[0:1], 0
.LBB142_372:
	s_andn2_b64 vcc, exec, s[0:1]
	s_cbranch_vccnz .LBB142_374
; %bb.373:
	global_load_ushort v4, v[0:1], off
	s_movk_i32 s0, 0x7fff
	v_mov_b32_e32 v6, 0x7fc0
	s_waitcnt vmcnt(0)
	v_cvt_f32_f16_e32 v5, v4
	v_cmp_o_f16_e32 vcc, v4, v4
	v_bfe_u32 v4, v5, 16, 1
	v_add3_u32 v4, v5, v4, s0
	v_cndmask_b32_sdwa v4, v6, v4, vcc dst_sel:DWORD dst_unused:UNUSED_PAD src0_sel:DWORD src1_sel:WORD_1
.LBB142_374:
	s_mov_b64 s[0:1], 0
.LBB142_375:
	s_andn2_b64 vcc, exec, s[0:1]
	s_cbranch_vccnz .LBB142_395
; %bb.376:
	s_cmp_lt_i32 s16, 2
	s_cbranch_scc1 .LBB142_380
; %bb.377:
	s_cmp_lt_i32 s16, 3
	s_cbranch_scc1 .LBB142_381
; %bb.378:
	s_cmp_gt_i32 s16, 3
	s_cbranch_scc0 .LBB142_382
; %bb.379:
	global_load_dwordx2 v[4:5], v[0:1], off
	s_movk_i32 s0, 0x7fff
	s_waitcnt vmcnt(0)
	v_xor_b32_e32 v7, v4, v5
	v_ffbh_i32_e32 v6, v5
	v_ashrrev_i32_e32 v7, 31, v7
	v_add_u32_e32 v6, -1, v6
	v_add_u32_e32 v7, 32, v7
	v_min_u32_e32 v6, v6, v7
	v_lshlrev_b64 v[4:5], v6, v[4:5]
	v_min_u32_e32 v4, 1, v4
	v_or_b32_e32 v4, v5, v4
	v_cvt_f32_i32_e32 v4, v4
	v_sub_u32_e32 v5, 32, v6
	v_ldexp_f32 v4, v4, v5
	v_bfe_u32 v5, v4, 16, 1
	v_add3_u32 v4, v4, v5, s0
	v_lshrrev_b32_e32 v4, 16, v4
	s_mov_b64 s[0:1], 0
	s_branch .LBB142_383
.LBB142_380:
	s_mov_b64 s[0:1], -1
                                        ; implicit-def: $vgpr4
	s_branch .LBB142_389
.LBB142_381:
	s_mov_b64 s[0:1], -1
                                        ; implicit-def: $vgpr4
	s_branch .LBB142_386
.LBB142_382:
	s_mov_b64 s[0:1], -1
                                        ; implicit-def: $vgpr4
.LBB142_383:
	s_andn2_b64 vcc, exec, s[0:1]
	s_cbranch_vccnz .LBB142_385
; %bb.384:
	global_load_dword v4, v[0:1], off
	s_movk_i32 s0, 0x7fff
	s_waitcnt vmcnt(0)
	v_cvt_f32_i32_e32 v4, v4
	v_bfe_u32 v5, v4, 16, 1
	v_add3_u32 v4, v4, v5, s0
	v_lshrrev_b32_e32 v4, 16, v4
.LBB142_385:
	s_mov_b64 s[0:1], 0
.LBB142_386:
	s_andn2_b64 vcc, exec, s[0:1]
	s_cbranch_vccnz .LBB142_388
; %bb.387:
	global_load_sshort v4, v[0:1], off
	s_movk_i32 s0, 0x7fff
	s_waitcnt vmcnt(0)
	v_cvt_f32_i32_e32 v4, v4
	v_bfe_u32 v5, v4, 16, 1
	v_add3_u32 v4, v4, v5, s0
	v_lshrrev_b32_e32 v4, 16, v4
.LBB142_388:
	s_mov_b64 s[0:1], 0
.LBB142_389:
	s_andn2_b64 vcc, exec, s[0:1]
	s_cbranch_vccnz .LBB142_395
; %bb.390:
	s_cmp_gt_i32 s16, 0
	s_cbranch_scc0 .LBB142_392
; %bb.391:
	global_load_sbyte v4, v[0:1], off
	s_movk_i32 s0, 0x7fff
	s_waitcnt vmcnt(0)
	v_cvt_f32_i32_e32 v4, v4
	v_bfe_u32 v5, v4, 16, 1
	v_add3_u32 v4, v4, v5, s0
	v_lshrrev_b32_e32 v4, 16, v4
	s_mov_b64 s[0:1], 0
	s_branch .LBB142_393
.LBB142_392:
	s_mov_b64 s[0:1], -1
                                        ; implicit-def: $vgpr4
.LBB142_393:
	s_andn2_b64 vcc, exec, s[0:1]
	s_cbranch_vccnz .LBB142_395
; %bb.394:
	global_load_ubyte v0, v[0:1], off
	s_movk_i32 s0, 0x7fff
	s_waitcnt vmcnt(0)
	v_cvt_f32_ubyte0_e32 v0, v0
	v_bfe_u32 v1, v0, 16, 1
	v_add3_u32 v0, v0, v1, s0
	v_lshrrev_b32_e32 v4, 16, v0
.LBB142_395:
	s_branch .LBB142_21
.LBB142_396:
	s_mov_b64 s[0:1], 0
.LBB142_397:
                                        ; implicit-def: $vgpr2
	s_mov_b64 s[24:25], 0
.LBB142_398:
	s_and_b64 s[16:17], s[0:1], exec
	s_and_b64 s[18:19], s[18:19], exec
	s_and_b64 s[20:21], s[20:21], exec
	s_orn2_b64 s[0:1], s[24:25], exec
.LBB142_399:
	s_or_b64 exec, exec, s[22:23]
	s_mov_b64 s[30:31], 0
	s_mov_b64 s[28:29], 0
                                        ; implicit-def: $sgpr56
                                        ; implicit-def: $vgpr0_vgpr1
                                        ; implicit-def: $vgpr3
	s_and_saveexec_b64 s[22:23], s[0:1]
	s_cbranch_execz .LBB142_408
; %bb.400:
	v_cmp_gt_i32_e32 vcc, s48, v2
	s_mov_b64 s[0:1], -1
	s_mov_b64 s[24:25], s[20:21]
	s_mov_b64 s[26:27], s[18:19]
	;; [unrolled: 1-line block ×3, first 2 shown]
	s_and_saveexec_b64 s[30:31], vcc
	s_cbranch_execz .LBB142_806
; %bb.401:
	v_mul_lo_u32 v0, v2, s13
	v_mov_b32_e32 v1, s11
	s_and_b32 s34, s55, 0xff
	s_cmp_lt_i32 s34, 11
	s_waitcnt vmcnt(0)
	v_ashrrev_i32_e32 v3, 31, v0
	v_add_co_u32_e32 v0, vcc, s10, v0
	v_addc_co_u32_e32 v1, vcc, v1, v3, vcc
	s_cbranch_scc1 .LBB142_411
; %bb.402:
	s_and_b32 s35, 0xffff, s34
	s_cmp_gt_i32 s35, 25
	s_cbranch_scc0 .LBB142_420
; %bb.403:
	s_cmp_gt_i32 s35, 28
	s_cbranch_scc0 .LBB142_422
; %bb.404:
	;; [unrolled: 3-line block ×4, first 2 shown]
	s_cmp_eq_u32 s35, 46
	s_mov_b64 s[26:27], 0
	s_cbranch_scc0 .LBB142_430
; %bb.407:
	global_load_dword v3, v[0:1], off
	s_mov_b64 s[24:25], 0
	s_branch .LBB142_431
.LBB142_408:
	s_or_b64 exec, exec, s[22:23]
	s_mov_b64 s[22:23], 0
	s_and_saveexec_b64 s[0:1], s[20:21]
	s_cbranch_execnz .LBB142_1298
.LBB142_409:
	s_or_b64 exec, exec, s[0:1]
	s_and_saveexec_b64 s[0:1], s[26:27]
	s_xor_b64 s[0:1], exec, s[0:1]
	s_cbranch_execz .LBB142_1299
.LBB142_410:
	global_load_ubyte v3, v[0:1], off
	s_or_b64 s[28:29], s[28:29], exec
	s_waitcnt vmcnt(0)
	v_cmp_ne_u16_e32 vcc, 0, v3
	v_cndmask_b32_e64 v3, 0, 1.0, vcc
	v_lshrrev_b32_e32 v3, 16, v3
	s_or_b64 exec, exec, s[0:1]
	s_and_saveexec_b64 s[0:1], s[30:31]
	s_cbranch_execz .LBB142_1345
	s_branch .LBB142_1300
.LBB142_411:
	s_mov_b64 s[0:1], 0
                                        ; implicit-def: $vgpr3
	s_mov_b64 s[24:25], s[20:21]
	s_cbranch_execnz .LBB142_497
.LBB142_412:
	s_andn2_b64 vcc, exec, s[0:1]
	s_cbranch_vccnz .LBB142_545
.LBB142_413:
	v_mul_lo_u32 v0, v2, s14
	v_mov_b32_e32 v1, s3
	s_and_b32 s36, s54, 0xff
	s_cmp_lt_i32 s36, 11
	v_ashrrev_i32_e32 v4, 31, v0
	v_add_co_u32_e32 v0, vcc, s2, v0
	v_addc_co_u32_e32 v1, vcc, v1, v4, vcc
	s_cbranch_scc1 .LBB142_421
; %bb.414:
	s_and_b32 s37, 0xffff, s36
	s_cmp_gt_i32 s37, 25
	s_cbranch_scc0 .LBB142_423
; %bb.415:
	s_cmp_gt_i32 s37, 28
	s_cbranch_scc0 .LBB142_425
; %bb.416:
	;; [unrolled: 3-line block ×4, first 2 shown]
	s_cmp_eq_u32 s37, 46
	s_mov_b64 s[28:29], 0
	s_cbranch_scc0 .LBB142_549
; %bb.419:
	global_load_dword v4, v[0:1], off
	s_mov_b64 s[0:1], -1
	s_mov_b64 s[26:27], 0
	s_branch .LBB142_550
.LBB142_420:
	s_mov_b64 s[26:27], -1
	s_mov_b64 s[0:1], 0
	s_mov_b64 s[24:25], s[20:21]
                                        ; implicit-def: $vgpr3
	s_branch .LBB142_461
.LBB142_421:
	s_mov_b64 s[28:29], -1
	s_mov_b64 s[0:1], 0
                                        ; implicit-def: $vgpr4
	s_mov_b64 s[26:27], s[18:19]
	s_branch .LBB142_615
.LBB142_422:
	s_mov_b64 s[26:27], -1
	s_mov_b64 s[0:1], 0
	s_mov_b64 s[24:25], s[20:21]
                                        ; implicit-def: $vgpr3
	s_branch .LBB142_442
.LBB142_423:
	s_mov_b64 s[28:29], -1
	s_mov_b64 s[0:1], 0
	s_mov_b64 s[26:27], s[18:19]
                                        ; implicit-def: $vgpr4
	s_branch .LBB142_579
.LBB142_424:
	s_mov_b64 s[26:27], -1
	s_mov_b64 s[0:1], 0
	s_mov_b64 s[24:25], s[20:21]
                                        ; implicit-def: $vgpr3
	s_branch .LBB142_437
.LBB142_425:
	s_mov_b64 s[28:29], -1
	s_mov_b64 s[0:1], 0
	s_mov_b64 s[26:27], s[18:19]
                                        ; implicit-def: $vgpr4
	s_branch .LBB142_560
.LBB142_426:
	s_mov_b64 s[26:27], -1
	s_mov_b64 s[0:1], 0
	s_mov_b64 s[24:25], s[20:21]
                                        ; implicit-def: $vgpr3
	s_branch .LBB142_431
.LBB142_427:
	s_mov_b64 s[28:29], -1
	s_mov_b64 s[0:1], 0
	s_mov_b64 s[26:27], s[18:19]
                                        ; implicit-def: $vgpr4
	s_branch .LBB142_555
.LBB142_428:
	s_andn2_saveexec_b64 s[30:31], s[30:31]
	s_cbranch_execz .LBB142_196
.LBB142_429:
	v_add_f32_e32 v3, 0x46000000, v4
	v_and_b32_e32 v3, 0xff, v3
	v_cmp_ne_u32_e32 vcc, 0, v3
	s_andn2_b64 s[28:29], s[28:29], exec
	s_and_b64 s[36:37], vcc, exec
	s_or_b64 s[28:29], s[28:29], s[36:37]
	s_or_b64 exec, exec, s[30:31]
	v_mov_b32_e32 v5, 0
	s_and_saveexec_b64 s[30:31], s[28:29]
	s_cbranch_execnz .LBB142_197
	s_branch .LBB142_198
.LBB142_430:
	s_mov_b64 s[24:25], -1
                                        ; implicit-def: $vgpr3
	s_mov_b64 s[0:1], 0
.LBB142_431:
	s_and_b64 vcc, exec, s[26:27]
	s_cbranch_vccz .LBB142_436
; %bb.432:
	s_cmp_eq_u32 s35, 44
	s_cbranch_scc0 .LBB142_435
; %bb.433:
	global_load_ubyte v3, v[0:1], off
	s_movk_i32 s24, 0xff
	v_mov_b32_e32 v4, 0x7f800001
	v_mov_b32_e32 v5, 0x400000
	;; [unrolled: 1-line block ×3, first 2 shown]
	s_mov_b64 s[0:1], -1
	s_waitcnt vmcnt(0)
	v_lshlrev_b32_e32 v7, 23, v3
	v_cmp_ne_u32_e32 vcc, s24, v3
	v_cndmask_b32_e32 v4, v4, v7, vcc
	v_cmp_ne_u32_e32 vcc, 0, v3
	v_cndmask_b32_e32 v3, v5, v4, vcc
	v_add_u32_e32 v4, 0x7fff, v3
	v_cmp_o_f32_e32 vcc, v3, v3
	v_cndmask_b32_sdwa v3, v6, v4, vcc dst_sel:DWORD dst_unused:UNUSED_PAD src0_sel:DWORD src1_sel:WORD_1
	s_mov_b64 s[24:25], 0
	s_branch .LBB142_436
.LBB142_434:
	s_mov_b64 s[28:29], -1
	s_mov_b64 s[0:1], 0
	s_mov_b64 s[26:27], s[18:19]
                                        ; implicit-def: $vgpr4
	s_branch .LBB142_550
.LBB142_435:
	s_mov_b64 s[24:25], -1
                                        ; implicit-def: $vgpr3
.LBB142_436:
	s_mov_b64 s[26:27], 0
.LBB142_437:
	s_and_b64 vcc, exec, s[26:27]
	s_cbranch_vccz .LBB142_441
; %bb.438:
	s_cmp_eq_u32 s35, 29
	s_cbranch_scc0 .LBB142_440
; %bb.439:
	global_load_dwordx2 v[3:4], v[0:1], off
	s_movk_i32 s24, 0x7fff
	s_mov_b64 s[0:1], -1
	s_mov_b64 s[26:27], 0
	s_waitcnt vmcnt(0)
	v_ffbh_u32_e32 v5, v4
	v_min_u32_e32 v5, 32, v5
	v_lshlrev_b64 v[3:4], v5, v[3:4]
	v_min_u32_e32 v3, 1, v3
	v_or_b32_e32 v3, v4, v3
	v_cvt_f32_u32_e32 v3, v3
	v_sub_u32_e32 v4, 32, v5
	v_ldexp_f32 v3, v3, v4
	v_bfe_u32 v4, v3, 16, 1
	v_add3_u32 v3, v3, v4, s24
	v_lshrrev_b32_e32 v3, 16, v3
	s_mov_b64 s[24:25], 0
	s_branch .LBB142_442
.LBB142_440:
	s_mov_b64 s[24:25], -1
                                        ; implicit-def: $vgpr3
.LBB142_441:
	s_mov_b64 s[26:27], 0
.LBB142_442:
	s_and_b64 vcc, exec, s[26:27]
	s_cbranch_vccz .LBB142_460
; %bb.443:
	s_cmp_lt_i32 s35, 27
	s_cbranch_scc1 .LBB142_446
; %bb.444:
	s_cmp_gt_i32 s35, 27
	s_cbranch_scc0 .LBB142_447
; %bb.445:
	global_load_dword v3, v[0:1], off
	s_movk_i32 s0, 0x7fff
	s_waitcnt vmcnt(0)
	v_cvt_f32_u32_e32 v3, v3
	v_bfe_u32 v4, v3, 16, 1
	v_add3_u32 v3, v3, v4, s0
	v_lshrrev_b32_e32 v3, 16, v3
	s_mov_b64 s[0:1], 0
	s_branch .LBB142_448
.LBB142_446:
	s_mov_b64 s[0:1], -1
                                        ; implicit-def: $vgpr3
	s_branch .LBB142_451
.LBB142_447:
	s_mov_b64 s[0:1], -1
                                        ; implicit-def: $vgpr3
.LBB142_448:
	s_andn2_b64 vcc, exec, s[0:1]
	s_cbranch_vccnz .LBB142_450
; %bb.449:
	global_load_ushort v3, v[0:1], off
	s_movk_i32 s0, 0x7fff
	s_waitcnt vmcnt(0)
	v_cvt_f32_u32_e32 v3, v3
	v_bfe_u32 v4, v3, 16, 1
	v_add3_u32 v3, v3, v4, s0
	v_lshrrev_b32_e32 v3, 16, v3
.LBB142_450:
	s_mov_b64 s[0:1], 0
.LBB142_451:
	s_andn2_b64 vcc, exec, s[0:1]
	s_cbranch_vccnz .LBB142_459
; %bb.452:
	global_load_ubyte v3, v[0:1], off
	s_movk_i32 s0, 0x7f
	s_waitcnt vmcnt(0)
	v_cmp_lt_i16_e32 vcc, s0, v3
	s_mov_b64 s[0:1], 0
	s_and_saveexec_b64 s[26:27], vcc
	s_xor_b64 s[26:27], exec, s[26:27]
	s_cbranch_execz .LBB142_473
; %bb.453:
	s_movk_i32 s0, 0x80
	v_cmp_eq_u16_e32 vcc, s0, v3
	s_mov_b64 s[0:1], -1
	s_and_saveexec_b64 s[28:29], vcc
; %bb.454:
	s_xor_b64 s[0:1], exec, -1
; %bb.455:
	s_or_b64 exec, exec, s[28:29]
	s_and_b64 s[0:1], s[0:1], exec
	s_or_saveexec_b64 s[26:27], s[26:27]
	v_mov_b32_e32 v4, 0x7f800001
	s_xor_b64 exec, exec, s[26:27]
	s_cbranch_execnz .LBB142_474
.LBB142_456:
	s_or_b64 exec, exec, s[26:27]
	s_and_saveexec_b64 s[26:27], s[0:1]
	s_cbranch_execz .LBB142_458
.LBB142_457:
	v_lshlrev_b32_e32 v4, 24, v3
	v_and_b32_e32 v3, 0xffff, v3
	v_and_b32_e32 v5, 7, v3
	v_ffbh_u32_e32 v7, v5
	v_min_u32_e32 v7, 32, v7
	v_subrev_u32_e32 v8, 28, v7
	v_bfe_u32 v6, v3, 3, 4
	v_lshlrev_b32_e32 v3, v8, v3
	v_sub_u32_e32 v7, 29, v7
	v_and_b32_e32 v3, 7, v3
	v_cmp_eq_u32_e32 vcc, 0, v6
	v_cndmask_b32_e32 v6, v6, v7, vcc
	v_cndmask_b32_e32 v3, v5, v3, vcc
	v_mov_b32_e32 v5, 0x3b800000
	v_lshlrev_b32_e32 v3, 20, v3
	v_and_b32_e32 v4, 0x80000000, v4
	v_lshl_add_u32 v5, v6, 23, v5
	v_or3_b32 v4, v4, v5, v3
.LBB142_458:
	s_or_b64 exec, exec, s[26:27]
	v_bfe_u32 v3, v4, 16, 1
	s_movk_i32 s0, 0x7fff
	v_add3_u32 v3, v4, v3, s0
	v_cmp_o_f32_e32 vcc, v4, v4
	v_mov_b32_e32 v4, 0x7fc0
	v_cndmask_b32_sdwa v3, v4, v3, vcc dst_sel:DWORD dst_unused:UNUSED_PAD src0_sel:DWORD src1_sel:WORD_1
.LBB142_459:
	s_mov_b64 s[0:1], -1
.LBB142_460:
	s_mov_b64 s[26:27], 0
.LBB142_461:
	s_and_b64 vcc, exec, s[26:27]
	s_cbranch_vccz .LBB142_496
; %bb.462:
	s_cmp_gt_i32 s35, 22
	s_cbranch_scc0 .LBB142_472
; %bb.463:
	s_cmp_lt_i32 s35, 24
	s_cbranch_scc1 .LBB142_475
; %bb.464:
	s_cmp_gt_i32 s35, 24
	s_cbranch_scc0 .LBB142_476
; %bb.465:
	global_load_ubyte v3, v[0:1], off
	s_movk_i32 s0, 0x7f
	s_waitcnt vmcnt(0)
	v_cmp_lt_i16_e32 vcc, s0, v3
	s_mov_b64 s[0:1], 0
	s_and_saveexec_b64 s[26:27], vcc
	s_xor_b64 s[26:27], exec, s[26:27]
	s_cbranch_execz .LBB142_488
; %bb.466:
	s_movk_i32 s0, 0x80
	v_cmp_eq_u16_e32 vcc, s0, v3
	s_mov_b64 s[0:1], -1
	s_and_saveexec_b64 s[28:29], vcc
; %bb.467:
	s_xor_b64 s[0:1], exec, -1
; %bb.468:
	s_or_b64 exec, exec, s[28:29]
	s_and_b64 s[0:1], s[0:1], exec
	s_or_saveexec_b64 s[26:27], s[26:27]
	v_mov_b32_e32 v4, 0x7f800001
	s_xor_b64 exec, exec, s[26:27]
	s_cbranch_execnz .LBB142_489
.LBB142_469:
	s_or_b64 exec, exec, s[26:27]
	s_and_saveexec_b64 s[26:27], s[0:1]
	s_cbranch_execz .LBB142_471
.LBB142_470:
	v_lshlrev_b32_e32 v4, 24, v3
	v_and_b32_e32 v3, 0xffff, v3
	v_and_b32_e32 v5, 3, v3
	v_ffbh_u32_e32 v7, v5
	v_min_u32_e32 v7, 32, v7
	v_subrev_u32_e32 v8, 29, v7
	v_bfe_u32 v6, v3, 2, 5
	v_lshlrev_b32_e32 v3, v8, v3
	v_sub_u32_e32 v7, 30, v7
	v_and_b32_e32 v3, 3, v3
	v_cmp_eq_u32_e32 vcc, 0, v6
	v_cndmask_b32_e32 v6, v6, v7, vcc
	v_cndmask_b32_e32 v3, v5, v3, vcc
	v_mov_b32_e32 v5, 0x37800000
	v_lshlrev_b32_e32 v3, 21, v3
	v_and_b32_e32 v4, 0x80000000, v4
	v_lshl_add_u32 v5, v6, 23, v5
	v_or3_b32 v4, v4, v5, v3
.LBB142_471:
	s_or_b64 exec, exec, s[26:27]
	v_bfe_u32 v3, v4, 16, 1
	s_movk_i32 s0, 0x7fff
	v_add3_u32 v3, v4, v3, s0
	v_cmp_o_f32_e32 vcc, v4, v4
	v_mov_b32_e32 v4, 0x7fc0
	v_cndmask_b32_sdwa v3, v4, v3, vcc dst_sel:DWORD dst_unused:UNUSED_PAD src0_sel:DWORD src1_sel:WORD_1
	s_mov_b64 s[0:1], 0
	s_branch .LBB142_477
.LBB142_472:
	s_mov_b64 s[26:27], -1
                                        ; implicit-def: $vgpr3
	s_branch .LBB142_483
.LBB142_473:
	s_or_saveexec_b64 s[26:27], s[26:27]
	v_mov_b32_e32 v4, 0x7f800001
	s_xor_b64 exec, exec, s[26:27]
	s_cbranch_execz .LBB142_456
.LBB142_474:
	v_cmp_ne_u16_e32 vcc, 0, v3
	s_andn2_b64 s[0:1], s[0:1], exec
	s_and_b64 s[28:29], vcc, exec
	v_mov_b32_e32 v4, 0
	s_or_b64 s[0:1], s[0:1], s[28:29]
	s_or_b64 exec, exec, s[26:27]
	s_and_saveexec_b64 s[26:27], s[0:1]
	s_cbranch_execnz .LBB142_457
	s_branch .LBB142_458
.LBB142_475:
	s_mov_b64 s[0:1], -1
                                        ; implicit-def: $vgpr3
	s_branch .LBB142_480
.LBB142_476:
	s_mov_b64 s[0:1], -1
                                        ; implicit-def: $vgpr3
.LBB142_477:
	s_and_b64 vcc, exec, s[0:1]
	s_cbranch_vccz .LBB142_479
; %bb.478:
	global_load_ubyte v3, v[0:1], off
	s_mov_b32 s0, 0x7f800000
	s_brev_b32 s1, 1
	s_movk_i32 s26, 0x7fff
	s_waitcnt vmcnt(0)
	v_lshlrev_b32_e32 v3, 24, v3
	v_and_b32_e32 v4, 0x7f000000, v3
	v_ffbh_u32_e32 v5, v4
	v_min_u32_e32 v5, 32, v5
	v_sub_u32_e64 v5, v5, 4 clamp
	v_lshlrev_b32_e32 v7, v5, v4
	v_lshlrev_b32_e32 v5, 23, v5
	v_lshrrev_b32_e32 v7, 4, v7
	v_add_u32_e32 v6, 0x1000000, v4
	v_sub_u32_e32 v5, v7, v5
	v_ashrrev_i32_e32 v6, 8, v6
	v_add_u32_e32 v5, 0x3c000000, v5
	v_and_or_b32 v5, v6, s0, v5
	v_cmp_ne_u32_e32 vcc, 0, v4
	v_cndmask_b32_e32 v4, 0, v5, vcc
	v_and_or_b32 v3, v3, s1, v4
	v_bfe_u32 v4, v4, 16, 1
	v_add3_u32 v4, v3, v4, s26
	v_cmp_o_f32_e32 vcc, v3, v3
	v_mov_b32_e32 v3, 0x7fc0
	v_cndmask_b32_sdwa v3, v3, v4, vcc dst_sel:DWORD dst_unused:UNUSED_PAD src0_sel:DWORD src1_sel:WORD_1
.LBB142_479:
	s_mov_b64 s[0:1], 0
.LBB142_480:
	s_andn2_b64 vcc, exec, s[0:1]
	s_cbranch_vccnz .LBB142_482
; %bb.481:
	global_load_ubyte v3, v[0:1], off
	s_movk_i32 s0, 0x7f00
	s_brev_b32 s1, 16
	s_brev_b32 s26, 1
	s_movk_i32 s27, 0x7fff
	s_waitcnt vmcnt(0)
	v_lshlrev_b16_e32 v4, 8, v3
	v_lshlrev_b32_e32 v3, 25, v3
	v_lshrrev_b32_e32 v5, 4, v3
	v_and_or_b32 v6, v4, s0, 0.5
	v_or_b32_e32 v5, 0x70000000, v5
	v_add_f32_e32 v6, -0.5, v6
	v_mul_f32_e32 v5, 0x7800000, v5
	v_cmp_gt_u32_e32 vcc, s1, v3
	v_bfe_i32 v4, v4, 0, 16
	v_cndmask_b32_e32 v3, v5, v6, vcc
	v_and_or_b32 v4, v4, s26, v3
	v_bfe_u32 v3, v3, 16, 1
	v_add3_u32 v3, v4, v3, s27
	v_cmp_o_f32_e32 vcc, v4, v4
	v_mov_b32_e32 v4, 0x7fc0
	v_cndmask_b32_sdwa v3, v4, v3, vcc dst_sel:DWORD dst_unused:UNUSED_PAD src0_sel:DWORD src1_sel:WORD_1
.LBB142_482:
	s_mov_b64 s[26:27], 0
	s_mov_b64 s[0:1], -1
.LBB142_483:
	s_andn2_b64 vcc, exec, s[26:27]
	s_cbranch_vccnz .LBB142_496
; %bb.484:
	s_cmp_gt_i32 s35, 14
	s_cbranch_scc0 .LBB142_487
; %bb.485:
	s_cmp_eq_u32 s35, 15
	s_cbranch_scc0 .LBB142_490
; %bb.486:
	global_load_ushort v3, v[0:1], off
	s_mov_b64 s[0:1], -1
	s_mov_b64 s[24:25], 0
	s_branch .LBB142_491
.LBB142_487:
	s_mov_b64 s[26:27], -1
                                        ; implicit-def: $vgpr3
	s_branch .LBB142_492
.LBB142_488:
	s_or_saveexec_b64 s[26:27], s[26:27]
	v_mov_b32_e32 v4, 0x7f800001
	s_xor_b64 exec, exec, s[26:27]
	s_cbranch_execz .LBB142_469
.LBB142_489:
	v_cmp_ne_u16_e32 vcc, 0, v3
	s_andn2_b64 s[0:1], s[0:1], exec
	s_and_b64 s[28:29], vcc, exec
	v_mov_b32_e32 v4, 0
	s_or_b64 s[0:1], s[0:1], s[28:29]
	s_or_b64 exec, exec, s[26:27]
	s_and_saveexec_b64 s[26:27], s[0:1]
	s_cbranch_execnz .LBB142_470
	s_branch .LBB142_471
.LBB142_490:
	s_mov_b64 s[24:25], -1
                                        ; implicit-def: $vgpr3
.LBB142_491:
	s_mov_b64 s[26:27], 0
.LBB142_492:
	s_and_b64 vcc, exec, s[26:27]
	s_cbranch_vccz .LBB142_496
; %bb.493:
	s_cmp_eq_u32 s35, 11
	s_cbranch_scc0 .LBB142_495
; %bb.494:
	global_load_ubyte v3, v[0:1], off
	s_mov_b64 s[0:1], -1
	s_mov_b64 s[24:25], 0
	s_waitcnt vmcnt(0)
	v_cmp_ne_u16_e32 vcc, 0, v3
	v_cndmask_b32_e64 v3, 0, 1.0, vcc
	v_lshrrev_b32_e32 v3, 16, v3
	s_branch .LBB142_496
.LBB142_495:
	s_mov_b64 s[24:25], -1
                                        ; implicit-def: $vgpr3
.LBB142_496:
	s_branch .LBB142_412
.LBB142_497:
	s_and_b32 s26, 0xffff, s34
	s_cmp_lt_i32 s26, 5
	s_cbranch_scc1 .LBB142_502
; %bb.498:
	s_cmp_lt_i32 s26, 8
	s_cbranch_scc1 .LBB142_503
; %bb.499:
	;; [unrolled: 3-line block ×3, first 2 shown]
	s_cmp_gt_i32 s26, 9
	s_cbranch_scc0 .LBB142_505
; %bb.501:
	global_load_dwordx2 v[3:4], v[0:1], off
	s_movk_i32 s0, 0x7fff
	s_waitcnt vmcnt(0)
	v_cvt_f32_f64_e32 v3, v[3:4]
	v_mov_b32_e32 v4, 0x7fc0
	v_bfe_u32 v5, v3, 16, 1
	v_cmp_o_f32_e32 vcc, v3, v3
	v_add3_u32 v3, v3, v5, s0
	v_cndmask_b32_sdwa v3, v4, v3, vcc dst_sel:DWORD dst_unused:UNUSED_PAD src0_sel:DWORD src1_sel:WORD_1
	s_mov_b64 s[0:1], 0
	s_branch .LBB142_506
.LBB142_502:
	s_mov_b64 s[0:1], -1
                                        ; implicit-def: $vgpr3
	s_branch .LBB142_524
.LBB142_503:
	s_mov_b64 s[0:1], -1
                                        ; implicit-def: $vgpr3
	s_branch .LBB142_512
.LBB142_504:
	s_mov_b64 s[0:1], -1
                                        ; implicit-def: $vgpr3
	s_branch .LBB142_509
.LBB142_505:
	s_mov_b64 s[0:1], -1
                                        ; implicit-def: $vgpr3
.LBB142_506:
	s_andn2_b64 vcc, exec, s[0:1]
	s_cbranch_vccnz .LBB142_508
; %bb.507:
	global_load_dword v3, v[0:1], off
	s_movk_i32 s0, 0x7fff
	v_mov_b32_e32 v4, 0x7fc0
	s_waitcnt vmcnt(0)
	v_bfe_u32 v5, v3, 16, 1
	v_cmp_o_f32_e32 vcc, v3, v3
	v_add3_u32 v3, v3, v5, s0
	v_cndmask_b32_sdwa v3, v4, v3, vcc dst_sel:DWORD dst_unused:UNUSED_PAD src0_sel:DWORD src1_sel:WORD_1
.LBB142_508:
	s_mov_b64 s[0:1], 0
.LBB142_509:
	s_andn2_b64 vcc, exec, s[0:1]
	s_cbranch_vccnz .LBB142_511
; %bb.510:
	global_load_dword v3, v[0:1], off
	s_movk_i32 s0, 0x7fff
	v_mov_b32_e32 v5, 0x7fc0
	s_waitcnt vmcnt(0)
	v_cvt_f32_f16_e32 v4, v3
	v_cmp_o_f16_e32 vcc, v3, v3
	v_bfe_u32 v3, v4, 16, 1
	v_add3_u32 v3, v4, v3, s0
	v_cndmask_b32_sdwa v3, v5, v3, vcc dst_sel:DWORD dst_unused:UNUSED_PAD src0_sel:DWORD src1_sel:WORD_1
.LBB142_511:
	s_mov_b64 s[0:1], 0
.LBB142_512:
	s_andn2_b64 vcc, exec, s[0:1]
	s_cbranch_vccnz .LBB142_523
; %bb.513:
	s_cmp_lt_i32 s26, 6
	s_cbranch_scc1 .LBB142_516
; %bb.514:
	s_cmp_gt_i32 s26, 6
	s_cbranch_scc0 .LBB142_517
; %bb.515:
	global_load_dwordx2 v[3:4], v[0:1], off
	s_movk_i32 s0, 0x7fff
	s_waitcnt vmcnt(0)
	v_cvt_f32_f64_e32 v3, v[3:4]
	v_mov_b32_e32 v4, 0x7fc0
	v_bfe_u32 v5, v3, 16, 1
	v_cmp_o_f32_e32 vcc, v3, v3
	v_add3_u32 v3, v3, v5, s0
	v_cndmask_b32_sdwa v3, v4, v3, vcc dst_sel:DWORD dst_unused:UNUSED_PAD src0_sel:DWORD src1_sel:WORD_1
	s_mov_b64 s[0:1], 0
	s_branch .LBB142_518
.LBB142_516:
	s_mov_b64 s[0:1], -1
                                        ; implicit-def: $vgpr3
	s_branch .LBB142_521
.LBB142_517:
	s_mov_b64 s[0:1], -1
                                        ; implicit-def: $vgpr3
.LBB142_518:
	s_andn2_b64 vcc, exec, s[0:1]
	s_cbranch_vccnz .LBB142_520
; %bb.519:
	global_load_dword v3, v[0:1], off
	s_movk_i32 s0, 0x7fff
	v_mov_b32_e32 v4, 0x7fc0
	s_waitcnt vmcnt(0)
	v_bfe_u32 v5, v3, 16, 1
	v_cmp_o_f32_e32 vcc, v3, v3
	v_add3_u32 v3, v3, v5, s0
	v_cndmask_b32_sdwa v3, v4, v3, vcc dst_sel:DWORD dst_unused:UNUSED_PAD src0_sel:DWORD src1_sel:WORD_1
.LBB142_520:
	s_mov_b64 s[0:1], 0
.LBB142_521:
	s_andn2_b64 vcc, exec, s[0:1]
	s_cbranch_vccnz .LBB142_523
; %bb.522:
	global_load_ushort v3, v[0:1], off
	s_movk_i32 s0, 0x7fff
	v_mov_b32_e32 v5, 0x7fc0
	s_waitcnt vmcnt(0)
	v_cvt_f32_f16_e32 v4, v3
	v_cmp_o_f16_e32 vcc, v3, v3
	v_bfe_u32 v3, v4, 16, 1
	v_add3_u32 v3, v4, v3, s0
	v_cndmask_b32_sdwa v3, v5, v3, vcc dst_sel:DWORD dst_unused:UNUSED_PAD src0_sel:DWORD src1_sel:WORD_1
.LBB142_523:
	s_mov_b64 s[0:1], 0
.LBB142_524:
	s_andn2_b64 vcc, exec, s[0:1]
	s_cbranch_vccnz .LBB142_544
; %bb.525:
	s_cmp_lt_i32 s26, 2
	s_cbranch_scc1 .LBB142_529
; %bb.526:
	s_cmp_lt_i32 s26, 3
	s_cbranch_scc1 .LBB142_530
; %bb.527:
	s_cmp_gt_i32 s26, 3
	s_cbranch_scc0 .LBB142_531
; %bb.528:
	global_load_dwordx2 v[3:4], v[0:1], off
	s_movk_i32 s0, 0x7fff
	s_waitcnt vmcnt(0)
	v_xor_b32_e32 v6, v3, v4
	v_ffbh_i32_e32 v5, v4
	v_ashrrev_i32_e32 v6, 31, v6
	v_add_u32_e32 v5, -1, v5
	v_add_u32_e32 v6, 32, v6
	v_min_u32_e32 v5, v5, v6
	v_lshlrev_b64 v[3:4], v5, v[3:4]
	v_min_u32_e32 v3, 1, v3
	v_or_b32_e32 v3, v4, v3
	v_cvt_f32_i32_e32 v3, v3
	v_sub_u32_e32 v4, 32, v5
	v_ldexp_f32 v3, v3, v4
	v_bfe_u32 v4, v3, 16, 1
	v_add3_u32 v3, v3, v4, s0
	v_lshrrev_b32_e32 v3, 16, v3
	s_mov_b64 s[0:1], 0
	s_branch .LBB142_532
.LBB142_529:
	s_mov_b64 s[0:1], -1
                                        ; implicit-def: $vgpr3
	s_branch .LBB142_538
.LBB142_530:
	s_mov_b64 s[0:1], -1
                                        ; implicit-def: $vgpr3
	s_branch .LBB142_535
.LBB142_531:
	s_mov_b64 s[0:1], -1
                                        ; implicit-def: $vgpr3
.LBB142_532:
	s_andn2_b64 vcc, exec, s[0:1]
	s_cbranch_vccnz .LBB142_534
; %bb.533:
	global_load_dword v3, v[0:1], off
	s_movk_i32 s0, 0x7fff
	s_waitcnt vmcnt(0)
	v_cvt_f32_i32_e32 v3, v3
	v_bfe_u32 v4, v3, 16, 1
	v_add3_u32 v3, v3, v4, s0
	v_lshrrev_b32_e32 v3, 16, v3
.LBB142_534:
	s_mov_b64 s[0:1], 0
.LBB142_535:
	s_andn2_b64 vcc, exec, s[0:1]
	s_cbranch_vccnz .LBB142_537
; %bb.536:
	global_load_sshort v3, v[0:1], off
	s_movk_i32 s0, 0x7fff
	s_waitcnt vmcnt(0)
	v_cvt_f32_i32_e32 v3, v3
	v_bfe_u32 v4, v3, 16, 1
	v_add3_u32 v3, v3, v4, s0
	v_lshrrev_b32_e32 v3, 16, v3
.LBB142_537:
	s_mov_b64 s[0:1], 0
.LBB142_538:
	s_andn2_b64 vcc, exec, s[0:1]
	s_cbranch_vccnz .LBB142_544
; %bb.539:
	s_cmp_gt_i32 s26, 0
	s_cbranch_scc0 .LBB142_541
; %bb.540:
	global_load_sbyte v3, v[0:1], off
	s_movk_i32 s0, 0x7fff
	s_waitcnt vmcnt(0)
	v_cvt_f32_i32_e32 v3, v3
	v_bfe_u32 v4, v3, 16, 1
	v_add3_u32 v3, v3, v4, s0
	v_lshrrev_b32_e32 v3, 16, v3
	s_mov_b64 s[0:1], 0
	s_branch .LBB142_542
.LBB142_541:
	s_mov_b64 s[0:1], -1
                                        ; implicit-def: $vgpr3
.LBB142_542:
	s_andn2_b64 vcc, exec, s[0:1]
	s_cbranch_vccnz .LBB142_544
; %bb.543:
	global_load_ubyte v0, v[0:1], off
	s_movk_i32 s0, 0x7fff
	s_waitcnt vmcnt(0)
	v_cvt_f32_ubyte0_e32 v0, v0
	v_bfe_u32 v1, v0, 16, 1
	v_add3_u32 v0, v0, v1, s0
	v_lshrrev_b32_e32 v3, 16, v0
.LBB142_544:
	s_branch .LBB142_413
.LBB142_545:
	s_mov_b64 s[34:35], 0
	s_mov_b64 s[0:1], s[16:17]
	;; [unrolled: 1-line block ×3, first 2 shown]
.LBB142_546:
                                        ; implicit-def: $vgpr2
	s_branch .LBB142_805
.LBB142_547:
	s_andn2_saveexec_b64 s[30:31], s[30:31]
	s_cbranch_execz .LBB142_209
.LBB142_548:
	v_add_f32_e32 v3, 0x42800000, v4
	v_and_b32_e32 v3, 0xff, v3
	v_cmp_ne_u32_e32 vcc, 0, v3
	s_andn2_b64 s[28:29], s[28:29], exec
	s_and_b64 s[36:37], vcc, exec
	s_or_b64 s[28:29], s[28:29], s[36:37]
	s_or_b64 exec, exec, s[30:31]
	v_mov_b32_e32 v5, 0
	s_and_saveexec_b64 s[30:31], s[28:29]
	s_cbranch_execnz .LBB142_210
	s_branch .LBB142_211
.LBB142_549:
	s_mov_b64 s[26:27], -1
                                        ; implicit-def: $vgpr4
	s_mov_b64 s[0:1], 0
.LBB142_550:
	s_and_b64 vcc, exec, s[28:29]
	s_cbranch_vccz .LBB142_554
; %bb.551:
	s_cmp_eq_u32 s37, 44
	s_cbranch_scc0 .LBB142_553
; %bb.552:
	global_load_ubyte v4, v[0:1], off
	s_movk_i32 s26, 0xff
	v_mov_b32_e32 v5, 0x7f800001
	v_mov_b32_e32 v6, 0x400000
	;; [unrolled: 1-line block ×3, first 2 shown]
	s_mov_b64 s[0:1], -1
	s_waitcnt vmcnt(0)
	v_lshlrev_b32_e32 v8, 23, v4
	v_cmp_ne_u32_e32 vcc, s26, v4
	v_cndmask_b32_e32 v5, v5, v8, vcc
	v_cmp_ne_u32_e32 vcc, 0, v4
	v_cndmask_b32_e32 v4, v6, v5, vcc
	v_add_u32_e32 v5, 0x7fff, v4
	v_cmp_o_f32_e32 vcc, v4, v4
	v_cndmask_b32_sdwa v4, v7, v5, vcc dst_sel:DWORD dst_unused:UNUSED_PAD src0_sel:DWORD src1_sel:WORD_1
	s_mov_b64 s[26:27], 0
	s_branch .LBB142_554
.LBB142_553:
	s_mov_b64 s[26:27], -1
                                        ; implicit-def: $vgpr4
.LBB142_554:
	s_mov_b64 s[28:29], 0
.LBB142_555:
	s_and_b64 vcc, exec, s[28:29]
	s_cbranch_vccz .LBB142_559
; %bb.556:
	s_cmp_eq_u32 s37, 29
	s_cbranch_scc0 .LBB142_558
; %bb.557:
	global_load_dwordx2 v[4:5], v[0:1], off
	s_movk_i32 s26, 0x7fff
	s_mov_b64 s[0:1], -1
	s_mov_b64 s[28:29], 0
	s_waitcnt vmcnt(0)
	v_ffbh_u32_e32 v6, v5
	v_min_u32_e32 v6, 32, v6
	v_lshlrev_b64 v[4:5], v6, v[4:5]
	v_min_u32_e32 v4, 1, v4
	v_or_b32_e32 v4, v5, v4
	v_cvt_f32_u32_e32 v4, v4
	v_sub_u32_e32 v5, 32, v6
	v_ldexp_f32 v4, v4, v5
	v_bfe_u32 v5, v4, 16, 1
	v_add3_u32 v4, v4, v5, s26
	v_lshrrev_b32_e32 v4, 16, v4
	s_mov_b64 s[26:27], 0
	s_branch .LBB142_560
.LBB142_558:
	s_mov_b64 s[26:27], -1
                                        ; implicit-def: $vgpr4
.LBB142_559:
	s_mov_b64 s[28:29], 0
.LBB142_560:
	s_and_b64 vcc, exec, s[28:29]
	s_cbranch_vccz .LBB142_578
; %bb.561:
	s_cmp_lt_i32 s37, 27
	s_cbranch_scc1 .LBB142_564
; %bb.562:
	s_cmp_gt_i32 s37, 27
	s_cbranch_scc0 .LBB142_565
; %bb.563:
	global_load_dword v4, v[0:1], off
	s_movk_i32 s0, 0x7fff
	s_waitcnt vmcnt(0)
	v_cvt_f32_u32_e32 v4, v4
	v_bfe_u32 v5, v4, 16, 1
	v_add3_u32 v4, v4, v5, s0
	v_lshrrev_b32_e32 v4, 16, v4
	s_mov_b64 s[0:1], 0
	s_branch .LBB142_566
.LBB142_564:
	s_mov_b64 s[0:1], -1
                                        ; implicit-def: $vgpr4
	s_branch .LBB142_569
.LBB142_565:
	s_mov_b64 s[0:1], -1
                                        ; implicit-def: $vgpr4
.LBB142_566:
	s_andn2_b64 vcc, exec, s[0:1]
	s_cbranch_vccnz .LBB142_568
; %bb.567:
	global_load_ushort v4, v[0:1], off
	s_movk_i32 s0, 0x7fff
	s_waitcnt vmcnt(0)
	v_cvt_f32_u32_e32 v4, v4
	v_bfe_u32 v5, v4, 16, 1
	v_add3_u32 v4, v4, v5, s0
	v_lshrrev_b32_e32 v4, 16, v4
.LBB142_568:
	s_mov_b64 s[0:1], 0
.LBB142_569:
	s_andn2_b64 vcc, exec, s[0:1]
	s_cbranch_vccnz .LBB142_577
; %bb.570:
	global_load_ubyte v4, v[0:1], off
	s_movk_i32 s0, 0x7f
	s_waitcnt vmcnt(0)
	v_cmp_lt_i16_e32 vcc, s0, v4
	s_mov_b64 s[0:1], 0
	s_and_saveexec_b64 s[28:29], vcc
	s_xor_b64 s[28:29], exec, s[28:29]
	s_cbranch_execz .LBB142_591
; %bb.571:
	s_movk_i32 s0, 0x80
	v_cmp_eq_u16_e32 vcc, s0, v4
	s_mov_b64 s[0:1], -1
	s_and_saveexec_b64 s[34:35], vcc
; %bb.572:
	s_xor_b64 s[0:1], exec, -1
; %bb.573:
	s_or_b64 exec, exec, s[34:35]
	s_and_b64 s[0:1], s[0:1], exec
	s_or_saveexec_b64 s[28:29], s[28:29]
	v_mov_b32_e32 v5, 0x7f800001
	s_xor_b64 exec, exec, s[28:29]
	s_cbranch_execnz .LBB142_592
.LBB142_574:
	s_or_b64 exec, exec, s[28:29]
	s_and_saveexec_b64 s[28:29], s[0:1]
	s_cbranch_execz .LBB142_576
.LBB142_575:
	v_lshlrev_b32_e32 v5, 24, v4
	v_and_b32_e32 v4, 0xffff, v4
	v_and_b32_e32 v6, 7, v4
	v_ffbh_u32_e32 v8, v6
	v_min_u32_e32 v8, 32, v8
	v_subrev_u32_e32 v9, 28, v8
	v_bfe_u32 v7, v4, 3, 4
	v_lshlrev_b32_e32 v4, v9, v4
	v_sub_u32_e32 v8, 29, v8
	v_and_b32_e32 v4, 7, v4
	v_cmp_eq_u32_e32 vcc, 0, v7
	v_cndmask_b32_e32 v7, v7, v8, vcc
	v_cndmask_b32_e32 v4, v6, v4, vcc
	v_mov_b32_e32 v6, 0x3b800000
	v_lshlrev_b32_e32 v4, 20, v4
	v_and_b32_e32 v5, 0x80000000, v5
	v_lshl_add_u32 v6, v7, 23, v6
	v_or3_b32 v5, v5, v6, v4
.LBB142_576:
	s_or_b64 exec, exec, s[28:29]
	v_bfe_u32 v4, v5, 16, 1
	s_movk_i32 s0, 0x7fff
	v_add3_u32 v4, v5, v4, s0
	v_cmp_o_f32_e32 vcc, v5, v5
	v_mov_b32_e32 v5, 0x7fc0
	v_cndmask_b32_sdwa v4, v5, v4, vcc dst_sel:DWORD dst_unused:UNUSED_PAD src0_sel:DWORD src1_sel:WORD_1
.LBB142_577:
	s_mov_b64 s[0:1], -1
.LBB142_578:
	s_mov_b64 s[28:29], 0
.LBB142_579:
	s_and_b64 vcc, exec, s[28:29]
	s_cbranch_vccz .LBB142_614
; %bb.580:
	s_cmp_gt_i32 s37, 22
	s_cbranch_scc0 .LBB142_590
; %bb.581:
	s_cmp_lt_i32 s37, 24
	s_cbranch_scc1 .LBB142_593
; %bb.582:
	s_cmp_gt_i32 s37, 24
	s_cbranch_scc0 .LBB142_594
; %bb.583:
	global_load_ubyte v4, v[0:1], off
	s_movk_i32 s0, 0x7f
	s_waitcnt vmcnt(0)
	v_cmp_lt_i16_e32 vcc, s0, v4
	s_mov_b64 s[0:1], 0
	s_and_saveexec_b64 s[28:29], vcc
	s_xor_b64 s[28:29], exec, s[28:29]
	s_cbranch_execz .LBB142_606
; %bb.584:
	s_movk_i32 s0, 0x80
	v_cmp_eq_u16_e32 vcc, s0, v4
	s_mov_b64 s[0:1], -1
	s_and_saveexec_b64 s[34:35], vcc
; %bb.585:
	s_xor_b64 s[0:1], exec, -1
; %bb.586:
	s_or_b64 exec, exec, s[34:35]
	s_and_b64 s[0:1], s[0:1], exec
	s_or_saveexec_b64 s[28:29], s[28:29]
	v_mov_b32_e32 v5, 0x7f800001
	s_xor_b64 exec, exec, s[28:29]
	s_cbranch_execnz .LBB142_607
.LBB142_587:
	s_or_b64 exec, exec, s[28:29]
	s_and_saveexec_b64 s[28:29], s[0:1]
	s_cbranch_execz .LBB142_589
.LBB142_588:
	v_lshlrev_b32_e32 v5, 24, v4
	v_and_b32_e32 v4, 0xffff, v4
	v_and_b32_e32 v6, 3, v4
	v_ffbh_u32_e32 v8, v6
	v_min_u32_e32 v8, 32, v8
	v_subrev_u32_e32 v9, 29, v8
	v_bfe_u32 v7, v4, 2, 5
	v_lshlrev_b32_e32 v4, v9, v4
	v_sub_u32_e32 v8, 30, v8
	v_and_b32_e32 v4, 3, v4
	v_cmp_eq_u32_e32 vcc, 0, v7
	v_cndmask_b32_e32 v7, v7, v8, vcc
	v_cndmask_b32_e32 v4, v6, v4, vcc
	v_mov_b32_e32 v6, 0x37800000
	v_lshlrev_b32_e32 v4, 21, v4
	v_and_b32_e32 v5, 0x80000000, v5
	v_lshl_add_u32 v6, v7, 23, v6
	v_or3_b32 v5, v5, v6, v4
.LBB142_589:
	s_or_b64 exec, exec, s[28:29]
	v_bfe_u32 v4, v5, 16, 1
	s_movk_i32 s0, 0x7fff
	v_add3_u32 v4, v5, v4, s0
	v_cmp_o_f32_e32 vcc, v5, v5
	v_mov_b32_e32 v5, 0x7fc0
	v_cndmask_b32_sdwa v4, v5, v4, vcc dst_sel:DWORD dst_unused:UNUSED_PAD src0_sel:DWORD src1_sel:WORD_1
	s_mov_b64 s[0:1], 0
	s_branch .LBB142_595
.LBB142_590:
	s_mov_b64 s[28:29], -1
                                        ; implicit-def: $vgpr4
	s_branch .LBB142_601
.LBB142_591:
	s_or_saveexec_b64 s[28:29], s[28:29]
	v_mov_b32_e32 v5, 0x7f800001
	s_xor_b64 exec, exec, s[28:29]
	s_cbranch_execz .LBB142_574
.LBB142_592:
	v_cmp_ne_u16_e32 vcc, 0, v4
	s_andn2_b64 s[0:1], s[0:1], exec
	s_and_b64 s[34:35], vcc, exec
	v_mov_b32_e32 v5, 0
	s_or_b64 s[0:1], s[0:1], s[34:35]
	s_or_b64 exec, exec, s[28:29]
	s_and_saveexec_b64 s[28:29], s[0:1]
	s_cbranch_execnz .LBB142_575
	s_branch .LBB142_576
.LBB142_593:
	s_mov_b64 s[0:1], -1
                                        ; implicit-def: $vgpr4
	s_branch .LBB142_598
.LBB142_594:
	s_mov_b64 s[0:1], -1
                                        ; implicit-def: $vgpr4
.LBB142_595:
	s_and_b64 vcc, exec, s[0:1]
	s_cbranch_vccz .LBB142_597
; %bb.596:
	global_load_ubyte v4, v[0:1], off
	s_mov_b32 s0, 0x7f800000
	s_brev_b32 s1, 1
	s_movk_i32 s28, 0x7fff
	s_waitcnt vmcnt(0)
	v_lshlrev_b32_e32 v4, 24, v4
	v_and_b32_e32 v5, 0x7f000000, v4
	v_ffbh_u32_e32 v6, v5
	v_min_u32_e32 v6, 32, v6
	v_sub_u32_e64 v6, v6, 4 clamp
	v_lshlrev_b32_e32 v8, v6, v5
	v_lshlrev_b32_e32 v6, 23, v6
	v_lshrrev_b32_e32 v8, 4, v8
	v_add_u32_e32 v7, 0x1000000, v5
	v_sub_u32_e32 v6, v8, v6
	v_ashrrev_i32_e32 v7, 8, v7
	v_add_u32_e32 v6, 0x3c000000, v6
	v_and_or_b32 v6, v7, s0, v6
	v_cmp_ne_u32_e32 vcc, 0, v5
	v_cndmask_b32_e32 v5, 0, v6, vcc
	v_and_or_b32 v4, v4, s1, v5
	v_bfe_u32 v5, v5, 16, 1
	v_add3_u32 v5, v4, v5, s28
	v_cmp_o_f32_e32 vcc, v4, v4
	v_mov_b32_e32 v4, 0x7fc0
	v_cndmask_b32_sdwa v4, v4, v5, vcc dst_sel:DWORD dst_unused:UNUSED_PAD src0_sel:DWORD src1_sel:WORD_1
.LBB142_597:
	s_mov_b64 s[0:1], 0
.LBB142_598:
	s_andn2_b64 vcc, exec, s[0:1]
	s_cbranch_vccnz .LBB142_600
; %bb.599:
	global_load_ubyte v4, v[0:1], off
	s_movk_i32 s0, 0x7f00
	s_brev_b32 s1, 16
	s_brev_b32 s28, 1
	s_movk_i32 s29, 0x7fff
	s_waitcnt vmcnt(0)
	v_lshlrev_b16_e32 v5, 8, v4
	v_lshlrev_b32_e32 v4, 25, v4
	v_lshrrev_b32_e32 v6, 4, v4
	v_and_or_b32 v7, v5, s0, 0.5
	v_or_b32_e32 v6, 0x70000000, v6
	v_add_f32_e32 v7, -0.5, v7
	v_mul_f32_e32 v6, 0x7800000, v6
	v_cmp_gt_u32_e32 vcc, s1, v4
	v_bfe_i32 v5, v5, 0, 16
	v_cndmask_b32_e32 v4, v6, v7, vcc
	v_and_or_b32 v5, v5, s28, v4
	v_bfe_u32 v4, v4, 16, 1
	v_add3_u32 v4, v5, v4, s29
	v_cmp_o_f32_e32 vcc, v5, v5
	v_mov_b32_e32 v5, 0x7fc0
	v_cndmask_b32_sdwa v4, v5, v4, vcc dst_sel:DWORD dst_unused:UNUSED_PAD src0_sel:DWORD src1_sel:WORD_1
.LBB142_600:
	s_mov_b64 s[28:29], 0
	s_mov_b64 s[0:1], -1
.LBB142_601:
	s_andn2_b64 vcc, exec, s[28:29]
	s_cbranch_vccnz .LBB142_614
; %bb.602:
	s_cmp_gt_i32 s37, 14
	s_cbranch_scc0 .LBB142_605
; %bb.603:
	s_cmp_eq_u32 s37, 15
	s_cbranch_scc0 .LBB142_608
; %bb.604:
	global_load_ushort v4, v[0:1], off
	s_mov_b64 s[0:1], -1
	s_mov_b64 s[26:27], 0
	s_branch .LBB142_609
.LBB142_605:
	s_mov_b64 s[28:29], -1
                                        ; implicit-def: $vgpr4
	s_branch .LBB142_610
.LBB142_606:
	s_or_saveexec_b64 s[28:29], s[28:29]
	v_mov_b32_e32 v5, 0x7f800001
	s_xor_b64 exec, exec, s[28:29]
	s_cbranch_execz .LBB142_587
.LBB142_607:
	v_cmp_ne_u16_e32 vcc, 0, v4
	s_andn2_b64 s[0:1], s[0:1], exec
	s_and_b64 s[34:35], vcc, exec
	v_mov_b32_e32 v5, 0
	s_or_b64 s[0:1], s[0:1], s[34:35]
	s_or_b64 exec, exec, s[28:29]
	s_and_saveexec_b64 s[28:29], s[0:1]
	s_cbranch_execnz .LBB142_588
	s_branch .LBB142_589
.LBB142_608:
	s_mov_b64 s[26:27], -1
                                        ; implicit-def: $vgpr4
.LBB142_609:
	s_mov_b64 s[28:29], 0
.LBB142_610:
	s_and_b64 vcc, exec, s[28:29]
	s_cbranch_vccz .LBB142_614
; %bb.611:
	s_cmp_eq_u32 s37, 11
	s_cbranch_scc0 .LBB142_613
; %bb.612:
	global_load_ubyte v4, v[0:1], off
	s_mov_b64 s[0:1], -1
	s_mov_b64 s[26:27], 0
	s_waitcnt vmcnt(0)
	v_cmp_ne_u16_e32 vcc, 0, v4
	v_cndmask_b32_e64 v4, 0, 1.0, vcc
	v_lshrrev_b32_e32 v4, 16, v4
	s_branch .LBB142_614
.LBB142_613:
	s_mov_b64 s[26:27], -1
                                        ; implicit-def: $vgpr4
.LBB142_614:
	s_mov_b64 s[28:29], 0
.LBB142_615:
	s_and_b64 vcc, exec, s[28:29]
	s_cbranch_vccz .LBB142_664
; %bb.616:
	s_and_b32 s28, 0xffff, s36
	s_cmp_lt_i32 s28, 5
	s_cbranch_scc1 .LBB142_621
; %bb.617:
	s_cmp_lt_i32 s28, 8
	s_cbranch_scc1 .LBB142_622
; %bb.618:
	;; [unrolled: 3-line block ×3, first 2 shown]
	s_cmp_gt_i32 s28, 9
	s_cbranch_scc0 .LBB142_624
; %bb.620:
	global_load_dwordx2 v[4:5], v[0:1], off
	s_movk_i32 s0, 0x7fff
	s_waitcnt vmcnt(0)
	v_cvt_f32_f64_e32 v4, v[4:5]
	v_mov_b32_e32 v5, 0x7fc0
	v_bfe_u32 v6, v4, 16, 1
	v_cmp_o_f32_e32 vcc, v4, v4
	v_add3_u32 v4, v4, v6, s0
	v_cndmask_b32_sdwa v4, v5, v4, vcc dst_sel:DWORD dst_unused:UNUSED_PAD src0_sel:DWORD src1_sel:WORD_1
	s_mov_b64 s[0:1], 0
	s_branch .LBB142_625
.LBB142_621:
	s_mov_b64 s[0:1], -1
                                        ; implicit-def: $vgpr4
	s_branch .LBB142_643
.LBB142_622:
	s_mov_b64 s[0:1], -1
                                        ; implicit-def: $vgpr4
	s_branch .LBB142_631
.LBB142_623:
	s_mov_b64 s[0:1], -1
                                        ; implicit-def: $vgpr4
	s_branch .LBB142_628
.LBB142_624:
	s_mov_b64 s[0:1], -1
                                        ; implicit-def: $vgpr4
.LBB142_625:
	s_andn2_b64 vcc, exec, s[0:1]
	s_cbranch_vccnz .LBB142_627
; %bb.626:
	global_load_dword v4, v[0:1], off
	s_movk_i32 s0, 0x7fff
	v_mov_b32_e32 v5, 0x7fc0
	s_waitcnt vmcnt(0)
	v_bfe_u32 v6, v4, 16, 1
	v_cmp_o_f32_e32 vcc, v4, v4
	v_add3_u32 v4, v4, v6, s0
	v_cndmask_b32_sdwa v4, v5, v4, vcc dst_sel:DWORD dst_unused:UNUSED_PAD src0_sel:DWORD src1_sel:WORD_1
.LBB142_627:
	s_mov_b64 s[0:1], 0
.LBB142_628:
	s_andn2_b64 vcc, exec, s[0:1]
	s_cbranch_vccnz .LBB142_630
; %bb.629:
	global_load_dword v4, v[0:1], off
	s_movk_i32 s0, 0x7fff
	v_mov_b32_e32 v6, 0x7fc0
	s_waitcnt vmcnt(0)
	v_cvt_f32_f16_e32 v5, v4
	v_cmp_o_f16_e32 vcc, v4, v4
	v_bfe_u32 v4, v5, 16, 1
	v_add3_u32 v4, v5, v4, s0
	v_cndmask_b32_sdwa v4, v6, v4, vcc dst_sel:DWORD dst_unused:UNUSED_PAD src0_sel:DWORD src1_sel:WORD_1
.LBB142_630:
	s_mov_b64 s[0:1], 0
.LBB142_631:
	s_andn2_b64 vcc, exec, s[0:1]
	s_cbranch_vccnz .LBB142_642
; %bb.632:
	s_cmp_lt_i32 s28, 6
	s_cbranch_scc1 .LBB142_635
; %bb.633:
	s_cmp_gt_i32 s28, 6
	s_cbranch_scc0 .LBB142_636
; %bb.634:
	global_load_dwordx2 v[4:5], v[0:1], off
	s_movk_i32 s0, 0x7fff
	s_waitcnt vmcnt(0)
	v_cvt_f32_f64_e32 v4, v[4:5]
	v_mov_b32_e32 v5, 0x7fc0
	v_bfe_u32 v6, v4, 16, 1
	v_cmp_o_f32_e32 vcc, v4, v4
	v_add3_u32 v4, v4, v6, s0
	v_cndmask_b32_sdwa v4, v5, v4, vcc dst_sel:DWORD dst_unused:UNUSED_PAD src0_sel:DWORD src1_sel:WORD_1
	s_mov_b64 s[0:1], 0
	s_branch .LBB142_637
.LBB142_635:
	s_mov_b64 s[0:1], -1
                                        ; implicit-def: $vgpr4
	s_branch .LBB142_640
.LBB142_636:
	s_mov_b64 s[0:1], -1
                                        ; implicit-def: $vgpr4
.LBB142_637:
	s_andn2_b64 vcc, exec, s[0:1]
	s_cbranch_vccnz .LBB142_639
; %bb.638:
	global_load_dword v4, v[0:1], off
	s_movk_i32 s0, 0x7fff
	v_mov_b32_e32 v5, 0x7fc0
	s_waitcnt vmcnt(0)
	v_bfe_u32 v6, v4, 16, 1
	v_cmp_o_f32_e32 vcc, v4, v4
	v_add3_u32 v4, v4, v6, s0
	v_cndmask_b32_sdwa v4, v5, v4, vcc dst_sel:DWORD dst_unused:UNUSED_PAD src0_sel:DWORD src1_sel:WORD_1
.LBB142_639:
	s_mov_b64 s[0:1], 0
.LBB142_640:
	s_andn2_b64 vcc, exec, s[0:1]
	s_cbranch_vccnz .LBB142_642
; %bb.641:
	global_load_ushort v4, v[0:1], off
	s_movk_i32 s0, 0x7fff
	v_mov_b32_e32 v6, 0x7fc0
	s_waitcnt vmcnt(0)
	v_cvt_f32_f16_e32 v5, v4
	v_cmp_o_f16_e32 vcc, v4, v4
	v_bfe_u32 v4, v5, 16, 1
	v_add3_u32 v4, v5, v4, s0
	v_cndmask_b32_sdwa v4, v6, v4, vcc dst_sel:DWORD dst_unused:UNUSED_PAD src0_sel:DWORD src1_sel:WORD_1
.LBB142_642:
	s_mov_b64 s[0:1], 0
.LBB142_643:
	s_andn2_b64 vcc, exec, s[0:1]
	s_cbranch_vccnz .LBB142_663
; %bb.644:
	s_cmp_lt_i32 s28, 2
	s_cbranch_scc1 .LBB142_648
; %bb.645:
	s_cmp_lt_i32 s28, 3
	s_cbranch_scc1 .LBB142_649
; %bb.646:
	s_cmp_gt_i32 s28, 3
	s_cbranch_scc0 .LBB142_650
; %bb.647:
	global_load_dwordx2 v[4:5], v[0:1], off
	s_movk_i32 s0, 0x7fff
	s_waitcnt vmcnt(0)
	v_xor_b32_e32 v7, v4, v5
	v_ffbh_i32_e32 v6, v5
	v_ashrrev_i32_e32 v7, 31, v7
	v_add_u32_e32 v6, -1, v6
	v_add_u32_e32 v7, 32, v7
	v_min_u32_e32 v6, v6, v7
	v_lshlrev_b64 v[4:5], v6, v[4:5]
	v_min_u32_e32 v4, 1, v4
	v_or_b32_e32 v4, v5, v4
	v_cvt_f32_i32_e32 v4, v4
	v_sub_u32_e32 v5, 32, v6
	v_ldexp_f32 v4, v4, v5
	v_bfe_u32 v5, v4, 16, 1
	v_add3_u32 v4, v4, v5, s0
	v_lshrrev_b32_e32 v4, 16, v4
	s_mov_b64 s[0:1], 0
	s_branch .LBB142_651
.LBB142_648:
	s_mov_b64 s[0:1], -1
                                        ; implicit-def: $vgpr4
	s_branch .LBB142_657
.LBB142_649:
	s_mov_b64 s[0:1], -1
                                        ; implicit-def: $vgpr4
	s_branch .LBB142_654
.LBB142_650:
	s_mov_b64 s[0:1], -1
                                        ; implicit-def: $vgpr4
.LBB142_651:
	s_andn2_b64 vcc, exec, s[0:1]
	s_cbranch_vccnz .LBB142_653
; %bb.652:
	global_load_dword v4, v[0:1], off
	s_movk_i32 s0, 0x7fff
	s_waitcnt vmcnt(0)
	v_cvt_f32_i32_e32 v4, v4
	v_bfe_u32 v5, v4, 16, 1
	v_add3_u32 v4, v4, v5, s0
	v_lshrrev_b32_e32 v4, 16, v4
.LBB142_653:
	s_mov_b64 s[0:1], 0
.LBB142_654:
	s_andn2_b64 vcc, exec, s[0:1]
	s_cbranch_vccnz .LBB142_656
; %bb.655:
	global_load_sshort v4, v[0:1], off
	s_movk_i32 s0, 0x7fff
	s_waitcnt vmcnt(0)
	v_cvt_f32_i32_e32 v4, v4
	v_bfe_u32 v5, v4, 16, 1
	v_add3_u32 v4, v4, v5, s0
	v_lshrrev_b32_e32 v4, 16, v4
.LBB142_656:
	s_mov_b64 s[0:1], 0
.LBB142_657:
	s_andn2_b64 vcc, exec, s[0:1]
	s_cbranch_vccnz .LBB142_663
; %bb.658:
	s_cmp_gt_i32 s28, 0
	s_cbranch_scc0 .LBB142_660
; %bb.659:
	global_load_sbyte v4, v[0:1], off
	s_movk_i32 s0, 0x7fff
	s_waitcnt vmcnt(0)
	v_cvt_f32_i32_e32 v4, v4
	v_bfe_u32 v5, v4, 16, 1
	v_add3_u32 v4, v4, v5, s0
	v_lshrrev_b32_e32 v4, 16, v4
	s_mov_b64 s[0:1], 0
	s_branch .LBB142_661
.LBB142_660:
	s_mov_b64 s[0:1], -1
                                        ; implicit-def: $vgpr4
.LBB142_661:
	s_andn2_b64 vcc, exec, s[0:1]
	s_cbranch_vccnz .LBB142_663
; %bb.662:
	global_load_ubyte v0, v[0:1], off
	s_movk_i32 s0, 0x7fff
	s_waitcnt vmcnt(0)
	v_cvt_f32_ubyte0_e32 v0, v0
	v_bfe_u32 v1, v0, 16, 1
	v_add3_u32 v0, v0, v1, s0
	v_lshrrev_b32_e32 v4, 16, v0
.LBB142_663:
	s_mov_b64 s[0:1], -1
.LBB142_664:
	s_andn2_b64 vcc, exec, s[0:1]
	s_cbranch_vccnz .LBB142_669
; %bb.665:
	s_waitcnt vmcnt(0)
	v_lshlrev_b32_e32 v0, 16, v3
	v_lshlrev_b32_e32 v1, 16, v4
	s_cmp_lt_i32 s15, 1
	s_mov_b64 s[0:1], 0
	s_cbranch_scc1 .LBB142_670
; %bb.666:
	s_cmp_gt_i32 s15, 1
	s_cbranch_scc0 .LBB142_671
; %bb.667:
	s_cmp_eq_u32 s15, 2
	s_cbranch_scc0 .LBB142_672
; %bb.668:
	v_cmp_le_f32_e64 s[28:29], v0, v1
	s_mov_b64 s[34:35], 0
	s_branch .LBB142_673
.LBB142_669:
	s_mov_b64 s[34:35], 0
                                        ; implicit-def: $vgpr2
	s_mov_b64 s[0:1], s[16:17]
	s_branch .LBB142_805
.LBB142_670:
	s_mov_b64 s[36:37], -1
                                        ; implicit-def: $sgpr28_sgpr29
	s_mov_b64 s[34:35], 0
	s_branch .LBB142_677
.LBB142_671:
	s_mov_b64 s[36:37], -1
	s_mov_b64 s[34:35], 0
                                        ; implicit-def: $sgpr28_sgpr29
	s_branch .LBB142_674
.LBB142_672:
	s_mov_b64 s[34:35], -1
                                        ; implicit-def: $sgpr28_sgpr29
.LBB142_673:
	s_mov_b64 s[36:37], 0
.LBB142_674:
	s_and_b64 vcc, exec, s[36:37]
	s_cbranch_vccz .LBB142_676
; %bb.675:
	v_cmp_gt_f32_e32 vcc, v0, v1
	s_andn2_b64 s[28:29], s[28:29], exec
	s_and_b64 s[36:37], vcc, exec
	s_or_b64 s[28:29], s[28:29], s[36:37]
.LBB142_676:
	s_mov_b64 s[36:37], 0
.LBB142_677:
	s_and_b64 vcc, exec, s[36:37]
	s_cbranch_vccz .LBB142_688
; %bb.678:
	s_cmp_lg_u32 s15, 0
	s_mov_b64 s[0:1], -1
	s_cselect_b64 s[34:35], -1, 0
	s_andn2_b64 vcc, exec, s[34:35]
	s_cbranch_vccz .LBB142_689
.LBB142_679:
	s_andn2_b64 vcc, exec, s[0:1]
	s_cbranch_vccnz .LBB142_681
.LBB142_680:
	v_cmp_ge_f32_e32 vcc, v0, v1
	s_andn2_b64 s[0:1], s[28:29], exec
	s_and_b64 s[28:29], vcc, exec
	s_or_b64 s[28:29], s[0:1], s[28:29]
.LBB142_681:
	v_mul_lo_u32 v0, v2, s12
	v_mov_b32_e32 v1, s9
	s_and_b32 s40, s33, 0xff
	s_cmp_lt_i32 s40, 11
	v_ashrrev_i32_e32 v3, 31, v0
	v_add_co_u32_e32 v0, vcc, s8, v0
	v_addc_co_u32_e32 v1, vcc, v1, v3, vcc
	s_cbranch_scc1 .LBB142_690
; %bb.682:
	s_and_b32 s41, 0xffff, s40
	s_cmp_gt_i32 s41, 25
	s_cbranch_scc0 .LBB142_691
; %bb.683:
	s_cmp_gt_i32 s41, 28
	s_cbranch_scc0 .LBB142_692
; %bb.684:
	;; [unrolled: 3-line block ×4, first 2 shown]
	s_mov_b64 s[36:37], 0
	s_mov_b64 s[0:1], -1
	s_cmp_eq_u32 s41, 46
	s_mov_b64 s[34:35], 0
	s_cbranch_scc0 .LBB142_695
; %bb.687:
	v_cndmask_b32_e64 v3, 0, 1.0, s[28:29]
	v_bfe_u32 v4, v3, 16, 1
	s_movk_i32 s0, 0x7fff
	v_add3_u32 v3, v3, v4, s0
	v_lshrrev_b32_e32 v3, 16, v3
	global_store_dword v[0:1], v3, off
	s_mov_b64 s[34:35], -1
	s_mov_b64 s[0:1], 0
	s_branch .LBB142_695
.LBB142_688:
	s_andn2_b64 vcc, exec, s[34:35]
	s_cbranch_vccnz .LBB142_679
.LBB142_689:
	v_cmp_lt_f32_e32 vcc, v0, v1
	s_andn2_b64 s[28:29], s[28:29], exec
	s_and_b64 s[34:35], vcc, exec
	s_or_b64 s[28:29], s[28:29], s[34:35]
	s_cbranch_execz .LBB142_680
	s_branch .LBB142_681
.LBB142_690:
	s_mov_b64 s[36:37], -1
	s_mov_b64 s[34:35], 0
	s_mov_b64 s[0:1], s[16:17]
	s_branch .LBB142_764
.LBB142_691:
	s_mov_b64 s[36:37], -1
	s_mov_b64 s[34:35], 0
	s_mov_b64 s[0:1], s[16:17]
	s_branch .LBB142_722
.LBB142_692:
	s_mov_b64 s[36:37], -1
	s_mov_b64 s[34:35], 0
	s_mov_b64 s[0:1], s[16:17]
	s_branch .LBB142_705
.LBB142_693:
	s_mov_b64 s[36:37], -1
	s_mov_b64 s[34:35], 0
	s_mov_b64 s[0:1], s[16:17]
	s_branch .LBB142_701
.LBB142_694:
	s_mov_b64 s[36:37], -1
	s_mov_b64 s[34:35], 0
	s_mov_b64 s[0:1], s[16:17]
.LBB142_695:
	s_and_b64 vcc, exec, s[36:37]
	s_cbranch_vccz .LBB142_700
; %bb.696:
	s_cmp_eq_u32 s41, 44
	s_mov_b64 s[0:1], -1
	s_cbranch_scc0 .LBB142_700
; %bb.697:
	v_cndmask_b32_e64 v4, 0, 1.0, s[28:29]
	v_lshrrev_b32_e32 v3, 23, v4
	s_movk_i32 s0, 0xff
	v_cmp_ne_u32_e32 vcc, s0, v3
	v_mov_b32_e32 v5, 0xff
	s_and_saveexec_b64 s[34:35], vcc
; %bb.698:
	s_mov_b32 s0, 0x3fffff
	v_and_b32_e32 v5, 0x400000, v4
	v_and_or_b32 v4, v4, s0, v3
	v_cmp_ne_u32_e32 vcc, 0, v5
	v_cmp_ne_u32_e64 s[0:1], 0, v4
	s_and_b64 s[0:1], vcc, s[0:1]
	v_cndmask_b32_e64 v4, 0, 1, s[0:1]
	v_add_u32_e32 v5, v3, v4
; %bb.699:
	s_or_b64 exec, exec, s[34:35]
	s_mov_b64 s[34:35], -1
	s_mov_b64 s[0:1], 0
	global_store_byte v[0:1], v5, off
.LBB142_700:
	s_mov_b64 s[36:37], 0
.LBB142_701:
	s_and_b64 vcc, exec, s[36:37]
	s_cbranch_vccz .LBB142_704
; %bb.702:
	s_cmp_eq_u32 s41, 29
	s_mov_b64 s[0:1], -1
	s_cbranch_scc0 .LBB142_704
; %bb.703:
	s_mov_b32 s0, 0
	v_cndmask_b32_e64 v3, 0, 1, s[28:29]
	v_mov_b32_e32 v4, s0
	global_store_dwordx2 v[0:1], v[3:4], off
	s_mov_b64 s[34:35], -1
	s_mov_b64 s[0:1], 0
.LBB142_704:
	s_mov_b64 s[36:37], 0
.LBB142_705:
	s_and_b64 vcc, exec, s[36:37]
	s_cbranch_vccz .LBB142_721
; %bb.706:
	s_cmp_lt_i32 s41, 27
	s_mov_b64 s[34:35], -1
	s_cbranch_scc1 .LBB142_712
; %bb.707:
	s_cmp_gt_i32 s41, 27
	s_cbranch_scc0 .LBB142_709
; %bb.708:
	v_cndmask_b32_e64 v3, 0, 1, s[28:29]
	s_mov_b64 s[34:35], 0
	global_store_dword v[0:1], v3, off
.LBB142_709:
	s_andn2_b64 vcc, exec, s[34:35]
	s_cbranch_vccnz .LBB142_711
; %bb.710:
	v_cndmask_b32_e64 v3, 0, 1, s[28:29]
	global_store_short v[0:1], v3, off
.LBB142_711:
	s_mov_b64 s[34:35], 0
.LBB142_712:
	s_andn2_b64 vcc, exec, s[34:35]
	s_cbranch_vccnz .LBB142_720
; %bb.713:
	v_cndmask_b32_e64 v4, 0, 1.0, s[28:29]
	s_mov_b32 s34, 0x43800000
	v_cmp_gt_u32_e32 vcc, s34, v4
	v_mov_b32_e32 v5, 0x80
	s_and_saveexec_b64 s[34:35], vcc
	s_cbranch_execz .LBB142_719
; %bb.714:
	s_mov_b32 s36, 0x3bffffff
	v_cmp_lt_u32_e32 vcc, s36, v4
	s_mov_b64 s[36:37], 0
                                        ; implicit-def: $vgpr3
	s_and_saveexec_b64 s[38:39], vcc
	s_xor_b64 s[38:39], exec, s[38:39]
	s_cbranch_execz .LBB142_821
; %bb.715:
	v_bfe_u32 v3, v4, 20, 1
	s_mov_b32 s42, 0x487ffff
	v_add3_u32 v3, v4, v3, s42
	s_mov_b64 s[36:37], exec
	v_lshrrev_b32_e32 v3, 20, v3
                                        ; implicit-def: $vgpr4
	s_andn2_saveexec_b64 s[38:39], s[38:39]
	s_cbranch_execnz .LBB142_822
.LBB142_716:
	s_or_b64 exec, exec, s[38:39]
	v_mov_b32_e32 v5, 0
	s_and_saveexec_b64 s[38:39], s[36:37]
.LBB142_717:
	v_mov_b32_e32 v5, v3
.LBB142_718:
	s_or_b64 exec, exec, s[38:39]
.LBB142_719:
	s_or_b64 exec, exec, s[34:35]
	global_store_byte v[0:1], v5, off
.LBB142_720:
	s_mov_b64 s[34:35], -1
.LBB142_721:
	s_mov_b64 s[36:37], 0
.LBB142_722:
	s_and_b64 vcc, exec, s[36:37]
	s_cbranch_vccz .LBB142_763
; %bb.723:
	s_cmp_gt_i32 s41, 22
	s_mov_b64 s[36:37], -1
	s_cbranch_scc0 .LBB142_755
; %bb.724:
	s_cmp_lt_i32 s41, 24
	s_mov_b64 s[34:35], -1
	s_cbranch_scc1 .LBB142_744
; %bb.725:
	s_cmp_gt_i32 s41, 24
	s_cbranch_scc0 .LBB142_733
; %bb.726:
	v_cndmask_b32_e64 v4, 0, 1.0, s[28:29]
	s_mov_b32 s34, 0x47800000
	v_cmp_gt_u32_e32 vcc, s34, v4
	v_mov_b32_e32 v5, 0x80
	s_and_saveexec_b64 s[34:35], vcc
	s_cbranch_execz .LBB142_732
; %bb.727:
	s_mov_b32 s36, 0x37ffffff
	v_cmp_lt_u32_e32 vcc, s36, v4
	s_mov_b64 s[36:37], 0
                                        ; implicit-def: $vgpr3
	s_and_saveexec_b64 s[38:39], vcc
	s_xor_b64 s[38:39], exec, s[38:39]
	s_cbranch_execz .LBB142_953
; %bb.728:
	v_bfe_u32 v3, v4, 21, 1
	s_mov_b32 s42, 0x88fffff
	v_add3_u32 v3, v4, v3, s42
	s_mov_b64 s[36:37], exec
	v_lshrrev_b32_e32 v3, 21, v3
                                        ; implicit-def: $vgpr4
	s_andn2_saveexec_b64 s[38:39], s[38:39]
	s_cbranch_execnz .LBB142_954
.LBB142_729:
	s_or_b64 exec, exec, s[38:39]
	v_mov_b32_e32 v5, 0
	s_and_saveexec_b64 s[38:39], s[36:37]
.LBB142_730:
	v_mov_b32_e32 v5, v3
.LBB142_731:
	s_or_b64 exec, exec, s[38:39]
.LBB142_732:
	s_or_b64 exec, exec, s[34:35]
	s_mov_b64 s[34:35], 0
	global_store_byte v[0:1], v5, off
.LBB142_733:
	s_and_b64 vcc, exec, s[34:35]
	s_cbranch_vccz .LBB142_743
; %bb.734:
	v_cndmask_b32_e64 v3, 0, 1.0, s[28:29]
	s_mov_b32 s34, 0x43f00000
	v_cmp_gt_u32_e32 vcc, s34, v3
                                        ; implicit-def: $vgpr4
	s_and_saveexec_b64 s[34:35], vcc
	s_xor_b64 s[34:35], exec, s[34:35]
	s_cbranch_execz .LBB142_740
; %bb.735:
	s_mov_b32 s36, 0x3c7fffff
	v_cmp_lt_u32_e32 vcc, s36, v3
                                        ; implicit-def: $vgpr4
	s_and_saveexec_b64 s[36:37], vcc
	s_xor_b64 s[36:37], exec, s[36:37]
; %bb.736:
	v_bfe_u32 v4, v3, 20, 1
	s_mov_b32 s38, 0x407ffff
	v_add3_u32 v3, v3, v4, s38
	v_lshrrev_b32_e32 v4, 20, v3
	v_and_b32_e32 v3, 0xff00000, v3
	s_mov_b32 s38, 0x7f00000
	v_mov_b32_e32 v5, 0x7e
	v_cmp_ne_u32_e32 vcc, s38, v3
	v_cndmask_b32_e32 v4, v5, v4, vcc
                                        ; implicit-def: $vgpr3
; %bb.737:
	s_andn2_saveexec_b64 s[36:37], s[36:37]
; %bb.738:
	v_add_f32_e32 v4, 0x46800000, v3
; %bb.739:
	s_or_b64 exec, exec, s[36:37]
                                        ; implicit-def: $vgpr3
.LBB142_740:
	s_andn2_saveexec_b64 s[34:35], s[34:35]
; %bb.741:
	s_mov_b32 s36, 0x7f800000
	v_mov_b32_e32 v4, 0x7e
	v_mov_b32_e32 v5, 0x7f
	v_cmp_lt_u32_e32 vcc, s36, v3
	v_cndmask_b32_e32 v4, v4, v5, vcc
; %bb.742:
	s_or_b64 exec, exec, s[34:35]
	global_store_byte v[0:1], v4, off
.LBB142_743:
	s_mov_b64 s[34:35], 0
.LBB142_744:
	s_andn2_b64 vcc, exec, s[34:35]
	s_cbranch_vccnz .LBB142_754
; %bb.745:
	v_cndmask_b32_e64 v3, 0, 1.0, s[28:29]
	s_mov_b32 s34, 0x47800000
	v_cmp_gt_u32_e32 vcc, s34, v3
                                        ; implicit-def: $vgpr4
	s_and_saveexec_b64 s[34:35], vcc
	s_xor_b64 s[34:35], exec, s[34:35]
	s_cbranch_execz .LBB142_751
; %bb.746:
	s_mov_b32 s36, 0x387fffff
	v_cmp_lt_u32_e32 vcc, s36, v3
                                        ; implicit-def: $vgpr4
	s_and_saveexec_b64 s[36:37], vcc
	s_xor_b64 s[36:37], exec, s[36:37]
; %bb.747:
	v_bfe_u32 v4, v3, 21, 1
	s_mov_b32 s38, 0x80fffff
	v_add3_u32 v3, v3, v4, s38
	v_lshrrev_b32_e32 v4, 21, v3
                                        ; implicit-def: $vgpr3
; %bb.748:
	s_andn2_saveexec_b64 s[36:37], s[36:37]
; %bb.749:
	v_add_f32_e32 v4, 0x43000000, v3
; %bb.750:
	s_or_b64 exec, exec, s[36:37]
                                        ; implicit-def: $vgpr3
.LBB142_751:
	s_andn2_saveexec_b64 s[34:35], s[34:35]
; %bb.752:
	s_mov_b32 s36, 0x7f800000
	v_mov_b32_e32 v4, 0x7c
	v_mov_b32_e32 v5, 0x7f
	v_cmp_lt_u32_e32 vcc, s36, v3
	v_cndmask_b32_e32 v4, v4, v5, vcc
; %bb.753:
	s_or_b64 exec, exec, s[34:35]
	global_store_byte v[0:1], v4, off
.LBB142_754:
	s_mov_b64 s[36:37], 0
	s_mov_b64 s[34:35], -1
.LBB142_755:
	s_andn2_b64 vcc, exec, s[36:37]
	s_cbranch_vccnz .LBB142_763
; %bb.756:
	s_cmp_gt_i32 s41, 14
	s_mov_b64 s[36:37], -1
	s_cbranch_scc0 .LBB142_760
; %bb.757:
	s_cmp_eq_u32 s41, 15
	s_mov_b64 s[0:1], -1
	s_cbranch_scc0 .LBB142_759
; %bb.758:
	v_cndmask_b32_e64 v3, 0, 1.0, s[28:29]
	v_bfe_u32 v4, v3, 16, 1
	s_movk_i32 s0, 0x7fff
	v_add3_u32 v3, v3, v4, s0
	global_store_short_d16_hi v[0:1], v3, off
	s_mov_b64 s[34:35], -1
	s_mov_b64 s[0:1], 0
.LBB142_759:
	s_mov_b64 s[36:37], 0
.LBB142_760:
	s_and_b64 vcc, exec, s[36:37]
	s_cbranch_vccz .LBB142_763
; %bb.761:
	s_cmp_eq_u32 s41, 11
	s_mov_b64 s[0:1], -1
	s_cbranch_scc0 .LBB142_763
; %bb.762:
	v_cndmask_b32_e64 v3, 0, 1, s[28:29]
	s_mov_b64 s[34:35], -1
	s_mov_b64 s[0:1], 0
	global_store_byte v[0:1], v3, off
.LBB142_763:
	s_mov_b64 s[36:37], 0
.LBB142_764:
	s_and_b64 vcc, exec, s[36:37]
	s_cbranch_vccz .LBB142_803
; %bb.765:
	s_and_b32 s36, 0xffff, s40
	s_cmp_lt_i32 s36, 5
	s_mov_b64 s[34:35], -1
	s_cbranch_scc1 .LBB142_786
; %bb.766:
	s_cmp_lt_i32 s36, 8
	s_cbranch_scc1 .LBB142_776
; %bb.767:
	s_cmp_lt_i32 s36, 9
	s_cbranch_scc1 .LBB142_773
; %bb.768:
	s_cmp_gt_i32 s36, 9
	s_cbranch_scc0 .LBB142_770
; %bb.769:
	v_cndmask_b32_e64 v3, 0, 1, s[28:29]
	v_cvt_f64_u32_e32 v[3:4], v3
	v_mov_b32_e32 v5, 0
	v_mov_b32_e32 v6, v5
	s_mov_b64 s[34:35], 0
	global_store_dwordx4 v[0:1], v[3:6], off
.LBB142_770:
	s_andn2_b64 vcc, exec, s[34:35]
	s_cbranch_vccnz .LBB142_772
; %bb.771:
	v_cndmask_b32_e64 v3, 0, 1.0, s[28:29]
	v_mov_b32_e32 v4, 0
	global_store_dwordx2 v[0:1], v[3:4], off
.LBB142_772:
	s_mov_b64 s[34:35], 0
.LBB142_773:
	s_andn2_b64 vcc, exec, s[34:35]
	s_cbranch_vccnz .LBB142_775
; %bb.774:
	v_cndmask_b32_e64 v3, 0, 1.0, s[28:29]
	v_cvt_f16_f32_e32 v3, v3
	global_store_dword v[0:1], v3, off
.LBB142_775:
	s_mov_b64 s[34:35], 0
.LBB142_776:
	s_andn2_b64 vcc, exec, s[34:35]
	s_cbranch_vccnz .LBB142_785
; %bb.777:
	s_cmp_lt_i32 s36, 6
	s_mov_b64 s[34:35], -1
	s_cbranch_scc1 .LBB142_783
; %bb.778:
	s_cmp_gt_i32 s36, 6
	s_cbranch_scc0 .LBB142_780
; %bb.779:
	v_cndmask_b32_e64 v3, 0, 1, s[28:29]
	v_cvt_f64_u32_e32 v[3:4], v3
	s_mov_b64 s[34:35], 0
	global_store_dwordx2 v[0:1], v[3:4], off
.LBB142_780:
	s_andn2_b64 vcc, exec, s[34:35]
	s_cbranch_vccnz .LBB142_782
; %bb.781:
	v_cndmask_b32_e64 v3, 0, 1.0, s[28:29]
	global_store_dword v[0:1], v3, off
.LBB142_782:
	s_mov_b64 s[34:35], 0
.LBB142_783:
	s_andn2_b64 vcc, exec, s[34:35]
	s_cbranch_vccnz .LBB142_785
; %bb.784:
	v_cndmask_b32_e64 v3, 0, 1.0, s[28:29]
	v_cvt_f16_f32_e32 v3, v3
	global_store_short v[0:1], v3, off
.LBB142_785:
	s_mov_b64 s[34:35], 0
.LBB142_786:
	s_andn2_b64 vcc, exec, s[34:35]
	s_cbranch_vccnz .LBB142_802
; %bb.787:
	s_cmp_lt_i32 s36, 2
	s_mov_b64 s[34:35], -1
	s_cbranch_scc1 .LBB142_797
; %bb.788:
	s_cmp_lt_i32 s36, 3
	s_cbranch_scc1 .LBB142_794
; %bb.789:
	s_cmp_gt_i32 s36, 3
	s_cbranch_scc0 .LBB142_791
; %bb.790:
	s_mov_b32 s34, 0
	v_cndmask_b32_e64 v3, 0, 1, s[28:29]
	v_mov_b32_e32 v4, s34
	s_mov_b64 s[34:35], 0
	global_store_dwordx2 v[0:1], v[3:4], off
.LBB142_791:
	s_andn2_b64 vcc, exec, s[34:35]
	s_cbranch_vccnz .LBB142_793
; %bb.792:
	v_cndmask_b32_e64 v3, 0, 1, s[28:29]
	global_store_dword v[0:1], v3, off
.LBB142_793:
	s_mov_b64 s[34:35], 0
.LBB142_794:
	s_andn2_b64 vcc, exec, s[34:35]
	s_cbranch_vccnz .LBB142_796
; %bb.795:
	v_cndmask_b32_e64 v3, 0, 1, s[28:29]
	global_store_short v[0:1], v3, off
.LBB142_796:
	s_mov_b64 s[34:35], 0
.LBB142_797:
	s_andn2_b64 vcc, exec, s[34:35]
	s_cbranch_vccnz .LBB142_802
; %bb.798:
	s_mov_b64 s[34:35], -1
	s_cmp_gt_i32 s36, 0
	v_cndmask_b32_e64 v3, 0, 1, s[28:29]
	s_cbranch_scc0 .LBB142_800
; %bb.799:
	s_mov_b64 s[34:35], 0
	global_store_byte v[0:1], v3, off
.LBB142_800:
	s_andn2_b64 vcc, exec, s[34:35]
	s_cbranch_vccnz .LBB142_802
; %bb.801:
	global_store_byte v[0:1], v3, off
.LBB142_802:
	s_mov_b64 s[34:35], -1
.LBB142_803:
	s_andn2_b64 vcc, exec, s[34:35]
	s_cbranch_vccnz .LBB142_816
; %bb.804:
	v_add_u32_e32 v2, 0x80, v2
	s_mov_b64 s[34:35], -1
.LBB142_805:
	s_andn2_b64 s[28:29], s[16:17], exec
	s_and_b64 s[0:1], s[0:1], exec
	s_or_b64 s[28:29], s[28:29], s[0:1]
	s_andn2_b64 s[0:1], s[18:19], exec
	s_and_b64 s[26:27], s[26:27], exec
	s_or_b64 s[26:27], s[0:1], s[26:27]
	;; [unrolled: 3-line block ×3, first 2 shown]
	s_orn2_b64 s[0:1], s[34:35], exec
.LBB142_806:
	s_or_b64 exec, exec, s[30:31]
	s_mov_b64 s[34:35], 0
	s_mov_b64 s[36:37], 0
	;; [unrolled: 1-line block ×3, first 2 shown]
                                        ; implicit-def: $sgpr56
                                        ; implicit-def: $vgpr0_vgpr1
                                        ; implicit-def: $vgpr3
	s_and_saveexec_b64 s[30:31], s[0:1]
	s_cbranch_execz .LBB142_1297
; %bb.807:
	v_cmp_gt_i32_e32 vcc, s48, v2
	s_mov_b64 s[46:47], -1
	s_mov_b64 s[0:1], s[24:25]
	s_mov_b64 s[38:39], s[26:27]
	;; [unrolled: 1-line block ×3, first 2 shown]
	s_and_saveexec_b64 s[34:35], vcc
	s_cbranch_execz .LBB142_1212
; %bb.808:
	v_mul_lo_u32 v0, v2, s13
	v_mov_b32_e32 v1, s11
	s_and_b32 s42, s55, 0xff
	s_cmp_lt_i32 s42, 11
	s_waitcnt vmcnt(0)
	v_ashrrev_i32_e32 v3, 31, v0
	v_add_co_u32_e32 v0, vcc, s10, v0
	v_addc_co_u32_e32 v1, vcc, v1, v3, vcc
	s_cbranch_scc1 .LBB142_815
; %bb.809:
	s_and_b32 s43, 0xffff, s42
	s_cmp_gt_i32 s43, 25
	s_cbranch_scc0 .LBB142_817
; %bb.810:
	s_cmp_gt_i32 s43, 28
	s_cbranch_scc0 .LBB142_818
; %bb.811:
	;; [unrolled: 3-line block ×4, first 2 shown]
	s_cmp_eq_u32 s43, 46
	s_mov_b64 s[38:39], 0
	s_cbranch_scc0 .LBB142_823
; %bb.814:
	global_load_dword v3, v[0:1], off
	s_mov_b64 s[0:1], -1
	s_branch .LBB142_824
.LBB142_815:
	s_mov_b64 s[38:39], -1
	s_mov_b64 s[0:1], 0
                                        ; implicit-def: $vgpr3
	s_mov_b64 s[36:37], s[24:25]
	s_branch .LBB142_889
.LBB142_816:
	s_mov_b64 s[34:35], 0
	s_branch .LBB142_546
.LBB142_817:
	s_mov_b64 s[38:39], -1
	s_mov_b64 s[0:1], 0
	s_mov_b64 s[36:37], s[24:25]
                                        ; implicit-def: $vgpr3
	s_branch .LBB142_853
.LBB142_818:
	s_mov_b64 s[38:39], -1
	s_mov_b64 s[0:1], 0
	s_mov_b64 s[36:37], s[24:25]
                                        ; implicit-def: $vgpr3
	s_branch .LBB142_834
.LBB142_819:
	s_mov_b64 s[38:39], -1
	s_mov_b64 s[0:1], 0
	s_mov_b64 s[36:37], s[24:25]
                                        ; implicit-def: $vgpr3
	s_branch .LBB142_829
.LBB142_820:
	s_mov_b64 s[38:39], -1
	s_mov_b64 s[0:1], 0
	s_mov_b64 s[36:37], s[24:25]
                                        ; implicit-def: $vgpr3
	s_branch .LBB142_824
.LBB142_821:
	s_andn2_saveexec_b64 s[38:39], s[38:39]
	s_cbranch_execz .LBB142_716
.LBB142_822:
	v_add_f32_e32 v3, 0x46000000, v4
	v_and_b32_e32 v3, 0xff, v3
	v_cmp_ne_u32_e32 vcc, 0, v3
	s_andn2_b64 s[36:37], s[36:37], exec
	s_and_b64 s[42:43], vcc, exec
	s_or_b64 s[36:37], s[36:37], s[42:43]
	s_or_b64 exec, exec, s[38:39]
	v_mov_b32_e32 v5, 0
	s_and_saveexec_b64 s[38:39], s[36:37]
	s_cbranch_execnz .LBB142_717
	s_branch .LBB142_718
.LBB142_823:
	s_mov_b64 s[36:37], -1
                                        ; implicit-def: $vgpr3
	s_mov_b64 s[0:1], 0
.LBB142_824:
	s_and_b64 vcc, exec, s[38:39]
	s_cbranch_vccz .LBB142_828
; %bb.825:
	s_cmp_eq_u32 s43, 44
	s_cbranch_scc0 .LBB142_827
; %bb.826:
	global_load_ubyte v3, v[0:1], off
	s_movk_i32 s36, 0xff
	v_mov_b32_e32 v4, 0x7f800001
	v_mov_b32_e32 v5, 0x400000
	;; [unrolled: 1-line block ×3, first 2 shown]
	s_mov_b64 s[0:1], -1
	s_waitcnt vmcnt(0)
	v_lshlrev_b32_e32 v7, 23, v3
	v_cmp_ne_u32_e32 vcc, s36, v3
	v_cndmask_b32_e32 v4, v4, v7, vcc
	v_cmp_ne_u32_e32 vcc, 0, v3
	v_cndmask_b32_e32 v3, v5, v4, vcc
	v_add_u32_e32 v4, 0x7fff, v3
	v_cmp_o_f32_e32 vcc, v3, v3
	v_cndmask_b32_sdwa v3, v6, v4, vcc dst_sel:DWORD dst_unused:UNUSED_PAD src0_sel:DWORD src1_sel:WORD_1
	s_mov_b64 s[36:37], 0
	s_branch .LBB142_828
.LBB142_827:
	s_mov_b64 s[36:37], -1
                                        ; implicit-def: $vgpr3
.LBB142_828:
	s_mov_b64 s[38:39], 0
.LBB142_829:
	s_and_b64 vcc, exec, s[38:39]
	s_cbranch_vccz .LBB142_833
; %bb.830:
	s_cmp_eq_u32 s43, 29
	s_cbranch_scc0 .LBB142_832
; %bb.831:
	global_load_dwordx2 v[3:4], v[0:1], off
	s_movk_i32 s36, 0x7fff
	s_mov_b64 s[0:1], -1
	s_mov_b64 s[38:39], 0
	s_waitcnt vmcnt(0)
	v_ffbh_u32_e32 v5, v4
	v_min_u32_e32 v5, 32, v5
	v_lshlrev_b64 v[3:4], v5, v[3:4]
	v_min_u32_e32 v3, 1, v3
	v_or_b32_e32 v3, v4, v3
	v_cvt_f32_u32_e32 v3, v3
	v_sub_u32_e32 v4, 32, v5
	v_ldexp_f32 v3, v3, v4
	v_bfe_u32 v4, v3, 16, 1
	v_add3_u32 v3, v3, v4, s36
	v_lshrrev_b32_e32 v3, 16, v3
	s_mov_b64 s[36:37], 0
	s_branch .LBB142_834
.LBB142_832:
	s_mov_b64 s[36:37], -1
                                        ; implicit-def: $vgpr3
.LBB142_833:
	s_mov_b64 s[38:39], 0
.LBB142_834:
	s_and_b64 vcc, exec, s[38:39]
	s_cbranch_vccz .LBB142_852
; %bb.835:
	s_cmp_lt_i32 s43, 27
	s_cbranch_scc1 .LBB142_838
; %bb.836:
	s_cmp_gt_i32 s43, 27
	s_cbranch_scc0 .LBB142_839
; %bb.837:
	global_load_dword v3, v[0:1], off
	s_movk_i32 s0, 0x7fff
	s_waitcnt vmcnt(0)
	v_cvt_f32_u32_e32 v3, v3
	v_bfe_u32 v4, v3, 16, 1
	v_add3_u32 v3, v3, v4, s0
	v_lshrrev_b32_e32 v3, 16, v3
	s_mov_b64 s[0:1], 0
	s_branch .LBB142_840
.LBB142_838:
	s_mov_b64 s[0:1], -1
                                        ; implicit-def: $vgpr3
	s_branch .LBB142_843
.LBB142_839:
	s_mov_b64 s[0:1], -1
                                        ; implicit-def: $vgpr3
.LBB142_840:
	s_andn2_b64 vcc, exec, s[0:1]
	s_cbranch_vccnz .LBB142_842
; %bb.841:
	global_load_ushort v3, v[0:1], off
	s_movk_i32 s0, 0x7fff
	s_waitcnt vmcnt(0)
	v_cvt_f32_u32_e32 v3, v3
	v_bfe_u32 v4, v3, 16, 1
	v_add3_u32 v3, v3, v4, s0
	v_lshrrev_b32_e32 v3, 16, v3
.LBB142_842:
	s_mov_b64 s[0:1], 0
.LBB142_843:
	s_andn2_b64 vcc, exec, s[0:1]
	s_cbranch_vccnz .LBB142_851
; %bb.844:
	global_load_ubyte v3, v[0:1], off
	s_movk_i32 s0, 0x7f
	s_waitcnt vmcnt(0)
	v_cmp_lt_i16_e32 vcc, s0, v3
	s_mov_b64 s[0:1], 0
	s_and_saveexec_b64 s[38:39], vcc
	s_xor_b64 s[38:39], exec, s[38:39]
	s_cbranch_execz .LBB142_865
; %bb.845:
	s_movk_i32 s0, 0x80
	v_cmp_eq_u16_e32 vcc, s0, v3
	s_mov_b64 s[0:1], -1
	s_and_saveexec_b64 s[40:41], vcc
; %bb.846:
	s_xor_b64 s[0:1], exec, -1
; %bb.847:
	s_or_b64 exec, exec, s[40:41]
	s_and_b64 s[0:1], s[0:1], exec
	s_or_saveexec_b64 s[38:39], s[38:39]
	v_mov_b32_e32 v4, 0x7f800001
	s_xor_b64 exec, exec, s[38:39]
	s_cbranch_execnz .LBB142_866
.LBB142_848:
	s_or_b64 exec, exec, s[38:39]
	s_and_saveexec_b64 s[38:39], s[0:1]
	s_cbranch_execz .LBB142_850
.LBB142_849:
	v_lshlrev_b32_e32 v4, 24, v3
	v_and_b32_e32 v3, 0xffff, v3
	v_and_b32_e32 v5, 7, v3
	v_ffbh_u32_e32 v7, v5
	v_min_u32_e32 v7, 32, v7
	v_subrev_u32_e32 v8, 28, v7
	v_bfe_u32 v6, v3, 3, 4
	v_lshlrev_b32_e32 v3, v8, v3
	v_sub_u32_e32 v7, 29, v7
	v_and_b32_e32 v3, 7, v3
	v_cmp_eq_u32_e32 vcc, 0, v6
	v_cndmask_b32_e32 v6, v6, v7, vcc
	v_cndmask_b32_e32 v3, v5, v3, vcc
	v_mov_b32_e32 v5, 0x3b800000
	v_lshlrev_b32_e32 v3, 20, v3
	v_and_b32_e32 v4, 0x80000000, v4
	v_lshl_add_u32 v5, v6, 23, v5
	v_or3_b32 v4, v4, v5, v3
.LBB142_850:
	s_or_b64 exec, exec, s[38:39]
	v_bfe_u32 v3, v4, 16, 1
	s_movk_i32 s0, 0x7fff
	v_add3_u32 v3, v4, v3, s0
	v_cmp_o_f32_e32 vcc, v4, v4
	v_mov_b32_e32 v4, 0x7fc0
	v_cndmask_b32_sdwa v3, v4, v3, vcc dst_sel:DWORD dst_unused:UNUSED_PAD src0_sel:DWORD src1_sel:WORD_1
.LBB142_851:
	s_mov_b64 s[0:1], -1
.LBB142_852:
	s_mov_b64 s[38:39], 0
.LBB142_853:
	s_and_b64 vcc, exec, s[38:39]
	s_cbranch_vccz .LBB142_888
; %bb.854:
	s_cmp_gt_i32 s43, 22
	s_cbranch_scc0 .LBB142_864
; %bb.855:
	s_cmp_lt_i32 s43, 24
	s_cbranch_scc1 .LBB142_867
; %bb.856:
	s_cmp_gt_i32 s43, 24
	s_cbranch_scc0 .LBB142_868
; %bb.857:
	global_load_ubyte v3, v[0:1], off
	s_movk_i32 s0, 0x7f
	s_waitcnt vmcnt(0)
	v_cmp_lt_i16_e32 vcc, s0, v3
	s_mov_b64 s[0:1], 0
	s_and_saveexec_b64 s[38:39], vcc
	s_xor_b64 s[38:39], exec, s[38:39]
	s_cbranch_execz .LBB142_880
; %bb.858:
	s_movk_i32 s0, 0x80
	v_cmp_eq_u16_e32 vcc, s0, v3
	s_mov_b64 s[0:1], -1
	s_and_saveexec_b64 s[40:41], vcc
; %bb.859:
	s_xor_b64 s[0:1], exec, -1
; %bb.860:
	s_or_b64 exec, exec, s[40:41]
	s_and_b64 s[0:1], s[0:1], exec
	s_or_saveexec_b64 s[38:39], s[38:39]
	v_mov_b32_e32 v4, 0x7f800001
	s_xor_b64 exec, exec, s[38:39]
	s_cbranch_execnz .LBB142_881
.LBB142_861:
	s_or_b64 exec, exec, s[38:39]
	s_and_saveexec_b64 s[38:39], s[0:1]
	s_cbranch_execz .LBB142_863
.LBB142_862:
	v_lshlrev_b32_e32 v4, 24, v3
	v_and_b32_e32 v3, 0xffff, v3
	v_and_b32_e32 v5, 3, v3
	v_ffbh_u32_e32 v7, v5
	v_min_u32_e32 v7, 32, v7
	v_subrev_u32_e32 v8, 29, v7
	v_bfe_u32 v6, v3, 2, 5
	v_lshlrev_b32_e32 v3, v8, v3
	v_sub_u32_e32 v7, 30, v7
	v_and_b32_e32 v3, 3, v3
	v_cmp_eq_u32_e32 vcc, 0, v6
	v_cndmask_b32_e32 v6, v6, v7, vcc
	v_cndmask_b32_e32 v3, v5, v3, vcc
	v_mov_b32_e32 v5, 0x37800000
	v_lshlrev_b32_e32 v3, 21, v3
	v_and_b32_e32 v4, 0x80000000, v4
	v_lshl_add_u32 v5, v6, 23, v5
	v_or3_b32 v4, v4, v5, v3
.LBB142_863:
	s_or_b64 exec, exec, s[38:39]
	v_bfe_u32 v3, v4, 16, 1
	s_movk_i32 s0, 0x7fff
	v_add3_u32 v3, v4, v3, s0
	v_cmp_o_f32_e32 vcc, v4, v4
	v_mov_b32_e32 v4, 0x7fc0
	v_cndmask_b32_sdwa v3, v4, v3, vcc dst_sel:DWORD dst_unused:UNUSED_PAD src0_sel:DWORD src1_sel:WORD_1
	s_mov_b64 s[0:1], 0
	s_branch .LBB142_869
.LBB142_864:
	s_mov_b64 s[38:39], -1
                                        ; implicit-def: $vgpr3
	s_branch .LBB142_875
.LBB142_865:
	s_or_saveexec_b64 s[38:39], s[38:39]
	v_mov_b32_e32 v4, 0x7f800001
	s_xor_b64 exec, exec, s[38:39]
	s_cbranch_execz .LBB142_848
.LBB142_866:
	v_cmp_ne_u16_e32 vcc, 0, v3
	s_andn2_b64 s[0:1], s[0:1], exec
	s_and_b64 s[40:41], vcc, exec
	v_mov_b32_e32 v4, 0
	s_or_b64 s[0:1], s[0:1], s[40:41]
	s_or_b64 exec, exec, s[38:39]
	s_and_saveexec_b64 s[38:39], s[0:1]
	s_cbranch_execnz .LBB142_849
	s_branch .LBB142_850
.LBB142_867:
	s_mov_b64 s[0:1], -1
                                        ; implicit-def: $vgpr3
	s_branch .LBB142_872
.LBB142_868:
	s_mov_b64 s[0:1], -1
                                        ; implicit-def: $vgpr3
.LBB142_869:
	s_and_b64 vcc, exec, s[0:1]
	s_cbranch_vccz .LBB142_871
; %bb.870:
	global_load_ubyte v3, v[0:1], off
	s_mov_b32 s0, 0x7f800000
	s_brev_b32 s1, 1
	s_movk_i32 s38, 0x7fff
	s_waitcnt vmcnt(0)
	v_lshlrev_b32_e32 v3, 24, v3
	v_and_b32_e32 v4, 0x7f000000, v3
	v_ffbh_u32_e32 v5, v4
	v_min_u32_e32 v5, 32, v5
	v_sub_u32_e64 v5, v5, 4 clamp
	v_lshlrev_b32_e32 v7, v5, v4
	v_lshlrev_b32_e32 v5, 23, v5
	v_lshrrev_b32_e32 v7, 4, v7
	v_add_u32_e32 v6, 0x1000000, v4
	v_sub_u32_e32 v5, v7, v5
	v_ashrrev_i32_e32 v6, 8, v6
	v_add_u32_e32 v5, 0x3c000000, v5
	v_and_or_b32 v5, v6, s0, v5
	v_cmp_ne_u32_e32 vcc, 0, v4
	v_cndmask_b32_e32 v4, 0, v5, vcc
	v_and_or_b32 v3, v3, s1, v4
	v_bfe_u32 v4, v4, 16, 1
	v_add3_u32 v4, v3, v4, s38
	v_cmp_o_f32_e32 vcc, v3, v3
	v_mov_b32_e32 v3, 0x7fc0
	v_cndmask_b32_sdwa v3, v3, v4, vcc dst_sel:DWORD dst_unused:UNUSED_PAD src0_sel:DWORD src1_sel:WORD_1
.LBB142_871:
	s_mov_b64 s[0:1], 0
.LBB142_872:
	s_andn2_b64 vcc, exec, s[0:1]
	s_cbranch_vccnz .LBB142_874
; %bb.873:
	global_load_ubyte v3, v[0:1], off
	s_movk_i32 s0, 0x7f00
	s_brev_b32 s1, 16
	s_brev_b32 s38, 1
	s_movk_i32 s39, 0x7fff
	s_waitcnt vmcnt(0)
	v_lshlrev_b16_e32 v4, 8, v3
	v_lshlrev_b32_e32 v3, 25, v3
	v_lshrrev_b32_e32 v5, 4, v3
	v_and_or_b32 v6, v4, s0, 0.5
	v_or_b32_e32 v5, 0x70000000, v5
	v_add_f32_e32 v6, -0.5, v6
	v_mul_f32_e32 v5, 0x7800000, v5
	v_cmp_gt_u32_e32 vcc, s1, v3
	v_bfe_i32 v4, v4, 0, 16
	v_cndmask_b32_e32 v3, v5, v6, vcc
	v_and_or_b32 v4, v4, s38, v3
	v_bfe_u32 v3, v3, 16, 1
	v_add3_u32 v3, v4, v3, s39
	v_cmp_o_f32_e32 vcc, v4, v4
	v_mov_b32_e32 v4, 0x7fc0
	v_cndmask_b32_sdwa v3, v4, v3, vcc dst_sel:DWORD dst_unused:UNUSED_PAD src0_sel:DWORD src1_sel:WORD_1
.LBB142_874:
	s_mov_b64 s[38:39], 0
	s_mov_b64 s[0:1], -1
.LBB142_875:
	s_andn2_b64 vcc, exec, s[38:39]
	s_cbranch_vccnz .LBB142_888
; %bb.876:
	s_cmp_gt_i32 s43, 14
	s_cbranch_scc0 .LBB142_879
; %bb.877:
	s_cmp_eq_u32 s43, 15
	s_cbranch_scc0 .LBB142_882
; %bb.878:
	global_load_ushort v3, v[0:1], off
	s_mov_b64 s[0:1], -1
	s_mov_b64 s[36:37], 0
	s_branch .LBB142_883
.LBB142_879:
	s_mov_b64 s[38:39], -1
                                        ; implicit-def: $vgpr3
	s_branch .LBB142_884
.LBB142_880:
	s_or_saveexec_b64 s[38:39], s[38:39]
	v_mov_b32_e32 v4, 0x7f800001
	s_xor_b64 exec, exec, s[38:39]
	s_cbranch_execz .LBB142_861
.LBB142_881:
	v_cmp_ne_u16_e32 vcc, 0, v3
	s_andn2_b64 s[0:1], s[0:1], exec
	s_and_b64 s[40:41], vcc, exec
	v_mov_b32_e32 v4, 0
	s_or_b64 s[0:1], s[0:1], s[40:41]
	s_or_b64 exec, exec, s[38:39]
	s_and_saveexec_b64 s[38:39], s[0:1]
	s_cbranch_execnz .LBB142_862
	s_branch .LBB142_863
.LBB142_882:
	s_mov_b64 s[36:37], -1
                                        ; implicit-def: $vgpr3
.LBB142_883:
	s_mov_b64 s[38:39], 0
.LBB142_884:
	s_and_b64 vcc, exec, s[38:39]
	s_cbranch_vccz .LBB142_888
; %bb.885:
	s_cmp_eq_u32 s43, 11
	s_cbranch_scc0 .LBB142_887
; %bb.886:
	global_load_ubyte v3, v[0:1], off
	s_mov_b64 s[0:1], -1
	s_mov_b64 s[36:37], 0
	s_waitcnt vmcnt(0)
	v_cmp_ne_u16_e32 vcc, 0, v3
	v_cndmask_b32_e64 v3, 0, 1.0, vcc
	v_lshrrev_b32_e32 v3, 16, v3
	s_branch .LBB142_888
.LBB142_887:
	s_mov_b64 s[36:37], -1
                                        ; implicit-def: $vgpr3
.LBB142_888:
	s_mov_b64 s[38:39], 0
.LBB142_889:
	s_and_b64 vcc, exec, s[38:39]
	s_cbranch_vccz .LBB142_938
; %bb.890:
	s_and_b32 s38, 0xffff, s42
	s_cmp_lt_i32 s38, 5
	s_cbranch_scc1 .LBB142_895
; %bb.891:
	s_cmp_lt_i32 s38, 8
	s_cbranch_scc1 .LBB142_896
; %bb.892:
	s_cmp_lt_i32 s38, 9
	s_cbranch_scc1 .LBB142_897
; %bb.893:
	s_cmp_gt_i32 s38, 9
	s_cbranch_scc0 .LBB142_898
; %bb.894:
	global_load_dwordx2 v[3:4], v[0:1], off
	s_movk_i32 s0, 0x7fff
	s_waitcnt vmcnt(0)
	v_cvt_f32_f64_e32 v3, v[3:4]
	v_mov_b32_e32 v4, 0x7fc0
	v_bfe_u32 v5, v3, 16, 1
	v_cmp_o_f32_e32 vcc, v3, v3
	v_add3_u32 v3, v3, v5, s0
	v_cndmask_b32_sdwa v3, v4, v3, vcc dst_sel:DWORD dst_unused:UNUSED_PAD src0_sel:DWORD src1_sel:WORD_1
	s_mov_b64 s[0:1], 0
	s_branch .LBB142_899
.LBB142_895:
	s_mov_b64 s[0:1], -1
                                        ; implicit-def: $vgpr3
	s_branch .LBB142_917
.LBB142_896:
	s_mov_b64 s[0:1], -1
                                        ; implicit-def: $vgpr3
	s_branch .LBB142_905
.LBB142_897:
	s_mov_b64 s[0:1], -1
                                        ; implicit-def: $vgpr3
	s_branch .LBB142_902
.LBB142_898:
	s_mov_b64 s[0:1], -1
                                        ; implicit-def: $vgpr3
.LBB142_899:
	s_andn2_b64 vcc, exec, s[0:1]
	s_cbranch_vccnz .LBB142_901
; %bb.900:
	global_load_dword v3, v[0:1], off
	s_movk_i32 s0, 0x7fff
	v_mov_b32_e32 v4, 0x7fc0
	s_waitcnt vmcnt(0)
	v_bfe_u32 v5, v3, 16, 1
	v_cmp_o_f32_e32 vcc, v3, v3
	v_add3_u32 v3, v3, v5, s0
	v_cndmask_b32_sdwa v3, v4, v3, vcc dst_sel:DWORD dst_unused:UNUSED_PAD src0_sel:DWORD src1_sel:WORD_1
.LBB142_901:
	s_mov_b64 s[0:1], 0
.LBB142_902:
	s_andn2_b64 vcc, exec, s[0:1]
	s_cbranch_vccnz .LBB142_904
; %bb.903:
	global_load_dword v3, v[0:1], off
	s_movk_i32 s0, 0x7fff
	v_mov_b32_e32 v5, 0x7fc0
	s_waitcnt vmcnt(0)
	v_cvt_f32_f16_e32 v4, v3
	v_cmp_o_f16_e32 vcc, v3, v3
	v_bfe_u32 v3, v4, 16, 1
	v_add3_u32 v3, v4, v3, s0
	v_cndmask_b32_sdwa v3, v5, v3, vcc dst_sel:DWORD dst_unused:UNUSED_PAD src0_sel:DWORD src1_sel:WORD_1
.LBB142_904:
	s_mov_b64 s[0:1], 0
.LBB142_905:
	s_andn2_b64 vcc, exec, s[0:1]
	s_cbranch_vccnz .LBB142_916
; %bb.906:
	s_cmp_lt_i32 s38, 6
	s_cbranch_scc1 .LBB142_909
; %bb.907:
	s_cmp_gt_i32 s38, 6
	s_cbranch_scc0 .LBB142_910
; %bb.908:
	global_load_dwordx2 v[3:4], v[0:1], off
	s_movk_i32 s0, 0x7fff
	s_waitcnt vmcnt(0)
	v_cvt_f32_f64_e32 v3, v[3:4]
	v_mov_b32_e32 v4, 0x7fc0
	v_bfe_u32 v5, v3, 16, 1
	v_cmp_o_f32_e32 vcc, v3, v3
	v_add3_u32 v3, v3, v5, s0
	v_cndmask_b32_sdwa v3, v4, v3, vcc dst_sel:DWORD dst_unused:UNUSED_PAD src0_sel:DWORD src1_sel:WORD_1
	s_mov_b64 s[0:1], 0
	s_branch .LBB142_911
.LBB142_909:
	s_mov_b64 s[0:1], -1
                                        ; implicit-def: $vgpr3
	s_branch .LBB142_914
.LBB142_910:
	s_mov_b64 s[0:1], -1
                                        ; implicit-def: $vgpr3
.LBB142_911:
	s_andn2_b64 vcc, exec, s[0:1]
	s_cbranch_vccnz .LBB142_913
; %bb.912:
	global_load_dword v3, v[0:1], off
	s_movk_i32 s0, 0x7fff
	v_mov_b32_e32 v4, 0x7fc0
	s_waitcnt vmcnt(0)
	v_bfe_u32 v5, v3, 16, 1
	v_cmp_o_f32_e32 vcc, v3, v3
	v_add3_u32 v3, v3, v5, s0
	v_cndmask_b32_sdwa v3, v4, v3, vcc dst_sel:DWORD dst_unused:UNUSED_PAD src0_sel:DWORD src1_sel:WORD_1
.LBB142_913:
	s_mov_b64 s[0:1], 0
.LBB142_914:
	s_andn2_b64 vcc, exec, s[0:1]
	s_cbranch_vccnz .LBB142_916
; %bb.915:
	global_load_ushort v3, v[0:1], off
	s_movk_i32 s0, 0x7fff
	v_mov_b32_e32 v5, 0x7fc0
	s_waitcnt vmcnt(0)
	v_cvt_f32_f16_e32 v4, v3
	v_cmp_o_f16_e32 vcc, v3, v3
	v_bfe_u32 v3, v4, 16, 1
	v_add3_u32 v3, v4, v3, s0
	v_cndmask_b32_sdwa v3, v5, v3, vcc dst_sel:DWORD dst_unused:UNUSED_PAD src0_sel:DWORD src1_sel:WORD_1
.LBB142_916:
	s_mov_b64 s[0:1], 0
.LBB142_917:
	s_andn2_b64 vcc, exec, s[0:1]
	s_cbranch_vccnz .LBB142_937
; %bb.918:
	s_cmp_lt_i32 s38, 2
	s_cbranch_scc1 .LBB142_922
; %bb.919:
	s_cmp_lt_i32 s38, 3
	s_cbranch_scc1 .LBB142_923
; %bb.920:
	s_cmp_gt_i32 s38, 3
	s_cbranch_scc0 .LBB142_924
; %bb.921:
	global_load_dwordx2 v[3:4], v[0:1], off
	s_movk_i32 s0, 0x7fff
	s_waitcnt vmcnt(0)
	v_xor_b32_e32 v6, v3, v4
	v_ffbh_i32_e32 v5, v4
	v_ashrrev_i32_e32 v6, 31, v6
	v_add_u32_e32 v5, -1, v5
	v_add_u32_e32 v6, 32, v6
	v_min_u32_e32 v5, v5, v6
	v_lshlrev_b64 v[3:4], v5, v[3:4]
	v_min_u32_e32 v3, 1, v3
	v_or_b32_e32 v3, v4, v3
	v_cvt_f32_i32_e32 v3, v3
	v_sub_u32_e32 v4, 32, v5
	v_ldexp_f32 v3, v3, v4
	v_bfe_u32 v4, v3, 16, 1
	v_add3_u32 v3, v3, v4, s0
	v_lshrrev_b32_e32 v3, 16, v3
	s_mov_b64 s[0:1], 0
	s_branch .LBB142_925
.LBB142_922:
	s_mov_b64 s[0:1], -1
                                        ; implicit-def: $vgpr3
	s_branch .LBB142_931
.LBB142_923:
	s_mov_b64 s[0:1], -1
                                        ; implicit-def: $vgpr3
	s_branch .LBB142_928
.LBB142_924:
	s_mov_b64 s[0:1], -1
                                        ; implicit-def: $vgpr3
.LBB142_925:
	s_andn2_b64 vcc, exec, s[0:1]
	s_cbranch_vccnz .LBB142_927
; %bb.926:
	global_load_dword v3, v[0:1], off
	s_movk_i32 s0, 0x7fff
	s_waitcnt vmcnt(0)
	v_cvt_f32_i32_e32 v3, v3
	v_bfe_u32 v4, v3, 16, 1
	v_add3_u32 v3, v3, v4, s0
	v_lshrrev_b32_e32 v3, 16, v3
.LBB142_927:
	s_mov_b64 s[0:1], 0
.LBB142_928:
	s_andn2_b64 vcc, exec, s[0:1]
	s_cbranch_vccnz .LBB142_930
; %bb.929:
	global_load_sshort v3, v[0:1], off
	s_movk_i32 s0, 0x7fff
	s_waitcnt vmcnt(0)
	v_cvt_f32_i32_e32 v3, v3
	v_bfe_u32 v4, v3, 16, 1
	v_add3_u32 v3, v3, v4, s0
	v_lshrrev_b32_e32 v3, 16, v3
.LBB142_930:
	s_mov_b64 s[0:1], 0
.LBB142_931:
	s_andn2_b64 vcc, exec, s[0:1]
	s_cbranch_vccnz .LBB142_937
; %bb.932:
	s_cmp_gt_i32 s38, 0
	s_cbranch_scc0 .LBB142_934
; %bb.933:
	global_load_sbyte v3, v[0:1], off
	s_movk_i32 s0, 0x7fff
	s_waitcnt vmcnt(0)
	v_cvt_f32_i32_e32 v3, v3
	v_bfe_u32 v4, v3, 16, 1
	v_add3_u32 v3, v3, v4, s0
	v_lshrrev_b32_e32 v3, 16, v3
	s_mov_b64 s[0:1], 0
	s_branch .LBB142_935
.LBB142_934:
	s_mov_b64 s[0:1], -1
                                        ; implicit-def: $vgpr3
.LBB142_935:
	s_andn2_b64 vcc, exec, s[0:1]
	s_cbranch_vccnz .LBB142_937
; %bb.936:
	global_load_ubyte v0, v[0:1], off
	s_movk_i32 s0, 0x7fff
	s_waitcnt vmcnt(0)
	v_cvt_f32_ubyte0_e32 v0, v0
	v_bfe_u32 v1, v0, 16, 1
	v_add3_u32 v0, v0, v1, s0
	v_lshrrev_b32_e32 v3, 16, v0
.LBB142_937:
	s_mov_b64 s[0:1], -1
.LBB142_938:
	s_andn2_b64 vcc, exec, s[0:1]
	s_cbranch_vccnz .LBB142_946
; %bb.939:
	v_mul_lo_u32 v0, v2, s14
	v_mov_b32_e32 v1, s3
	s_and_b32 s44, s54, 0xff
	s_cmp_lt_i32 s44, 11
	v_ashrrev_i32_e32 v4, 31, v0
	v_add_co_u32_e32 v0, vcc, s2, v0
	v_addc_co_u32_e32 v1, vcc, v1, v4, vcc
	s_cbranch_scc1 .LBB142_948
; %bb.940:
	s_and_b32 s45, 0xffff, s44
	s_cmp_gt_i32 s45, 25
	s_cbranch_scc0 .LBB142_949
; %bb.941:
	s_cmp_gt_i32 s45, 28
	s_cbranch_scc0 .LBB142_950
; %bb.942:
	s_cmp_gt_i32 s45, 43
	s_cbranch_scc0 .LBB142_951
; %bb.943:
	s_cmp_gt_i32 s45, 45
	s_cbranch_scc0 .LBB142_952
; %bb.944:
	s_cmp_eq_u32 s45, 46
	s_mov_b64 s[40:41], 0
	s_cbranch_scc0 .LBB142_955
; %bb.945:
	global_load_dword v4, v[0:1], off
	s_mov_b64 s[0:1], -1
	s_mov_b64 s[38:39], 0
	s_branch .LBB142_956
.LBB142_946:
	s_mov_b64 s[42:43], 0
	s_mov_b64 s[0:1], s[28:29]
	;; [unrolled: 1-line block ×3, first 2 shown]
.LBB142_947:
                                        ; implicit-def: $vgpr2
	s_branch .LBB142_1211
.LBB142_948:
	s_mov_b64 s[40:41], -1
	s_mov_b64 s[0:1], 0
                                        ; implicit-def: $vgpr4
	s_mov_b64 s[38:39], s[26:27]
	s_branch .LBB142_1021
.LBB142_949:
	s_mov_b64 s[40:41], -1
	s_mov_b64 s[0:1], 0
	s_mov_b64 s[38:39], s[26:27]
                                        ; implicit-def: $vgpr4
	s_branch .LBB142_985
.LBB142_950:
	s_mov_b64 s[40:41], -1
	s_mov_b64 s[0:1], 0
	s_mov_b64 s[38:39], s[26:27]
                                        ; implicit-def: $vgpr4
	s_branch .LBB142_966
.LBB142_951:
	s_mov_b64 s[40:41], -1
	s_mov_b64 s[0:1], 0
	s_mov_b64 s[38:39], s[26:27]
                                        ; implicit-def: $vgpr4
	s_branch .LBB142_961
.LBB142_952:
	s_mov_b64 s[40:41], -1
	s_mov_b64 s[0:1], 0
	s_mov_b64 s[38:39], s[26:27]
                                        ; implicit-def: $vgpr4
	s_branch .LBB142_956
.LBB142_953:
	s_andn2_saveexec_b64 s[38:39], s[38:39]
	s_cbranch_execz .LBB142_729
.LBB142_954:
	v_add_f32_e32 v3, 0x42800000, v4
	v_and_b32_e32 v3, 0xff, v3
	v_cmp_ne_u32_e32 vcc, 0, v3
	s_andn2_b64 s[36:37], s[36:37], exec
	s_and_b64 s[42:43], vcc, exec
	s_or_b64 s[36:37], s[36:37], s[42:43]
	s_or_b64 exec, exec, s[38:39]
	v_mov_b32_e32 v5, 0
	s_and_saveexec_b64 s[38:39], s[36:37]
	s_cbranch_execnz .LBB142_730
	s_branch .LBB142_731
.LBB142_955:
	s_mov_b64 s[38:39], -1
                                        ; implicit-def: $vgpr4
	s_mov_b64 s[0:1], 0
.LBB142_956:
	s_and_b64 vcc, exec, s[40:41]
	s_cbranch_vccz .LBB142_960
; %bb.957:
	s_cmp_eq_u32 s45, 44
	s_cbranch_scc0 .LBB142_959
; %bb.958:
	global_load_ubyte v4, v[0:1], off
	s_movk_i32 s38, 0xff
	v_mov_b32_e32 v5, 0x7f800001
	v_mov_b32_e32 v6, 0x400000
	;; [unrolled: 1-line block ×3, first 2 shown]
	s_mov_b64 s[0:1], -1
	s_waitcnt vmcnt(0)
	v_lshlrev_b32_e32 v8, 23, v4
	v_cmp_ne_u32_e32 vcc, s38, v4
	v_cndmask_b32_e32 v5, v5, v8, vcc
	v_cmp_ne_u32_e32 vcc, 0, v4
	v_cndmask_b32_e32 v4, v6, v5, vcc
	v_add_u32_e32 v5, 0x7fff, v4
	v_cmp_o_f32_e32 vcc, v4, v4
	v_cndmask_b32_sdwa v4, v7, v5, vcc dst_sel:DWORD dst_unused:UNUSED_PAD src0_sel:DWORD src1_sel:WORD_1
	s_mov_b64 s[38:39], 0
	s_branch .LBB142_960
.LBB142_959:
	s_mov_b64 s[38:39], -1
                                        ; implicit-def: $vgpr4
.LBB142_960:
	s_mov_b64 s[40:41], 0
.LBB142_961:
	s_and_b64 vcc, exec, s[40:41]
	s_cbranch_vccz .LBB142_965
; %bb.962:
	s_cmp_eq_u32 s45, 29
	s_cbranch_scc0 .LBB142_964
; %bb.963:
	global_load_dwordx2 v[4:5], v[0:1], off
	s_movk_i32 s38, 0x7fff
	s_mov_b64 s[0:1], -1
	s_mov_b64 s[40:41], 0
	s_waitcnt vmcnt(0)
	v_ffbh_u32_e32 v6, v5
	v_min_u32_e32 v6, 32, v6
	v_lshlrev_b64 v[4:5], v6, v[4:5]
	v_min_u32_e32 v4, 1, v4
	v_or_b32_e32 v4, v5, v4
	v_cvt_f32_u32_e32 v4, v4
	v_sub_u32_e32 v5, 32, v6
	v_ldexp_f32 v4, v4, v5
	v_bfe_u32 v5, v4, 16, 1
	v_add3_u32 v4, v4, v5, s38
	v_lshrrev_b32_e32 v4, 16, v4
	s_mov_b64 s[38:39], 0
	s_branch .LBB142_966
.LBB142_964:
	s_mov_b64 s[38:39], -1
                                        ; implicit-def: $vgpr4
.LBB142_965:
	s_mov_b64 s[40:41], 0
.LBB142_966:
	s_and_b64 vcc, exec, s[40:41]
	s_cbranch_vccz .LBB142_984
; %bb.967:
	s_cmp_lt_i32 s45, 27
	s_cbranch_scc1 .LBB142_970
; %bb.968:
	s_cmp_gt_i32 s45, 27
	s_cbranch_scc0 .LBB142_971
; %bb.969:
	global_load_dword v4, v[0:1], off
	s_movk_i32 s0, 0x7fff
	s_waitcnt vmcnt(0)
	v_cvt_f32_u32_e32 v4, v4
	v_bfe_u32 v5, v4, 16, 1
	v_add3_u32 v4, v4, v5, s0
	v_lshrrev_b32_e32 v4, 16, v4
	s_mov_b64 s[0:1], 0
	s_branch .LBB142_972
.LBB142_970:
	s_mov_b64 s[0:1], -1
                                        ; implicit-def: $vgpr4
	s_branch .LBB142_975
.LBB142_971:
	s_mov_b64 s[0:1], -1
                                        ; implicit-def: $vgpr4
.LBB142_972:
	s_andn2_b64 vcc, exec, s[0:1]
	s_cbranch_vccnz .LBB142_974
; %bb.973:
	global_load_ushort v4, v[0:1], off
	s_movk_i32 s0, 0x7fff
	s_waitcnt vmcnt(0)
	v_cvt_f32_u32_e32 v4, v4
	v_bfe_u32 v5, v4, 16, 1
	v_add3_u32 v4, v4, v5, s0
	v_lshrrev_b32_e32 v4, 16, v4
.LBB142_974:
	s_mov_b64 s[0:1], 0
.LBB142_975:
	s_andn2_b64 vcc, exec, s[0:1]
	s_cbranch_vccnz .LBB142_983
; %bb.976:
	global_load_ubyte v4, v[0:1], off
	s_movk_i32 s0, 0x7f
	s_waitcnt vmcnt(0)
	v_cmp_lt_i16_e32 vcc, s0, v4
	s_mov_b64 s[0:1], 0
	s_and_saveexec_b64 s[40:41], vcc
	s_xor_b64 s[40:41], exec, s[40:41]
	s_cbranch_execz .LBB142_997
; %bb.977:
	s_movk_i32 s0, 0x80
	v_cmp_eq_u16_e32 vcc, s0, v4
	s_mov_b64 s[0:1], -1
	s_and_saveexec_b64 s[42:43], vcc
; %bb.978:
	s_xor_b64 s[0:1], exec, -1
; %bb.979:
	s_or_b64 exec, exec, s[42:43]
	s_and_b64 s[0:1], s[0:1], exec
	s_or_saveexec_b64 s[40:41], s[40:41]
	v_mov_b32_e32 v5, 0x7f800001
	s_xor_b64 exec, exec, s[40:41]
	s_cbranch_execnz .LBB142_998
.LBB142_980:
	s_or_b64 exec, exec, s[40:41]
	s_and_saveexec_b64 s[40:41], s[0:1]
	s_cbranch_execz .LBB142_982
.LBB142_981:
	v_lshlrev_b32_e32 v5, 24, v4
	v_and_b32_e32 v4, 0xffff, v4
	v_and_b32_e32 v6, 7, v4
	v_ffbh_u32_e32 v8, v6
	v_min_u32_e32 v8, 32, v8
	v_subrev_u32_e32 v9, 28, v8
	v_bfe_u32 v7, v4, 3, 4
	v_lshlrev_b32_e32 v4, v9, v4
	v_sub_u32_e32 v8, 29, v8
	v_and_b32_e32 v4, 7, v4
	v_cmp_eq_u32_e32 vcc, 0, v7
	v_cndmask_b32_e32 v7, v7, v8, vcc
	v_cndmask_b32_e32 v4, v6, v4, vcc
	v_mov_b32_e32 v6, 0x3b800000
	v_lshlrev_b32_e32 v4, 20, v4
	v_and_b32_e32 v5, 0x80000000, v5
	v_lshl_add_u32 v6, v7, 23, v6
	v_or3_b32 v5, v5, v6, v4
.LBB142_982:
	s_or_b64 exec, exec, s[40:41]
	v_bfe_u32 v4, v5, 16, 1
	s_movk_i32 s0, 0x7fff
	v_add3_u32 v4, v5, v4, s0
	v_cmp_o_f32_e32 vcc, v5, v5
	v_mov_b32_e32 v5, 0x7fc0
	v_cndmask_b32_sdwa v4, v5, v4, vcc dst_sel:DWORD dst_unused:UNUSED_PAD src0_sel:DWORD src1_sel:WORD_1
.LBB142_983:
	s_mov_b64 s[0:1], -1
.LBB142_984:
	s_mov_b64 s[40:41], 0
.LBB142_985:
	s_and_b64 vcc, exec, s[40:41]
	s_cbranch_vccz .LBB142_1020
; %bb.986:
	s_cmp_gt_i32 s45, 22
	s_cbranch_scc0 .LBB142_996
; %bb.987:
	s_cmp_lt_i32 s45, 24
	s_cbranch_scc1 .LBB142_999
; %bb.988:
	s_cmp_gt_i32 s45, 24
	s_cbranch_scc0 .LBB142_1000
; %bb.989:
	global_load_ubyte v4, v[0:1], off
	s_movk_i32 s0, 0x7f
	s_waitcnt vmcnt(0)
	v_cmp_lt_i16_e32 vcc, s0, v4
	s_mov_b64 s[0:1], 0
	s_and_saveexec_b64 s[40:41], vcc
	s_xor_b64 s[40:41], exec, s[40:41]
	s_cbranch_execz .LBB142_1012
; %bb.990:
	s_movk_i32 s0, 0x80
	v_cmp_eq_u16_e32 vcc, s0, v4
	s_mov_b64 s[0:1], -1
	s_and_saveexec_b64 s[42:43], vcc
; %bb.991:
	s_xor_b64 s[0:1], exec, -1
; %bb.992:
	s_or_b64 exec, exec, s[42:43]
	s_and_b64 s[0:1], s[0:1], exec
	s_or_saveexec_b64 s[40:41], s[40:41]
	v_mov_b32_e32 v5, 0x7f800001
	s_xor_b64 exec, exec, s[40:41]
	s_cbranch_execnz .LBB142_1013
.LBB142_993:
	s_or_b64 exec, exec, s[40:41]
	s_and_saveexec_b64 s[40:41], s[0:1]
	s_cbranch_execz .LBB142_995
.LBB142_994:
	v_lshlrev_b32_e32 v5, 24, v4
	v_and_b32_e32 v4, 0xffff, v4
	v_and_b32_e32 v6, 3, v4
	v_ffbh_u32_e32 v8, v6
	v_min_u32_e32 v8, 32, v8
	v_subrev_u32_e32 v9, 29, v8
	v_bfe_u32 v7, v4, 2, 5
	v_lshlrev_b32_e32 v4, v9, v4
	v_sub_u32_e32 v8, 30, v8
	v_and_b32_e32 v4, 3, v4
	v_cmp_eq_u32_e32 vcc, 0, v7
	v_cndmask_b32_e32 v7, v7, v8, vcc
	v_cndmask_b32_e32 v4, v6, v4, vcc
	v_mov_b32_e32 v6, 0x37800000
	v_lshlrev_b32_e32 v4, 21, v4
	v_and_b32_e32 v5, 0x80000000, v5
	v_lshl_add_u32 v6, v7, 23, v6
	v_or3_b32 v5, v5, v6, v4
.LBB142_995:
	s_or_b64 exec, exec, s[40:41]
	v_bfe_u32 v4, v5, 16, 1
	s_movk_i32 s0, 0x7fff
	v_add3_u32 v4, v5, v4, s0
	v_cmp_o_f32_e32 vcc, v5, v5
	v_mov_b32_e32 v5, 0x7fc0
	v_cndmask_b32_sdwa v4, v5, v4, vcc dst_sel:DWORD dst_unused:UNUSED_PAD src0_sel:DWORD src1_sel:WORD_1
	s_mov_b64 s[0:1], 0
	s_branch .LBB142_1001
.LBB142_996:
	s_mov_b64 s[40:41], -1
                                        ; implicit-def: $vgpr4
	s_branch .LBB142_1007
.LBB142_997:
	s_or_saveexec_b64 s[40:41], s[40:41]
	v_mov_b32_e32 v5, 0x7f800001
	s_xor_b64 exec, exec, s[40:41]
	s_cbranch_execz .LBB142_980
.LBB142_998:
	v_cmp_ne_u16_e32 vcc, 0, v4
	s_andn2_b64 s[0:1], s[0:1], exec
	s_and_b64 s[42:43], vcc, exec
	v_mov_b32_e32 v5, 0
	s_or_b64 s[0:1], s[0:1], s[42:43]
	s_or_b64 exec, exec, s[40:41]
	s_and_saveexec_b64 s[40:41], s[0:1]
	s_cbranch_execnz .LBB142_981
	s_branch .LBB142_982
.LBB142_999:
	s_mov_b64 s[0:1], -1
                                        ; implicit-def: $vgpr4
	s_branch .LBB142_1004
.LBB142_1000:
	s_mov_b64 s[0:1], -1
                                        ; implicit-def: $vgpr4
.LBB142_1001:
	s_and_b64 vcc, exec, s[0:1]
	s_cbranch_vccz .LBB142_1003
; %bb.1002:
	global_load_ubyte v4, v[0:1], off
	s_mov_b32 s0, 0x7f800000
	s_brev_b32 s1, 1
	s_movk_i32 s40, 0x7fff
	s_waitcnt vmcnt(0)
	v_lshlrev_b32_e32 v4, 24, v4
	v_and_b32_e32 v5, 0x7f000000, v4
	v_ffbh_u32_e32 v6, v5
	v_min_u32_e32 v6, 32, v6
	v_sub_u32_e64 v6, v6, 4 clamp
	v_lshlrev_b32_e32 v8, v6, v5
	v_lshlrev_b32_e32 v6, 23, v6
	v_lshrrev_b32_e32 v8, 4, v8
	v_add_u32_e32 v7, 0x1000000, v5
	v_sub_u32_e32 v6, v8, v6
	v_ashrrev_i32_e32 v7, 8, v7
	v_add_u32_e32 v6, 0x3c000000, v6
	v_and_or_b32 v6, v7, s0, v6
	v_cmp_ne_u32_e32 vcc, 0, v5
	v_cndmask_b32_e32 v5, 0, v6, vcc
	v_and_or_b32 v4, v4, s1, v5
	v_bfe_u32 v5, v5, 16, 1
	v_add3_u32 v5, v4, v5, s40
	v_cmp_o_f32_e32 vcc, v4, v4
	v_mov_b32_e32 v4, 0x7fc0
	v_cndmask_b32_sdwa v4, v4, v5, vcc dst_sel:DWORD dst_unused:UNUSED_PAD src0_sel:DWORD src1_sel:WORD_1
.LBB142_1003:
	s_mov_b64 s[0:1], 0
.LBB142_1004:
	s_andn2_b64 vcc, exec, s[0:1]
	s_cbranch_vccnz .LBB142_1006
; %bb.1005:
	global_load_ubyte v4, v[0:1], off
	s_movk_i32 s0, 0x7f00
	s_brev_b32 s1, 16
	s_brev_b32 s40, 1
	s_movk_i32 s41, 0x7fff
	s_waitcnt vmcnt(0)
	v_lshlrev_b16_e32 v5, 8, v4
	v_lshlrev_b32_e32 v4, 25, v4
	v_lshrrev_b32_e32 v6, 4, v4
	v_and_or_b32 v7, v5, s0, 0.5
	v_or_b32_e32 v6, 0x70000000, v6
	v_add_f32_e32 v7, -0.5, v7
	v_mul_f32_e32 v6, 0x7800000, v6
	v_cmp_gt_u32_e32 vcc, s1, v4
	v_bfe_i32 v5, v5, 0, 16
	v_cndmask_b32_e32 v4, v6, v7, vcc
	v_and_or_b32 v5, v5, s40, v4
	v_bfe_u32 v4, v4, 16, 1
	v_add3_u32 v4, v5, v4, s41
	v_cmp_o_f32_e32 vcc, v5, v5
	v_mov_b32_e32 v5, 0x7fc0
	v_cndmask_b32_sdwa v4, v5, v4, vcc dst_sel:DWORD dst_unused:UNUSED_PAD src0_sel:DWORD src1_sel:WORD_1
.LBB142_1006:
	s_mov_b64 s[40:41], 0
	s_mov_b64 s[0:1], -1
.LBB142_1007:
	s_andn2_b64 vcc, exec, s[40:41]
	s_cbranch_vccnz .LBB142_1020
; %bb.1008:
	s_cmp_gt_i32 s45, 14
	s_cbranch_scc0 .LBB142_1011
; %bb.1009:
	s_cmp_eq_u32 s45, 15
	s_cbranch_scc0 .LBB142_1014
; %bb.1010:
	global_load_ushort v4, v[0:1], off
	s_mov_b64 s[0:1], -1
	s_mov_b64 s[38:39], 0
	s_branch .LBB142_1015
.LBB142_1011:
	s_mov_b64 s[40:41], -1
                                        ; implicit-def: $vgpr4
	s_branch .LBB142_1016
.LBB142_1012:
	s_or_saveexec_b64 s[40:41], s[40:41]
	v_mov_b32_e32 v5, 0x7f800001
	s_xor_b64 exec, exec, s[40:41]
	s_cbranch_execz .LBB142_993
.LBB142_1013:
	v_cmp_ne_u16_e32 vcc, 0, v4
	s_andn2_b64 s[0:1], s[0:1], exec
	s_and_b64 s[42:43], vcc, exec
	v_mov_b32_e32 v5, 0
	s_or_b64 s[0:1], s[0:1], s[42:43]
	s_or_b64 exec, exec, s[40:41]
	s_and_saveexec_b64 s[40:41], s[0:1]
	s_cbranch_execnz .LBB142_994
	s_branch .LBB142_995
.LBB142_1014:
	s_mov_b64 s[38:39], -1
                                        ; implicit-def: $vgpr4
.LBB142_1015:
	s_mov_b64 s[40:41], 0
.LBB142_1016:
	s_and_b64 vcc, exec, s[40:41]
	s_cbranch_vccz .LBB142_1020
; %bb.1017:
	s_cmp_eq_u32 s45, 11
	s_cbranch_scc0 .LBB142_1019
; %bb.1018:
	global_load_ubyte v4, v[0:1], off
	s_mov_b64 s[0:1], -1
	s_mov_b64 s[38:39], 0
	s_waitcnt vmcnt(0)
	v_cmp_ne_u16_e32 vcc, 0, v4
	v_cndmask_b32_e64 v4, 0, 1.0, vcc
	v_lshrrev_b32_e32 v4, 16, v4
	s_branch .LBB142_1020
.LBB142_1019:
	s_mov_b64 s[38:39], -1
                                        ; implicit-def: $vgpr4
.LBB142_1020:
	s_mov_b64 s[40:41], 0
.LBB142_1021:
	s_and_b64 vcc, exec, s[40:41]
	s_cbranch_vccz .LBB142_1070
; %bb.1022:
	s_and_b32 s40, 0xffff, s44
	s_cmp_lt_i32 s40, 5
	s_cbranch_scc1 .LBB142_1027
; %bb.1023:
	s_cmp_lt_i32 s40, 8
	s_cbranch_scc1 .LBB142_1028
; %bb.1024:
	;; [unrolled: 3-line block ×3, first 2 shown]
	s_cmp_gt_i32 s40, 9
	s_cbranch_scc0 .LBB142_1030
; %bb.1026:
	global_load_dwordx2 v[4:5], v[0:1], off
	s_movk_i32 s0, 0x7fff
	s_waitcnt vmcnt(0)
	v_cvt_f32_f64_e32 v4, v[4:5]
	v_mov_b32_e32 v5, 0x7fc0
	v_bfe_u32 v6, v4, 16, 1
	v_cmp_o_f32_e32 vcc, v4, v4
	v_add3_u32 v4, v4, v6, s0
	v_cndmask_b32_sdwa v4, v5, v4, vcc dst_sel:DWORD dst_unused:UNUSED_PAD src0_sel:DWORD src1_sel:WORD_1
	s_mov_b64 s[0:1], 0
	s_branch .LBB142_1031
.LBB142_1027:
	s_mov_b64 s[0:1], -1
                                        ; implicit-def: $vgpr4
	s_branch .LBB142_1049
.LBB142_1028:
	s_mov_b64 s[0:1], -1
                                        ; implicit-def: $vgpr4
	s_branch .LBB142_1037
.LBB142_1029:
	s_mov_b64 s[0:1], -1
                                        ; implicit-def: $vgpr4
	s_branch .LBB142_1034
.LBB142_1030:
	s_mov_b64 s[0:1], -1
                                        ; implicit-def: $vgpr4
.LBB142_1031:
	s_andn2_b64 vcc, exec, s[0:1]
	s_cbranch_vccnz .LBB142_1033
; %bb.1032:
	global_load_dword v4, v[0:1], off
	s_movk_i32 s0, 0x7fff
	v_mov_b32_e32 v5, 0x7fc0
	s_waitcnt vmcnt(0)
	v_bfe_u32 v6, v4, 16, 1
	v_cmp_o_f32_e32 vcc, v4, v4
	v_add3_u32 v4, v4, v6, s0
	v_cndmask_b32_sdwa v4, v5, v4, vcc dst_sel:DWORD dst_unused:UNUSED_PAD src0_sel:DWORD src1_sel:WORD_1
.LBB142_1033:
	s_mov_b64 s[0:1], 0
.LBB142_1034:
	s_andn2_b64 vcc, exec, s[0:1]
	s_cbranch_vccnz .LBB142_1036
; %bb.1035:
	global_load_dword v4, v[0:1], off
	s_movk_i32 s0, 0x7fff
	v_mov_b32_e32 v6, 0x7fc0
	s_waitcnt vmcnt(0)
	v_cvt_f32_f16_e32 v5, v4
	v_cmp_o_f16_e32 vcc, v4, v4
	v_bfe_u32 v4, v5, 16, 1
	v_add3_u32 v4, v5, v4, s0
	v_cndmask_b32_sdwa v4, v6, v4, vcc dst_sel:DWORD dst_unused:UNUSED_PAD src0_sel:DWORD src1_sel:WORD_1
.LBB142_1036:
	s_mov_b64 s[0:1], 0
.LBB142_1037:
	s_andn2_b64 vcc, exec, s[0:1]
	s_cbranch_vccnz .LBB142_1048
; %bb.1038:
	s_cmp_lt_i32 s40, 6
	s_cbranch_scc1 .LBB142_1041
; %bb.1039:
	s_cmp_gt_i32 s40, 6
	s_cbranch_scc0 .LBB142_1042
; %bb.1040:
	global_load_dwordx2 v[4:5], v[0:1], off
	s_movk_i32 s0, 0x7fff
	s_waitcnt vmcnt(0)
	v_cvt_f32_f64_e32 v4, v[4:5]
	v_mov_b32_e32 v5, 0x7fc0
	v_bfe_u32 v6, v4, 16, 1
	v_cmp_o_f32_e32 vcc, v4, v4
	v_add3_u32 v4, v4, v6, s0
	v_cndmask_b32_sdwa v4, v5, v4, vcc dst_sel:DWORD dst_unused:UNUSED_PAD src0_sel:DWORD src1_sel:WORD_1
	s_mov_b64 s[0:1], 0
	s_branch .LBB142_1043
.LBB142_1041:
	s_mov_b64 s[0:1], -1
                                        ; implicit-def: $vgpr4
	s_branch .LBB142_1046
.LBB142_1042:
	s_mov_b64 s[0:1], -1
                                        ; implicit-def: $vgpr4
.LBB142_1043:
	s_andn2_b64 vcc, exec, s[0:1]
	s_cbranch_vccnz .LBB142_1045
; %bb.1044:
	global_load_dword v4, v[0:1], off
	s_movk_i32 s0, 0x7fff
	v_mov_b32_e32 v5, 0x7fc0
	s_waitcnt vmcnt(0)
	v_bfe_u32 v6, v4, 16, 1
	v_cmp_o_f32_e32 vcc, v4, v4
	v_add3_u32 v4, v4, v6, s0
	v_cndmask_b32_sdwa v4, v5, v4, vcc dst_sel:DWORD dst_unused:UNUSED_PAD src0_sel:DWORD src1_sel:WORD_1
.LBB142_1045:
	s_mov_b64 s[0:1], 0
.LBB142_1046:
	s_andn2_b64 vcc, exec, s[0:1]
	s_cbranch_vccnz .LBB142_1048
; %bb.1047:
	global_load_ushort v4, v[0:1], off
	s_movk_i32 s0, 0x7fff
	v_mov_b32_e32 v6, 0x7fc0
	s_waitcnt vmcnt(0)
	v_cvt_f32_f16_e32 v5, v4
	v_cmp_o_f16_e32 vcc, v4, v4
	v_bfe_u32 v4, v5, 16, 1
	v_add3_u32 v4, v5, v4, s0
	v_cndmask_b32_sdwa v4, v6, v4, vcc dst_sel:DWORD dst_unused:UNUSED_PAD src0_sel:DWORD src1_sel:WORD_1
.LBB142_1048:
	s_mov_b64 s[0:1], 0
.LBB142_1049:
	s_andn2_b64 vcc, exec, s[0:1]
	s_cbranch_vccnz .LBB142_1069
; %bb.1050:
	s_cmp_lt_i32 s40, 2
	s_cbranch_scc1 .LBB142_1054
; %bb.1051:
	s_cmp_lt_i32 s40, 3
	s_cbranch_scc1 .LBB142_1055
; %bb.1052:
	s_cmp_gt_i32 s40, 3
	s_cbranch_scc0 .LBB142_1056
; %bb.1053:
	global_load_dwordx2 v[4:5], v[0:1], off
	s_movk_i32 s0, 0x7fff
	s_waitcnt vmcnt(0)
	v_xor_b32_e32 v7, v4, v5
	v_ffbh_i32_e32 v6, v5
	v_ashrrev_i32_e32 v7, 31, v7
	v_add_u32_e32 v6, -1, v6
	v_add_u32_e32 v7, 32, v7
	v_min_u32_e32 v6, v6, v7
	v_lshlrev_b64 v[4:5], v6, v[4:5]
	v_min_u32_e32 v4, 1, v4
	v_or_b32_e32 v4, v5, v4
	v_cvt_f32_i32_e32 v4, v4
	v_sub_u32_e32 v5, 32, v6
	v_ldexp_f32 v4, v4, v5
	v_bfe_u32 v5, v4, 16, 1
	v_add3_u32 v4, v4, v5, s0
	v_lshrrev_b32_e32 v4, 16, v4
	s_mov_b64 s[0:1], 0
	s_branch .LBB142_1057
.LBB142_1054:
	s_mov_b64 s[0:1], -1
                                        ; implicit-def: $vgpr4
	s_branch .LBB142_1063
.LBB142_1055:
	s_mov_b64 s[0:1], -1
                                        ; implicit-def: $vgpr4
	s_branch .LBB142_1060
.LBB142_1056:
	s_mov_b64 s[0:1], -1
                                        ; implicit-def: $vgpr4
.LBB142_1057:
	s_andn2_b64 vcc, exec, s[0:1]
	s_cbranch_vccnz .LBB142_1059
; %bb.1058:
	global_load_dword v4, v[0:1], off
	s_movk_i32 s0, 0x7fff
	s_waitcnt vmcnt(0)
	v_cvt_f32_i32_e32 v4, v4
	v_bfe_u32 v5, v4, 16, 1
	v_add3_u32 v4, v4, v5, s0
	v_lshrrev_b32_e32 v4, 16, v4
.LBB142_1059:
	s_mov_b64 s[0:1], 0
.LBB142_1060:
	s_andn2_b64 vcc, exec, s[0:1]
	s_cbranch_vccnz .LBB142_1062
; %bb.1061:
	global_load_sshort v4, v[0:1], off
	s_movk_i32 s0, 0x7fff
	s_waitcnt vmcnt(0)
	v_cvt_f32_i32_e32 v4, v4
	v_bfe_u32 v5, v4, 16, 1
	v_add3_u32 v4, v4, v5, s0
	v_lshrrev_b32_e32 v4, 16, v4
.LBB142_1062:
	s_mov_b64 s[0:1], 0
.LBB142_1063:
	s_andn2_b64 vcc, exec, s[0:1]
	s_cbranch_vccnz .LBB142_1069
; %bb.1064:
	s_cmp_gt_i32 s40, 0
	s_cbranch_scc0 .LBB142_1066
; %bb.1065:
	global_load_sbyte v4, v[0:1], off
	s_movk_i32 s0, 0x7fff
	s_waitcnt vmcnt(0)
	v_cvt_f32_i32_e32 v4, v4
	v_bfe_u32 v5, v4, 16, 1
	v_add3_u32 v4, v4, v5, s0
	v_lshrrev_b32_e32 v4, 16, v4
	s_mov_b64 s[0:1], 0
	s_branch .LBB142_1067
.LBB142_1066:
	s_mov_b64 s[0:1], -1
                                        ; implicit-def: $vgpr4
.LBB142_1067:
	s_andn2_b64 vcc, exec, s[0:1]
	s_cbranch_vccnz .LBB142_1069
; %bb.1068:
	global_load_ubyte v0, v[0:1], off
	s_movk_i32 s0, 0x7fff
	s_waitcnt vmcnt(0)
	v_cvt_f32_ubyte0_e32 v0, v0
	v_bfe_u32 v1, v0, 16, 1
	v_add3_u32 v0, v0, v1, s0
	v_lshrrev_b32_e32 v4, 16, v0
.LBB142_1069:
	s_mov_b64 s[0:1], -1
.LBB142_1070:
	s_andn2_b64 vcc, exec, s[0:1]
	s_cbranch_vccnz .LBB142_1075
; %bb.1071:
	s_waitcnt vmcnt(0)
	v_lshlrev_b32_e32 v0, 16, v3
	v_lshlrev_b32_e32 v1, 16, v4
	s_cmp_lt_i32 s15, 1
	s_mov_b64 s[0:1], 0
	s_cbranch_scc1 .LBB142_1076
; %bb.1072:
	s_cmp_gt_i32 s15, 1
	s_cbranch_scc0 .LBB142_1077
; %bb.1073:
	s_cmp_eq_u32 s15, 2
	s_cbranch_scc0 .LBB142_1078
; %bb.1074:
	v_cmp_le_f32_e64 s[40:41], v0, v1
	s_mov_b64 s[42:43], 0
	s_branch .LBB142_1079
.LBB142_1075:
	s_mov_b64 s[42:43], 0
                                        ; implicit-def: $vgpr2
	s_mov_b64 s[0:1], s[28:29]
	s_branch .LBB142_1211
.LBB142_1076:
	s_mov_b64 s[44:45], -1
                                        ; implicit-def: $sgpr40_sgpr41
	s_mov_b64 s[42:43], 0
	s_branch .LBB142_1083
.LBB142_1077:
	s_mov_b64 s[44:45], -1
	s_mov_b64 s[42:43], 0
                                        ; implicit-def: $sgpr40_sgpr41
	s_branch .LBB142_1080
.LBB142_1078:
	s_mov_b64 s[42:43], -1
                                        ; implicit-def: $sgpr40_sgpr41
.LBB142_1079:
	s_mov_b64 s[44:45], 0
.LBB142_1080:
	s_and_b64 vcc, exec, s[44:45]
	s_cbranch_vccz .LBB142_1082
; %bb.1081:
	v_cmp_gt_f32_e32 vcc, v0, v1
	s_andn2_b64 s[40:41], s[40:41], exec
	s_and_b64 s[44:45], vcc, exec
	s_or_b64 s[40:41], s[40:41], s[44:45]
.LBB142_1082:
	s_mov_b64 s[44:45], 0
.LBB142_1083:
	s_and_b64 vcc, exec, s[44:45]
	s_cbranch_vccz .LBB142_1094
; %bb.1084:
	s_cmp_lg_u32 s15, 0
	s_mov_b64 s[0:1], -1
	s_cselect_b64 s[42:43], -1, 0
	s_andn2_b64 vcc, exec, s[42:43]
	s_cbranch_vccz .LBB142_1095
.LBB142_1085:
	s_andn2_b64 vcc, exec, s[0:1]
	s_cbranch_vccnz .LBB142_1087
.LBB142_1086:
	v_cmp_ge_f32_e32 vcc, v0, v1
	s_andn2_b64 s[0:1], s[40:41], exec
	s_and_b64 s[40:41], vcc, exec
	s_or_b64 s[40:41], s[0:1], s[40:41]
.LBB142_1087:
	v_mul_lo_u32 v0, v2, s12
	v_mov_b32_e32 v1, s9
	s_and_b32 s49, s33, 0xff
	s_cmp_lt_i32 s49, 11
	v_ashrrev_i32_e32 v3, 31, v0
	v_add_co_u32_e32 v0, vcc, s8, v0
	v_addc_co_u32_e32 v1, vcc, v1, v3, vcc
	s_cbranch_scc1 .LBB142_1096
; %bb.1088:
	s_and_b32 s50, 0xffff, s49
	s_cmp_gt_i32 s50, 25
	s_cbranch_scc0 .LBB142_1097
; %bb.1089:
	s_cmp_gt_i32 s50, 28
	s_cbranch_scc0 .LBB142_1098
; %bb.1090:
	s_cmp_gt_i32 s50, 43
	s_cbranch_scc0 .LBB142_1099
; %bb.1091:
	s_cmp_gt_i32 s50, 45
	s_cbranch_scc0 .LBB142_1100
; %bb.1092:
	s_mov_b64 s[44:45], 0
	s_mov_b64 s[0:1], -1
	s_cmp_eq_u32 s50, 46
	s_mov_b64 s[42:43], 0
	s_cbranch_scc0 .LBB142_1101
; %bb.1093:
	v_cndmask_b32_e64 v3, 0, 1.0, s[40:41]
	v_bfe_u32 v4, v3, 16, 1
	s_movk_i32 s0, 0x7fff
	v_add3_u32 v3, v3, v4, s0
	v_lshrrev_b32_e32 v3, 16, v3
	global_store_dword v[0:1], v3, off
	s_mov_b64 s[42:43], -1
	s_mov_b64 s[0:1], 0
	s_branch .LBB142_1101
.LBB142_1094:
	s_andn2_b64 vcc, exec, s[42:43]
	s_cbranch_vccnz .LBB142_1085
.LBB142_1095:
	v_cmp_lt_f32_e32 vcc, v0, v1
	s_andn2_b64 s[40:41], s[40:41], exec
	s_and_b64 s[42:43], vcc, exec
	s_or_b64 s[40:41], s[40:41], s[42:43]
	s_cbranch_execz .LBB142_1086
	s_branch .LBB142_1087
.LBB142_1096:
	s_mov_b64 s[44:45], -1
	s_mov_b64 s[42:43], 0
	s_mov_b64 s[0:1], s[28:29]
	s_branch .LBB142_1170
.LBB142_1097:
	s_mov_b64 s[44:45], -1
	s_mov_b64 s[42:43], 0
	s_mov_b64 s[0:1], s[28:29]
	s_branch .LBB142_1128
.LBB142_1098:
	s_mov_b64 s[44:45], -1
	s_mov_b64 s[42:43], 0
	s_mov_b64 s[0:1], s[28:29]
	s_branch .LBB142_1111
.LBB142_1099:
	s_mov_b64 s[44:45], -1
	s_mov_b64 s[42:43], 0
	s_mov_b64 s[0:1], s[28:29]
	s_branch .LBB142_1107
.LBB142_1100:
	s_mov_b64 s[44:45], -1
	s_mov_b64 s[42:43], 0
	s_mov_b64 s[0:1], s[28:29]
.LBB142_1101:
	s_and_b64 vcc, exec, s[44:45]
	s_cbranch_vccz .LBB142_1106
; %bb.1102:
	s_cmp_eq_u32 s50, 44
	s_mov_b64 s[0:1], -1
	s_cbranch_scc0 .LBB142_1106
; %bb.1103:
	v_cndmask_b32_e64 v4, 0, 1.0, s[40:41]
	v_lshrrev_b32_e32 v3, 23, v4
	s_movk_i32 s0, 0xff
	v_cmp_ne_u32_e32 vcc, s0, v3
	v_mov_b32_e32 v5, 0xff
	s_and_saveexec_b64 s[42:43], vcc
; %bb.1104:
	s_mov_b32 s0, 0x3fffff
	v_and_b32_e32 v5, 0x400000, v4
	v_and_or_b32 v4, v4, s0, v3
	v_cmp_ne_u32_e32 vcc, 0, v5
	v_cmp_ne_u32_e64 s[0:1], 0, v4
	s_and_b64 s[0:1], vcc, s[0:1]
	v_cndmask_b32_e64 v4, 0, 1, s[0:1]
	v_add_u32_e32 v5, v3, v4
; %bb.1105:
	s_or_b64 exec, exec, s[42:43]
	s_mov_b64 s[42:43], -1
	s_mov_b64 s[0:1], 0
	global_store_byte v[0:1], v5, off
.LBB142_1106:
	s_mov_b64 s[44:45], 0
.LBB142_1107:
	s_and_b64 vcc, exec, s[44:45]
	s_cbranch_vccz .LBB142_1110
; %bb.1108:
	s_cmp_eq_u32 s50, 29
	s_mov_b64 s[0:1], -1
	s_cbranch_scc0 .LBB142_1110
; %bb.1109:
	s_mov_b32 s0, 0
	v_cndmask_b32_e64 v3, 0, 1, s[40:41]
	v_mov_b32_e32 v4, s0
	global_store_dwordx2 v[0:1], v[3:4], off
	s_mov_b64 s[42:43], -1
	s_mov_b64 s[0:1], 0
.LBB142_1110:
	s_mov_b64 s[44:45], 0
.LBB142_1111:
	s_and_b64 vcc, exec, s[44:45]
	s_cbranch_vccz .LBB142_1127
; %bb.1112:
	s_cmp_lt_i32 s50, 27
	s_mov_b64 s[42:43], -1
	s_cbranch_scc1 .LBB142_1118
; %bb.1113:
	s_cmp_gt_i32 s50, 27
	s_cbranch_scc0 .LBB142_1115
; %bb.1114:
	v_cndmask_b32_e64 v3, 0, 1, s[40:41]
	s_mov_b64 s[42:43], 0
	global_store_dword v[0:1], v3, off
.LBB142_1115:
	s_andn2_b64 vcc, exec, s[42:43]
	s_cbranch_vccnz .LBB142_1117
; %bb.1116:
	v_cndmask_b32_e64 v3, 0, 1, s[40:41]
	global_store_short v[0:1], v3, off
.LBB142_1117:
	s_mov_b64 s[42:43], 0
.LBB142_1118:
	s_andn2_b64 vcc, exec, s[42:43]
	s_cbranch_vccnz .LBB142_1126
; %bb.1119:
	v_cndmask_b32_e64 v4, 0, 1.0, s[40:41]
	s_mov_b32 s42, 0x43800000
	v_cmp_gt_u32_e32 vcc, s42, v4
	v_mov_b32_e32 v5, 0x80
	s_and_saveexec_b64 s[42:43], vcc
	s_cbranch_execz .LBB142_1125
; %bb.1120:
	s_mov_b32 s44, 0x3bffffff
	v_cmp_lt_u32_e32 vcc, s44, v4
	s_mov_b64 s[44:45], 0
                                        ; implicit-def: $vgpr3
	s_and_saveexec_b64 s[46:47], vcc
	s_xor_b64 s[46:47], exec, s[46:47]
	s_cbranch_execz .LBB142_1227
; %bb.1121:
	v_bfe_u32 v3, v4, 20, 1
	s_mov_b32 s51, 0x487ffff
	v_add3_u32 v3, v4, v3, s51
	s_mov_b64 s[44:45], exec
	v_lshrrev_b32_e32 v3, 20, v3
                                        ; implicit-def: $vgpr4
	s_andn2_saveexec_b64 s[46:47], s[46:47]
	s_cbranch_execnz .LBB142_1228
.LBB142_1122:
	s_or_b64 exec, exec, s[46:47]
	v_mov_b32_e32 v5, 0
	s_and_saveexec_b64 s[46:47], s[44:45]
.LBB142_1123:
	v_mov_b32_e32 v5, v3
.LBB142_1124:
	s_or_b64 exec, exec, s[46:47]
.LBB142_1125:
	s_or_b64 exec, exec, s[42:43]
	global_store_byte v[0:1], v5, off
.LBB142_1126:
	s_mov_b64 s[42:43], -1
.LBB142_1127:
	s_mov_b64 s[44:45], 0
.LBB142_1128:
	s_and_b64 vcc, exec, s[44:45]
	s_cbranch_vccz .LBB142_1169
; %bb.1129:
	s_cmp_gt_i32 s50, 22
	s_mov_b64 s[44:45], -1
	s_cbranch_scc0 .LBB142_1161
; %bb.1130:
	s_cmp_lt_i32 s50, 24
	s_mov_b64 s[42:43], -1
	s_cbranch_scc1 .LBB142_1150
; %bb.1131:
	s_cmp_gt_i32 s50, 24
	s_cbranch_scc0 .LBB142_1139
; %bb.1132:
	v_cndmask_b32_e64 v4, 0, 1.0, s[40:41]
	s_mov_b32 s42, 0x47800000
	v_cmp_gt_u32_e32 vcc, s42, v4
	v_mov_b32_e32 v5, 0x80
	s_and_saveexec_b64 s[42:43], vcc
	s_cbranch_execz .LBB142_1138
; %bb.1133:
	s_mov_b32 s44, 0x37ffffff
	v_cmp_lt_u32_e32 vcc, s44, v4
	s_mov_b64 s[44:45], 0
                                        ; implicit-def: $vgpr3
	s_and_saveexec_b64 s[46:47], vcc
	s_xor_b64 s[46:47], exec, s[46:47]
	s_cbranch_execz .LBB142_2298
; %bb.1134:
	v_bfe_u32 v3, v4, 21, 1
	s_mov_b32 s51, 0x88fffff
	v_add3_u32 v3, v4, v3, s51
	s_mov_b64 s[44:45], exec
	v_lshrrev_b32_e32 v3, 21, v3
                                        ; implicit-def: $vgpr4
	s_andn2_saveexec_b64 s[46:47], s[46:47]
	s_cbranch_execnz .LBB142_2299
.LBB142_1135:
	s_or_b64 exec, exec, s[46:47]
	v_mov_b32_e32 v5, 0
	s_and_saveexec_b64 s[46:47], s[44:45]
.LBB142_1136:
	v_mov_b32_e32 v5, v3
.LBB142_1137:
	s_or_b64 exec, exec, s[46:47]
.LBB142_1138:
	s_or_b64 exec, exec, s[42:43]
	s_mov_b64 s[42:43], 0
	global_store_byte v[0:1], v5, off
.LBB142_1139:
	s_and_b64 vcc, exec, s[42:43]
	s_cbranch_vccz .LBB142_1149
; %bb.1140:
	v_cndmask_b32_e64 v3, 0, 1.0, s[40:41]
	s_mov_b32 s42, 0x43f00000
	v_cmp_gt_u32_e32 vcc, s42, v3
                                        ; implicit-def: $vgpr4
	s_and_saveexec_b64 s[42:43], vcc
	s_xor_b64 s[42:43], exec, s[42:43]
	s_cbranch_execz .LBB142_1146
; %bb.1141:
	s_mov_b32 s44, 0x3c7fffff
	v_cmp_lt_u32_e32 vcc, s44, v3
                                        ; implicit-def: $vgpr4
	s_and_saveexec_b64 s[44:45], vcc
	s_xor_b64 s[44:45], exec, s[44:45]
; %bb.1142:
	v_bfe_u32 v4, v3, 20, 1
	s_mov_b32 s46, 0x407ffff
	v_add3_u32 v3, v3, v4, s46
	v_lshrrev_b32_e32 v4, 20, v3
	v_and_b32_e32 v3, 0xff00000, v3
	s_mov_b32 s46, 0x7f00000
	v_mov_b32_e32 v5, 0x7e
	v_cmp_ne_u32_e32 vcc, s46, v3
	v_cndmask_b32_e32 v4, v5, v4, vcc
                                        ; implicit-def: $vgpr3
; %bb.1143:
	s_andn2_saveexec_b64 s[44:45], s[44:45]
; %bb.1144:
	v_add_f32_e32 v4, 0x46800000, v3
; %bb.1145:
	s_or_b64 exec, exec, s[44:45]
                                        ; implicit-def: $vgpr3
.LBB142_1146:
	s_andn2_saveexec_b64 s[42:43], s[42:43]
; %bb.1147:
	s_mov_b32 s44, 0x7f800000
	v_mov_b32_e32 v4, 0x7e
	v_mov_b32_e32 v5, 0x7f
	v_cmp_lt_u32_e32 vcc, s44, v3
	v_cndmask_b32_e32 v4, v4, v5, vcc
; %bb.1148:
	s_or_b64 exec, exec, s[42:43]
	global_store_byte v[0:1], v4, off
.LBB142_1149:
	s_mov_b64 s[42:43], 0
.LBB142_1150:
	s_andn2_b64 vcc, exec, s[42:43]
	s_cbranch_vccnz .LBB142_1160
; %bb.1151:
	v_cndmask_b32_e64 v3, 0, 1.0, s[40:41]
	s_mov_b32 s42, 0x47800000
	v_cmp_gt_u32_e32 vcc, s42, v3
                                        ; implicit-def: $vgpr4
	s_and_saveexec_b64 s[42:43], vcc
	s_xor_b64 s[42:43], exec, s[42:43]
	s_cbranch_execz .LBB142_1157
; %bb.1152:
	s_mov_b32 s44, 0x387fffff
	v_cmp_lt_u32_e32 vcc, s44, v3
                                        ; implicit-def: $vgpr4
	s_and_saveexec_b64 s[44:45], vcc
	s_xor_b64 s[44:45], exec, s[44:45]
; %bb.1153:
	v_bfe_u32 v4, v3, 21, 1
	s_mov_b32 s46, 0x80fffff
	v_add3_u32 v3, v3, v4, s46
	v_lshrrev_b32_e32 v4, 21, v3
                                        ; implicit-def: $vgpr3
; %bb.1154:
	s_andn2_saveexec_b64 s[44:45], s[44:45]
; %bb.1155:
	v_add_f32_e32 v4, 0x43000000, v3
; %bb.1156:
	s_or_b64 exec, exec, s[44:45]
                                        ; implicit-def: $vgpr3
.LBB142_1157:
	s_andn2_saveexec_b64 s[42:43], s[42:43]
; %bb.1158:
	s_mov_b32 s44, 0x7f800000
	v_mov_b32_e32 v4, 0x7c
	v_mov_b32_e32 v5, 0x7f
	v_cmp_lt_u32_e32 vcc, s44, v3
	v_cndmask_b32_e32 v4, v4, v5, vcc
; %bb.1159:
	s_or_b64 exec, exec, s[42:43]
	global_store_byte v[0:1], v4, off
.LBB142_1160:
	s_mov_b64 s[44:45], 0
	s_mov_b64 s[42:43], -1
.LBB142_1161:
	s_andn2_b64 vcc, exec, s[44:45]
	s_cbranch_vccnz .LBB142_1169
; %bb.1162:
	s_cmp_gt_i32 s50, 14
	s_mov_b64 s[44:45], -1
	s_cbranch_scc0 .LBB142_1166
; %bb.1163:
	s_cmp_eq_u32 s50, 15
	s_mov_b64 s[0:1], -1
	s_cbranch_scc0 .LBB142_1165
; %bb.1164:
	v_cndmask_b32_e64 v3, 0, 1.0, s[40:41]
	v_bfe_u32 v4, v3, 16, 1
	s_movk_i32 s0, 0x7fff
	v_add3_u32 v3, v3, v4, s0
	global_store_short_d16_hi v[0:1], v3, off
	s_mov_b64 s[42:43], -1
	s_mov_b64 s[0:1], 0
.LBB142_1165:
	s_mov_b64 s[44:45], 0
.LBB142_1166:
	s_and_b64 vcc, exec, s[44:45]
	s_cbranch_vccz .LBB142_1169
; %bb.1167:
	s_cmp_eq_u32 s50, 11
	s_mov_b64 s[0:1], -1
	s_cbranch_scc0 .LBB142_1169
; %bb.1168:
	v_cndmask_b32_e64 v3, 0, 1, s[40:41]
	s_mov_b64 s[42:43], -1
	s_mov_b64 s[0:1], 0
	global_store_byte v[0:1], v3, off
.LBB142_1169:
	s_mov_b64 s[44:45], 0
.LBB142_1170:
	s_and_b64 vcc, exec, s[44:45]
	s_cbranch_vccz .LBB142_1209
; %bb.1171:
	s_and_b32 s44, 0xffff, s49
	s_cmp_lt_i32 s44, 5
	s_mov_b64 s[42:43], -1
	s_cbranch_scc1 .LBB142_1192
; %bb.1172:
	s_cmp_lt_i32 s44, 8
	s_cbranch_scc1 .LBB142_1182
; %bb.1173:
	s_cmp_lt_i32 s44, 9
	s_cbranch_scc1 .LBB142_1179
; %bb.1174:
	s_cmp_gt_i32 s44, 9
	s_cbranch_scc0 .LBB142_1176
; %bb.1175:
	v_cndmask_b32_e64 v3, 0, 1, s[40:41]
	v_cvt_f64_u32_e32 v[3:4], v3
	v_mov_b32_e32 v5, 0
	v_mov_b32_e32 v6, v5
	s_mov_b64 s[42:43], 0
	global_store_dwordx4 v[0:1], v[3:6], off
.LBB142_1176:
	s_andn2_b64 vcc, exec, s[42:43]
	s_cbranch_vccnz .LBB142_1178
; %bb.1177:
	v_cndmask_b32_e64 v3, 0, 1.0, s[40:41]
	v_mov_b32_e32 v4, 0
	global_store_dwordx2 v[0:1], v[3:4], off
.LBB142_1178:
	s_mov_b64 s[42:43], 0
.LBB142_1179:
	s_andn2_b64 vcc, exec, s[42:43]
	s_cbranch_vccnz .LBB142_1181
; %bb.1180:
	v_cndmask_b32_e64 v3, 0, 1.0, s[40:41]
	v_cvt_f16_f32_e32 v3, v3
	global_store_dword v[0:1], v3, off
.LBB142_1181:
	s_mov_b64 s[42:43], 0
.LBB142_1182:
	s_andn2_b64 vcc, exec, s[42:43]
	s_cbranch_vccnz .LBB142_1191
; %bb.1183:
	s_cmp_lt_i32 s44, 6
	s_mov_b64 s[42:43], -1
	s_cbranch_scc1 .LBB142_1189
; %bb.1184:
	s_cmp_gt_i32 s44, 6
	s_cbranch_scc0 .LBB142_1186
; %bb.1185:
	v_cndmask_b32_e64 v3, 0, 1, s[40:41]
	v_cvt_f64_u32_e32 v[3:4], v3
	s_mov_b64 s[42:43], 0
	global_store_dwordx2 v[0:1], v[3:4], off
.LBB142_1186:
	s_andn2_b64 vcc, exec, s[42:43]
	s_cbranch_vccnz .LBB142_1188
; %bb.1187:
	v_cndmask_b32_e64 v3, 0, 1.0, s[40:41]
	global_store_dword v[0:1], v3, off
.LBB142_1188:
	s_mov_b64 s[42:43], 0
.LBB142_1189:
	s_andn2_b64 vcc, exec, s[42:43]
	s_cbranch_vccnz .LBB142_1191
; %bb.1190:
	v_cndmask_b32_e64 v3, 0, 1.0, s[40:41]
	v_cvt_f16_f32_e32 v3, v3
	global_store_short v[0:1], v3, off
.LBB142_1191:
	s_mov_b64 s[42:43], 0
.LBB142_1192:
	s_andn2_b64 vcc, exec, s[42:43]
	s_cbranch_vccnz .LBB142_1208
; %bb.1193:
	s_cmp_lt_i32 s44, 2
	s_mov_b64 s[42:43], -1
	s_cbranch_scc1 .LBB142_1203
; %bb.1194:
	s_cmp_lt_i32 s44, 3
	s_cbranch_scc1 .LBB142_1200
; %bb.1195:
	s_cmp_gt_i32 s44, 3
	s_cbranch_scc0 .LBB142_1197
; %bb.1196:
	s_mov_b32 s42, 0
	v_cndmask_b32_e64 v3, 0, 1, s[40:41]
	v_mov_b32_e32 v4, s42
	s_mov_b64 s[42:43], 0
	global_store_dwordx2 v[0:1], v[3:4], off
.LBB142_1197:
	s_andn2_b64 vcc, exec, s[42:43]
	s_cbranch_vccnz .LBB142_1199
; %bb.1198:
	v_cndmask_b32_e64 v3, 0, 1, s[40:41]
	global_store_dword v[0:1], v3, off
.LBB142_1199:
	s_mov_b64 s[42:43], 0
.LBB142_1200:
	s_andn2_b64 vcc, exec, s[42:43]
	s_cbranch_vccnz .LBB142_1202
; %bb.1201:
	v_cndmask_b32_e64 v3, 0, 1, s[40:41]
	global_store_short v[0:1], v3, off
.LBB142_1202:
	s_mov_b64 s[42:43], 0
.LBB142_1203:
	s_andn2_b64 vcc, exec, s[42:43]
	s_cbranch_vccnz .LBB142_1208
; %bb.1204:
	s_mov_b64 s[42:43], -1
	s_cmp_gt_i32 s44, 0
	v_cndmask_b32_e64 v3, 0, 1, s[40:41]
	s_cbranch_scc0 .LBB142_1206
; %bb.1205:
	s_mov_b64 s[42:43], 0
	global_store_byte v[0:1], v3, off
.LBB142_1206:
	s_andn2_b64 vcc, exec, s[42:43]
	s_cbranch_vccnz .LBB142_1208
; %bb.1207:
	global_store_byte v[0:1], v3, off
.LBB142_1208:
	s_mov_b64 s[42:43], -1
.LBB142_1209:
	s_andn2_b64 vcc, exec, s[42:43]
	s_cbranch_vccnz .LBB142_1222
; %bb.1210:
	v_add_u32_e32 v2, 0x80, v2
	s_mov_b64 s[42:43], -1
.LBB142_1211:
	s_andn2_b64 s[40:41], s[28:29], exec
	s_and_b64 s[0:1], s[0:1], exec
	s_or_b64 s[40:41], s[40:41], s[0:1]
	s_andn2_b64 s[0:1], s[26:27], exec
	s_and_b64 s[38:39], s[38:39], exec
	s_or_b64 s[38:39], s[0:1], s[38:39]
	;; [unrolled: 3-line block ×3, first 2 shown]
	s_orn2_b64 s[46:47], s[42:43], exec
.LBB142_1212:
	s_or_b64 exec, exec, s[34:35]
	s_mov_b64 s[42:43], 0
	s_mov_b64 s[36:37], 0
	;; [unrolled: 1-line block ×3, first 2 shown]
                                        ; implicit-def: $sgpr56
                                        ; implicit-def: $vgpr0_vgpr1
                                        ; implicit-def: $vgpr3
	s_and_saveexec_b64 s[34:35], s[46:47]
	s_cbranch_execz .LBB142_1296
; %bb.1213:
	v_cmp_gt_i32_e32 vcc, s48, v2
	s_mov_b64 s[46:47], 0
	s_mov_b64 s[48:49], s[0:1]
	;; [unrolled: 1-line block ×4, first 2 shown]
                                        ; implicit-def: $sgpr56
                                        ; implicit-def: $vgpr0_vgpr1
                                        ; implicit-def: $vgpr3
	s_and_saveexec_b64 s[36:37], vcc
	s_cbranch_execz .LBB142_1295
; %bb.1214:
	v_mul_lo_u32 v0, v2, s13
	v_mov_b32_e32 v1, s11
	s_and_b32 s56, s55, 0xff
	s_cmp_lt_i32 s56, 11
	s_waitcnt vmcnt(0)
	v_ashrrev_i32_e32 v3, 31, v0
	v_add_co_u32_e32 v0, vcc, s10, v0
	v_addc_co_u32_e32 v1, vcc, v1, v3, vcc
	s_cbranch_scc1 .LBB142_1221
; %bb.1215:
	s_and_b32 s52, 0xffff, s56
	s_cmp_gt_i32 s52, 25
	s_cbranch_scc0 .LBB142_1223
; %bb.1216:
	s_cmp_gt_i32 s52, 28
	s_cbranch_scc0 .LBB142_1224
; %bb.1217:
	;; [unrolled: 3-line block ×4, first 2 shown]
	s_cmp_eq_u32 s52, 46
	s_mov_b64 s[48:49], 0
	s_cbranch_scc0 .LBB142_1229
; %bb.1220:
	global_load_dword v3, v[0:1], off
	s_mov_b64 s[46:47], -1
	s_branch .LBB142_1231
.LBB142_1221:
	s_mov_b64 s[48:49], -1
                                        ; implicit-def: $vgpr3
	s_mov_b64 s[42:43], s[0:1]
	s_branch .LBB142_1294
.LBB142_1222:
	s_mov_b64 s[42:43], 0
	s_branch .LBB142_947
.LBB142_1223:
	s_mov_b64 s[48:49], -1
	s_mov_b64 s[42:43], s[0:1]
                                        ; implicit-def: $vgpr3
	s_branch .LBB142_1260
.LBB142_1224:
	s_mov_b64 s[48:49], -1
	s_mov_b64 s[42:43], s[0:1]
                                        ; implicit-def: $vgpr3
	s_branch .LBB142_1241
.LBB142_1225:
	s_mov_b64 s[48:49], -1
	s_mov_b64 s[42:43], s[0:1]
                                        ; implicit-def: $vgpr3
	s_branch .LBB142_1236
.LBB142_1226:
	s_mov_b64 s[48:49], -1
	s_mov_b64 s[42:43], s[0:1]
	s_branch .LBB142_1230
.LBB142_1227:
	s_andn2_saveexec_b64 s[46:47], s[46:47]
	s_cbranch_execz .LBB142_1122
.LBB142_1228:
	v_add_f32_e32 v3, 0x46000000, v4
	v_and_b32_e32 v3, 0xff, v3
	v_cmp_ne_u32_e32 vcc, 0, v3
	s_andn2_b64 s[44:45], s[44:45], exec
	s_and_b64 s[52:53], vcc, exec
	s_or_b64 s[44:45], s[44:45], s[52:53]
	s_or_b64 exec, exec, s[46:47]
	v_mov_b32_e32 v5, 0
	s_and_saveexec_b64 s[46:47], s[44:45]
	s_cbranch_execnz .LBB142_1123
	s_branch .LBB142_1124
.LBB142_1229:
	s_mov_b64 s[42:43], -1
.LBB142_1230:
                                        ; implicit-def: $vgpr3
.LBB142_1231:
	s_and_b64 vcc, exec, s[48:49]
	s_cbranch_vccz .LBB142_1235
; %bb.1232:
	s_cmp_eq_u32 s52, 44
	s_cbranch_scc0 .LBB142_1234
; %bb.1233:
	global_load_ubyte v3, v[0:1], off
	s_movk_i32 s46, 0xff
	v_mov_b32_e32 v4, 0x7f800001
	v_mov_b32_e32 v5, 0x400000
	;; [unrolled: 1-line block ×3, first 2 shown]
	s_mov_b64 s[42:43], 0
	s_waitcnt vmcnt(0)
	v_lshlrev_b32_e32 v7, 23, v3
	v_cmp_ne_u32_e32 vcc, s46, v3
	v_cndmask_b32_e32 v4, v4, v7, vcc
	v_cmp_ne_u32_e32 vcc, 0, v3
	v_cndmask_b32_e32 v3, v5, v4, vcc
	v_add_u32_e32 v4, 0x7fff, v3
	v_cmp_o_f32_e32 vcc, v3, v3
	v_cndmask_b32_sdwa v3, v6, v4, vcc dst_sel:DWORD dst_unused:UNUSED_PAD src0_sel:DWORD src1_sel:WORD_1
	s_mov_b64 s[46:47], -1
	s_branch .LBB142_1235
.LBB142_1234:
	s_mov_b64 s[42:43], -1
                                        ; implicit-def: $vgpr3
.LBB142_1235:
	s_mov_b64 s[48:49], 0
.LBB142_1236:
	s_and_b64 vcc, exec, s[48:49]
	s_cbranch_vccz .LBB142_1240
; %bb.1237:
	s_cmp_eq_u32 s52, 29
	s_cbranch_scc0 .LBB142_1239
; %bb.1238:
	global_load_dwordx2 v[3:4], v[0:1], off
	s_movk_i32 s46, 0x7fff
	s_mov_b64 s[42:43], 0
	s_mov_b64 s[48:49], 0
	s_waitcnt vmcnt(0)
	v_ffbh_u32_e32 v5, v4
	v_min_u32_e32 v5, 32, v5
	v_lshlrev_b64 v[3:4], v5, v[3:4]
	v_min_u32_e32 v3, 1, v3
	v_or_b32_e32 v3, v4, v3
	v_cvt_f32_u32_e32 v3, v3
	v_sub_u32_e32 v4, 32, v5
	v_ldexp_f32 v3, v3, v4
	v_bfe_u32 v4, v3, 16, 1
	v_add3_u32 v3, v3, v4, s46
	v_lshrrev_b32_e32 v3, 16, v3
	s_mov_b64 s[46:47], -1
	s_branch .LBB142_1241
.LBB142_1239:
	s_mov_b64 s[42:43], -1
                                        ; implicit-def: $vgpr3
.LBB142_1240:
	s_mov_b64 s[48:49], 0
.LBB142_1241:
	s_and_b64 vcc, exec, s[48:49]
	s_cbranch_vccz .LBB142_1259
; %bb.1242:
	s_cmp_lt_i32 s52, 27
	s_cbranch_scc1 .LBB142_1245
; %bb.1243:
	s_cmp_gt_i32 s52, 27
	s_cbranch_scc0 .LBB142_1246
; %bb.1244:
	global_load_dword v3, v[0:1], off
	s_movk_i32 s46, 0x7fff
	s_waitcnt vmcnt(0)
	v_cvt_f32_u32_e32 v3, v3
	v_bfe_u32 v4, v3, 16, 1
	v_add3_u32 v3, v3, v4, s46
	v_lshrrev_b32_e32 v3, 16, v3
	s_mov_b64 s[46:47], 0
	s_branch .LBB142_1247
.LBB142_1245:
	s_mov_b64 s[46:47], -1
                                        ; implicit-def: $vgpr3
	s_branch .LBB142_1250
.LBB142_1246:
	s_mov_b64 s[46:47], -1
                                        ; implicit-def: $vgpr3
.LBB142_1247:
	s_andn2_b64 vcc, exec, s[46:47]
	s_cbranch_vccnz .LBB142_1249
; %bb.1248:
	global_load_ushort v3, v[0:1], off
	s_movk_i32 s46, 0x7fff
	s_waitcnt vmcnt(0)
	v_cvt_f32_u32_e32 v3, v3
	v_bfe_u32 v4, v3, 16, 1
	v_add3_u32 v3, v3, v4, s46
	v_lshrrev_b32_e32 v3, 16, v3
.LBB142_1249:
	s_mov_b64 s[46:47], 0
.LBB142_1250:
	s_andn2_b64 vcc, exec, s[46:47]
	s_cbranch_vccnz .LBB142_1258
; %bb.1251:
	global_load_ubyte v3, v[0:1], off
	s_movk_i32 s46, 0x7f
	s_waitcnt vmcnt(0)
	v_cmp_lt_i16_e32 vcc, s46, v3
	s_mov_b64 s[46:47], 0
	s_and_saveexec_b64 s[48:49], vcc
	s_xor_b64 s[48:49], exec, s[48:49]
	s_cbranch_execz .LBB142_1272
; %bb.1252:
	s_movk_i32 s46, 0x80
	v_cmp_eq_u16_e32 vcc, s46, v3
	s_mov_b64 s[46:47], -1
	s_and_saveexec_b64 s[50:51], vcc
; %bb.1253:
	s_xor_b64 s[46:47], exec, -1
; %bb.1254:
	s_or_b64 exec, exec, s[50:51]
	s_and_b64 s[46:47], s[46:47], exec
	s_or_saveexec_b64 s[48:49], s[48:49]
	v_mov_b32_e32 v4, 0x7f800001
	s_xor_b64 exec, exec, s[48:49]
	s_cbranch_execnz .LBB142_1273
.LBB142_1255:
	s_or_b64 exec, exec, s[48:49]
	s_and_saveexec_b64 s[48:49], s[46:47]
	s_cbranch_execz .LBB142_1257
.LBB142_1256:
	v_lshlrev_b32_e32 v4, 24, v3
	v_and_b32_e32 v3, 0xffff, v3
	v_and_b32_e32 v5, 7, v3
	v_ffbh_u32_e32 v7, v5
	v_min_u32_e32 v7, 32, v7
	v_subrev_u32_e32 v8, 28, v7
	v_bfe_u32 v6, v3, 3, 4
	v_lshlrev_b32_e32 v3, v8, v3
	v_sub_u32_e32 v7, 29, v7
	v_and_b32_e32 v3, 7, v3
	v_cmp_eq_u32_e32 vcc, 0, v6
	v_cndmask_b32_e32 v6, v6, v7, vcc
	v_cndmask_b32_e32 v3, v5, v3, vcc
	v_mov_b32_e32 v5, 0x3b800000
	v_lshlrev_b32_e32 v3, 20, v3
	v_and_b32_e32 v4, 0x80000000, v4
	v_lshl_add_u32 v5, v6, 23, v5
	v_or3_b32 v4, v4, v5, v3
.LBB142_1257:
	s_or_b64 exec, exec, s[48:49]
	v_bfe_u32 v3, v4, 16, 1
	s_movk_i32 s46, 0x7fff
	v_add3_u32 v3, v4, v3, s46
	v_cmp_o_f32_e32 vcc, v4, v4
	v_mov_b32_e32 v4, 0x7fc0
	v_cndmask_b32_sdwa v3, v4, v3, vcc dst_sel:DWORD dst_unused:UNUSED_PAD src0_sel:DWORD src1_sel:WORD_1
.LBB142_1258:
	s_mov_b64 s[46:47], -1
.LBB142_1259:
	s_mov_b64 s[48:49], 0
.LBB142_1260:
	s_and_b64 vcc, exec, s[48:49]
	s_cbranch_vccz .LBB142_1293
; %bb.1261:
	s_cmp_gt_i32 s52, 22
	s_cbranch_scc0 .LBB142_1271
; %bb.1262:
	s_cmp_lt_i32 s52, 24
	s_cbranch_scc1 .LBB142_1274
; %bb.1263:
	s_cmp_gt_i32 s52, 24
	s_cbranch_scc0 .LBB142_1275
; %bb.1264:
	global_load_ubyte v3, v[0:1], off
	s_movk_i32 s44, 0x7f
	s_waitcnt vmcnt(0)
	v_cmp_lt_i16_e32 vcc, s44, v3
	s_mov_b64 s[44:45], 0
	s_and_saveexec_b64 s[46:47], vcc
	s_xor_b64 s[46:47], exec, s[46:47]
	s_cbranch_execz .LBB142_1287
; %bb.1265:
	s_movk_i32 s44, 0x80
	v_cmp_eq_u16_e32 vcc, s44, v3
	s_mov_b64 s[44:45], -1
	s_and_saveexec_b64 s[48:49], vcc
; %bb.1266:
	s_xor_b64 s[44:45], exec, -1
; %bb.1267:
	s_or_b64 exec, exec, s[48:49]
	s_and_b64 s[44:45], s[44:45], exec
	s_or_saveexec_b64 s[46:47], s[46:47]
	v_mov_b32_e32 v4, 0x7f800001
	s_xor_b64 exec, exec, s[46:47]
	s_cbranch_execnz .LBB142_1288
.LBB142_1268:
	s_or_b64 exec, exec, s[46:47]
	s_and_saveexec_b64 s[46:47], s[44:45]
	s_cbranch_execz .LBB142_1270
.LBB142_1269:
	v_lshlrev_b32_e32 v4, 24, v3
	v_and_b32_e32 v3, 0xffff, v3
	v_and_b32_e32 v5, 3, v3
	v_ffbh_u32_e32 v7, v5
	v_min_u32_e32 v7, 32, v7
	v_subrev_u32_e32 v8, 29, v7
	v_bfe_u32 v6, v3, 2, 5
	v_lshlrev_b32_e32 v3, v8, v3
	v_sub_u32_e32 v7, 30, v7
	v_and_b32_e32 v3, 3, v3
	v_cmp_eq_u32_e32 vcc, 0, v6
	v_cndmask_b32_e32 v6, v6, v7, vcc
	v_cndmask_b32_e32 v3, v5, v3, vcc
	v_mov_b32_e32 v5, 0x37800000
	v_lshlrev_b32_e32 v3, 21, v3
	v_and_b32_e32 v4, 0x80000000, v4
	v_lshl_add_u32 v5, v6, 23, v5
	v_or3_b32 v4, v4, v5, v3
.LBB142_1270:
	s_or_b64 exec, exec, s[46:47]
	v_bfe_u32 v3, v4, 16, 1
	s_movk_i32 s44, 0x7fff
	v_add3_u32 v3, v4, v3, s44
	v_cmp_o_f32_e32 vcc, v4, v4
	v_mov_b32_e32 v4, 0x7fc0
	v_cndmask_b32_sdwa v3, v4, v3, vcc dst_sel:DWORD dst_unused:UNUSED_PAD src0_sel:DWORD src1_sel:WORD_1
	s_mov_b64 s[44:45], 0
	s_branch .LBB142_1276
.LBB142_1271:
	s_mov_b64 s[44:45], -1
                                        ; implicit-def: $vgpr3
	s_branch .LBB142_1282
.LBB142_1272:
	s_or_saveexec_b64 s[48:49], s[48:49]
	v_mov_b32_e32 v4, 0x7f800001
	s_xor_b64 exec, exec, s[48:49]
	s_cbranch_execz .LBB142_1255
.LBB142_1273:
	v_cmp_ne_u16_e32 vcc, 0, v3
	s_andn2_b64 s[46:47], s[46:47], exec
	s_and_b64 s[50:51], vcc, exec
	v_mov_b32_e32 v4, 0
	s_or_b64 s[46:47], s[46:47], s[50:51]
	s_or_b64 exec, exec, s[48:49]
	s_and_saveexec_b64 s[48:49], s[46:47]
	s_cbranch_execnz .LBB142_1256
	s_branch .LBB142_1257
.LBB142_1274:
	s_mov_b64 s[44:45], -1
                                        ; implicit-def: $vgpr3
	s_branch .LBB142_1279
.LBB142_1275:
	s_mov_b64 s[44:45], -1
                                        ; implicit-def: $vgpr3
.LBB142_1276:
	s_and_b64 vcc, exec, s[44:45]
	s_cbranch_vccz .LBB142_1278
; %bb.1277:
	global_load_ubyte v3, v[0:1], off
	s_mov_b32 s44, 0x7f800000
	s_brev_b32 s45, 1
	s_movk_i32 s46, 0x7fff
	s_waitcnt vmcnt(0)
	v_lshlrev_b32_e32 v3, 24, v3
	v_and_b32_e32 v4, 0x7f000000, v3
	v_ffbh_u32_e32 v5, v4
	v_min_u32_e32 v5, 32, v5
	v_sub_u32_e64 v5, v5, 4 clamp
	v_lshlrev_b32_e32 v7, v5, v4
	v_lshlrev_b32_e32 v5, 23, v5
	v_lshrrev_b32_e32 v7, 4, v7
	v_add_u32_e32 v6, 0x1000000, v4
	v_sub_u32_e32 v5, v7, v5
	v_ashrrev_i32_e32 v6, 8, v6
	v_add_u32_e32 v5, 0x3c000000, v5
	v_and_or_b32 v5, v6, s44, v5
	v_cmp_ne_u32_e32 vcc, 0, v4
	v_cndmask_b32_e32 v4, 0, v5, vcc
	v_and_or_b32 v3, v3, s45, v4
	v_bfe_u32 v4, v4, 16, 1
	v_add3_u32 v4, v3, v4, s46
	v_cmp_o_f32_e32 vcc, v3, v3
	v_mov_b32_e32 v3, 0x7fc0
	v_cndmask_b32_sdwa v3, v3, v4, vcc dst_sel:DWORD dst_unused:UNUSED_PAD src0_sel:DWORD src1_sel:WORD_1
.LBB142_1278:
	s_mov_b64 s[44:45], 0
.LBB142_1279:
	s_andn2_b64 vcc, exec, s[44:45]
	s_cbranch_vccnz .LBB142_1281
; %bb.1280:
	global_load_ubyte v3, v[0:1], off
	s_movk_i32 s44, 0x7f00
	s_brev_b32 s45, 16
	s_brev_b32 s46, 1
	s_movk_i32 s47, 0x7fff
	s_waitcnt vmcnt(0)
	v_lshlrev_b16_e32 v4, 8, v3
	v_lshlrev_b32_e32 v3, 25, v3
	v_lshrrev_b32_e32 v5, 4, v3
	v_and_or_b32 v6, v4, s44, 0.5
	v_or_b32_e32 v5, 0x70000000, v5
	v_add_f32_e32 v6, -0.5, v6
	v_mul_f32_e32 v5, 0x7800000, v5
	v_cmp_gt_u32_e32 vcc, s45, v3
	v_bfe_i32 v4, v4, 0, 16
	v_cndmask_b32_e32 v3, v5, v6, vcc
	v_and_or_b32 v4, v4, s46, v3
	v_bfe_u32 v3, v3, 16, 1
	v_add3_u32 v3, v4, v3, s47
	v_cmp_o_f32_e32 vcc, v4, v4
	v_mov_b32_e32 v4, 0x7fc0
	v_cndmask_b32_sdwa v3, v4, v3, vcc dst_sel:DWORD dst_unused:UNUSED_PAD src0_sel:DWORD src1_sel:WORD_1
.LBB142_1281:
	s_mov_b64 s[44:45], 0
	s_mov_b64 s[46:47], -1
.LBB142_1282:
	s_andn2_b64 vcc, exec, s[44:45]
	s_mov_b64 s[44:45], 0
	s_cbranch_vccnz .LBB142_1293
; %bb.1283:
	s_cmp_gt_i32 s52, 14
	s_cbranch_scc0 .LBB142_1286
; %bb.1284:
	s_cmp_eq_u32 s52, 15
	s_cbranch_scc0 .LBB142_1289
; %bb.1285:
	global_load_ushort v3, v[0:1], off
	s_mov_b64 s[42:43], 0
	s_mov_b64 s[46:47], -1
	s_branch .LBB142_1290
.LBB142_1286:
	s_mov_b64 s[48:49], -1
                                        ; implicit-def: $vgpr3
	s_branch .LBB142_1291
.LBB142_1287:
	s_or_saveexec_b64 s[46:47], s[46:47]
	v_mov_b32_e32 v4, 0x7f800001
	s_xor_b64 exec, exec, s[46:47]
	s_cbranch_execz .LBB142_1268
.LBB142_1288:
	v_cmp_ne_u16_e32 vcc, 0, v3
	s_andn2_b64 s[44:45], s[44:45], exec
	s_and_b64 s[48:49], vcc, exec
	v_mov_b32_e32 v4, 0
	s_or_b64 s[44:45], s[44:45], s[48:49]
	s_or_b64 exec, exec, s[46:47]
	s_and_saveexec_b64 s[46:47], s[44:45]
	s_cbranch_execnz .LBB142_1269
	s_branch .LBB142_1270
.LBB142_1289:
	s_mov_b64 s[42:43], -1
                                        ; implicit-def: $vgpr3
.LBB142_1290:
	s_mov_b64 s[48:49], 0
.LBB142_1291:
	s_and_b64 vcc, exec, s[48:49]
	s_cbranch_vccz .LBB142_1293
; %bb.1292:
	s_cmp_lg_u32 s52, 11
	s_cselect_b64 s[48:49], -1, 0
	s_andn2_b64 s[42:43], s[42:43], exec
	s_and_b64 s[48:49], s[48:49], exec
	s_mov_b64 s[44:45], -1
	s_or_b64 s[42:43], s[42:43], s[48:49]
.LBB142_1293:
	s_mov_b64 s[48:49], 0
.LBB142_1294:
	s_and_b64 s[52:53], s[46:47], exec
	s_and_b64 s[46:47], s[44:45], exec
	s_andn2_b64 s[44:45], s[0:1], exec
	s_and_b64 s[42:43], s[42:43], exec
	s_and_b64 s[50:51], s[48:49], exec
	s_or_b64 s[48:49], s[44:45], s[42:43]
.LBB142_1295:
	s_or_b64 exec, exec, s[36:37]
	s_and_b64 s[42:43], s[46:47], exec
	s_andn2_b64 s[0:1], s[0:1], exec
	s_and_b64 s[46:47], s[48:49], exec
	s_and_b64 s[44:45], s[52:53], exec
	;; [unrolled: 1-line block ×3, first 2 shown]
	s_or_b64 s[0:1], s[0:1], s[46:47]
.LBB142_1296:
	s_or_b64 exec, exec, s[34:35]
	s_andn2_b64 s[28:29], s[28:29], exec
	s_and_b64 s[34:35], s[40:41], exec
	s_or_b64 s[28:29], s[28:29], s[34:35]
	s_andn2_b64 s[26:27], s[26:27], exec
	s_and_b64 s[34:35], s[38:39], exec
	s_andn2_b64 s[24:25], s[24:25], exec
	s_and_b64 s[0:1], s[0:1], exec
	s_or_b64 s[26:27], s[26:27], s[34:35]
	s_and_b64 s[38:39], s[44:45], exec
	s_and_b64 s[36:37], s[36:37], exec
	;; [unrolled: 1-line block ×3, first 2 shown]
	s_or_b64 s[24:25], s[24:25], s[0:1]
.LBB142_1297:
	s_or_b64 exec, exec, s[30:31]
	s_andn2_b64 s[0:1], s[16:17], exec
	s_and_b64 s[16:17], s[28:29], exec
	s_or_b64 s[16:17], s[0:1], s[16:17]
	s_andn2_b64 s[0:1], s[18:19], exec
	s_and_b64 s[18:19], s[26:27], exec
	s_or_b64 s[18:19], s[0:1], s[18:19]
	s_andn2_b64 s[0:1], s[20:21], exec
	s_and_b64 s[20:21], s[24:25], exec
	s_and_b64 s[28:29], s[38:39], exec
	;; [unrolled: 1-line block ×4, first 2 shown]
	s_or_b64 s[20:21], s[0:1], s[20:21]
	s_or_b64 exec, exec, s[22:23]
	s_mov_b64 s[22:23], 0
	s_and_saveexec_b64 s[0:1], s[20:21]
	s_cbranch_execz .LBB142_409
.LBB142_1298:
	s_mov_b64 s[22:23], exec
	s_andn2_b64 s[26:27], s[26:27], exec
	s_trap 2
	s_or_b64 exec, exec, s[0:1]
	s_and_saveexec_b64 s[0:1], s[26:27]
	s_xor_b64 s[0:1], exec, s[0:1]
	s_cbranch_execnz .LBB142_410
.LBB142_1299:
	s_or_b64 exec, exec, s[0:1]
	s_and_saveexec_b64 s[0:1], s[30:31]
	s_cbranch_execz .LBB142_1345
.LBB142_1300:
	s_sext_i32_i16 s20, s56
	s_cmp_lt_i32 s20, 5
	s_cbranch_scc1 .LBB142_1305
; %bb.1301:
	s_cmp_lt_i32 s20, 8
	s_cbranch_scc1 .LBB142_1306
; %bb.1302:
	;; [unrolled: 3-line block ×3, first 2 shown]
	s_cmp_gt_i32 s20, 9
	s_cbranch_scc0 .LBB142_1308
; %bb.1304:
	global_load_dwordx2 v[3:4], v[0:1], off
	s_movk_i32 s20, 0x7fff
	s_waitcnt vmcnt(0)
	v_cvt_f32_f64_e32 v3, v[3:4]
	v_mov_b32_e32 v4, 0x7fc0
	v_bfe_u32 v5, v3, 16, 1
	v_cmp_o_f32_e32 vcc, v3, v3
	v_add3_u32 v3, v3, v5, s20
	v_cndmask_b32_sdwa v3, v4, v3, vcc dst_sel:DWORD dst_unused:UNUSED_PAD src0_sel:DWORD src1_sel:WORD_1
	s_mov_b64 s[20:21], 0
	s_branch .LBB142_1309
.LBB142_1305:
                                        ; implicit-def: $vgpr3
	s_branch .LBB142_1326
.LBB142_1306:
                                        ; implicit-def: $vgpr3
	s_branch .LBB142_1315
.LBB142_1307:
	s_mov_b64 s[20:21], -1
                                        ; implicit-def: $vgpr3
	s_branch .LBB142_1312
.LBB142_1308:
	s_mov_b64 s[20:21], -1
                                        ; implicit-def: $vgpr3
.LBB142_1309:
	s_andn2_b64 vcc, exec, s[20:21]
	s_cbranch_vccnz .LBB142_1311
; %bb.1310:
	global_load_dword v3, v[0:1], off
	s_movk_i32 s20, 0x7fff
	s_waitcnt vmcnt(1)
	v_mov_b32_e32 v4, 0x7fc0
	s_waitcnt vmcnt(0)
	v_bfe_u32 v5, v3, 16, 1
	v_cmp_o_f32_e32 vcc, v3, v3
	v_add3_u32 v3, v3, v5, s20
	v_cndmask_b32_sdwa v3, v4, v3, vcc dst_sel:DWORD dst_unused:UNUSED_PAD src0_sel:DWORD src1_sel:WORD_1
.LBB142_1311:
	s_mov_b64 s[20:21], 0
.LBB142_1312:
	s_andn2_b64 vcc, exec, s[20:21]
	s_cbranch_vccnz .LBB142_1314
; %bb.1313:
	global_load_dword v3, v[0:1], off
	s_movk_i32 s20, 0x7fff
	v_mov_b32_e32 v5, 0x7fc0
	s_waitcnt vmcnt(0)
	v_cvt_f32_f16_e32 v4, v3
	v_cmp_o_f16_e32 vcc, v3, v3
	v_bfe_u32 v3, v4, 16, 1
	v_add3_u32 v3, v4, v3, s20
	v_cndmask_b32_sdwa v3, v5, v3, vcc dst_sel:DWORD dst_unused:UNUSED_PAD src0_sel:DWORD src1_sel:WORD_1
.LBB142_1314:
	s_cbranch_execnz .LBB142_1325
.LBB142_1315:
	s_sext_i32_i16 s20, s56
	s_cmp_lt_i32 s20, 6
	s_cbranch_scc1 .LBB142_1318
; %bb.1316:
	s_cmp_gt_i32 s20, 6
	s_cbranch_scc0 .LBB142_1319
; %bb.1317:
	global_load_dwordx2 v[3:4], v[0:1], off
	s_movk_i32 s20, 0x7fff
	s_waitcnt vmcnt(0)
	v_cvt_f32_f64_e32 v3, v[3:4]
	v_mov_b32_e32 v4, 0x7fc0
	v_bfe_u32 v5, v3, 16, 1
	v_cmp_o_f32_e32 vcc, v3, v3
	v_add3_u32 v3, v3, v5, s20
	v_cndmask_b32_sdwa v3, v4, v3, vcc dst_sel:DWORD dst_unused:UNUSED_PAD src0_sel:DWORD src1_sel:WORD_1
	s_mov_b64 s[20:21], 0
	s_branch .LBB142_1320
.LBB142_1318:
	s_mov_b64 s[20:21], -1
                                        ; implicit-def: $vgpr3
	s_branch .LBB142_1323
.LBB142_1319:
	s_mov_b64 s[20:21], -1
                                        ; implicit-def: $vgpr3
.LBB142_1320:
	s_andn2_b64 vcc, exec, s[20:21]
	s_cbranch_vccnz .LBB142_1322
; %bb.1321:
	global_load_dword v3, v[0:1], off
	s_movk_i32 s20, 0x7fff
	s_waitcnt vmcnt(1)
	v_mov_b32_e32 v4, 0x7fc0
	s_waitcnt vmcnt(0)
	v_bfe_u32 v5, v3, 16, 1
	v_cmp_o_f32_e32 vcc, v3, v3
	v_add3_u32 v3, v3, v5, s20
	v_cndmask_b32_sdwa v3, v4, v3, vcc dst_sel:DWORD dst_unused:UNUSED_PAD src0_sel:DWORD src1_sel:WORD_1
.LBB142_1322:
	s_mov_b64 s[20:21], 0
.LBB142_1323:
	s_andn2_b64 vcc, exec, s[20:21]
	s_cbranch_vccnz .LBB142_1325
; %bb.1324:
	global_load_ushort v3, v[0:1], off
	s_movk_i32 s20, 0x7fff
	v_mov_b32_e32 v5, 0x7fc0
	s_waitcnt vmcnt(0)
	v_cvt_f32_f16_e32 v4, v3
	v_cmp_o_f16_e32 vcc, v3, v3
	v_bfe_u32 v3, v4, 16, 1
	v_add3_u32 v3, v4, v3, s20
	v_cndmask_b32_sdwa v3, v5, v3, vcc dst_sel:DWORD dst_unused:UNUSED_PAD src0_sel:DWORD src1_sel:WORD_1
.LBB142_1325:
	s_cbranch_execnz .LBB142_1344
.LBB142_1326:
	s_sext_i32_i16 s20, s56
	s_cmp_lt_i32 s20, 2
	s_cbranch_scc1 .LBB142_1330
; %bb.1327:
	s_cmp_lt_i32 s20, 3
	s_cbranch_scc1 .LBB142_1331
; %bb.1328:
	s_cmp_gt_i32 s20, 3
	s_cbranch_scc0 .LBB142_1332
; %bb.1329:
	global_load_dwordx2 v[3:4], v[0:1], off
	s_movk_i32 s20, 0x7fff
	s_waitcnt vmcnt(0)
	v_xor_b32_e32 v6, v3, v4
	v_ffbh_i32_e32 v5, v4
	v_ashrrev_i32_e32 v6, 31, v6
	v_add_u32_e32 v5, -1, v5
	v_add_u32_e32 v6, 32, v6
	v_min_u32_e32 v5, v5, v6
	v_lshlrev_b64 v[3:4], v5, v[3:4]
	v_min_u32_e32 v3, 1, v3
	v_or_b32_e32 v3, v4, v3
	v_cvt_f32_i32_e32 v3, v3
	v_sub_u32_e32 v4, 32, v5
	v_ldexp_f32 v3, v3, v4
	v_bfe_u32 v4, v3, 16, 1
	v_add3_u32 v3, v3, v4, s20
	v_lshrrev_b32_e32 v3, 16, v3
	s_mov_b64 s[20:21], 0
	s_branch .LBB142_1333
.LBB142_1330:
                                        ; implicit-def: $vgpr3
	s_branch .LBB142_1339
.LBB142_1331:
	s_mov_b64 s[20:21], -1
                                        ; implicit-def: $vgpr3
	s_branch .LBB142_1336
.LBB142_1332:
	s_mov_b64 s[20:21], -1
                                        ; implicit-def: $vgpr3
.LBB142_1333:
	s_andn2_b64 vcc, exec, s[20:21]
	s_cbranch_vccnz .LBB142_1335
; %bb.1334:
	global_load_dword v3, v[0:1], off
	s_movk_i32 s20, 0x7fff
	s_waitcnt vmcnt(0)
	v_cvt_f32_i32_e32 v3, v3
	v_bfe_u32 v4, v3, 16, 1
	v_add3_u32 v3, v3, v4, s20
	v_lshrrev_b32_e32 v3, 16, v3
.LBB142_1335:
	s_mov_b64 s[20:21], 0
.LBB142_1336:
	s_andn2_b64 vcc, exec, s[20:21]
	s_cbranch_vccnz .LBB142_1338
; %bb.1337:
	global_load_sshort v3, v[0:1], off
	s_movk_i32 s20, 0x7fff
	s_waitcnt vmcnt(0)
	v_cvt_f32_i32_e32 v3, v3
	v_bfe_u32 v4, v3, 16, 1
	v_add3_u32 v3, v3, v4, s20
	v_lshrrev_b32_e32 v3, 16, v3
.LBB142_1338:
	s_cbranch_execnz .LBB142_1344
.LBB142_1339:
	s_sext_i32_i16 s20, s56
	s_cmp_gt_i32 s20, 0
	s_cbranch_scc0 .LBB142_1341
; %bb.1340:
	global_load_sbyte v3, v[0:1], off
	s_movk_i32 s20, 0x7fff
	s_waitcnt vmcnt(0)
	v_cvt_f32_i32_e32 v3, v3
	v_bfe_u32 v4, v3, 16, 1
	v_add3_u32 v3, v3, v4, s20
	v_lshrrev_b32_e32 v3, 16, v3
	s_mov_b64 s[20:21], 0
	s_branch .LBB142_1342
.LBB142_1341:
	s_mov_b64 s[20:21], -1
                                        ; implicit-def: $vgpr3
.LBB142_1342:
	s_andn2_b64 vcc, exec, s[20:21]
	s_cbranch_vccnz .LBB142_1344
; %bb.1343:
	global_load_ubyte v0, v[0:1], off
	s_movk_i32 s20, 0x7fff
	s_waitcnt vmcnt(0)
	v_cvt_f32_ubyte0_e32 v0, v0
	v_bfe_u32 v1, v0, 16, 1
	v_add3_u32 v0, v0, v1, s20
	v_lshrrev_b32_e32 v3, 16, v0
.LBB142_1344:
	s_or_b64 s[28:29], s[28:29], exec
.LBB142_1345:
	s_or_b64 exec, exec, s[0:1]
	s_mov_b64 s[26:27], 0
	s_mov_b64 s[30:31], 0
	;; [unrolled: 1-line block ×3, first 2 shown]
                                        ; implicit-def: $sgpr34
                                        ; implicit-def: $vgpr0_vgpr1
                                        ; implicit-def: $vgpr4
	s_and_saveexec_b64 s[0:1], s[28:29]
	s_cbranch_execz .LBB142_1353
; %bb.1346:
	v_mul_lo_u32 v0, v2, s14
	v_mov_b32_e32 v1, s3
	s_and_b32 s34, s54, 0xff
	s_cmp_lt_i32 s34, 11
	s_waitcnt vmcnt(0)
	v_ashrrev_i32_e32 v4, 31, v0
	v_add_co_u32_e32 v0, vcc, s2, v0
	v_addc_co_u32_e32 v1, vcc, v1, v4, vcc
	s_cbranch_scc1 .LBB142_1356
; %bb.1347:
	s_and_b32 s35, 0xffff, s34
	s_cmp_gt_i32 s35, 25
	s_cbranch_scc0 .LBB142_1357
; %bb.1348:
	s_cmp_gt_i32 s35, 28
	s_cbranch_scc0 .LBB142_1358
; %bb.1349:
	;; [unrolled: 3-line block ×4, first 2 shown]
	s_cmp_eq_u32 s35, 46
	s_mov_b64 s[28:29], 0
	s_cbranch_scc0 .LBB142_1361
; %bb.1352:
	global_load_dword v4, v[0:1], off
	s_mov_b64 s[20:21], 0
	s_mov_b64 s[24:25], -1
	s_branch .LBB142_1363
.LBB142_1353:
	s_or_b64 exec, exec, s[0:1]
	s_and_saveexec_b64 s[0:1], s[18:19]
	s_cbranch_execnz .LBB142_1426
.LBB142_1354:
	s_or_b64 exec, exec, s[0:1]
	s_and_saveexec_b64 s[0:1], s[26:27]
	s_xor_b64 s[0:1], exec, s[0:1]
	s_cbranch_execz .LBB142_1427
.LBB142_1355:
	global_load_ubyte v4, v[0:1], off
	s_or_b64 s[24:25], s[24:25], exec
	s_waitcnt vmcnt(0)
	v_cmp_ne_u16_e32 vcc, 0, v4
	v_cndmask_b32_e64 v4, 0, 1.0, vcc
	v_lshrrev_b32_e32 v4, 16, v4
	s_or_b64 exec, exec, s[0:1]
	s_and_saveexec_b64 s[0:1], s[30:31]
	s_cbranch_execz .LBB142_1473
	s_branch .LBB142_1428
.LBB142_1356:
	s_mov_b64 s[28:29], -1
                                        ; implicit-def: $vgpr4
	s_mov_b64 s[20:21], s[18:19]
	s_branch .LBB142_1425
.LBB142_1357:
	s_mov_b64 s[20:21], s[18:19]
                                        ; implicit-def: $vgpr4
	s_cbranch_execnz .LBB142_1392
	s_branch .LBB142_1424
.LBB142_1358:
	s_mov_b64 s[28:29], -1
	s_mov_b64 s[20:21], s[18:19]
                                        ; implicit-def: $vgpr4
	s_branch .LBB142_1373
.LBB142_1359:
	s_mov_b64 s[28:29], -1
	s_mov_b64 s[20:21], s[18:19]
                                        ; implicit-def: $vgpr4
	s_branch .LBB142_1368
.LBB142_1360:
	s_mov_b64 s[28:29], -1
	s_mov_b64 s[20:21], s[18:19]
	s_branch .LBB142_1362
.LBB142_1361:
	s_mov_b64 s[20:21], -1
.LBB142_1362:
                                        ; implicit-def: $vgpr4
.LBB142_1363:
	s_and_b64 vcc, exec, s[28:29]
	s_cbranch_vccz .LBB142_1367
; %bb.1364:
	s_cmp_eq_u32 s35, 44
	s_cbranch_scc0 .LBB142_1366
; %bb.1365:
	global_load_ubyte v4, v[0:1], off
	s_movk_i32 s24, 0xff
	v_mov_b32_e32 v5, 0x7f800001
	v_mov_b32_e32 v6, 0x400000
	v_mov_b32_e32 v7, 0x7fc0
	s_mov_b64 s[20:21], 0
	s_waitcnt vmcnt(0)
	v_lshlrev_b32_e32 v8, 23, v4
	v_cmp_ne_u32_e32 vcc, s24, v4
	v_cndmask_b32_e32 v5, v5, v8, vcc
	v_cmp_ne_u32_e32 vcc, 0, v4
	v_cndmask_b32_e32 v4, v6, v5, vcc
	v_add_u32_e32 v5, 0x7fff, v4
	v_cmp_o_f32_e32 vcc, v4, v4
	v_cndmask_b32_sdwa v4, v7, v5, vcc dst_sel:DWORD dst_unused:UNUSED_PAD src0_sel:DWORD src1_sel:WORD_1
	s_mov_b64 s[24:25], -1
	s_branch .LBB142_1367
.LBB142_1366:
	s_mov_b64 s[20:21], -1
                                        ; implicit-def: $vgpr4
.LBB142_1367:
	s_mov_b64 s[28:29], 0
.LBB142_1368:
	s_and_b64 vcc, exec, s[28:29]
	s_cbranch_vccz .LBB142_1372
; %bb.1369:
	s_cmp_eq_u32 s35, 29
	s_cbranch_scc0 .LBB142_1371
; %bb.1370:
	global_load_dwordx2 v[4:5], v[0:1], off
	s_movk_i32 s24, 0x7fff
	s_mov_b64 s[20:21], 0
	s_mov_b64 s[28:29], 0
	s_waitcnt vmcnt(0)
	v_ffbh_u32_e32 v6, v5
	v_min_u32_e32 v6, 32, v6
	v_lshlrev_b64 v[4:5], v6, v[4:5]
	v_min_u32_e32 v4, 1, v4
	v_or_b32_e32 v4, v5, v4
	v_cvt_f32_u32_e32 v4, v4
	v_sub_u32_e32 v5, 32, v6
	v_ldexp_f32 v4, v4, v5
	v_bfe_u32 v5, v4, 16, 1
	v_add3_u32 v4, v4, v5, s24
	v_lshrrev_b32_e32 v4, 16, v4
	s_mov_b64 s[24:25], -1
	s_branch .LBB142_1373
.LBB142_1371:
	s_mov_b64 s[20:21], -1
                                        ; implicit-def: $vgpr4
.LBB142_1372:
	s_mov_b64 s[28:29], 0
.LBB142_1373:
	s_and_b64 vcc, exec, s[28:29]
	s_cbranch_vccz .LBB142_1391
; %bb.1374:
	s_cmp_lt_i32 s35, 27
	s_cbranch_scc1 .LBB142_1377
; %bb.1375:
	s_cmp_gt_i32 s35, 27
	s_cbranch_scc0 .LBB142_1378
; %bb.1376:
	global_load_dword v4, v[0:1], off
	s_movk_i32 s24, 0x7fff
	s_waitcnt vmcnt(0)
	v_cvt_f32_u32_e32 v4, v4
	v_bfe_u32 v5, v4, 16, 1
	v_add3_u32 v4, v4, v5, s24
	v_lshrrev_b32_e32 v4, 16, v4
	s_mov_b64 s[24:25], 0
	s_branch .LBB142_1379
.LBB142_1377:
	s_mov_b64 s[24:25], -1
                                        ; implicit-def: $vgpr4
	s_branch .LBB142_1382
.LBB142_1378:
	s_mov_b64 s[24:25], -1
                                        ; implicit-def: $vgpr4
.LBB142_1379:
	s_andn2_b64 vcc, exec, s[24:25]
	s_cbranch_vccnz .LBB142_1381
; %bb.1380:
	global_load_ushort v4, v[0:1], off
	s_movk_i32 s24, 0x7fff
	s_waitcnt vmcnt(0)
	v_cvt_f32_u32_e32 v4, v4
	v_bfe_u32 v5, v4, 16, 1
	v_add3_u32 v4, v4, v5, s24
	v_lshrrev_b32_e32 v4, 16, v4
.LBB142_1381:
	s_mov_b64 s[24:25], 0
.LBB142_1382:
	s_andn2_b64 vcc, exec, s[24:25]
	s_cbranch_vccnz .LBB142_1390
; %bb.1383:
	global_load_ubyte v4, v[0:1], off
	s_movk_i32 s24, 0x7f
	s_waitcnt vmcnt(0)
	v_cmp_lt_i16_e32 vcc, s24, v4
	s_mov_b64 s[24:25], 0
	s_and_saveexec_b64 s[28:29], vcc
	s_xor_b64 s[28:29], exec, s[28:29]
	s_cbranch_execz .LBB142_1403
; %bb.1384:
	s_movk_i32 s24, 0x80
	v_cmp_eq_u16_e32 vcc, s24, v4
	s_mov_b64 s[24:25], -1
	s_and_saveexec_b64 s[30:31], vcc
; %bb.1385:
	s_xor_b64 s[24:25], exec, -1
; %bb.1386:
	s_or_b64 exec, exec, s[30:31]
	s_and_b64 s[24:25], s[24:25], exec
	s_or_saveexec_b64 s[28:29], s[28:29]
	v_mov_b32_e32 v5, 0x7f800001
	s_xor_b64 exec, exec, s[28:29]
	s_cbranch_execnz .LBB142_1404
.LBB142_1387:
	s_or_b64 exec, exec, s[28:29]
	s_and_saveexec_b64 s[28:29], s[24:25]
	s_cbranch_execz .LBB142_1389
.LBB142_1388:
	v_lshlrev_b32_e32 v5, 24, v4
	v_and_b32_e32 v4, 0xffff, v4
	v_and_b32_e32 v6, 7, v4
	v_ffbh_u32_e32 v8, v6
	v_min_u32_e32 v8, 32, v8
	v_subrev_u32_e32 v9, 28, v8
	v_bfe_u32 v7, v4, 3, 4
	v_lshlrev_b32_e32 v4, v9, v4
	v_sub_u32_e32 v8, 29, v8
	v_and_b32_e32 v4, 7, v4
	v_cmp_eq_u32_e32 vcc, 0, v7
	v_cndmask_b32_e32 v7, v7, v8, vcc
	v_cndmask_b32_e32 v4, v6, v4, vcc
	v_mov_b32_e32 v6, 0x3b800000
	v_lshlrev_b32_e32 v4, 20, v4
	v_and_b32_e32 v5, 0x80000000, v5
	v_lshl_add_u32 v6, v7, 23, v6
	v_or3_b32 v5, v5, v6, v4
.LBB142_1389:
	s_or_b64 exec, exec, s[28:29]
	v_bfe_u32 v4, v5, 16, 1
	s_movk_i32 s24, 0x7fff
	v_add3_u32 v4, v5, v4, s24
	v_cmp_o_f32_e32 vcc, v5, v5
	v_mov_b32_e32 v5, 0x7fc0
	v_cndmask_b32_sdwa v4, v5, v4, vcc dst_sel:DWORD dst_unused:UNUSED_PAD src0_sel:DWORD src1_sel:WORD_1
.LBB142_1390:
	s_mov_b64 s[24:25], -1
.LBB142_1391:
	s_branch .LBB142_1424
.LBB142_1392:
	s_cmp_gt_i32 s35, 22
	s_cbranch_scc0 .LBB142_1402
; %bb.1393:
	s_cmp_lt_i32 s35, 24
	s_cbranch_scc1 .LBB142_1405
; %bb.1394:
	s_cmp_gt_i32 s35, 24
	s_cbranch_scc0 .LBB142_1406
; %bb.1395:
	global_load_ubyte v4, v[0:1], off
	s_movk_i32 s24, 0x7f
	s_waitcnt vmcnt(0)
	v_cmp_lt_i16_e32 vcc, s24, v4
	s_mov_b64 s[24:25], 0
	s_and_saveexec_b64 s[26:27], vcc
	s_xor_b64 s[26:27], exec, s[26:27]
	s_cbranch_execz .LBB142_1418
; %bb.1396:
	s_movk_i32 s24, 0x80
	v_cmp_eq_u16_e32 vcc, s24, v4
	s_mov_b64 s[24:25], -1
	s_and_saveexec_b64 s[28:29], vcc
; %bb.1397:
	s_xor_b64 s[24:25], exec, -1
; %bb.1398:
	s_or_b64 exec, exec, s[28:29]
	s_and_b64 s[24:25], s[24:25], exec
	s_or_saveexec_b64 s[26:27], s[26:27]
	v_mov_b32_e32 v5, 0x7f800001
	s_xor_b64 exec, exec, s[26:27]
	s_cbranch_execnz .LBB142_1419
.LBB142_1399:
	s_or_b64 exec, exec, s[26:27]
	s_and_saveexec_b64 s[26:27], s[24:25]
	s_cbranch_execz .LBB142_1401
.LBB142_1400:
	v_lshlrev_b32_e32 v5, 24, v4
	v_and_b32_e32 v4, 0xffff, v4
	v_and_b32_e32 v6, 3, v4
	v_ffbh_u32_e32 v8, v6
	v_min_u32_e32 v8, 32, v8
	v_subrev_u32_e32 v9, 29, v8
	v_bfe_u32 v7, v4, 2, 5
	v_lshlrev_b32_e32 v4, v9, v4
	v_sub_u32_e32 v8, 30, v8
	v_and_b32_e32 v4, 3, v4
	v_cmp_eq_u32_e32 vcc, 0, v7
	v_cndmask_b32_e32 v7, v7, v8, vcc
	v_cndmask_b32_e32 v4, v6, v4, vcc
	v_mov_b32_e32 v6, 0x37800000
	v_lshlrev_b32_e32 v4, 21, v4
	v_and_b32_e32 v5, 0x80000000, v5
	v_lshl_add_u32 v6, v7, 23, v6
	v_or3_b32 v5, v5, v6, v4
.LBB142_1401:
	s_or_b64 exec, exec, s[26:27]
	v_bfe_u32 v4, v5, 16, 1
	s_movk_i32 s24, 0x7fff
	v_add3_u32 v4, v5, v4, s24
	v_cmp_o_f32_e32 vcc, v5, v5
	v_mov_b32_e32 v5, 0x7fc0
	v_cndmask_b32_sdwa v4, v5, v4, vcc dst_sel:DWORD dst_unused:UNUSED_PAD src0_sel:DWORD src1_sel:WORD_1
	s_mov_b64 s[24:25], 0
	s_branch .LBB142_1407
.LBB142_1402:
	s_mov_b64 s[26:27], -1
                                        ; implicit-def: $vgpr4
	s_branch .LBB142_1413
.LBB142_1403:
	s_or_saveexec_b64 s[28:29], s[28:29]
	v_mov_b32_e32 v5, 0x7f800001
	s_xor_b64 exec, exec, s[28:29]
	s_cbranch_execz .LBB142_1387
.LBB142_1404:
	v_cmp_ne_u16_e32 vcc, 0, v4
	s_andn2_b64 s[24:25], s[24:25], exec
	s_and_b64 s[30:31], vcc, exec
	v_mov_b32_e32 v5, 0
	s_or_b64 s[24:25], s[24:25], s[30:31]
	s_or_b64 exec, exec, s[28:29]
	s_and_saveexec_b64 s[28:29], s[24:25]
	s_cbranch_execnz .LBB142_1388
	s_branch .LBB142_1389
.LBB142_1405:
	s_mov_b64 s[24:25], -1
                                        ; implicit-def: $vgpr4
	s_branch .LBB142_1410
.LBB142_1406:
	s_mov_b64 s[24:25], -1
                                        ; implicit-def: $vgpr4
.LBB142_1407:
	s_and_b64 vcc, exec, s[24:25]
	s_cbranch_vccz .LBB142_1409
; %bb.1408:
	global_load_ubyte v4, v[0:1], off
	s_mov_b32 s24, 0x7f800000
	s_brev_b32 s25, 1
	s_movk_i32 s26, 0x7fff
	s_waitcnt vmcnt(0)
	v_lshlrev_b32_e32 v4, 24, v4
	v_and_b32_e32 v5, 0x7f000000, v4
	v_ffbh_u32_e32 v6, v5
	v_min_u32_e32 v6, 32, v6
	v_sub_u32_e64 v6, v6, 4 clamp
	v_lshlrev_b32_e32 v8, v6, v5
	v_lshlrev_b32_e32 v6, 23, v6
	v_lshrrev_b32_e32 v8, 4, v8
	v_add_u32_e32 v7, 0x1000000, v5
	v_sub_u32_e32 v6, v8, v6
	v_ashrrev_i32_e32 v7, 8, v7
	v_add_u32_e32 v6, 0x3c000000, v6
	v_and_or_b32 v6, v7, s24, v6
	v_cmp_ne_u32_e32 vcc, 0, v5
	v_cndmask_b32_e32 v5, 0, v6, vcc
	v_and_or_b32 v4, v4, s25, v5
	v_bfe_u32 v5, v5, 16, 1
	v_add3_u32 v5, v4, v5, s26
	v_cmp_o_f32_e32 vcc, v4, v4
	v_mov_b32_e32 v4, 0x7fc0
	v_cndmask_b32_sdwa v4, v4, v5, vcc dst_sel:DWORD dst_unused:UNUSED_PAD src0_sel:DWORD src1_sel:WORD_1
.LBB142_1409:
	s_mov_b64 s[24:25], 0
.LBB142_1410:
	s_andn2_b64 vcc, exec, s[24:25]
	s_cbranch_vccnz .LBB142_1412
; %bb.1411:
	global_load_ubyte v4, v[0:1], off
	s_movk_i32 s24, 0x7f00
	s_brev_b32 s25, 16
	s_brev_b32 s26, 1
	s_movk_i32 s27, 0x7fff
	s_waitcnt vmcnt(0)
	v_lshlrev_b16_e32 v5, 8, v4
	v_lshlrev_b32_e32 v4, 25, v4
	v_lshrrev_b32_e32 v6, 4, v4
	v_and_or_b32 v7, v5, s24, 0.5
	v_or_b32_e32 v6, 0x70000000, v6
	v_add_f32_e32 v7, -0.5, v7
	v_mul_f32_e32 v6, 0x7800000, v6
	v_cmp_gt_u32_e32 vcc, s25, v4
	v_bfe_i32 v5, v5, 0, 16
	v_cndmask_b32_e32 v4, v6, v7, vcc
	v_and_or_b32 v5, v5, s26, v4
	v_bfe_u32 v4, v4, 16, 1
	v_add3_u32 v4, v5, v4, s27
	v_cmp_o_f32_e32 vcc, v5, v5
	v_mov_b32_e32 v5, 0x7fc0
	v_cndmask_b32_sdwa v4, v5, v4, vcc dst_sel:DWORD dst_unused:UNUSED_PAD src0_sel:DWORD src1_sel:WORD_1
.LBB142_1412:
	s_mov_b64 s[26:27], 0
	s_mov_b64 s[24:25], -1
.LBB142_1413:
	s_andn2_b64 vcc, exec, s[26:27]
	s_mov_b64 s[26:27], 0
	s_cbranch_vccnz .LBB142_1424
; %bb.1414:
	s_cmp_gt_i32 s35, 14
	s_cbranch_scc0 .LBB142_1417
; %bb.1415:
	s_cmp_eq_u32 s35, 15
	s_cbranch_scc0 .LBB142_1420
; %bb.1416:
	global_load_ushort v4, v[0:1], off
	s_mov_b64 s[20:21], 0
	s_mov_b64 s[24:25], -1
	s_branch .LBB142_1421
.LBB142_1417:
	s_mov_b64 s[28:29], -1
                                        ; implicit-def: $vgpr4
	s_branch .LBB142_1422
.LBB142_1418:
	s_or_saveexec_b64 s[26:27], s[26:27]
	v_mov_b32_e32 v5, 0x7f800001
	s_xor_b64 exec, exec, s[26:27]
	s_cbranch_execz .LBB142_1399
.LBB142_1419:
	v_cmp_ne_u16_e32 vcc, 0, v4
	s_andn2_b64 s[24:25], s[24:25], exec
	s_and_b64 s[28:29], vcc, exec
	v_mov_b32_e32 v5, 0
	s_or_b64 s[24:25], s[24:25], s[28:29]
	s_or_b64 exec, exec, s[26:27]
	s_and_saveexec_b64 s[26:27], s[24:25]
	s_cbranch_execnz .LBB142_1400
	s_branch .LBB142_1401
.LBB142_1420:
	s_mov_b64 s[20:21], -1
                                        ; implicit-def: $vgpr4
.LBB142_1421:
	s_mov_b64 s[28:29], 0
.LBB142_1422:
	s_and_b64 vcc, exec, s[28:29]
	s_cbranch_vccz .LBB142_1424
; %bb.1423:
	s_cmp_lg_u32 s35, 11
	s_cselect_b64 s[28:29], -1, 0
	s_andn2_b64 s[20:21], s[20:21], exec
	s_and_b64 s[28:29], s[28:29], exec
	s_mov_b64 s[26:27], -1
	s_or_b64 s[20:21], s[20:21], s[28:29]
.LBB142_1424:
	s_mov_b64 s[28:29], 0
.LBB142_1425:
	s_andn2_b64 s[18:19], s[18:19], exec
	s_and_b64 s[20:21], s[20:21], exec
	s_and_b64 s[24:25], s[24:25], exec
	;; [unrolled: 1-line block ×4, first 2 shown]
	s_or_b64 s[18:19], s[18:19], s[20:21]
	s_or_b64 exec, exec, s[0:1]
	s_and_saveexec_b64 s[0:1], s[18:19]
	s_cbranch_execz .LBB142_1354
.LBB142_1426:
	s_or_b64 s[22:23], s[22:23], exec
	s_andn2_b64 s[26:27], s[26:27], exec
	s_trap 2
	s_or_b64 exec, exec, s[0:1]
	s_and_saveexec_b64 s[0:1], s[26:27]
	s_xor_b64 s[0:1], exec, s[0:1]
	s_cbranch_execnz .LBB142_1355
.LBB142_1427:
	s_or_b64 exec, exec, s[0:1]
	s_and_saveexec_b64 s[0:1], s[30:31]
	s_cbranch_execz .LBB142_1473
.LBB142_1428:
	s_sext_i32_i16 s18, s34
	s_cmp_lt_i32 s18, 5
	s_cbranch_scc1 .LBB142_1433
; %bb.1429:
	s_cmp_lt_i32 s18, 8
	s_cbranch_scc1 .LBB142_1434
; %bb.1430:
	;; [unrolled: 3-line block ×3, first 2 shown]
	s_cmp_gt_i32 s18, 9
	s_cbranch_scc0 .LBB142_1436
; %bb.1432:
	global_load_dwordx2 v[4:5], v[0:1], off
	s_movk_i32 s18, 0x7fff
	s_waitcnt vmcnt(0)
	v_cvt_f32_f64_e32 v4, v[4:5]
	v_mov_b32_e32 v5, 0x7fc0
	v_bfe_u32 v6, v4, 16, 1
	v_cmp_o_f32_e32 vcc, v4, v4
	v_add3_u32 v4, v4, v6, s18
	v_cndmask_b32_sdwa v4, v5, v4, vcc dst_sel:DWORD dst_unused:UNUSED_PAD src0_sel:DWORD src1_sel:WORD_1
	s_mov_b64 s[18:19], 0
	s_branch .LBB142_1437
.LBB142_1433:
                                        ; implicit-def: $vgpr4
	s_branch .LBB142_1454
.LBB142_1434:
                                        ; implicit-def: $vgpr4
	s_branch .LBB142_1443
.LBB142_1435:
	s_mov_b64 s[18:19], -1
                                        ; implicit-def: $vgpr4
	s_branch .LBB142_1440
.LBB142_1436:
	s_mov_b64 s[18:19], -1
                                        ; implicit-def: $vgpr4
.LBB142_1437:
	s_andn2_b64 vcc, exec, s[18:19]
	s_cbranch_vccnz .LBB142_1439
; %bb.1438:
	global_load_dword v4, v[0:1], off
	s_movk_i32 s18, 0x7fff
	v_mov_b32_e32 v5, 0x7fc0
	s_waitcnt vmcnt(0)
	v_bfe_u32 v6, v4, 16, 1
	v_cmp_o_f32_e32 vcc, v4, v4
	v_add3_u32 v4, v4, v6, s18
	v_cndmask_b32_sdwa v4, v5, v4, vcc dst_sel:DWORD dst_unused:UNUSED_PAD src0_sel:DWORD src1_sel:WORD_1
.LBB142_1439:
	s_mov_b64 s[18:19], 0
.LBB142_1440:
	s_andn2_b64 vcc, exec, s[18:19]
	s_cbranch_vccnz .LBB142_1442
; %bb.1441:
	global_load_dword v4, v[0:1], off
	s_movk_i32 s18, 0x7fff
	v_mov_b32_e32 v6, 0x7fc0
	s_waitcnt vmcnt(0)
	v_cvt_f32_f16_e32 v5, v4
	v_cmp_o_f16_e32 vcc, v4, v4
	v_bfe_u32 v4, v5, 16, 1
	v_add3_u32 v4, v5, v4, s18
	v_cndmask_b32_sdwa v4, v6, v4, vcc dst_sel:DWORD dst_unused:UNUSED_PAD src0_sel:DWORD src1_sel:WORD_1
.LBB142_1442:
	s_cbranch_execnz .LBB142_1453
.LBB142_1443:
	s_sext_i32_i16 s18, s34
	s_cmp_lt_i32 s18, 6
	s_cbranch_scc1 .LBB142_1446
; %bb.1444:
	s_cmp_gt_i32 s18, 6
	s_cbranch_scc0 .LBB142_1447
; %bb.1445:
	global_load_dwordx2 v[4:5], v[0:1], off
	s_movk_i32 s18, 0x7fff
	s_waitcnt vmcnt(0)
	v_cvt_f32_f64_e32 v4, v[4:5]
	v_mov_b32_e32 v5, 0x7fc0
	v_bfe_u32 v6, v4, 16, 1
	v_cmp_o_f32_e32 vcc, v4, v4
	v_add3_u32 v4, v4, v6, s18
	v_cndmask_b32_sdwa v4, v5, v4, vcc dst_sel:DWORD dst_unused:UNUSED_PAD src0_sel:DWORD src1_sel:WORD_1
	s_mov_b64 s[18:19], 0
	s_branch .LBB142_1448
.LBB142_1446:
	s_mov_b64 s[18:19], -1
                                        ; implicit-def: $vgpr4
	s_branch .LBB142_1451
.LBB142_1447:
	s_mov_b64 s[18:19], -1
                                        ; implicit-def: $vgpr4
.LBB142_1448:
	s_andn2_b64 vcc, exec, s[18:19]
	s_cbranch_vccnz .LBB142_1450
; %bb.1449:
	global_load_dword v4, v[0:1], off
	s_movk_i32 s18, 0x7fff
	v_mov_b32_e32 v5, 0x7fc0
	s_waitcnt vmcnt(0)
	v_bfe_u32 v6, v4, 16, 1
	v_cmp_o_f32_e32 vcc, v4, v4
	v_add3_u32 v4, v4, v6, s18
	v_cndmask_b32_sdwa v4, v5, v4, vcc dst_sel:DWORD dst_unused:UNUSED_PAD src0_sel:DWORD src1_sel:WORD_1
.LBB142_1450:
	s_mov_b64 s[18:19], 0
.LBB142_1451:
	s_andn2_b64 vcc, exec, s[18:19]
	s_cbranch_vccnz .LBB142_1453
; %bb.1452:
	global_load_ushort v4, v[0:1], off
	s_movk_i32 s18, 0x7fff
	v_mov_b32_e32 v6, 0x7fc0
	s_waitcnt vmcnt(0)
	v_cvt_f32_f16_e32 v5, v4
	v_cmp_o_f16_e32 vcc, v4, v4
	v_bfe_u32 v4, v5, 16, 1
	v_add3_u32 v4, v5, v4, s18
	v_cndmask_b32_sdwa v4, v6, v4, vcc dst_sel:DWORD dst_unused:UNUSED_PAD src0_sel:DWORD src1_sel:WORD_1
.LBB142_1453:
	s_cbranch_execnz .LBB142_1472
.LBB142_1454:
	s_sext_i32_i16 s18, s34
	s_cmp_lt_i32 s18, 2
	s_cbranch_scc1 .LBB142_1458
; %bb.1455:
	s_cmp_lt_i32 s18, 3
	s_cbranch_scc1 .LBB142_1459
; %bb.1456:
	s_cmp_gt_i32 s18, 3
	s_cbranch_scc0 .LBB142_1460
; %bb.1457:
	global_load_dwordx2 v[4:5], v[0:1], off
	s_movk_i32 s18, 0x7fff
	s_waitcnt vmcnt(0)
	v_xor_b32_e32 v7, v4, v5
	v_ffbh_i32_e32 v6, v5
	v_ashrrev_i32_e32 v7, 31, v7
	v_add_u32_e32 v6, -1, v6
	v_add_u32_e32 v7, 32, v7
	v_min_u32_e32 v6, v6, v7
	v_lshlrev_b64 v[4:5], v6, v[4:5]
	v_min_u32_e32 v4, 1, v4
	v_or_b32_e32 v4, v5, v4
	v_cvt_f32_i32_e32 v4, v4
	v_sub_u32_e32 v5, 32, v6
	v_ldexp_f32 v4, v4, v5
	v_bfe_u32 v5, v4, 16, 1
	v_add3_u32 v4, v4, v5, s18
	v_lshrrev_b32_e32 v4, 16, v4
	s_mov_b64 s[18:19], 0
	s_branch .LBB142_1461
.LBB142_1458:
                                        ; implicit-def: $vgpr4
	s_branch .LBB142_1467
.LBB142_1459:
	s_mov_b64 s[18:19], -1
                                        ; implicit-def: $vgpr4
	s_branch .LBB142_1464
.LBB142_1460:
	s_mov_b64 s[18:19], -1
                                        ; implicit-def: $vgpr4
.LBB142_1461:
	s_andn2_b64 vcc, exec, s[18:19]
	s_cbranch_vccnz .LBB142_1463
; %bb.1462:
	global_load_dword v4, v[0:1], off
	s_movk_i32 s18, 0x7fff
	s_waitcnt vmcnt(0)
	v_cvt_f32_i32_e32 v4, v4
	v_bfe_u32 v5, v4, 16, 1
	v_add3_u32 v4, v4, v5, s18
	v_lshrrev_b32_e32 v4, 16, v4
.LBB142_1463:
	s_mov_b64 s[18:19], 0
.LBB142_1464:
	s_andn2_b64 vcc, exec, s[18:19]
	s_cbranch_vccnz .LBB142_1466
; %bb.1465:
	global_load_sshort v4, v[0:1], off
	s_movk_i32 s18, 0x7fff
	s_waitcnt vmcnt(0)
	v_cvt_f32_i32_e32 v4, v4
	v_bfe_u32 v5, v4, 16, 1
	v_add3_u32 v4, v4, v5, s18
	v_lshrrev_b32_e32 v4, 16, v4
.LBB142_1466:
	s_cbranch_execnz .LBB142_1472
.LBB142_1467:
	s_sext_i32_i16 s18, s34
	s_cmp_gt_i32 s18, 0
	s_cbranch_scc0 .LBB142_1469
; %bb.1468:
	global_load_sbyte v4, v[0:1], off
	s_movk_i32 s18, 0x7fff
	s_waitcnt vmcnt(0)
	v_cvt_f32_i32_e32 v4, v4
	v_bfe_u32 v5, v4, 16, 1
	v_add3_u32 v4, v4, v5, s18
	v_lshrrev_b32_e32 v4, 16, v4
	s_mov_b64 s[18:19], 0
	s_branch .LBB142_1470
.LBB142_1469:
	s_mov_b64 s[18:19], -1
                                        ; implicit-def: $vgpr4
.LBB142_1470:
	s_andn2_b64 vcc, exec, s[18:19]
	s_cbranch_vccnz .LBB142_1472
; %bb.1471:
	global_load_ubyte v0, v[0:1], off
	s_movk_i32 s18, 0x7fff
	s_waitcnt vmcnt(0)
	v_cvt_f32_ubyte0_e32 v0, v0
	v_bfe_u32 v1, v0, 16, 1
	v_add3_u32 v0, v0, v1, s18
	v_lshrrev_b32_e32 v4, 16, v0
.LBB142_1472:
	s_or_b64 s[24:25], s[24:25], exec
.LBB142_1473:
	s_or_b64 exec, exec, s[0:1]
	s_mov_b64 s[28:29], 0
	s_mov_b64 s[26:27], 0
                                        ; implicit-def: $sgpr18_sgpr19
                                        ; implicit-def: $sgpr34
                                        ; implicit-def: $vgpr0_vgpr1
	s_and_saveexec_b64 s[20:21], s[24:25]
	s_cbranch_execz .LBB142_1478
; %bb.1474:
	s_waitcnt vmcnt(0)
	v_lshlrev_b32_e32 v0, 16, v3
	v_lshlrev_b32_e32 v1, 16, v4
	s_cmp_lt_i32 s15, 1
	s_mov_b64 s[0:1], 0
	s_cbranch_scc1 .LBB142_1481
; %bb.1475:
	s_cmp_gt_i32 s15, 1
	s_cbranch_scc0 .LBB142_1482
; %bb.1476:
	s_cmp_eq_u32 s15, 2
	s_cbranch_scc0 .LBB142_1483
; %bb.1477:
	v_cmp_le_f32_e64 s[18:19], v0, v1
	s_mov_b64 s[24:25], 0
	s_branch .LBB142_1485
.LBB142_1478:
	s_or_b64 exec, exec, s[20:21]
	s_and_saveexec_b64 s[0:1], s[16:17]
	s_cbranch_execnz .LBB142_1570
.LBB142_1479:
	s_or_b64 exec, exec, s[0:1]
	s_and_saveexec_b64 s[0:1], s[28:29]
	s_xor_b64 s[0:1], exec, s[0:1]
	s_cbranch_execz .LBB142_1571
.LBB142_1480:
	v_cndmask_b32_e64 v2, 0, 1, s[18:19]
	global_store_byte v[0:1], v2, off
	s_or_b64 exec, exec, s[0:1]
	s_and_saveexec_b64 s[0:1], s[26:27]
	s_xor_b64 s[0:1], exec, s[0:1]
	s_cbranch_execz .LBB142_1609
	s_branch .LBB142_1572
.LBB142_1481:
                                        ; implicit-def: $sgpr18_sgpr19
	s_mov_b64 s[24:25], 0
	s_cbranch_execnz .LBB142_1488
	s_branch .LBB142_1489
.LBB142_1482:
	s_mov_b64 s[26:27], -1
	s_mov_b64 s[24:25], 0
	s_branch .LBB142_1484
.LBB142_1483:
	s_mov_b64 s[24:25], -1
.LBB142_1484:
                                        ; implicit-def: $sgpr18_sgpr19
.LBB142_1485:
	s_and_b64 vcc, exec, s[26:27]
	s_cbranch_vccz .LBB142_1487
; %bb.1486:
	v_cmp_gt_f32_e32 vcc, v0, v1
	s_andn2_b64 s[18:19], s[18:19], exec
	s_and_b64 s[26:27], vcc, exec
	s_or_b64 s[18:19], s[18:19], s[26:27]
.LBB142_1487:
	s_branch .LBB142_1489
.LBB142_1488:
	s_cmp_lg_u32 s15, 0
	s_mov_b64 s[0:1], -1
	s_cselect_b64 s[24:25], -1, 0
.LBB142_1489:
	s_andn2_b64 vcc, exec, s[24:25]
	s_cbranch_vccnz .LBB142_1491
; %bb.1490:
	v_cmp_lt_f32_e32 vcc, v0, v1
	s_andn2_b64 s[18:19], s[18:19], exec
	s_and_b64 s[24:25], vcc, exec
	s_or_b64 s[18:19], s[18:19], s[24:25]
	s_cbranch_execz .LBB142_1492
	s_branch .LBB142_1493
.LBB142_1491:
	s_andn2_b64 vcc, exec, s[0:1]
	s_cbranch_vccnz .LBB142_1493
.LBB142_1492:
	v_cmp_ge_f32_e32 vcc, v0, v1
	s_andn2_b64 s[0:1], s[18:19], exec
	s_and_b64 s[18:19], vcc, exec
	s_or_b64 s[18:19], s[0:1], s[18:19]
.LBB142_1493:
	v_mul_lo_u32 v0, v2, s12
	v_mov_b32_e32 v1, s9
	s_and_b32 s34, s33, 0xff
	s_cmp_lt_i32 s34, 11
	v_ashrrev_i32_e32 v2, 31, v0
	v_add_co_u32_e32 v0, vcc, s8, v0
	v_addc_co_u32_e32 v1, vcc, v1, v2, vcc
	s_cbranch_scc1 .LBB142_1567
; %bb.1494:
	s_and_b32 s35, 0xffff, s34
	s_mov_b64 s[26:27], -1
	s_cmp_gt_i32 s35, 25
	s_mov_b64 s[0:1], s[16:17]
	s_cbranch_scc0 .LBB142_1527
; %bb.1495:
	s_mov_b64 s[24:25], -1
	s_cmp_gt_i32 s35, 28
	s_mov_b64 s[0:1], s[16:17]
	s_cbranch_scc0 .LBB142_1511
; %bb.1496:
	s_cmp_gt_i32 s35, 43
	s_mov_b64 s[0:1], s[16:17]
	s_cbranch_scc0 .LBB142_1507
; %bb.1497:
	;; [unrolled: 4-line block ×3, first 2 shown]
	s_cmp_eq_u32 s35, 46
	s_mov_b64 s[0:1], -1
	s_cbranch_scc0 .LBB142_1500
; %bb.1499:
	v_cndmask_b32_e64 v2, 0, 1.0, s[18:19]
	v_bfe_u32 v3, v2, 16, 1
	s_movk_i32 s0, 0x7fff
	v_add3_u32 v2, v2, v3, s0
	v_lshrrev_b32_e32 v2, 16, v2
	global_store_dword v[0:1], v2, off
	s_mov_b64 s[0:1], 0
.LBB142_1500:
	s_mov_b64 s[24:25], 0
.LBB142_1501:
	s_and_b64 vcc, exec, s[24:25]
	s_cbranch_vccz .LBB142_1506
; %bb.1502:
	s_cmp_eq_u32 s35, 44
	s_mov_b64 s[0:1], -1
	s_cbranch_scc0 .LBB142_1506
; %bb.1503:
	v_cndmask_b32_e64 v3, 0, 1.0, s[18:19]
	v_lshrrev_b32_e32 v2, 23, v3
	s_movk_i32 s0, 0xff
	v_cmp_ne_u32_e32 vcc, s0, v2
	v_mov_b32_e32 v4, 0xff
	s_and_saveexec_b64 s[24:25], vcc
; %bb.1504:
	s_mov_b32 s0, 0x3fffff
	v_and_b32_e32 v4, 0x400000, v3
	v_and_or_b32 v3, v3, s0, v2
	v_cmp_ne_u32_e32 vcc, 0, v4
	v_cmp_ne_u32_e64 s[0:1], 0, v3
	s_and_b64 s[0:1], vcc, s[0:1]
	v_cndmask_b32_e64 v3, 0, 1, s[0:1]
	v_add_u32_e32 v4, v2, v3
; %bb.1505:
	s_or_b64 exec, exec, s[24:25]
	s_mov_b64 s[0:1], 0
	global_store_byte v[0:1], v4, off
.LBB142_1506:
	s_mov_b64 s[24:25], 0
.LBB142_1507:
	s_and_b64 vcc, exec, s[24:25]
	s_cbranch_vccz .LBB142_1510
; %bb.1508:
	s_cmp_eq_u32 s35, 29
	s_mov_b64 s[0:1], -1
	s_cbranch_scc0 .LBB142_1510
; %bb.1509:
	s_mov_b32 s0, 0
	v_cndmask_b32_e64 v2, 0, 1, s[18:19]
	v_mov_b32_e32 v3, s0
	global_store_dwordx2 v[0:1], v[2:3], off
	s_mov_b64 s[0:1], 0
.LBB142_1510:
	s_mov_b64 s[24:25], 0
.LBB142_1511:
	s_and_b64 vcc, exec, s[24:25]
	s_cbranch_vccz .LBB142_1526
; %bb.1512:
	s_cmp_lt_i32 s35, 27
	s_mov_b64 s[24:25], -1
	s_cbranch_scc1 .LBB142_1518
; %bb.1513:
	s_cmp_gt_i32 s35, 27
	v_cndmask_b32_e64 v2, 0, 1, s[18:19]
	s_cbranch_scc0 .LBB142_1515
; %bb.1514:
	s_mov_b64 s[24:25], 0
	global_store_dword v[0:1], v2, off
.LBB142_1515:
	s_andn2_b64 vcc, exec, s[24:25]
	s_cbranch_vccnz .LBB142_1517
; %bb.1516:
	global_store_short v[0:1], v2, off
.LBB142_1517:
	s_mov_b64 s[24:25], 0
.LBB142_1518:
	s_andn2_b64 vcc, exec, s[24:25]
	s_cbranch_vccnz .LBB142_1526
; %bb.1519:
	v_cndmask_b32_e64 v3, 0, 1.0, s[18:19]
	s_mov_b32 s24, 0x43800000
	v_cmp_gt_u32_e32 vcc, s24, v3
	v_mov_b32_e32 v4, 0x80
	s_and_saveexec_b64 s[24:25], vcc
	s_cbranch_execz .LBB142_1525
; %bb.1520:
	s_mov_b32 s26, 0x3bffffff
	v_cmp_lt_u32_e32 vcc, s26, v3
	s_mov_b64 s[26:27], 0
                                        ; implicit-def: $vgpr2
	s_and_saveexec_b64 s[28:29], vcc
	s_xor_b64 s[28:29], exec, s[28:29]
	s_cbranch_execz .LBB142_1624
; %bb.1521:
	v_bfe_u32 v2, v3, 20, 1
	s_mov_b32 s30, 0x487ffff
	v_add3_u32 v2, v3, v2, s30
	s_mov_b64 s[26:27], exec
	v_lshrrev_b32_e32 v2, 20, v2
                                        ; implicit-def: $vgpr3
	s_andn2_saveexec_b64 s[28:29], s[28:29]
	s_cbranch_execnz .LBB142_1625
.LBB142_1522:
	s_or_b64 exec, exec, s[28:29]
	v_mov_b32_e32 v4, 0
	s_and_saveexec_b64 s[28:29], s[26:27]
.LBB142_1523:
	v_mov_b32_e32 v4, v2
.LBB142_1524:
	s_or_b64 exec, exec, s[28:29]
.LBB142_1525:
	s_or_b64 exec, exec, s[24:25]
	global_store_byte v[0:1], v4, off
.LBB142_1526:
	s_mov_b64 s[26:27], 0
.LBB142_1527:
	s_mov_b64 s[24:25], 0
	s_and_b64 vcc, exec, s[26:27]
	s_cbranch_vccz .LBB142_1568
; %bb.1528:
	s_cmp_gt_i32 s35, 22
	s_mov_b64 s[26:27], -1
	s_cbranch_scc0 .LBB142_1560
; %bb.1529:
	s_cmp_lt_i32 s35, 24
	s_cbranch_scc1 .LBB142_1549
; %bb.1530:
	s_cmp_gt_i32 s35, 24
	s_cbranch_scc0 .LBB142_1538
; %bb.1531:
	v_cndmask_b32_e64 v3, 0, 1.0, s[18:19]
	s_mov_b32 s26, 0x47800000
	v_cmp_gt_u32_e32 vcc, s26, v3
	v_mov_b32_e32 v4, 0x80
	s_and_saveexec_b64 s[26:27], vcc
	s_cbranch_execz .LBB142_1537
; %bb.1532:
	s_mov_b32 s28, 0x37ffffff
	v_cmp_lt_u32_e32 vcc, s28, v3
	s_mov_b64 s[28:29], 0
                                        ; implicit-def: $vgpr2
	s_and_saveexec_b64 s[30:31], vcc
	s_xor_b64 s[30:31], exec, s[30:31]
	s_cbranch_execz .LBB142_1748
; %bb.1533:
	v_bfe_u32 v2, v3, 21, 1
	s_mov_b32 s36, 0x88fffff
	v_add3_u32 v2, v3, v2, s36
	s_mov_b64 s[28:29], exec
	v_lshrrev_b32_e32 v2, 21, v2
                                        ; implicit-def: $vgpr3
	s_andn2_saveexec_b64 s[30:31], s[30:31]
	s_cbranch_execnz .LBB142_1749
.LBB142_1534:
	s_or_b64 exec, exec, s[30:31]
	v_mov_b32_e32 v4, 0
	s_and_saveexec_b64 s[30:31], s[28:29]
.LBB142_1535:
	v_mov_b32_e32 v4, v2
.LBB142_1536:
	s_or_b64 exec, exec, s[30:31]
.LBB142_1537:
	s_or_b64 exec, exec, s[26:27]
	s_mov_b64 s[26:27], 0
	global_store_byte v[0:1], v4, off
.LBB142_1538:
	s_and_b64 vcc, exec, s[26:27]
	s_cbranch_vccz .LBB142_1548
; %bb.1539:
	v_cndmask_b32_e64 v2, 0, 1.0, s[18:19]
	s_mov_b32 s26, 0x43f00000
	v_cmp_gt_u32_e32 vcc, s26, v2
                                        ; implicit-def: $vgpr3
	s_and_saveexec_b64 s[26:27], vcc
	s_xor_b64 s[26:27], exec, s[26:27]
	s_cbranch_execz .LBB142_1545
; %bb.1540:
	s_mov_b32 s28, 0x3c7fffff
	v_cmp_lt_u32_e32 vcc, s28, v2
                                        ; implicit-def: $vgpr3
	s_and_saveexec_b64 s[28:29], vcc
	s_xor_b64 s[28:29], exec, s[28:29]
; %bb.1541:
	v_bfe_u32 v3, v2, 20, 1
	s_mov_b32 s30, 0x407ffff
	v_add3_u32 v2, v2, v3, s30
	v_lshrrev_b32_e32 v3, 20, v2
	v_and_b32_e32 v2, 0xff00000, v2
	s_mov_b32 s30, 0x7f00000
	v_mov_b32_e32 v4, 0x7e
	v_cmp_ne_u32_e32 vcc, s30, v2
	v_cndmask_b32_e32 v3, v4, v3, vcc
                                        ; implicit-def: $vgpr2
; %bb.1542:
	s_andn2_saveexec_b64 s[28:29], s[28:29]
; %bb.1543:
	v_add_f32_e32 v3, 0x46800000, v2
; %bb.1544:
	s_or_b64 exec, exec, s[28:29]
                                        ; implicit-def: $vgpr2
.LBB142_1545:
	s_andn2_saveexec_b64 s[26:27], s[26:27]
; %bb.1546:
	s_mov_b32 s28, 0x7f800000
	v_mov_b32_e32 v3, 0x7e
	v_mov_b32_e32 v4, 0x7f
	v_cmp_lt_u32_e32 vcc, s28, v2
	v_cndmask_b32_e32 v3, v3, v4, vcc
; %bb.1547:
	s_or_b64 exec, exec, s[26:27]
	global_store_byte v[0:1], v3, off
.LBB142_1548:
	s_mov_b64 s[26:27], 0
.LBB142_1549:
	s_andn2_b64 vcc, exec, s[26:27]
	s_cbranch_vccnz .LBB142_1559
; %bb.1550:
	v_cndmask_b32_e64 v2, 0, 1.0, s[18:19]
	s_mov_b32 s26, 0x47800000
	v_cmp_gt_u32_e32 vcc, s26, v2
                                        ; implicit-def: $vgpr3
	s_and_saveexec_b64 s[26:27], vcc
	s_xor_b64 s[26:27], exec, s[26:27]
	s_cbranch_execz .LBB142_1556
; %bb.1551:
	s_mov_b32 s28, 0x387fffff
	v_cmp_lt_u32_e32 vcc, s28, v2
                                        ; implicit-def: $vgpr3
	s_and_saveexec_b64 s[28:29], vcc
	s_xor_b64 s[28:29], exec, s[28:29]
; %bb.1552:
	v_bfe_u32 v3, v2, 21, 1
	s_mov_b32 s30, 0x80fffff
	v_add3_u32 v2, v2, v3, s30
	v_lshrrev_b32_e32 v3, 21, v2
                                        ; implicit-def: $vgpr2
; %bb.1553:
	s_andn2_saveexec_b64 s[28:29], s[28:29]
; %bb.1554:
	v_add_f32_e32 v3, 0x43000000, v2
; %bb.1555:
	s_or_b64 exec, exec, s[28:29]
                                        ; implicit-def: $vgpr2
.LBB142_1556:
	s_andn2_saveexec_b64 s[26:27], s[26:27]
; %bb.1557:
	s_mov_b32 s28, 0x7f800000
	v_mov_b32_e32 v3, 0x7c
	v_mov_b32_e32 v4, 0x7f
	v_cmp_lt_u32_e32 vcc, s28, v2
	v_cndmask_b32_e32 v3, v3, v4, vcc
; %bb.1558:
	s_or_b64 exec, exec, s[26:27]
	global_store_byte v[0:1], v3, off
.LBB142_1559:
	s_mov_b64 s[26:27], 0
.LBB142_1560:
	s_andn2_b64 vcc, exec, s[26:27]
	s_mov_b64 s[28:29], 0
	s_cbranch_vccnz .LBB142_1569
; %bb.1561:
	s_cmp_gt_i32 s35, 14
	s_mov_b64 s[26:27], -1
	s_cbranch_scc0 .LBB142_1565
; %bb.1562:
	s_cmp_eq_u32 s35, 15
	s_mov_b64 s[0:1], -1
	s_cbranch_scc0 .LBB142_1564
; %bb.1563:
	v_cndmask_b32_e64 v2, 0, 1.0, s[18:19]
	v_bfe_u32 v3, v2, 16, 1
	s_movk_i32 s0, 0x7fff
	v_add3_u32 v2, v2, v3, s0
	global_store_short_d16_hi v[0:1], v2, off
	s_mov_b64 s[0:1], 0
.LBB142_1564:
	s_mov_b64 s[26:27], 0
.LBB142_1565:
	s_and_b64 vcc, exec, s[26:27]
	s_cbranch_vccz .LBB142_1569
; %bb.1566:
	s_cmp_lg_u32 s35, 11
	s_cselect_b64 s[26:27], -1, 0
	s_andn2_b64 s[0:1], s[0:1], exec
	s_and_b64 s[26:27], s[26:27], exec
	s_mov_b64 s[28:29], -1
	s_or_b64 s[0:1], s[0:1], s[26:27]
	s_branch .LBB142_1569
.LBB142_1567:
	s_mov_b64 s[24:25], -1
	s_mov_b64 s[0:1], s[16:17]
	s_branch .LBB142_1569
.LBB142_1568:
	s_mov_b64 s[28:29], 0
.LBB142_1569:
	s_andn2_b64 s[16:17], s[16:17], exec
	s_and_b64 s[0:1], s[0:1], exec
	s_and_b64 s[26:27], s[24:25], exec
	;; [unrolled: 1-line block ×3, first 2 shown]
	s_or_b64 s[16:17], s[16:17], s[0:1]
	s_or_b64 exec, exec, s[20:21]
	s_and_saveexec_b64 s[0:1], s[16:17]
	s_cbranch_execz .LBB142_1479
.LBB142_1570:
	s_or_b64 s[22:23], s[22:23], exec
	s_andn2_b64 s[28:29], s[28:29], exec
	s_trap 2
	s_or_b64 exec, exec, s[0:1]
	s_and_saveexec_b64 s[0:1], s[28:29]
	s_xor_b64 s[0:1], exec, s[0:1]
	s_cbranch_execnz .LBB142_1480
.LBB142_1571:
	s_or_b64 exec, exec, s[0:1]
	s_and_saveexec_b64 s[0:1], s[26:27]
	s_xor_b64 s[0:1], exec, s[0:1]
	s_cbranch_execz .LBB142_1609
.LBB142_1572:
	s_sext_i32_i16 s20, s34
	s_cmp_lt_i32 s20, 5
	s_mov_b64 s[16:17], -1
	s_cbranch_scc1 .LBB142_1593
; %bb.1573:
	s_cmp_lt_i32 s20, 8
	s_cbranch_scc1 .LBB142_1583
; %bb.1574:
	s_cmp_lt_i32 s20, 9
	s_cbranch_scc1 .LBB142_1580
; %bb.1575:
	s_cmp_gt_i32 s20, 9
	s_cbranch_scc0 .LBB142_1577
; %bb.1576:
	v_cndmask_b32_e64 v2, 0, 1, s[18:19]
	s_waitcnt vmcnt(0)
	v_cvt_f64_u32_e32 v[2:3], v2
	v_mov_b32_e32 v4, 0
	v_mov_b32_e32 v5, v4
	s_mov_b64 s[16:17], 0
	global_store_dwordx4 v[0:1], v[2:5], off
.LBB142_1577:
	s_andn2_b64 vcc, exec, s[16:17]
	s_cbranch_vccnz .LBB142_1579
; %bb.1578:
	v_cndmask_b32_e64 v2, 0, 1.0, s[18:19]
	s_waitcnt vmcnt(0)
	v_mov_b32_e32 v3, 0
	global_store_dwordx2 v[0:1], v[2:3], off
.LBB142_1579:
	s_mov_b64 s[16:17], 0
.LBB142_1580:
	s_andn2_b64 vcc, exec, s[16:17]
	s_cbranch_vccnz .LBB142_1582
; %bb.1581:
	v_cndmask_b32_e64 v2, 0, 1.0, s[18:19]
	v_cvt_f16_f32_e32 v2, v2
	global_store_dword v[0:1], v2, off
.LBB142_1582:
	s_mov_b64 s[16:17], 0
.LBB142_1583:
	s_andn2_b64 vcc, exec, s[16:17]
	s_cbranch_vccnz .LBB142_1592
; %bb.1584:
	s_sext_i32_i16 s20, s34
	s_cmp_lt_i32 s20, 6
	s_mov_b64 s[16:17], -1
	s_cbranch_scc1 .LBB142_1590
; %bb.1585:
	s_cmp_gt_i32 s20, 6
	s_cbranch_scc0 .LBB142_1587
; %bb.1586:
	v_cndmask_b32_e64 v2, 0, 1, s[18:19]
	s_waitcnt vmcnt(0)
	v_cvt_f64_u32_e32 v[2:3], v2
	s_mov_b64 s[16:17], 0
	global_store_dwordx2 v[0:1], v[2:3], off
.LBB142_1587:
	s_andn2_b64 vcc, exec, s[16:17]
	s_cbranch_vccnz .LBB142_1589
; %bb.1588:
	v_cndmask_b32_e64 v2, 0, 1.0, s[18:19]
	global_store_dword v[0:1], v2, off
.LBB142_1589:
	s_mov_b64 s[16:17], 0
.LBB142_1590:
	s_andn2_b64 vcc, exec, s[16:17]
	s_cbranch_vccnz .LBB142_1592
; %bb.1591:
	v_cndmask_b32_e64 v2, 0, 1.0, s[18:19]
	v_cvt_f16_f32_e32 v2, v2
	global_store_short v[0:1], v2, off
.LBB142_1592:
	s_mov_b64 s[16:17], 0
.LBB142_1593:
	s_andn2_b64 vcc, exec, s[16:17]
	s_cbranch_vccnz .LBB142_1609
; %bb.1594:
	s_sext_i32_i16 s20, s34
	s_cmp_lt_i32 s20, 2
	s_mov_b64 s[16:17], -1
	s_cbranch_scc1 .LBB142_1604
; %bb.1595:
	s_cmp_lt_i32 s20, 3
	s_cbranch_scc1 .LBB142_1601
; %bb.1596:
	s_cmp_gt_i32 s20, 3
	s_cbranch_scc0 .LBB142_1598
; %bb.1597:
	s_mov_b32 s16, 0
	v_cndmask_b32_e64 v2, 0, 1, s[18:19]
	s_waitcnt vmcnt(0)
	v_mov_b32_e32 v3, s16
	s_mov_b64 s[16:17], 0
	global_store_dwordx2 v[0:1], v[2:3], off
.LBB142_1598:
	s_andn2_b64 vcc, exec, s[16:17]
	s_cbranch_vccnz .LBB142_1600
; %bb.1599:
	v_cndmask_b32_e64 v2, 0, 1, s[18:19]
	global_store_dword v[0:1], v2, off
.LBB142_1600:
	s_mov_b64 s[16:17], 0
.LBB142_1601:
	s_andn2_b64 vcc, exec, s[16:17]
	s_cbranch_vccnz .LBB142_1603
; %bb.1602:
	v_cndmask_b32_e64 v2, 0, 1, s[18:19]
	global_store_short v[0:1], v2, off
.LBB142_1603:
	s_mov_b64 s[16:17], 0
.LBB142_1604:
	s_andn2_b64 vcc, exec, s[16:17]
	s_cbranch_vccnz .LBB142_1609
; %bb.1605:
	s_sext_i32_i16 s20, s34
	s_mov_b64 s[16:17], -1
	s_cmp_gt_i32 s20, 0
	v_cndmask_b32_e64 v2, 0, 1, s[18:19]
	s_cbranch_scc0 .LBB142_1607
; %bb.1606:
	s_mov_b64 s[16:17], 0
	global_store_byte v[0:1], v2, off
.LBB142_1607:
	s_andn2_b64 vcc, exec, s[16:17]
	s_cbranch_vccnz .LBB142_1609
; %bb.1608:
	global_store_byte v[0:1], v2, off
.LBB142_1609:
	s_or_b64 exec, exec, s[0:1]
	s_and_b64 s[16:17], s[22:23], exec
                                        ; implicit-def: $vgpr2
.LBB142_1610:
	s_or_saveexec_b64 s[6:7], s[6:7]
	s_mov_b64 s[0:1], 0
                                        ; implicit-def: $sgpr24_sgpr25
                                        ; implicit-def: $sgpr28
                                        ; implicit-def: $vgpr0_vgpr1
	s_xor_b64 exec, exec, s[6:7]
	s_cbranch_execz .LBB142_2701
; %bb.1611:
	s_waitcnt vmcnt(0)
	v_mul_lo_u32 v3, s13, v2
	v_mov_b32_e32 v1, s11
	s_and_b32 s30, s55, 0xff
	s_cmp_lt_i32 s30, 11
	v_ashrrev_i32_e32 v4, 31, v3
	v_add_co_u32_e32 v0, vcc, s10, v3
	v_addc_co_u32_e32 v1, vcc, v1, v4, vcc
	s_cbranch_scc1 .LBB142_1618
; %bb.1612:
	s_and_b32 s24, 0xffff, s30
	s_cmp_gt_i32 s24, 25
	s_cbranch_scc0 .LBB142_1620
; %bb.1613:
	s_cmp_gt_i32 s24, 28
	s_cbranch_scc0 .LBB142_1621
; %bb.1614:
	s_cmp_gt_i32 s24, 43
	s_cbranch_scc0 .LBB142_1622
; %bb.1615:
	s_cmp_gt_i32 s24, 45
	s_cbranch_scc0 .LBB142_1623
; %bb.1616:
	s_cmp_eq_u32 s24, 46
	s_mov_b64 s[18:19], 0
	s_cbranch_scc0 .LBB142_1626
; %bb.1617:
	global_load_dword v5, v[0:1], off
	s_mov_b64 s[20:21], -1
	s_branch .LBB142_1627
.LBB142_1618:
	s_mov_b64 s[20:21], 0
                                        ; implicit-def: $vgpr5
	s_mov_b64 s[18:19], s[16:17]
	s_cbranch_execnz .LBB142_1689
.LBB142_1619:
	s_andn2_b64 vcc, exec, s[20:21]
	s_cbranch_vccz .LBB142_1734
	s_branch .LBB142_2698
.LBB142_1620:
	s_mov_b64 s[20:21], 0
                                        ; implicit-def: $vgpr5
	s_cbranch_execnz .LBB142_1654
	s_branch .LBB142_1685
.LBB142_1621:
	s_mov_b64 s[20:21], 0
                                        ; implicit-def: $vgpr5
	s_cbranch_execz .LBB142_1653
	s_branch .LBB142_1636
.LBB142_1622:
	s_mov_b64 s[20:21], 0
                                        ; implicit-def: $vgpr5
	s_cbranch_execnz .LBB142_1632
	s_branch .LBB142_1635
.LBB142_1623:
	s_mov_b64 s[18:19], -1
	s_mov_b64 s[20:21], 0
                                        ; implicit-def: $vgpr5
	s_branch .LBB142_1627
.LBB142_1624:
	s_andn2_saveexec_b64 s[28:29], s[28:29]
	s_cbranch_execz .LBB142_1522
.LBB142_1625:
	v_add_f32_e32 v2, 0x46000000, v3
	v_and_b32_e32 v2, 0xff, v2
	v_cmp_ne_u32_e32 vcc, 0, v2
	s_andn2_b64 s[26:27], s[26:27], exec
	s_and_b64 s[30:31], vcc, exec
	s_or_b64 s[26:27], s[26:27], s[30:31]
	s_or_b64 exec, exec, s[28:29]
	v_mov_b32_e32 v4, 0
	s_and_saveexec_b64 s[28:29], s[26:27]
	s_cbranch_execnz .LBB142_1523
	s_branch .LBB142_1524
.LBB142_1626:
	s_mov_b64 s[0:1], -1
                                        ; implicit-def: $vgpr5
	s_mov_b64 s[20:21], 0
.LBB142_1627:
	s_and_b64 vcc, exec, s[18:19]
	s_cbranch_vccz .LBB142_1630
; %bb.1628:
	s_cmp_eq_u32 s24, 44
	s_cbranch_scc0 .LBB142_1631
; %bb.1629:
	global_load_ubyte v4, v[0:1], off
	s_movk_i32 s18, 0xff
	s_waitcnt vmcnt(1)
	v_mov_b32_e32 v5, 0x7f800001
	v_mov_b32_e32 v6, 0x400000
	;; [unrolled: 1-line block ×3, first 2 shown]
	s_mov_b64 s[0:1], 0
	s_mov_b64 s[20:21], -1
	s_waitcnt vmcnt(0)
	v_lshlrev_b32_e32 v8, 23, v4
	v_cmp_ne_u32_e32 vcc, s18, v4
	v_cndmask_b32_e32 v5, v5, v8, vcc
	v_cmp_ne_u32_e32 vcc, 0, v4
	v_cndmask_b32_e32 v4, v6, v5, vcc
	v_add_u32_e32 v5, 0x7fff, v4
	v_cmp_o_f32_e32 vcc, v4, v4
	v_cndmask_b32_sdwa v5, v7, v5, vcc dst_sel:DWORD dst_unused:UNUSED_PAD src0_sel:DWORD src1_sel:WORD_1
.LBB142_1630:
	s_branch .LBB142_1635
.LBB142_1631:
	s_mov_b64 s[0:1], -1
                                        ; implicit-def: $vgpr5
	s_branch .LBB142_1635
.LBB142_1632:
	s_cmp_eq_u32 s24, 29
	s_cbranch_scc0 .LBB142_1634
; %bb.1633:
	global_load_dwordx2 v[4:5], v[0:1], off
	s_movk_i32 s18, 0x7fff
	s_mov_b64 s[0:1], 0
	s_mov_b64 s[20:21], -1
	s_waitcnt vmcnt(0)
	v_ffbh_u32_e32 v6, v5
	v_min_u32_e32 v6, 32, v6
	v_lshlrev_b64 v[4:5], v6, v[4:5]
	v_min_u32_e32 v4, 1, v4
	v_or_b32_e32 v4, v5, v4
	v_cvt_f32_u32_e32 v4, v4
	v_sub_u32_e32 v5, 32, v6
	v_ldexp_f32 v4, v4, v5
	v_bfe_u32 v5, v4, 16, 1
	v_add3_u32 v4, v4, v5, s18
	v_lshrrev_b32_e32 v5, 16, v4
	s_branch .LBB142_1635
.LBB142_1634:
	s_mov_b64 s[0:1], -1
                                        ; implicit-def: $vgpr5
.LBB142_1635:
	s_branch .LBB142_1653
.LBB142_1636:
	s_cmp_lt_i32 s24, 27
	s_cbranch_scc1 .LBB142_1639
; %bb.1637:
	s_cmp_gt_i32 s24, 27
	s_cbranch_scc0 .LBB142_1640
; %bb.1638:
	global_load_dword v4, v[0:1], off
	s_movk_i32 s18, 0x7fff
	s_waitcnt vmcnt(0)
	v_cvt_f32_u32_e32 v4, v4
	v_bfe_u32 v5, v4, 16, 1
	v_add3_u32 v4, v4, v5, s18
	v_lshrrev_b32_e32 v5, 16, v4
	s_mov_b64 s[18:19], 0
	s_branch .LBB142_1641
.LBB142_1639:
	s_mov_b64 s[18:19], -1
                                        ; implicit-def: $vgpr5
	s_branch .LBB142_1644
.LBB142_1640:
	s_mov_b64 s[18:19], -1
                                        ; implicit-def: $vgpr5
.LBB142_1641:
	s_andn2_b64 vcc, exec, s[18:19]
	s_cbranch_vccnz .LBB142_1643
; %bb.1642:
	global_load_ushort v4, v[0:1], off
	s_movk_i32 s18, 0x7fff
	s_waitcnt vmcnt(0)
	v_cvt_f32_u32_e32 v4, v4
	v_bfe_u32 v5, v4, 16, 1
	v_add3_u32 v4, v4, v5, s18
	v_lshrrev_b32_e32 v5, 16, v4
.LBB142_1643:
	s_mov_b64 s[18:19], 0
.LBB142_1644:
	s_andn2_b64 vcc, exec, s[18:19]
	s_cbranch_vccnz .LBB142_1652
; %bb.1645:
	global_load_ubyte v4, v[0:1], off
	s_movk_i32 s18, 0x7f
	s_waitcnt vmcnt(0)
	v_cmp_lt_i16_e32 vcc, s18, v4
	s_mov_b64 s[18:19], 0
	s_and_saveexec_b64 s[20:21], vcc
	s_xor_b64 s[20:21], exec, s[20:21]
	s_cbranch_execz .LBB142_1665
; %bb.1646:
	s_movk_i32 s18, 0x80
	v_cmp_eq_u16_e32 vcc, s18, v4
	s_mov_b64 s[18:19], -1
	s_and_saveexec_b64 s[22:23], vcc
; %bb.1647:
	s_xor_b64 s[18:19], exec, -1
; %bb.1648:
	s_or_b64 exec, exec, s[22:23]
	s_and_b64 s[18:19], s[18:19], exec
	s_or_saveexec_b64 s[20:21], s[20:21]
	v_mov_b32_e32 v5, 0x7f800001
	s_xor_b64 exec, exec, s[20:21]
	s_cbranch_execnz .LBB142_1666
.LBB142_1649:
	s_or_b64 exec, exec, s[20:21]
	s_and_saveexec_b64 s[20:21], s[18:19]
	s_cbranch_execz .LBB142_1651
.LBB142_1650:
	v_lshlrev_b32_e32 v5, 24, v4
	v_and_b32_e32 v4, 0xffff, v4
	v_and_b32_e32 v6, 7, v4
	v_ffbh_u32_e32 v8, v6
	v_min_u32_e32 v8, 32, v8
	v_subrev_u32_e32 v9, 28, v8
	v_bfe_u32 v7, v4, 3, 4
	v_lshlrev_b32_e32 v4, v9, v4
	v_sub_u32_e32 v8, 29, v8
	v_and_b32_e32 v4, 7, v4
	v_cmp_eq_u32_e32 vcc, 0, v7
	v_cndmask_b32_e32 v7, v7, v8, vcc
	v_cndmask_b32_e32 v4, v6, v4, vcc
	v_mov_b32_e32 v6, 0x3b800000
	v_lshlrev_b32_e32 v4, 20, v4
	v_and_b32_e32 v5, 0x80000000, v5
	v_lshl_add_u32 v6, v7, 23, v6
	v_or3_b32 v5, v5, v6, v4
.LBB142_1651:
	s_or_b64 exec, exec, s[20:21]
	v_bfe_u32 v4, v5, 16, 1
	s_movk_i32 s18, 0x7fff
	v_add3_u32 v4, v5, v4, s18
	v_cmp_o_f32_e32 vcc, v5, v5
	v_mov_b32_e32 v5, 0x7fc0
	v_cndmask_b32_sdwa v5, v5, v4, vcc dst_sel:DWORD dst_unused:UNUSED_PAD src0_sel:DWORD src1_sel:WORD_1
.LBB142_1652:
	s_mov_b64 s[20:21], -1
.LBB142_1653:
	s_branch .LBB142_1685
.LBB142_1654:
	s_cmp_gt_i32 s24, 22
	s_cbranch_scc0 .LBB142_1664
; %bb.1655:
	s_cmp_lt_i32 s24, 24
	s_cbranch_scc1 .LBB142_1667
; %bb.1656:
	s_cmp_gt_i32 s24, 24
	s_cbranch_scc0 .LBB142_1668
; %bb.1657:
	global_load_ubyte v4, v[0:1], off
	s_movk_i32 s4, 0x7f
	s_waitcnt vmcnt(0)
	v_cmp_lt_i16_e32 vcc, s4, v4
	s_mov_b64 s[4:5], 0
	s_and_saveexec_b64 s[18:19], vcc
	s_xor_b64 s[18:19], exec, s[18:19]
	s_cbranch_execz .LBB142_1679
; %bb.1658:
	s_movk_i32 s4, 0x80
	v_cmp_eq_u16_e32 vcc, s4, v4
	s_mov_b64 s[4:5], -1
	s_and_saveexec_b64 s[20:21], vcc
; %bb.1659:
	s_xor_b64 s[4:5], exec, -1
; %bb.1660:
	s_or_b64 exec, exec, s[20:21]
	s_and_b64 s[4:5], s[4:5], exec
	s_or_saveexec_b64 s[18:19], s[18:19]
	v_mov_b32_e32 v5, 0x7f800001
	s_xor_b64 exec, exec, s[18:19]
	s_cbranch_execnz .LBB142_1680
.LBB142_1661:
	s_or_b64 exec, exec, s[18:19]
	s_and_saveexec_b64 s[18:19], s[4:5]
	s_cbranch_execz .LBB142_1663
.LBB142_1662:
	v_lshlrev_b32_e32 v5, 24, v4
	v_and_b32_e32 v4, 0xffff, v4
	v_and_b32_e32 v6, 3, v4
	v_ffbh_u32_e32 v8, v6
	v_min_u32_e32 v8, 32, v8
	v_subrev_u32_e32 v9, 29, v8
	v_bfe_u32 v7, v4, 2, 5
	v_lshlrev_b32_e32 v4, v9, v4
	v_sub_u32_e32 v8, 30, v8
	v_and_b32_e32 v4, 3, v4
	v_cmp_eq_u32_e32 vcc, 0, v7
	v_cndmask_b32_e32 v7, v7, v8, vcc
	v_cndmask_b32_e32 v4, v6, v4, vcc
	v_mov_b32_e32 v6, 0x37800000
	v_lshlrev_b32_e32 v4, 21, v4
	v_and_b32_e32 v5, 0x80000000, v5
	v_lshl_add_u32 v6, v7, 23, v6
	v_or3_b32 v5, v5, v6, v4
.LBB142_1663:
	s_or_b64 exec, exec, s[18:19]
	v_bfe_u32 v4, v5, 16, 1
	s_movk_i32 s4, 0x7fff
	v_add3_u32 v4, v5, v4, s4
	v_cmp_o_f32_e32 vcc, v5, v5
	v_mov_b32_e32 v5, 0x7fc0
	v_cndmask_b32_sdwa v5, v5, v4, vcc dst_sel:DWORD dst_unused:UNUSED_PAD src0_sel:DWORD src1_sel:WORD_1
	s_mov_b64 s[4:5], 0
	s_branch .LBB142_1669
.LBB142_1664:
                                        ; implicit-def: $vgpr5
	s_mov_b64 s[4:5], 0
	s_branch .LBB142_1675
.LBB142_1665:
	s_or_saveexec_b64 s[20:21], s[20:21]
	v_mov_b32_e32 v5, 0x7f800001
	s_xor_b64 exec, exec, s[20:21]
	s_cbranch_execz .LBB142_1649
.LBB142_1666:
	v_cmp_ne_u16_e32 vcc, 0, v4
	s_andn2_b64 s[18:19], s[18:19], exec
	s_and_b64 s[22:23], vcc, exec
	v_mov_b32_e32 v5, 0
	s_or_b64 s[18:19], s[18:19], s[22:23]
	s_or_b64 exec, exec, s[20:21]
	s_and_saveexec_b64 s[20:21], s[18:19]
	s_cbranch_execnz .LBB142_1650
	s_branch .LBB142_1651
.LBB142_1667:
	s_mov_b64 s[4:5], -1
                                        ; implicit-def: $vgpr5
	s_branch .LBB142_1672
.LBB142_1668:
	s_mov_b64 s[4:5], -1
                                        ; implicit-def: $vgpr5
.LBB142_1669:
	s_and_b64 vcc, exec, s[4:5]
	s_cbranch_vccz .LBB142_1671
; %bb.1670:
	global_load_ubyte v4, v[0:1], off
	s_mov_b32 s4, 0x7f800000
	s_brev_b32 s5, 1
	s_movk_i32 s18, 0x7fff
	s_waitcnt vmcnt(0)
	v_lshlrev_b32_e32 v4, 24, v4
	v_and_b32_e32 v5, 0x7f000000, v4
	v_ffbh_u32_e32 v6, v5
	v_min_u32_e32 v6, 32, v6
	v_sub_u32_e64 v6, v6, 4 clamp
	v_lshlrev_b32_e32 v8, v6, v5
	v_lshlrev_b32_e32 v6, 23, v6
	v_lshrrev_b32_e32 v8, 4, v8
	v_add_u32_e32 v7, 0x1000000, v5
	v_sub_u32_e32 v6, v8, v6
	v_ashrrev_i32_e32 v7, 8, v7
	v_add_u32_e32 v6, 0x3c000000, v6
	v_and_or_b32 v6, v7, s4, v6
	v_cmp_ne_u32_e32 vcc, 0, v5
	v_cndmask_b32_e32 v5, 0, v6, vcc
	v_and_or_b32 v4, v4, s5, v5
	v_bfe_u32 v5, v5, 16, 1
	v_add3_u32 v5, v4, v5, s18
	v_cmp_o_f32_e32 vcc, v4, v4
	v_mov_b32_e32 v4, 0x7fc0
	v_cndmask_b32_sdwa v5, v4, v5, vcc dst_sel:DWORD dst_unused:UNUSED_PAD src0_sel:DWORD src1_sel:WORD_1
.LBB142_1671:
	s_mov_b64 s[4:5], 0
.LBB142_1672:
	s_andn2_b64 vcc, exec, s[4:5]
	s_cbranch_vccnz .LBB142_1674
; %bb.1673:
	global_load_ubyte v4, v[0:1], off
	s_movk_i32 s4, 0x7f00
	s_brev_b32 s5, 16
	s_brev_b32 s18, 1
	s_movk_i32 s19, 0x7fff
	s_waitcnt vmcnt(0)
	v_lshlrev_b16_e32 v5, 8, v4
	v_lshlrev_b32_e32 v4, 25, v4
	v_lshrrev_b32_e32 v6, 4, v4
	v_and_or_b32 v7, v5, s4, 0.5
	v_or_b32_e32 v6, 0x70000000, v6
	v_add_f32_e32 v7, -0.5, v7
	v_mul_f32_e32 v6, 0x7800000, v6
	v_cmp_gt_u32_e32 vcc, s5, v4
	v_bfe_i32 v5, v5, 0, 16
	v_cndmask_b32_e32 v4, v6, v7, vcc
	v_and_or_b32 v5, v5, s18, v4
	v_bfe_u32 v4, v4, 16, 1
	v_add3_u32 v4, v5, v4, s19
	v_cmp_o_f32_e32 vcc, v5, v5
	v_mov_b32_e32 v5, 0x7fc0
	v_cndmask_b32_sdwa v5, v5, v4, vcc dst_sel:DWORD dst_unused:UNUSED_PAD src0_sel:DWORD src1_sel:WORD_1
.LBB142_1674:
	s_mov_b64 s[20:21], -1
	s_mov_b64 s[4:5], 0
	s_cbranch_execnz .LBB142_1685
.LBB142_1675:
	s_cmp_gt_i32 s24, 14
	s_cbranch_scc0 .LBB142_1678
; %bb.1676:
	s_cmp_eq_u32 s24, 15
	s_cbranch_scc0 .LBB142_1681
; %bb.1677:
	global_load_ushort v5, v[0:1], off
	s_mov_b64 s[0:1], 0
	s_mov_b64 s[20:21], -1
	s_branch .LBB142_1682
.LBB142_1678:
	s_mov_b64 s[18:19], -1
                                        ; implicit-def: $vgpr5
	s_branch .LBB142_1683
.LBB142_1679:
	s_or_saveexec_b64 s[18:19], s[18:19]
	v_mov_b32_e32 v5, 0x7f800001
	s_xor_b64 exec, exec, s[18:19]
	s_cbranch_execz .LBB142_1661
.LBB142_1680:
	v_cmp_ne_u16_e32 vcc, 0, v4
	s_andn2_b64 s[4:5], s[4:5], exec
	s_and_b64 s[20:21], vcc, exec
	v_mov_b32_e32 v5, 0
	s_or_b64 s[4:5], s[4:5], s[20:21]
	s_or_b64 exec, exec, s[18:19]
	s_and_saveexec_b64 s[18:19], s[4:5]
	s_cbranch_execnz .LBB142_1662
	s_branch .LBB142_1663
.LBB142_1681:
	s_mov_b64 s[0:1], -1
                                        ; implicit-def: $vgpr5
.LBB142_1682:
	s_mov_b64 s[18:19], 0
.LBB142_1683:
	s_and_b64 vcc, exec, s[18:19]
	s_cbranch_vccz .LBB142_1685
; %bb.1684:
	s_cmp_lg_u32 s24, 11
	s_mov_b64 s[4:5], -1
	s_cselect_b64 s[0:1], -1, 0
.LBB142_1685:
	s_and_b64 vcc, exec, s[0:1]
	s_mov_b64 s[18:19], s[16:17]
	s_cbranch_vccnz .LBB142_1746
; %bb.1686:
	s_andn2_b64 vcc, exec, s[4:5]
	s_cbranch_vccnz .LBB142_1688
.LBB142_1687:
	global_load_ubyte v4, v[0:1], off
	s_mov_b64 s[20:21], -1
	s_waitcnt vmcnt(0)
	v_cmp_ne_u16_e32 vcc, 0, v4
	v_cndmask_b32_e64 v4, 0, 1.0, vcc
	v_lshrrev_b32_e32 v5, 16, v4
.LBB142_1688:
	s_branch .LBB142_1619
.LBB142_1689:
	s_and_b32 s4, 0xffff, s30
	s_cmp_lt_i32 s4, 5
	s_cbranch_scc1 .LBB142_1694
; %bb.1690:
	s_cmp_lt_i32 s4, 8
	s_cbranch_scc1 .LBB142_1695
; %bb.1691:
	;; [unrolled: 3-line block ×3, first 2 shown]
	s_cmp_gt_i32 s4, 9
	s_cbranch_scc0 .LBB142_1697
; %bb.1693:
	global_load_dwordx2 v[4:5], v[0:1], off
	s_movk_i32 s0, 0x7fff
	s_waitcnt vmcnt(0)
	v_cvt_f32_f64_e32 v4, v[4:5]
	v_mov_b32_e32 v5, 0x7fc0
	v_bfe_u32 v6, v4, 16, 1
	v_cmp_o_f32_e32 vcc, v4, v4
	v_add3_u32 v4, v4, v6, s0
	v_cndmask_b32_sdwa v5, v5, v4, vcc dst_sel:DWORD dst_unused:UNUSED_PAD src0_sel:DWORD src1_sel:WORD_1
	s_mov_b64 s[0:1], 0
	s_branch .LBB142_1698
.LBB142_1694:
                                        ; implicit-def: $vgpr5
	s_branch .LBB142_1715
.LBB142_1695:
                                        ; implicit-def: $vgpr5
	s_branch .LBB142_1704
.LBB142_1696:
	s_mov_b64 s[0:1], -1
                                        ; implicit-def: $vgpr5
	s_branch .LBB142_1701
.LBB142_1697:
	s_mov_b64 s[0:1], -1
                                        ; implicit-def: $vgpr5
.LBB142_1698:
	s_andn2_b64 vcc, exec, s[0:1]
	s_cbranch_vccnz .LBB142_1700
; %bb.1699:
	global_load_dword v4, v[0:1], off
	s_movk_i32 s0, 0x7fff
	s_waitcnt vmcnt(1)
	v_mov_b32_e32 v5, 0x7fc0
	s_waitcnt vmcnt(0)
	v_bfe_u32 v6, v4, 16, 1
	v_cmp_o_f32_e32 vcc, v4, v4
	v_add3_u32 v4, v4, v6, s0
	v_cndmask_b32_sdwa v5, v5, v4, vcc dst_sel:DWORD dst_unused:UNUSED_PAD src0_sel:DWORD src1_sel:WORD_1
.LBB142_1700:
	s_mov_b64 s[0:1], 0
.LBB142_1701:
	s_andn2_b64 vcc, exec, s[0:1]
	s_cbranch_vccnz .LBB142_1703
; %bb.1702:
	global_load_dword v4, v[0:1], off
	s_movk_i32 s0, 0x7fff
	v_mov_b32_e32 v6, 0x7fc0
	s_waitcnt vmcnt(0)
	v_cvt_f32_f16_e32 v5, v4
	v_cmp_o_f16_e32 vcc, v4, v4
	v_bfe_u32 v4, v5, 16, 1
	v_add3_u32 v4, v5, v4, s0
	v_cndmask_b32_sdwa v5, v6, v4, vcc dst_sel:DWORD dst_unused:UNUSED_PAD src0_sel:DWORD src1_sel:WORD_1
.LBB142_1703:
	s_cbranch_execnz .LBB142_1714
.LBB142_1704:
	s_cmp_lt_i32 s4, 6
	s_cbranch_scc1 .LBB142_1707
; %bb.1705:
	s_cmp_gt_i32 s4, 6
	s_cbranch_scc0 .LBB142_1708
; %bb.1706:
	global_load_dwordx2 v[4:5], v[0:1], off
	s_movk_i32 s0, 0x7fff
	s_waitcnt vmcnt(0)
	v_cvt_f32_f64_e32 v4, v[4:5]
	v_mov_b32_e32 v5, 0x7fc0
	v_bfe_u32 v6, v4, 16, 1
	v_cmp_o_f32_e32 vcc, v4, v4
	v_add3_u32 v4, v4, v6, s0
	v_cndmask_b32_sdwa v5, v5, v4, vcc dst_sel:DWORD dst_unused:UNUSED_PAD src0_sel:DWORD src1_sel:WORD_1
	s_mov_b64 s[0:1], 0
	s_branch .LBB142_1709
.LBB142_1707:
	s_mov_b64 s[0:1], -1
                                        ; implicit-def: $vgpr5
	s_branch .LBB142_1712
.LBB142_1708:
	s_mov_b64 s[0:1], -1
                                        ; implicit-def: $vgpr5
.LBB142_1709:
	s_andn2_b64 vcc, exec, s[0:1]
	s_cbranch_vccnz .LBB142_1711
; %bb.1710:
	global_load_dword v4, v[0:1], off
	s_movk_i32 s0, 0x7fff
	s_waitcnt vmcnt(1)
	v_mov_b32_e32 v5, 0x7fc0
	s_waitcnt vmcnt(0)
	v_bfe_u32 v6, v4, 16, 1
	v_cmp_o_f32_e32 vcc, v4, v4
	v_add3_u32 v4, v4, v6, s0
	v_cndmask_b32_sdwa v5, v5, v4, vcc dst_sel:DWORD dst_unused:UNUSED_PAD src0_sel:DWORD src1_sel:WORD_1
.LBB142_1711:
	s_mov_b64 s[0:1], 0
.LBB142_1712:
	s_andn2_b64 vcc, exec, s[0:1]
	s_cbranch_vccnz .LBB142_1714
; %bb.1713:
	global_load_ushort v4, v[0:1], off
	s_movk_i32 s0, 0x7fff
	v_mov_b32_e32 v6, 0x7fc0
	s_waitcnt vmcnt(0)
	v_cvt_f32_f16_e32 v5, v4
	v_cmp_o_f16_e32 vcc, v4, v4
	v_bfe_u32 v4, v5, 16, 1
	v_add3_u32 v4, v5, v4, s0
	v_cndmask_b32_sdwa v5, v6, v4, vcc dst_sel:DWORD dst_unused:UNUSED_PAD src0_sel:DWORD src1_sel:WORD_1
.LBB142_1714:
	s_cbranch_execnz .LBB142_1733
.LBB142_1715:
	s_cmp_lt_i32 s4, 2
	s_cbranch_scc1 .LBB142_1719
; %bb.1716:
	s_cmp_lt_i32 s4, 3
	s_cbranch_scc1 .LBB142_1720
; %bb.1717:
	s_cmp_gt_i32 s4, 3
	s_cbranch_scc0 .LBB142_1721
; %bb.1718:
	global_load_dwordx2 v[4:5], v[0:1], off
	s_movk_i32 s0, 0x7fff
	s_waitcnt vmcnt(0)
	v_xor_b32_e32 v7, v4, v5
	v_ffbh_i32_e32 v6, v5
	v_ashrrev_i32_e32 v7, 31, v7
	v_add_u32_e32 v6, -1, v6
	v_add_u32_e32 v7, 32, v7
	v_min_u32_e32 v6, v6, v7
	v_lshlrev_b64 v[4:5], v6, v[4:5]
	v_min_u32_e32 v4, 1, v4
	v_or_b32_e32 v4, v5, v4
	v_cvt_f32_i32_e32 v4, v4
	v_sub_u32_e32 v5, 32, v6
	v_ldexp_f32 v4, v4, v5
	v_bfe_u32 v5, v4, 16, 1
	v_add3_u32 v4, v4, v5, s0
	v_lshrrev_b32_e32 v5, 16, v4
	s_mov_b64 s[0:1], 0
	s_branch .LBB142_1722
.LBB142_1719:
                                        ; implicit-def: $vgpr5
	s_branch .LBB142_1728
.LBB142_1720:
	s_mov_b64 s[0:1], -1
                                        ; implicit-def: $vgpr5
	s_branch .LBB142_1725
.LBB142_1721:
	s_mov_b64 s[0:1], -1
                                        ; implicit-def: $vgpr5
.LBB142_1722:
	s_andn2_b64 vcc, exec, s[0:1]
	s_cbranch_vccnz .LBB142_1724
; %bb.1723:
	global_load_dword v4, v[0:1], off
	s_movk_i32 s0, 0x7fff
	s_waitcnt vmcnt(0)
	v_cvt_f32_i32_e32 v4, v4
	v_bfe_u32 v5, v4, 16, 1
	v_add3_u32 v4, v4, v5, s0
	v_lshrrev_b32_e32 v5, 16, v4
.LBB142_1724:
	s_mov_b64 s[0:1], 0
.LBB142_1725:
	s_andn2_b64 vcc, exec, s[0:1]
	s_cbranch_vccnz .LBB142_1727
; %bb.1726:
	global_load_sshort v4, v[0:1], off
	s_movk_i32 s0, 0x7fff
	s_waitcnt vmcnt(0)
	v_cvt_f32_i32_e32 v4, v4
	v_bfe_u32 v5, v4, 16, 1
	v_add3_u32 v4, v4, v5, s0
	v_lshrrev_b32_e32 v5, 16, v4
.LBB142_1727:
	s_cbranch_execnz .LBB142_1733
.LBB142_1728:
	s_cmp_gt_i32 s4, 0
	s_cbranch_scc0 .LBB142_1730
; %bb.1729:
	global_load_sbyte v4, v[0:1], off
	s_movk_i32 s0, 0x7fff
	s_waitcnt vmcnt(0)
	v_cvt_f32_i32_e32 v4, v4
	v_bfe_u32 v5, v4, 16, 1
	v_add3_u32 v4, v4, v5, s0
	v_lshrrev_b32_e32 v5, 16, v4
	s_mov_b64 s[0:1], 0
	s_branch .LBB142_1731
.LBB142_1730:
	s_mov_b64 s[0:1], -1
                                        ; implicit-def: $vgpr5
.LBB142_1731:
	s_andn2_b64 vcc, exec, s[0:1]
	s_cbranch_vccnz .LBB142_1733
; %bb.1732:
	global_load_ubyte v0, v[0:1], off
	s_movk_i32 s0, 0x7fff
	s_waitcnt vmcnt(0)
	v_cvt_f32_ubyte0_e32 v0, v0
	v_bfe_u32 v1, v0, 16, 1
	v_add3_u32 v0, v0, v1, s0
	v_lshrrev_b32_e32 v5, 16, v0
.LBB142_1733:
.LBB142_1734:
	v_mul_lo_u32 v4, s14, v2
	v_mov_b32_e32 v1, s3
	s_and_b32 s31, s54, 0xff
	s_cmp_lt_i32 s31, 11
	v_ashrrev_i32_e32 v6, 31, v4
	v_add_co_u32_e32 v0, vcc, s2, v4
	v_addc_co_u32_e32 v1, vcc, v1, v6, vcc
	s_cbranch_scc1 .LBB142_1741
; %bb.1735:
	s_and_b32 s26, 0xffff, s31
	s_cmp_gt_i32 s26, 25
	s_mov_b64 s[4:5], 0
	s_cbranch_scc0 .LBB142_1743
; %bb.1736:
	s_cmp_gt_i32 s26, 28
	s_cbranch_scc0 .LBB142_1744
; %bb.1737:
	s_cmp_gt_i32 s26, 43
	;; [unrolled: 3-line block ×3, first 2 shown]
	s_cbranch_scc0 .LBB142_1747
; %bb.1739:
	s_cmp_eq_u32 s26, 46
	s_mov_b64 s[22:23], 0
	s_cbranch_scc0 .LBB142_1750
; %bb.1740:
	global_load_dword v6, v[0:1], off
	s_mov_b64 s[0:1], 0
	s_mov_b64 s[20:21], -1
	s_branch .LBB142_1751
.LBB142_1741:
	s_mov_b64 s[20:21], 0
                                        ; implicit-def: $vgpr6
	s_cbranch_execnz .LBB142_1816
.LBB142_1742:
	s_andn2_b64 vcc, exec, s[20:21]
	s_cbranch_vccnz .LBB142_2698
	s_branch .LBB142_1863
.LBB142_1743:
	s_mov_b64 s[20:21], 0
	s_mov_b64 s[0:1], 0
                                        ; implicit-def: $vgpr6
	s_cbranch_execnz .LBB142_1780
	s_branch .LBB142_1812
.LBB142_1744:
	s_mov_b64 s[22:23], -1
	s_mov_b64 s[20:21], 0
	s_mov_b64 s[0:1], 0
                                        ; implicit-def: $vgpr6
	s_branch .LBB142_1761
.LBB142_1745:
	s_mov_b64 s[22:23], -1
	s_mov_b64 s[20:21], 0
	s_mov_b64 s[0:1], 0
                                        ; implicit-def: $vgpr6
	s_branch .LBB142_1756
.LBB142_1746:
	s_or_b64 s[18:19], s[16:17], exec
	s_trap 2
	s_cbranch_execz .LBB142_1687
	s_branch .LBB142_1688
.LBB142_1747:
	s_mov_b64 s[22:23], -1
	s_mov_b64 s[20:21], 0
	s_mov_b64 s[0:1], 0
                                        ; implicit-def: $vgpr6
	s_branch .LBB142_1751
.LBB142_1748:
	s_andn2_saveexec_b64 s[30:31], s[30:31]
	s_cbranch_execz .LBB142_1534
.LBB142_1749:
	v_add_f32_e32 v2, 0x42800000, v3
	v_and_b32_e32 v2, 0xff, v2
	v_cmp_ne_u32_e32 vcc, 0, v2
	s_andn2_b64 s[28:29], s[28:29], exec
	s_and_b64 s[36:37], vcc, exec
	s_or_b64 s[28:29], s[28:29], s[36:37]
	s_or_b64 exec, exec, s[30:31]
	v_mov_b32_e32 v4, 0
	s_and_saveexec_b64 s[30:31], s[28:29]
	s_cbranch_execnz .LBB142_1535
	s_branch .LBB142_1536
.LBB142_1750:
	s_mov_b64 s[0:1], -1
                                        ; implicit-def: $vgpr6
	s_mov_b64 s[20:21], 0
.LBB142_1751:
	s_and_b64 vcc, exec, s[22:23]
	s_cbranch_vccz .LBB142_1755
; %bb.1752:
	s_cmp_eq_u32 s26, 44
	s_cbranch_scc0 .LBB142_1754
; %bb.1753:
	global_load_ubyte v6, v[0:1], off
	s_movk_i32 s20, 0xff
	v_mov_b32_e32 v7, 0x7f800001
	v_mov_b32_e32 v8, 0x400000
	;; [unrolled: 1-line block ×3, first 2 shown]
	s_mov_b64 s[0:1], 0
	s_waitcnt vmcnt(0)
	v_lshlrev_b32_e32 v10, 23, v6
	v_cmp_ne_u32_e32 vcc, s20, v6
	v_cndmask_b32_e32 v7, v7, v10, vcc
	v_cmp_ne_u32_e32 vcc, 0, v6
	v_cndmask_b32_e32 v6, v8, v7, vcc
	v_add_u32_e32 v7, 0x7fff, v6
	v_cmp_o_f32_e32 vcc, v6, v6
	v_cndmask_b32_sdwa v6, v9, v7, vcc dst_sel:DWORD dst_unused:UNUSED_PAD src0_sel:DWORD src1_sel:WORD_1
	s_mov_b64 s[20:21], -1
	s_branch .LBB142_1755
.LBB142_1754:
	s_mov_b64 s[0:1], -1
                                        ; implicit-def: $vgpr6
.LBB142_1755:
	s_mov_b64 s[22:23], 0
.LBB142_1756:
	s_and_b64 vcc, exec, s[22:23]
	s_cbranch_vccz .LBB142_1760
; %bb.1757:
	s_cmp_eq_u32 s26, 29
	s_cbranch_scc0 .LBB142_1759
; %bb.1758:
	global_load_dwordx2 v[6:7], v[0:1], off
	s_movk_i32 s20, 0x7fff
	s_mov_b64 s[0:1], 0
	s_mov_b64 s[22:23], 0
	s_waitcnt vmcnt(0)
	v_ffbh_u32_e32 v8, v7
	v_min_u32_e32 v8, 32, v8
	v_lshlrev_b64 v[6:7], v8, v[6:7]
	v_min_u32_e32 v6, 1, v6
	v_or_b32_e32 v6, v7, v6
	v_cvt_f32_u32_e32 v6, v6
	v_sub_u32_e32 v7, 32, v8
	v_ldexp_f32 v6, v6, v7
	v_bfe_u32 v7, v6, 16, 1
	v_add3_u32 v6, v6, v7, s20
	v_lshrrev_b32_e32 v6, 16, v6
	s_mov_b64 s[20:21], -1
	s_branch .LBB142_1761
.LBB142_1759:
	s_mov_b64 s[0:1], -1
                                        ; implicit-def: $vgpr6
.LBB142_1760:
	s_mov_b64 s[22:23], 0
.LBB142_1761:
	s_and_b64 vcc, exec, s[22:23]
	s_cbranch_vccz .LBB142_1779
; %bb.1762:
	s_cmp_lt_i32 s26, 27
	s_cbranch_scc1 .LBB142_1765
; %bb.1763:
	s_cmp_gt_i32 s26, 27
	s_cbranch_scc0 .LBB142_1766
; %bb.1764:
	global_load_dword v6, v[0:1], off
	s_movk_i32 s20, 0x7fff
	s_waitcnt vmcnt(0)
	v_cvt_f32_u32_e32 v6, v6
	v_bfe_u32 v7, v6, 16, 1
	v_add3_u32 v6, v6, v7, s20
	v_lshrrev_b32_e32 v6, 16, v6
	s_mov_b64 s[20:21], 0
	s_branch .LBB142_1767
.LBB142_1765:
	s_mov_b64 s[20:21], -1
                                        ; implicit-def: $vgpr6
	s_branch .LBB142_1770
.LBB142_1766:
	s_mov_b64 s[20:21], -1
                                        ; implicit-def: $vgpr6
.LBB142_1767:
	s_andn2_b64 vcc, exec, s[20:21]
	s_cbranch_vccnz .LBB142_1769
; %bb.1768:
	global_load_ushort v6, v[0:1], off
	s_movk_i32 s20, 0x7fff
	s_waitcnt vmcnt(0)
	v_cvt_f32_u32_e32 v6, v6
	v_bfe_u32 v7, v6, 16, 1
	v_add3_u32 v6, v6, v7, s20
	v_lshrrev_b32_e32 v6, 16, v6
.LBB142_1769:
	s_mov_b64 s[20:21], 0
.LBB142_1770:
	s_andn2_b64 vcc, exec, s[20:21]
	s_cbranch_vccnz .LBB142_1778
; %bb.1771:
	global_load_ubyte v6, v[0:1], off
	s_movk_i32 s20, 0x7f
	s_waitcnt vmcnt(0)
	v_cmp_lt_i16_e32 vcc, s20, v6
	s_mov_b64 s[20:21], 0
	s_and_saveexec_b64 s[22:23], vcc
	s_xor_b64 s[22:23], exec, s[22:23]
	s_cbranch_execz .LBB142_1791
; %bb.1772:
	s_movk_i32 s20, 0x80
	v_cmp_eq_u16_e32 vcc, s20, v6
	s_mov_b64 s[20:21], -1
	s_and_saveexec_b64 s[24:25], vcc
; %bb.1773:
	s_xor_b64 s[20:21], exec, -1
; %bb.1774:
	s_or_b64 exec, exec, s[24:25]
	s_and_b64 s[20:21], s[20:21], exec
	s_or_saveexec_b64 s[22:23], s[22:23]
	v_mov_b32_e32 v7, 0x7f800001
	s_xor_b64 exec, exec, s[22:23]
	s_cbranch_execnz .LBB142_1792
.LBB142_1775:
	s_or_b64 exec, exec, s[22:23]
	s_and_saveexec_b64 s[22:23], s[20:21]
	s_cbranch_execz .LBB142_1777
.LBB142_1776:
	v_lshlrev_b32_e32 v7, 24, v6
	v_and_b32_e32 v6, 0xffff, v6
	v_and_b32_e32 v8, 7, v6
	v_ffbh_u32_e32 v10, v8
	v_min_u32_e32 v10, 32, v10
	v_subrev_u32_e32 v11, 28, v10
	v_bfe_u32 v9, v6, 3, 4
	v_lshlrev_b32_e32 v6, v11, v6
	v_sub_u32_e32 v10, 29, v10
	v_and_b32_e32 v6, 7, v6
	v_cmp_eq_u32_e32 vcc, 0, v9
	v_cndmask_b32_e32 v9, v9, v10, vcc
	v_cndmask_b32_e32 v6, v8, v6, vcc
	v_mov_b32_e32 v8, 0x3b800000
	v_lshlrev_b32_e32 v6, 20, v6
	v_and_b32_e32 v7, 0x80000000, v7
	v_lshl_add_u32 v8, v9, 23, v8
	v_or3_b32 v7, v7, v8, v6
.LBB142_1777:
	s_or_b64 exec, exec, s[22:23]
	v_bfe_u32 v6, v7, 16, 1
	s_movk_i32 s20, 0x7fff
	v_add3_u32 v6, v7, v6, s20
	v_cmp_o_f32_e32 vcc, v7, v7
	v_mov_b32_e32 v7, 0x7fc0
	v_cndmask_b32_sdwa v6, v7, v6, vcc dst_sel:DWORD dst_unused:UNUSED_PAD src0_sel:DWORD src1_sel:WORD_1
.LBB142_1778:
	s_mov_b64 s[20:21], -1
.LBB142_1779:
	s_branch .LBB142_1812
.LBB142_1780:
	s_cmp_gt_i32 s26, 22
	s_cbranch_scc0 .LBB142_1790
; %bb.1781:
	s_cmp_lt_i32 s26, 24
	s_cbranch_scc1 .LBB142_1793
; %bb.1782:
	s_cmp_gt_i32 s26, 24
	s_cbranch_scc0 .LBB142_1794
; %bb.1783:
	global_load_ubyte v6, v[0:1], off
	s_movk_i32 s4, 0x7f
	s_waitcnt vmcnt(0)
	v_cmp_lt_i16_e32 vcc, s4, v6
	s_mov_b64 s[4:5], 0
	s_and_saveexec_b64 s[20:21], vcc
	s_xor_b64 s[20:21], exec, s[20:21]
	s_cbranch_execz .LBB142_1806
; %bb.1784:
	s_movk_i32 s4, 0x80
	v_cmp_eq_u16_e32 vcc, s4, v6
	s_mov_b64 s[4:5], -1
	s_and_saveexec_b64 s[22:23], vcc
; %bb.1785:
	s_xor_b64 s[4:5], exec, -1
; %bb.1786:
	s_or_b64 exec, exec, s[22:23]
	s_and_b64 s[4:5], s[4:5], exec
	s_or_saveexec_b64 s[20:21], s[20:21]
	v_mov_b32_e32 v7, 0x7f800001
	s_xor_b64 exec, exec, s[20:21]
	s_cbranch_execnz .LBB142_1807
.LBB142_1787:
	s_or_b64 exec, exec, s[20:21]
	s_and_saveexec_b64 s[20:21], s[4:5]
	s_cbranch_execz .LBB142_1789
.LBB142_1788:
	v_lshlrev_b32_e32 v7, 24, v6
	v_and_b32_e32 v6, 0xffff, v6
	v_and_b32_e32 v8, 3, v6
	v_ffbh_u32_e32 v10, v8
	v_min_u32_e32 v10, 32, v10
	v_subrev_u32_e32 v11, 29, v10
	v_bfe_u32 v9, v6, 2, 5
	v_lshlrev_b32_e32 v6, v11, v6
	v_sub_u32_e32 v10, 30, v10
	v_and_b32_e32 v6, 3, v6
	v_cmp_eq_u32_e32 vcc, 0, v9
	v_cndmask_b32_e32 v9, v9, v10, vcc
	v_cndmask_b32_e32 v6, v8, v6, vcc
	v_mov_b32_e32 v8, 0x37800000
	v_lshlrev_b32_e32 v6, 21, v6
	v_and_b32_e32 v7, 0x80000000, v7
	v_lshl_add_u32 v8, v9, 23, v8
	v_or3_b32 v7, v7, v8, v6
.LBB142_1789:
	s_or_b64 exec, exec, s[20:21]
	v_bfe_u32 v6, v7, 16, 1
	s_movk_i32 s4, 0x7fff
	v_add3_u32 v6, v7, v6, s4
	v_cmp_o_f32_e32 vcc, v7, v7
	v_mov_b32_e32 v7, 0x7fc0
	v_cndmask_b32_sdwa v6, v7, v6, vcc dst_sel:DWORD dst_unused:UNUSED_PAD src0_sel:DWORD src1_sel:WORD_1
	s_mov_b64 s[4:5], 0
	s_branch .LBB142_1795
.LBB142_1790:
	s_mov_b64 s[4:5], -1
                                        ; implicit-def: $vgpr6
	s_branch .LBB142_1801
.LBB142_1791:
	s_or_saveexec_b64 s[22:23], s[22:23]
	v_mov_b32_e32 v7, 0x7f800001
	s_xor_b64 exec, exec, s[22:23]
	s_cbranch_execz .LBB142_1775
.LBB142_1792:
	v_cmp_ne_u16_e32 vcc, 0, v6
	s_andn2_b64 s[20:21], s[20:21], exec
	s_and_b64 s[24:25], vcc, exec
	v_mov_b32_e32 v7, 0
	s_or_b64 s[20:21], s[20:21], s[24:25]
	s_or_b64 exec, exec, s[22:23]
	s_and_saveexec_b64 s[22:23], s[20:21]
	s_cbranch_execnz .LBB142_1776
	s_branch .LBB142_1777
.LBB142_1793:
	s_mov_b64 s[4:5], -1
                                        ; implicit-def: $vgpr6
	s_branch .LBB142_1798
.LBB142_1794:
	s_mov_b64 s[4:5], -1
                                        ; implicit-def: $vgpr6
.LBB142_1795:
	s_and_b64 vcc, exec, s[4:5]
	s_cbranch_vccz .LBB142_1797
; %bb.1796:
	global_load_ubyte v6, v[0:1], off
	s_mov_b32 s4, 0x7f800000
	s_brev_b32 s5, 1
	s_movk_i32 s20, 0x7fff
	s_waitcnt vmcnt(0)
	v_lshlrev_b32_e32 v6, 24, v6
	v_and_b32_e32 v7, 0x7f000000, v6
	v_ffbh_u32_e32 v8, v7
	v_min_u32_e32 v8, 32, v8
	v_sub_u32_e64 v8, v8, 4 clamp
	v_lshlrev_b32_e32 v10, v8, v7
	v_lshlrev_b32_e32 v8, 23, v8
	v_lshrrev_b32_e32 v10, 4, v10
	v_add_u32_e32 v9, 0x1000000, v7
	v_sub_u32_e32 v8, v10, v8
	v_ashrrev_i32_e32 v9, 8, v9
	v_add_u32_e32 v8, 0x3c000000, v8
	v_and_or_b32 v8, v9, s4, v8
	v_cmp_ne_u32_e32 vcc, 0, v7
	v_cndmask_b32_e32 v7, 0, v8, vcc
	v_and_or_b32 v6, v6, s5, v7
	v_bfe_u32 v7, v7, 16, 1
	v_add3_u32 v7, v6, v7, s20
	v_cmp_o_f32_e32 vcc, v6, v6
	v_mov_b32_e32 v6, 0x7fc0
	v_cndmask_b32_sdwa v6, v6, v7, vcc dst_sel:DWORD dst_unused:UNUSED_PAD src0_sel:DWORD src1_sel:WORD_1
.LBB142_1797:
	s_mov_b64 s[4:5], 0
.LBB142_1798:
	s_andn2_b64 vcc, exec, s[4:5]
	s_cbranch_vccnz .LBB142_1800
; %bb.1799:
	global_load_ubyte v6, v[0:1], off
	s_movk_i32 s4, 0x7f00
	s_brev_b32 s5, 16
	s_brev_b32 s20, 1
	s_movk_i32 s21, 0x7fff
	s_waitcnt vmcnt(0)
	v_lshlrev_b16_e32 v7, 8, v6
	v_lshlrev_b32_e32 v6, 25, v6
	v_lshrrev_b32_e32 v8, 4, v6
	v_and_or_b32 v9, v7, s4, 0.5
	v_or_b32_e32 v8, 0x70000000, v8
	v_add_f32_e32 v9, -0.5, v9
	v_mul_f32_e32 v8, 0x7800000, v8
	v_cmp_gt_u32_e32 vcc, s5, v6
	v_bfe_i32 v7, v7, 0, 16
	v_cndmask_b32_e32 v6, v8, v9, vcc
	v_and_or_b32 v7, v7, s20, v6
	v_bfe_u32 v6, v6, 16, 1
	v_add3_u32 v6, v7, v6, s21
	v_cmp_o_f32_e32 vcc, v7, v7
	v_mov_b32_e32 v7, 0x7fc0
	v_cndmask_b32_sdwa v6, v7, v6, vcc dst_sel:DWORD dst_unused:UNUSED_PAD src0_sel:DWORD src1_sel:WORD_1
.LBB142_1800:
	s_mov_b64 s[4:5], 0
	s_mov_b64 s[20:21], -1
.LBB142_1801:
	s_andn2_b64 vcc, exec, s[4:5]
	s_mov_b64 s[4:5], 0
	s_cbranch_vccnz .LBB142_1812
; %bb.1802:
	s_cmp_gt_i32 s26, 14
	s_cbranch_scc0 .LBB142_1805
; %bb.1803:
	s_cmp_eq_u32 s26, 15
	s_cbranch_scc0 .LBB142_1808
; %bb.1804:
	global_load_ushort v6, v[0:1], off
	s_mov_b64 s[0:1], 0
	s_mov_b64 s[20:21], -1
	s_branch .LBB142_1809
.LBB142_1805:
	s_mov_b64 s[22:23], -1
                                        ; implicit-def: $vgpr6
	s_branch .LBB142_1810
.LBB142_1806:
	s_or_saveexec_b64 s[20:21], s[20:21]
	v_mov_b32_e32 v7, 0x7f800001
	s_xor_b64 exec, exec, s[20:21]
	s_cbranch_execz .LBB142_1787
.LBB142_1807:
	v_cmp_ne_u16_e32 vcc, 0, v6
	s_andn2_b64 s[4:5], s[4:5], exec
	s_and_b64 s[22:23], vcc, exec
	v_mov_b32_e32 v7, 0
	s_or_b64 s[4:5], s[4:5], s[22:23]
	s_or_b64 exec, exec, s[20:21]
	s_and_saveexec_b64 s[20:21], s[4:5]
	s_cbranch_execnz .LBB142_1788
	s_branch .LBB142_1789
.LBB142_1808:
	s_mov_b64 s[0:1], -1
                                        ; implicit-def: $vgpr6
.LBB142_1809:
	s_mov_b64 s[22:23], 0
.LBB142_1810:
	s_and_b64 vcc, exec, s[22:23]
	s_cbranch_vccz .LBB142_1812
; %bb.1811:
	s_cmp_lg_u32 s26, 11
	s_mov_b64 s[4:5], -1
	s_cselect_b64 s[0:1], -1, 0
.LBB142_1812:
	s_and_b64 vcc, exec, s[0:1]
	s_cbranch_vccnz .LBB142_1891
; %bb.1813:
	s_andn2_b64 vcc, exec, s[4:5]
	s_cbranch_vccnz .LBB142_1815
.LBB142_1814:
	global_load_ubyte v6, v[0:1], off
	s_mov_b64 s[20:21], -1
	s_waitcnt vmcnt(0)
	v_cmp_ne_u16_e32 vcc, 0, v6
	v_cndmask_b32_e64 v6, 0, 1.0, vcc
	v_lshrrev_b32_e32 v6, 16, v6
.LBB142_1815:
	s_branch .LBB142_1742
.LBB142_1816:
	s_and_b32 s4, 0xffff, s31
	s_cmp_lt_i32 s4, 5
	s_cbranch_scc1 .LBB142_1821
; %bb.1817:
	s_cmp_lt_i32 s4, 8
	s_cbranch_scc1 .LBB142_1822
; %bb.1818:
	;; [unrolled: 3-line block ×3, first 2 shown]
	s_cmp_gt_i32 s4, 9
	s_cbranch_scc0 .LBB142_1824
; %bb.1820:
	global_load_dwordx2 v[6:7], v[0:1], off
	s_movk_i32 s0, 0x7fff
	s_waitcnt vmcnt(0)
	v_cvt_f32_f64_e32 v6, v[6:7]
	v_mov_b32_e32 v7, 0x7fc0
	v_bfe_u32 v8, v6, 16, 1
	v_cmp_o_f32_e32 vcc, v6, v6
	v_add3_u32 v6, v6, v8, s0
	v_cndmask_b32_sdwa v6, v7, v6, vcc dst_sel:DWORD dst_unused:UNUSED_PAD src0_sel:DWORD src1_sel:WORD_1
	s_mov_b64 s[0:1], 0
	s_branch .LBB142_1825
.LBB142_1821:
                                        ; implicit-def: $vgpr6
	s_branch .LBB142_1843
.LBB142_1822:
	s_mov_b64 s[0:1], -1
                                        ; implicit-def: $vgpr6
	s_branch .LBB142_1831
.LBB142_1823:
	s_mov_b64 s[0:1], -1
                                        ; implicit-def: $vgpr6
	s_branch .LBB142_1828
.LBB142_1824:
	s_mov_b64 s[0:1], -1
                                        ; implicit-def: $vgpr6
.LBB142_1825:
	s_andn2_b64 vcc, exec, s[0:1]
	s_cbranch_vccnz .LBB142_1827
; %bb.1826:
	global_load_dword v6, v[0:1], off
	s_movk_i32 s0, 0x7fff
	v_mov_b32_e32 v7, 0x7fc0
	s_waitcnt vmcnt(0)
	v_bfe_u32 v8, v6, 16, 1
	v_cmp_o_f32_e32 vcc, v6, v6
	v_add3_u32 v6, v6, v8, s0
	v_cndmask_b32_sdwa v6, v7, v6, vcc dst_sel:DWORD dst_unused:UNUSED_PAD src0_sel:DWORD src1_sel:WORD_1
.LBB142_1827:
	s_mov_b64 s[0:1], 0
.LBB142_1828:
	s_andn2_b64 vcc, exec, s[0:1]
	s_cbranch_vccnz .LBB142_1830
; %bb.1829:
	global_load_dword v6, v[0:1], off
	s_movk_i32 s0, 0x7fff
	v_mov_b32_e32 v8, 0x7fc0
	s_waitcnt vmcnt(0)
	v_cvt_f32_f16_e32 v7, v6
	v_cmp_o_f16_e32 vcc, v6, v6
	v_bfe_u32 v6, v7, 16, 1
	v_add3_u32 v6, v7, v6, s0
	v_cndmask_b32_sdwa v6, v8, v6, vcc dst_sel:DWORD dst_unused:UNUSED_PAD src0_sel:DWORD src1_sel:WORD_1
.LBB142_1830:
	s_mov_b64 s[0:1], 0
.LBB142_1831:
	s_andn2_b64 vcc, exec, s[0:1]
	s_cbranch_vccnz .LBB142_1842
; %bb.1832:
	s_cmp_lt_i32 s4, 6
	s_cbranch_scc1 .LBB142_1835
; %bb.1833:
	s_cmp_gt_i32 s4, 6
	s_cbranch_scc0 .LBB142_1836
; %bb.1834:
	global_load_dwordx2 v[6:7], v[0:1], off
	s_movk_i32 s0, 0x7fff
	s_waitcnt vmcnt(0)
	v_cvt_f32_f64_e32 v6, v[6:7]
	v_mov_b32_e32 v7, 0x7fc0
	v_bfe_u32 v8, v6, 16, 1
	v_cmp_o_f32_e32 vcc, v6, v6
	v_add3_u32 v6, v6, v8, s0
	v_cndmask_b32_sdwa v6, v7, v6, vcc dst_sel:DWORD dst_unused:UNUSED_PAD src0_sel:DWORD src1_sel:WORD_1
	s_mov_b64 s[0:1], 0
	s_branch .LBB142_1837
.LBB142_1835:
	s_mov_b64 s[0:1], -1
                                        ; implicit-def: $vgpr6
	s_branch .LBB142_1840
.LBB142_1836:
	s_mov_b64 s[0:1], -1
                                        ; implicit-def: $vgpr6
.LBB142_1837:
	s_andn2_b64 vcc, exec, s[0:1]
	s_cbranch_vccnz .LBB142_1839
; %bb.1838:
	global_load_dword v6, v[0:1], off
	s_movk_i32 s0, 0x7fff
	v_mov_b32_e32 v7, 0x7fc0
	s_waitcnt vmcnt(0)
	v_bfe_u32 v8, v6, 16, 1
	v_cmp_o_f32_e32 vcc, v6, v6
	v_add3_u32 v6, v6, v8, s0
	v_cndmask_b32_sdwa v6, v7, v6, vcc dst_sel:DWORD dst_unused:UNUSED_PAD src0_sel:DWORD src1_sel:WORD_1
.LBB142_1839:
	s_mov_b64 s[0:1], 0
.LBB142_1840:
	s_andn2_b64 vcc, exec, s[0:1]
	s_cbranch_vccnz .LBB142_1842
; %bb.1841:
	global_load_ushort v6, v[0:1], off
	s_movk_i32 s0, 0x7fff
	v_mov_b32_e32 v8, 0x7fc0
	s_waitcnt vmcnt(0)
	v_cvt_f32_f16_e32 v7, v6
	v_cmp_o_f16_e32 vcc, v6, v6
	v_bfe_u32 v6, v7, 16, 1
	v_add3_u32 v6, v7, v6, s0
	v_cndmask_b32_sdwa v6, v8, v6, vcc dst_sel:DWORD dst_unused:UNUSED_PAD src0_sel:DWORD src1_sel:WORD_1
.LBB142_1842:
	s_cbranch_execnz .LBB142_1862
.LBB142_1843:
	s_cmp_lt_i32 s4, 2
	s_cbranch_scc1 .LBB142_1847
; %bb.1844:
	s_cmp_lt_i32 s4, 3
	s_cbranch_scc1 .LBB142_1848
; %bb.1845:
	s_cmp_gt_i32 s4, 3
	s_cbranch_scc0 .LBB142_1849
; %bb.1846:
	global_load_dwordx2 v[6:7], v[0:1], off
	s_movk_i32 s0, 0x7fff
	s_waitcnt vmcnt(0)
	v_xor_b32_e32 v9, v6, v7
	v_ffbh_i32_e32 v8, v7
	v_ashrrev_i32_e32 v9, 31, v9
	v_add_u32_e32 v8, -1, v8
	v_add_u32_e32 v9, 32, v9
	v_min_u32_e32 v8, v8, v9
	v_lshlrev_b64 v[6:7], v8, v[6:7]
	v_min_u32_e32 v6, 1, v6
	v_or_b32_e32 v6, v7, v6
	v_cvt_f32_i32_e32 v6, v6
	v_sub_u32_e32 v7, 32, v8
	v_ldexp_f32 v6, v6, v7
	v_bfe_u32 v7, v6, 16, 1
	v_add3_u32 v6, v6, v7, s0
	v_lshrrev_b32_e32 v6, 16, v6
	s_mov_b64 s[0:1], 0
	s_branch .LBB142_1850
.LBB142_1847:
	s_mov_b64 s[0:1], -1
                                        ; implicit-def: $vgpr6
	s_branch .LBB142_1856
.LBB142_1848:
	s_mov_b64 s[0:1], -1
                                        ; implicit-def: $vgpr6
	s_branch .LBB142_1853
.LBB142_1849:
	s_mov_b64 s[0:1], -1
                                        ; implicit-def: $vgpr6
.LBB142_1850:
	s_andn2_b64 vcc, exec, s[0:1]
	s_cbranch_vccnz .LBB142_1852
; %bb.1851:
	global_load_dword v6, v[0:1], off
	s_movk_i32 s0, 0x7fff
	s_waitcnt vmcnt(0)
	v_cvt_f32_i32_e32 v6, v6
	v_bfe_u32 v7, v6, 16, 1
	v_add3_u32 v6, v6, v7, s0
	v_lshrrev_b32_e32 v6, 16, v6
.LBB142_1852:
	s_mov_b64 s[0:1], 0
.LBB142_1853:
	s_andn2_b64 vcc, exec, s[0:1]
	s_cbranch_vccnz .LBB142_1855
; %bb.1854:
	global_load_sshort v6, v[0:1], off
	s_movk_i32 s0, 0x7fff
	s_waitcnt vmcnt(0)
	v_cvt_f32_i32_e32 v6, v6
	v_bfe_u32 v7, v6, 16, 1
	v_add3_u32 v6, v6, v7, s0
	v_lshrrev_b32_e32 v6, 16, v6
.LBB142_1855:
	s_mov_b64 s[0:1], 0
.LBB142_1856:
	s_andn2_b64 vcc, exec, s[0:1]
	s_cbranch_vccnz .LBB142_1862
; %bb.1857:
	s_cmp_gt_i32 s4, 0
	s_cbranch_scc0 .LBB142_1859
; %bb.1858:
	global_load_sbyte v6, v[0:1], off
	s_movk_i32 s0, 0x7fff
	s_waitcnt vmcnt(0)
	v_cvt_f32_i32_e32 v6, v6
	v_bfe_u32 v7, v6, 16, 1
	v_add3_u32 v6, v6, v7, s0
	v_lshrrev_b32_e32 v6, 16, v6
	s_mov_b64 s[0:1], 0
	s_branch .LBB142_1860
.LBB142_1859:
	s_mov_b64 s[0:1], -1
                                        ; implicit-def: $vgpr6
.LBB142_1860:
	s_andn2_b64 vcc, exec, s[0:1]
	s_cbranch_vccnz .LBB142_1862
; %bb.1861:
	global_load_ubyte v0, v[0:1], off
	s_movk_i32 s0, 0x7fff
	s_waitcnt vmcnt(0)
	v_cvt_f32_ubyte0_e32 v0, v0
	v_bfe_u32 v1, v0, 16, 1
	v_add3_u32 v0, v0, v1, s0
	v_lshrrev_b32_e32 v6, 16, v0
.LBB142_1862:
.LBB142_1863:
	s_waitcnt vmcnt(0)
	v_lshlrev_b32_e32 v0, 16, v5
	v_lshlrev_b32_e32 v1, 16, v6
	s_cmp_lt_i32 s15, 1
	s_mov_b64 s[0:1], 0
	s_cbranch_scc1 .LBB142_1867
; %bb.1864:
	s_cmp_gt_i32 s15, 1
	s_cbranch_scc0 .LBB142_1868
; %bb.1865:
	s_cmp_eq_u32 s15, 2
	s_cbranch_scc0 .LBB142_1869
; %bb.1866:
	v_cmp_le_f32_e64 s[4:5], v0, v1
	s_mov_b64 s[20:21], 0
	s_branch .LBB142_1870
.LBB142_1867:
                                        ; implicit-def: $sgpr4_sgpr5
	s_mov_b64 s[20:21], 0
	s_cbranch_execnz .LBB142_1874
	s_branch .LBB142_1875
.LBB142_1868:
	s_mov_b64 s[22:23], -1
	s_mov_b64 s[20:21], 0
                                        ; implicit-def: $sgpr4_sgpr5
	s_branch .LBB142_1871
.LBB142_1869:
	s_mov_b64 s[20:21], -1
                                        ; implicit-def: $sgpr4_sgpr5
.LBB142_1870:
	s_mov_b64 s[22:23], 0
.LBB142_1871:
	s_and_b64 vcc, exec, s[22:23]
	s_cbranch_vccz .LBB142_1873
; %bb.1872:
	v_cmp_gt_f32_e32 vcc, v0, v1
	s_andn2_b64 s[4:5], s[4:5], exec
	s_and_b64 s[22:23], vcc, exec
	s_or_b64 s[4:5], s[4:5], s[22:23]
.LBB142_1873:
	s_branch .LBB142_1875
.LBB142_1874:
	s_cmp_lg_u32 s15, 0
	s_mov_b64 s[0:1], -1
	s_cselect_b64 s[20:21], -1, 0
.LBB142_1875:
	s_andn2_b64 vcc, exec, s[20:21]
	s_cbranch_vccnz .LBB142_1877
; %bb.1876:
	v_cmp_lt_f32_e32 vcc, v0, v1
	s_andn2_b64 s[4:5], s[4:5], exec
	s_and_b64 s[20:21], vcc, exec
	s_or_b64 s[4:5], s[4:5], s[20:21]
	s_cbranch_execz .LBB142_1878
	s_branch .LBB142_1879
.LBB142_1877:
	s_andn2_b64 vcc, exec, s[0:1]
	s_cbranch_vccnz .LBB142_1879
.LBB142_1878:
	v_cmp_ge_f32_e32 vcc, v0, v1
	s_andn2_b64 s[0:1], s[4:5], exec
	s_and_b64 s[4:5], vcc, exec
	s_or_b64 s[4:5], s[0:1], s[4:5]
.LBB142_1879:
	s_lshl_b32 s13, s13, 7
	v_add_u32_e32 v3, s13, v3
	v_ashrrev_i32_e32 v1, 31, v3
	v_mov_b32_e32 v5, s11
	v_add_co_u32_e32 v0, vcc, s10, v3
	s_cmp_lt_i32 s30, 11
	v_addc_co_u32_e32 v1, vcc, v5, v1, vcc
	s_cbranch_scc1 .LBB142_1886
; %bb.1880:
	s_and_b32 s28, 0xffff, s30
	s_cmp_gt_i32 s28, 25
	s_mov_b64 s[20:21], 0
	s_cbranch_scc0 .LBB142_1888
; %bb.1881:
	s_cmp_gt_i32 s28, 28
	s_cbranch_scc0 .LBB142_1889
; %bb.1882:
	s_cmp_gt_i32 s28, 43
	;; [unrolled: 3-line block ×3, first 2 shown]
	s_cbranch_scc0 .LBB142_1892
; %bb.1884:
	s_cmp_eq_u32 s28, 46
	s_mov_b64 s[24:25], 0
	s_cbranch_scc0 .LBB142_1893
; %bb.1885:
	global_load_dword v5, v[0:1], off
	s_mov_b64 s[0:1], 0
	s_mov_b64 s[22:23], -1
	s_branch .LBB142_1894
.LBB142_1886:
	s_mov_b64 s[22:23], 0
                                        ; implicit-def: $vgpr5
	s_cbranch_execnz .LBB142_1960
.LBB142_1887:
	s_andn2_b64 vcc, exec, s[22:23]
	s_cbranch_vccnz .LBB142_2698
	s_branch .LBB142_2008
.LBB142_1888:
	s_mov_b64 s[24:25], -1
	s_mov_b64 s[22:23], 0
	s_mov_b64 s[0:1], 0
                                        ; implicit-def: $vgpr5
	s_branch .LBB142_1923
.LBB142_1889:
	s_mov_b64 s[24:25], -1
	s_mov_b64 s[22:23], 0
	s_mov_b64 s[0:1], 0
                                        ; implicit-def: $vgpr5
	s_branch .LBB142_1904
.LBB142_1890:
	s_mov_b64 s[24:25], -1
	s_mov_b64 s[22:23], 0
	s_mov_b64 s[0:1], 0
                                        ; implicit-def: $vgpr5
	s_branch .LBB142_1899
.LBB142_1891:
	s_trap 2
	s_or_b64 s[18:19], s[18:19], exec
	s_cbranch_execz .LBB142_1814
	s_branch .LBB142_1815
.LBB142_1892:
	s_mov_b64 s[24:25], -1
	s_mov_b64 s[22:23], 0
	s_mov_b64 s[0:1], 0
                                        ; implicit-def: $vgpr5
	s_branch .LBB142_1894
.LBB142_1893:
	s_mov_b64 s[0:1], -1
                                        ; implicit-def: $vgpr5
	s_mov_b64 s[22:23], 0
.LBB142_1894:
	s_and_b64 vcc, exec, s[24:25]
	s_cbranch_vccz .LBB142_1898
; %bb.1895:
	s_cmp_eq_u32 s28, 44
	s_cbranch_scc0 .LBB142_1897
; %bb.1896:
	global_load_ubyte v5, v[0:1], off
	s_movk_i32 s22, 0xff
	v_mov_b32_e32 v6, 0x7f800001
	v_mov_b32_e32 v7, 0x400000
	;; [unrolled: 1-line block ×3, first 2 shown]
	s_mov_b64 s[0:1], 0
	s_waitcnt vmcnt(0)
	v_lshlrev_b32_e32 v9, 23, v5
	v_cmp_ne_u32_e32 vcc, s22, v5
	v_cndmask_b32_e32 v6, v6, v9, vcc
	v_cmp_ne_u32_e32 vcc, 0, v5
	v_cndmask_b32_e32 v5, v7, v6, vcc
	v_add_u32_e32 v6, 0x7fff, v5
	v_cmp_o_f32_e32 vcc, v5, v5
	v_cndmask_b32_sdwa v5, v8, v6, vcc dst_sel:DWORD dst_unused:UNUSED_PAD src0_sel:DWORD src1_sel:WORD_1
	s_mov_b64 s[22:23], -1
	s_branch .LBB142_1898
.LBB142_1897:
	s_mov_b64 s[0:1], -1
                                        ; implicit-def: $vgpr5
.LBB142_1898:
	s_mov_b64 s[24:25], 0
.LBB142_1899:
	s_and_b64 vcc, exec, s[24:25]
	s_cbranch_vccz .LBB142_1903
; %bb.1900:
	s_cmp_eq_u32 s28, 29
	s_cbranch_scc0 .LBB142_1902
; %bb.1901:
	global_load_dwordx2 v[5:6], v[0:1], off
	s_movk_i32 s22, 0x7fff
	s_mov_b64 s[0:1], 0
	s_mov_b64 s[24:25], 0
	s_waitcnt vmcnt(0)
	v_ffbh_u32_e32 v7, v6
	v_min_u32_e32 v7, 32, v7
	v_lshlrev_b64 v[5:6], v7, v[5:6]
	v_min_u32_e32 v5, 1, v5
	v_or_b32_e32 v5, v6, v5
	v_cvt_f32_u32_e32 v5, v5
	v_sub_u32_e32 v6, 32, v7
	v_ldexp_f32 v5, v5, v6
	v_bfe_u32 v6, v5, 16, 1
	v_add3_u32 v5, v5, v6, s22
	v_lshrrev_b32_e32 v5, 16, v5
	s_mov_b64 s[22:23], -1
	s_branch .LBB142_1904
.LBB142_1902:
	s_mov_b64 s[0:1], -1
                                        ; implicit-def: $vgpr5
.LBB142_1903:
	s_mov_b64 s[24:25], 0
.LBB142_1904:
	s_and_b64 vcc, exec, s[24:25]
	s_cbranch_vccz .LBB142_1922
; %bb.1905:
	s_cmp_lt_i32 s28, 27
	s_cbranch_scc1 .LBB142_1908
; %bb.1906:
	s_cmp_gt_i32 s28, 27
	s_cbranch_scc0 .LBB142_1909
; %bb.1907:
	global_load_dword v5, v[0:1], off
	s_movk_i32 s22, 0x7fff
	s_waitcnt vmcnt(0)
	v_cvt_f32_u32_e32 v5, v5
	v_bfe_u32 v6, v5, 16, 1
	v_add3_u32 v5, v5, v6, s22
	v_lshrrev_b32_e32 v5, 16, v5
	s_mov_b64 s[22:23], 0
	s_branch .LBB142_1910
.LBB142_1908:
	s_mov_b64 s[22:23], -1
                                        ; implicit-def: $vgpr5
	s_branch .LBB142_1913
.LBB142_1909:
	s_mov_b64 s[22:23], -1
                                        ; implicit-def: $vgpr5
.LBB142_1910:
	s_andn2_b64 vcc, exec, s[22:23]
	s_cbranch_vccnz .LBB142_1912
; %bb.1911:
	global_load_ushort v5, v[0:1], off
	s_movk_i32 s22, 0x7fff
	s_waitcnt vmcnt(0)
	v_cvt_f32_u32_e32 v5, v5
	v_bfe_u32 v6, v5, 16, 1
	v_add3_u32 v5, v5, v6, s22
	v_lshrrev_b32_e32 v5, 16, v5
.LBB142_1912:
	s_mov_b64 s[22:23], 0
.LBB142_1913:
	s_andn2_b64 vcc, exec, s[22:23]
	s_cbranch_vccnz .LBB142_1921
; %bb.1914:
	global_load_ubyte v5, v[0:1], off
	s_movk_i32 s22, 0x7f
	s_waitcnt vmcnt(0)
	v_cmp_lt_i16_e32 vcc, s22, v5
	s_mov_b64 s[22:23], 0
	s_and_saveexec_b64 s[24:25], vcc
	s_xor_b64 s[24:25], exec, s[24:25]
	s_cbranch_execz .LBB142_1935
; %bb.1915:
	s_movk_i32 s22, 0x80
	v_cmp_eq_u16_e32 vcc, s22, v5
	s_mov_b64 s[22:23], -1
	s_and_saveexec_b64 s[26:27], vcc
; %bb.1916:
	s_xor_b64 s[22:23], exec, -1
; %bb.1917:
	s_or_b64 exec, exec, s[26:27]
	s_and_b64 s[22:23], s[22:23], exec
	s_or_saveexec_b64 s[24:25], s[24:25]
	v_mov_b32_e32 v6, 0x7f800001
	s_xor_b64 exec, exec, s[24:25]
	s_cbranch_execnz .LBB142_1936
.LBB142_1918:
	s_or_b64 exec, exec, s[24:25]
	s_and_saveexec_b64 s[24:25], s[22:23]
	s_cbranch_execz .LBB142_1920
.LBB142_1919:
	v_lshlrev_b32_e32 v6, 24, v5
	v_and_b32_e32 v5, 0xffff, v5
	v_and_b32_e32 v7, 7, v5
	v_ffbh_u32_e32 v9, v7
	v_min_u32_e32 v9, 32, v9
	v_subrev_u32_e32 v10, 28, v9
	v_bfe_u32 v8, v5, 3, 4
	v_lshlrev_b32_e32 v5, v10, v5
	v_sub_u32_e32 v9, 29, v9
	v_and_b32_e32 v5, 7, v5
	v_cmp_eq_u32_e32 vcc, 0, v8
	v_cndmask_b32_e32 v8, v8, v9, vcc
	v_cndmask_b32_e32 v5, v7, v5, vcc
	v_mov_b32_e32 v7, 0x3b800000
	v_lshlrev_b32_e32 v5, 20, v5
	v_and_b32_e32 v6, 0x80000000, v6
	v_lshl_add_u32 v7, v8, 23, v7
	v_or3_b32 v6, v6, v7, v5
.LBB142_1920:
	s_or_b64 exec, exec, s[24:25]
	v_bfe_u32 v5, v6, 16, 1
	s_movk_i32 s22, 0x7fff
	v_add3_u32 v5, v6, v5, s22
	v_cmp_o_f32_e32 vcc, v6, v6
	v_mov_b32_e32 v6, 0x7fc0
	v_cndmask_b32_sdwa v5, v6, v5, vcc dst_sel:DWORD dst_unused:UNUSED_PAD src0_sel:DWORD src1_sel:WORD_1
.LBB142_1921:
	s_mov_b64 s[22:23], -1
.LBB142_1922:
	s_mov_b64 s[24:25], 0
.LBB142_1923:
	s_and_b64 vcc, exec, s[24:25]
	s_cbranch_vccz .LBB142_1956
; %bb.1924:
	s_cmp_gt_i32 s28, 22
	s_cbranch_scc0 .LBB142_1934
; %bb.1925:
	s_cmp_lt_i32 s28, 24
	s_cbranch_scc1 .LBB142_1937
; %bb.1926:
	s_cmp_gt_i32 s28, 24
	s_cbranch_scc0 .LBB142_1938
; %bb.1927:
	global_load_ubyte v5, v[0:1], off
	s_movk_i32 s20, 0x7f
	s_waitcnt vmcnt(0)
	v_cmp_lt_i16_e32 vcc, s20, v5
	s_mov_b64 s[20:21], 0
	s_and_saveexec_b64 s[22:23], vcc
	s_xor_b64 s[22:23], exec, s[22:23]
	s_cbranch_execz .LBB142_1950
; %bb.1928:
	s_movk_i32 s20, 0x80
	v_cmp_eq_u16_e32 vcc, s20, v5
	s_mov_b64 s[20:21], -1
	s_and_saveexec_b64 s[24:25], vcc
; %bb.1929:
	s_xor_b64 s[20:21], exec, -1
; %bb.1930:
	s_or_b64 exec, exec, s[24:25]
	s_and_b64 s[20:21], s[20:21], exec
	s_or_saveexec_b64 s[22:23], s[22:23]
	v_mov_b32_e32 v6, 0x7f800001
	s_xor_b64 exec, exec, s[22:23]
	s_cbranch_execnz .LBB142_1951
.LBB142_1931:
	s_or_b64 exec, exec, s[22:23]
	s_and_saveexec_b64 s[22:23], s[20:21]
	s_cbranch_execz .LBB142_1933
.LBB142_1932:
	v_lshlrev_b32_e32 v6, 24, v5
	v_and_b32_e32 v5, 0xffff, v5
	v_and_b32_e32 v7, 3, v5
	v_ffbh_u32_e32 v9, v7
	v_min_u32_e32 v9, 32, v9
	v_subrev_u32_e32 v10, 29, v9
	v_bfe_u32 v8, v5, 2, 5
	v_lshlrev_b32_e32 v5, v10, v5
	v_sub_u32_e32 v9, 30, v9
	v_and_b32_e32 v5, 3, v5
	v_cmp_eq_u32_e32 vcc, 0, v8
	v_cndmask_b32_e32 v8, v8, v9, vcc
	v_cndmask_b32_e32 v5, v7, v5, vcc
	v_mov_b32_e32 v7, 0x37800000
	v_lshlrev_b32_e32 v5, 21, v5
	v_and_b32_e32 v6, 0x80000000, v6
	v_lshl_add_u32 v7, v8, 23, v7
	v_or3_b32 v6, v6, v7, v5
.LBB142_1933:
	s_or_b64 exec, exec, s[22:23]
	v_bfe_u32 v5, v6, 16, 1
	s_movk_i32 s20, 0x7fff
	v_add3_u32 v5, v6, v5, s20
	v_cmp_o_f32_e32 vcc, v6, v6
	v_mov_b32_e32 v6, 0x7fc0
	v_cndmask_b32_sdwa v5, v6, v5, vcc dst_sel:DWORD dst_unused:UNUSED_PAD src0_sel:DWORD src1_sel:WORD_1
	s_mov_b64 s[20:21], 0
	s_branch .LBB142_1939
.LBB142_1934:
	s_mov_b64 s[20:21], -1
                                        ; implicit-def: $vgpr5
	s_branch .LBB142_1945
.LBB142_1935:
	s_or_saveexec_b64 s[24:25], s[24:25]
	v_mov_b32_e32 v6, 0x7f800001
	s_xor_b64 exec, exec, s[24:25]
	s_cbranch_execz .LBB142_1918
.LBB142_1936:
	v_cmp_ne_u16_e32 vcc, 0, v5
	s_andn2_b64 s[22:23], s[22:23], exec
	s_and_b64 s[26:27], vcc, exec
	v_mov_b32_e32 v6, 0
	s_or_b64 s[22:23], s[22:23], s[26:27]
	s_or_b64 exec, exec, s[24:25]
	s_and_saveexec_b64 s[24:25], s[22:23]
	s_cbranch_execnz .LBB142_1919
	s_branch .LBB142_1920
.LBB142_1937:
	s_mov_b64 s[20:21], -1
                                        ; implicit-def: $vgpr5
	s_branch .LBB142_1942
.LBB142_1938:
	s_mov_b64 s[20:21], -1
                                        ; implicit-def: $vgpr5
.LBB142_1939:
	s_and_b64 vcc, exec, s[20:21]
	s_cbranch_vccz .LBB142_1941
; %bb.1940:
	global_load_ubyte v5, v[0:1], off
	s_mov_b32 s20, 0x7f800000
	s_brev_b32 s21, 1
	s_movk_i32 s22, 0x7fff
	s_waitcnt vmcnt(0)
	v_lshlrev_b32_e32 v5, 24, v5
	v_and_b32_e32 v6, 0x7f000000, v5
	v_ffbh_u32_e32 v7, v6
	v_min_u32_e32 v7, 32, v7
	v_sub_u32_e64 v7, v7, 4 clamp
	v_lshlrev_b32_e32 v9, v7, v6
	v_lshlrev_b32_e32 v7, 23, v7
	v_lshrrev_b32_e32 v9, 4, v9
	v_add_u32_e32 v8, 0x1000000, v6
	v_sub_u32_e32 v7, v9, v7
	v_ashrrev_i32_e32 v8, 8, v8
	v_add_u32_e32 v7, 0x3c000000, v7
	v_and_or_b32 v7, v8, s20, v7
	v_cmp_ne_u32_e32 vcc, 0, v6
	v_cndmask_b32_e32 v6, 0, v7, vcc
	v_and_or_b32 v5, v5, s21, v6
	v_bfe_u32 v6, v6, 16, 1
	v_add3_u32 v6, v5, v6, s22
	v_cmp_o_f32_e32 vcc, v5, v5
	v_mov_b32_e32 v5, 0x7fc0
	v_cndmask_b32_sdwa v5, v5, v6, vcc dst_sel:DWORD dst_unused:UNUSED_PAD src0_sel:DWORD src1_sel:WORD_1
.LBB142_1941:
	s_mov_b64 s[20:21], 0
.LBB142_1942:
	s_andn2_b64 vcc, exec, s[20:21]
	s_cbranch_vccnz .LBB142_1944
; %bb.1943:
	global_load_ubyte v5, v[0:1], off
	s_movk_i32 s20, 0x7f00
	s_brev_b32 s21, 16
	s_brev_b32 s22, 1
	s_movk_i32 s23, 0x7fff
	s_waitcnt vmcnt(0)
	v_lshlrev_b16_e32 v6, 8, v5
	v_lshlrev_b32_e32 v5, 25, v5
	v_lshrrev_b32_e32 v7, 4, v5
	v_and_or_b32 v8, v6, s20, 0.5
	v_or_b32_e32 v7, 0x70000000, v7
	v_add_f32_e32 v8, -0.5, v8
	v_mul_f32_e32 v7, 0x7800000, v7
	v_cmp_gt_u32_e32 vcc, s21, v5
	v_bfe_i32 v6, v6, 0, 16
	v_cndmask_b32_e32 v5, v7, v8, vcc
	v_and_or_b32 v6, v6, s22, v5
	v_bfe_u32 v5, v5, 16, 1
	v_add3_u32 v5, v6, v5, s23
	v_cmp_o_f32_e32 vcc, v6, v6
	v_mov_b32_e32 v6, 0x7fc0
	v_cndmask_b32_sdwa v5, v6, v5, vcc dst_sel:DWORD dst_unused:UNUSED_PAD src0_sel:DWORD src1_sel:WORD_1
.LBB142_1944:
	s_mov_b64 s[20:21], 0
	s_mov_b64 s[22:23], -1
.LBB142_1945:
	s_andn2_b64 vcc, exec, s[20:21]
	s_mov_b64 s[20:21], 0
	s_cbranch_vccnz .LBB142_1956
; %bb.1946:
	s_cmp_gt_i32 s28, 14
	s_cbranch_scc0 .LBB142_1949
; %bb.1947:
	s_cmp_eq_u32 s28, 15
	s_cbranch_scc0 .LBB142_1952
; %bb.1948:
	global_load_ushort v5, v[0:1], off
	s_mov_b64 s[0:1], 0
	s_mov_b64 s[22:23], -1
	s_branch .LBB142_1953
.LBB142_1949:
	s_mov_b64 s[24:25], -1
                                        ; implicit-def: $vgpr5
	s_branch .LBB142_1954
.LBB142_1950:
	s_or_saveexec_b64 s[22:23], s[22:23]
	v_mov_b32_e32 v6, 0x7f800001
	s_xor_b64 exec, exec, s[22:23]
	s_cbranch_execz .LBB142_1931
.LBB142_1951:
	v_cmp_ne_u16_e32 vcc, 0, v5
	s_andn2_b64 s[20:21], s[20:21], exec
	s_and_b64 s[24:25], vcc, exec
	v_mov_b32_e32 v6, 0
	s_or_b64 s[20:21], s[20:21], s[24:25]
	s_or_b64 exec, exec, s[22:23]
	s_and_saveexec_b64 s[22:23], s[20:21]
	s_cbranch_execnz .LBB142_1932
	s_branch .LBB142_1933
.LBB142_1952:
	s_mov_b64 s[0:1], -1
                                        ; implicit-def: $vgpr5
.LBB142_1953:
	s_mov_b64 s[24:25], 0
.LBB142_1954:
	s_and_b64 vcc, exec, s[24:25]
	s_cbranch_vccz .LBB142_1956
; %bb.1955:
	s_cmp_lg_u32 s28, 11
	s_mov_b64 s[20:21], -1
	s_cselect_b64 s[0:1], -1, 0
.LBB142_1956:
	s_and_b64 vcc, exec, s[0:1]
	s_cbranch_vccnz .LBB142_2019
; %bb.1957:
	s_andn2_b64 vcc, exec, s[20:21]
	s_cbranch_vccnz .LBB142_1959
.LBB142_1958:
	global_load_ubyte v5, v[0:1], off
	s_mov_b64 s[22:23], -1
	s_waitcnt vmcnt(0)
	v_cmp_ne_u16_e32 vcc, 0, v5
	v_cndmask_b32_e64 v5, 0, 1.0, vcc
	v_lshrrev_b32_e32 v5, 16, v5
.LBB142_1959:
	s_branch .LBB142_1887
.LBB142_1960:
	s_and_b32 s20, 0xffff, s30
	s_cmp_lt_i32 s20, 5
	s_cbranch_scc1 .LBB142_1965
; %bb.1961:
	s_cmp_lt_i32 s20, 8
	s_cbranch_scc1 .LBB142_1966
; %bb.1962:
	;; [unrolled: 3-line block ×3, first 2 shown]
	s_cmp_gt_i32 s20, 9
	s_cbranch_scc0 .LBB142_1968
; %bb.1964:
	global_load_dwordx2 v[5:6], v[0:1], off
	s_movk_i32 s0, 0x7fff
	s_waitcnt vmcnt(0)
	v_cvt_f32_f64_e32 v5, v[5:6]
	v_mov_b32_e32 v6, 0x7fc0
	v_bfe_u32 v7, v5, 16, 1
	v_cmp_o_f32_e32 vcc, v5, v5
	v_add3_u32 v5, v5, v7, s0
	v_cndmask_b32_sdwa v5, v6, v5, vcc dst_sel:DWORD dst_unused:UNUSED_PAD src0_sel:DWORD src1_sel:WORD_1
	s_mov_b64 s[0:1], 0
	s_branch .LBB142_1969
.LBB142_1965:
	s_mov_b64 s[0:1], -1
                                        ; implicit-def: $vgpr5
	s_branch .LBB142_1987
.LBB142_1966:
	s_mov_b64 s[0:1], -1
                                        ; implicit-def: $vgpr5
	s_branch .LBB142_1975
.LBB142_1967:
	s_mov_b64 s[0:1], -1
                                        ; implicit-def: $vgpr5
	s_branch .LBB142_1972
.LBB142_1968:
	s_mov_b64 s[0:1], -1
                                        ; implicit-def: $vgpr5
.LBB142_1969:
	s_andn2_b64 vcc, exec, s[0:1]
	s_cbranch_vccnz .LBB142_1971
; %bb.1970:
	global_load_dword v5, v[0:1], off
	s_movk_i32 s0, 0x7fff
	v_mov_b32_e32 v6, 0x7fc0
	s_waitcnt vmcnt(0)
	v_bfe_u32 v7, v5, 16, 1
	v_cmp_o_f32_e32 vcc, v5, v5
	v_add3_u32 v5, v5, v7, s0
	v_cndmask_b32_sdwa v5, v6, v5, vcc dst_sel:DWORD dst_unused:UNUSED_PAD src0_sel:DWORD src1_sel:WORD_1
.LBB142_1971:
	s_mov_b64 s[0:1], 0
.LBB142_1972:
	s_andn2_b64 vcc, exec, s[0:1]
	s_cbranch_vccnz .LBB142_1974
; %bb.1973:
	global_load_dword v5, v[0:1], off
	s_movk_i32 s0, 0x7fff
	v_mov_b32_e32 v7, 0x7fc0
	s_waitcnt vmcnt(0)
	v_cvt_f32_f16_e32 v6, v5
	v_cmp_o_f16_e32 vcc, v5, v5
	v_bfe_u32 v5, v6, 16, 1
	v_add3_u32 v5, v6, v5, s0
	v_cndmask_b32_sdwa v5, v7, v5, vcc dst_sel:DWORD dst_unused:UNUSED_PAD src0_sel:DWORD src1_sel:WORD_1
.LBB142_1974:
	s_mov_b64 s[0:1], 0
.LBB142_1975:
	s_andn2_b64 vcc, exec, s[0:1]
	s_cbranch_vccnz .LBB142_1986
; %bb.1976:
	s_cmp_lt_i32 s20, 6
	s_cbranch_scc1 .LBB142_1979
; %bb.1977:
	s_cmp_gt_i32 s20, 6
	s_cbranch_scc0 .LBB142_1980
; %bb.1978:
	global_load_dwordx2 v[5:6], v[0:1], off
	s_movk_i32 s0, 0x7fff
	s_waitcnt vmcnt(0)
	v_cvt_f32_f64_e32 v5, v[5:6]
	v_mov_b32_e32 v6, 0x7fc0
	v_bfe_u32 v7, v5, 16, 1
	v_cmp_o_f32_e32 vcc, v5, v5
	v_add3_u32 v5, v5, v7, s0
	v_cndmask_b32_sdwa v5, v6, v5, vcc dst_sel:DWORD dst_unused:UNUSED_PAD src0_sel:DWORD src1_sel:WORD_1
	s_mov_b64 s[0:1], 0
	s_branch .LBB142_1981
.LBB142_1979:
	s_mov_b64 s[0:1], -1
                                        ; implicit-def: $vgpr5
	s_branch .LBB142_1984
.LBB142_1980:
	s_mov_b64 s[0:1], -1
                                        ; implicit-def: $vgpr5
.LBB142_1981:
	s_andn2_b64 vcc, exec, s[0:1]
	s_cbranch_vccnz .LBB142_1983
; %bb.1982:
	global_load_dword v5, v[0:1], off
	s_movk_i32 s0, 0x7fff
	v_mov_b32_e32 v6, 0x7fc0
	s_waitcnt vmcnt(0)
	v_bfe_u32 v7, v5, 16, 1
	v_cmp_o_f32_e32 vcc, v5, v5
	v_add3_u32 v5, v5, v7, s0
	v_cndmask_b32_sdwa v5, v6, v5, vcc dst_sel:DWORD dst_unused:UNUSED_PAD src0_sel:DWORD src1_sel:WORD_1
.LBB142_1983:
	s_mov_b64 s[0:1], 0
.LBB142_1984:
	s_andn2_b64 vcc, exec, s[0:1]
	s_cbranch_vccnz .LBB142_1986
; %bb.1985:
	global_load_ushort v5, v[0:1], off
	s_movk_i32 s0, 0x7fff
	v_mov_b32_e32 v7, 0x7fc0
	s_waitcnt vmcnt(0)
	v_cvt_f32_f16_e32 v6, v5
	v_cmp_o_f16_e32 vcc, v5, v5
	v_bfe_u32 v5, v6, 16, 1
	v_add3_u32 v5, v6, v5, s0
	v_cndmask_b32_sdwa v5, v7, v5, vcc dst_sel:DWORD dst_unused:UNUSED_PAD src0_sel:DWORD src1_sel:WORD_1
.LBB142_1986:
	s_mov_b64 s[0:1], 0
.LBB142_1987:
	s_andn2_b64 vcc, exec, s[0:1]
	s_cbranch_vccnz .LBB142_2007
; %bb.1988:
	s_cmp_lt_i32 s20, 2
	s_cbranch_scc1 .LBB142_1992
; %bb.1989:
	s_cmp_lt_i32 s20, 3
	s_cbranch_scc1 .LBB142_1993
; %bb.1990:
	s_cmp_gt_i32 s20, 3
	s_cbranch_scc0 .LBB142_1994
; %bb.1991:
	global_load_dwordx2 v[5:6], v[0:1], off
	s_movk_i32 s0, 0x7fff
	s_waitcnt vmcnt(0)
	v_xor_b32_e32 v8, v5, v6
	v_ffbh_i32_e32 v7, v6
	v_ashrrev_i32_e32 v8, 31, v8
	v_add_u32_e32 v7, -1, v7
	v_add_u32_e32 v8, 32, v8
	v_min_u32_e32 v7, v7, v8
	v_lshlrev_b64 v[5:6], v7, v[5:6]
	v_min_u32_e32 v5, 1, v5
	v_or_b32_e32 v5, v6, v5
	v_cvt_f32_i32_e32 v5, v5
	v_sub_u32_e32 v6, 32, v7
	v_ldexp_f32 v5, v5, v6
	v_bfe_u32 v6, v5, 16, 1
	v_add3_u32 v5, v5, v6, s0
	v_lshrrev_b32_e32 v5, 16, v5
	s_mov_b64 s[0:1], 0
	s_branch .LBB142_1995
.LBB142_1992:
	s_mov_b64 s[0:1], -1
                                        ; implicit-def: $vgpr5
	s_branch .LBB142_2001
.LBB142_1993:
	s_mov_b64 s[0:1], -1
                                        ; implicit-def: $vgpr5
	s_branch .LBB142_1998
.LBB142_1994:
	s_mov_b64 s[0:1], -1
                                        ; implicit-def: $vgpr5
.LBB142_1995:
	s_andn2_b64 vcc, exec, s[0:1]
	s_cbranch_vccnz .LBB142_1997
; %bb.1996:
	global_load_dword v5, v[0:1], off
	s_movk_i32 s0, 0x7fff
	s_waitcnt vmcnt(0)
	v_cvt_f32_i32_e32 v5, v5
	v_bfe_u32 v6, v5, 16, 1
	v_add3_u32 v5, v5, v6, s0
	v_lshrrev_b32_e32 v5, 16, v5
.LBB142_1997:
	s_mov_b64 s[0:1], 0
.LBB142_1998:
	s_andn2_b64 vcc, exec, s[0:1]
	s_cbranch_vccnz .LBB142_2000
; %bb.1999:
	global_load_sshort v5, v[0:1], off
	s_movk_i32 s0, 0x7fff
	s_waitcnt vmcnt(0)
	v_cvt_f32_i32_e32 v5, v5
	v_bfe_u32 v6, v5, 16, 1
	v_add3_u32 v5, v5, v6, s0
	v_lshrrev_b32_e32 v5, 16, v5
.LBB142_2000:
	s_mov_b64 s[0:1], 0
.LBB142_2001:
	s_andn2_b64 vcc, exec, s[0:1]
	s_cbranch_vccnz .LBB142_2007
; %bb.2002:
	s_cmp_gt_i32 s20, 0
	s_cbranch_scc0 .LBB142_2004
; %bb.2003:
	global_load_sbyte v5, v[0:1], off
	s_movk_i32 s0, 0x7fff
	s_waitcnt vmcnt(0)
	v_cvt_f32_i32_e32 v5, v5
	v_bfe_u32 v6, v5, 16, 1
	v_add3_u32 v5, v5, v6, s0
	v_lshrrev_b32_e32 v5, 16, v5
	s_mov_b64 s[0:1], 0
	s_branch .LBB142_2005
.LBB142_2004:
	s_mov_b64 s[0:1], -1
                                        ; implicit-def: $vgpr5
.LBB142_2005:
	s_andn2_b64 vcc, exec, s[0:1]
	s_cbranch_vccnz .LBB142_2007
; %bb.2006:
	global_load_ubyte v0, v[0:1], off
	s_movk_i32 s0, 0x7fff
	s_waitcnt vmcnt(0)
	v_cvt_f32_ubyte0_e32 v0, v0
	v_bfe_u32 v1, v0, 16, 1
	v_add3_u32 v0, v0, v1, s0
	v_lshrrev_b32_e32 v5, 16, v0
.LBB142_2007:
.LBB142_2008:
	s_lshl_b32 s14, s14, 7
	v_add_u32_e32 v4, s14, v4
	v_ashrrev_i32_e32 v1, 31, v4
	v_mov_b32_e32 v6, s3
	v_add_co_u32_e32 v0, vcc, s2, v4
	s_cmp_lt_i32 s31, 11
	v_addc_co_u32_e32 v1, vcc, v6, v1, vcc
	s_cbranch_scc1 .LBB142_2015
; %bb.2009:
	s_and_b32 s28, 0xffff, s31
	s_cmp_gt_i32 s28, 25
	s_mov_b64 s[20:21], 0
	s_cbranch_scc0 .LBB142_2016
; %bb.2010:
	s_cmp_gt_i32 s28, 28
	s_cbranch_scc0 .LBB142_2017
; %bb.2011:
	s_cmp_gt_i32 s28, 43
	;; [unrolled: 3-line block ×3, first 2 shown]
	s_cbranch_scc0 .LBB142_2020
; %bb.2013:
	s_cmp_eq_u32 s28, 46
	s_mov_b64 s[24:25], 0
	s_cbranch_scc0 .LBB142_2021
; %bb.2014:
	global_load_dword v6, v[0:1], off
	s_mov_b64 s[0:1], 0
	s_mov_b64 s[22:23], -1
	s_branch .LBB142_2022
.LBB142_2015:
	s_mov_b64 s[0:1], -1
	s_mov_b64 s[22:23], 0
                                        ; implicit-def: $vgpr6
	s_branch .LBB142_2088
.LBB142_2016:
	s_mov_b64 s[24:25], -1
	s_mov_b64 s[22:23], 0
	s_mov_b64 s[0:1], 0
                                        ; implicit-def: $vgpr6
	s_branch .LBB142_2051
.LBB142_2017:
	s_mov_b64 s[24:25], -1
	s_mov_b64 s[22:23], 0
	s_mov_b64 s[0:1], 0
                                        ; implicit-def: $vgpr6
	s_branch .LBB142_2032
.LBB142_2018:
	s_mov_b64 s[24:25], -1
	s_mov_b64 s[22:23], 0
	s_mov_b64 s[0:1], 0
                                        ; implicit-def: $vgpr6
	s_branch .LBB142_2027
.LBB142_2019:
	s_trap 2
	s_or_b64 s[18:19], s[18:19], exec
	s_cbranch_execz .LBB142_1958
	s_branch .LBB142_1959
.LBB142_2020:
	s_mov_b64 s[24:25], -1
	s_mov_b64 s[22:23], 0
	s_mov_b64 s[0:1], 0
                                        ; implicit-def: $vgpr6
	s_branch .LBB142_2022
.LBB142_2021:
	s_mov_b64 s[0:1], -1
                                        ; implicit-def: $vgpr6
	s_mov_b64 s[22:23], 0
.LBB142_2022:
	s_and_b64 vcc, exec, s[24:25]
	s_cbranch_vccz .LBB142_2026
; %bb.2023:
	s_cmp_eq_u32 s28, 44
	s_cbranch_scc0 .LBB142_2025
; %bb.2024:
	global_load_ubyte v6, v[0:1], off
	s_movk_i32 s22, 0xff
	v_mov_b32_e32 v7, 0x7f800001
	v_mov_b32_e32 v8, 0x400000
	;; [unrolled: 1-line block ×3, first 2 shown]
	s_mov_b64 s[0:1], 0
	s_waitcnt vmcnt(0)
	v_lshlrev_b32_e32 v10, 23, v6
	v_cmp_ne_u32_e32 vcc, s22, v6
	v_cndmask_b32_e32 v7, v7, v10, vcc
	v_cmp_ne_u32_e32 vcc, 0, v6
	v_cndmask_b32_e32 v6, v8, v7, vcc
	v_add_u32_e32 v7, 0x7fff, v6
	v_cmp_o_f32_e32 vcc, v6, v6
	v_cndmask_b32_sdwa v6, v9, v7, vcc dst_sel:DWORD dst_unused:UNUSED_PAD src0_sel:DWORD src1_sel:WORD_1
	s_mov_b64 s[22:23], -1
	s_branch .LBB142_2026
.LBB142_2025:
	s_mov_b64 s[0:1], -1
                                        ; implicit-def: $vgpr6
.LBB142_2026:
	s_mov_b64 s[24:25], 0
.LBB142_2027:
	s_and_b64 vcc, exec, s[24:25]
	s_cbranch_vccz .LBB142_2031
; %bb.2028:
	s_cmp_eq_u32 s28, 29
	s_cbranch_scc0 .LBB142_2030
; %bb.2029:
	global_load_dwordx2 v[6:7], v[0:1], off
	s_movk_i32 s22, 0x7fff
	s_mov_b64 s[0:1], 0
	s_mov_b64 s[24:25], 0
	s_waitcnt vmcnt(0)
	v_ffbh_u32_e32 v8, v7
	v_min_u32_e32 v8, 32, v8
	v_lshlrev_b64 v[6:7], v8, v[6:7]
	v_min_u32_e32 v6, 1, v6
	v_or_b32_e32 v6, v7, v6
	v_cvt_f32_u32_e32 v6, v6
	v_sub_u32_e32 v7, 32, v8
	v_ldexp_f32 v6, v6, v7
	v_bfe_u32 v7, v6, 16, 1
	v_add3_u32 v6, v6, v7, s22
	v_lshrrev_b32_e32 v6, 16, v6
	s_mov_b64 s[22:23], -1
	s_branch .LBB142_2032
.LBB142_2030:
	s_mov_b64 s[0:1], -1
                                        ; implicit-def: $vgpr6
.LBB142_2031:
	s_mov_b64 s[24:25], 0
.LBB142_2032:
	s_and_b64 vcc, exec, s[24:25]
	s_cbranch_vccz .LBB142_2050
; %bb.2033:
	s_cmp_lt_i32 s28, 27
	s_cbranch_scc1 .LBB142_2036
; %bb.2034:
	s_cmp_gt_i32 s28, 27
	s_cbranch_scc0 .LBB142_2037
; %bb.2035:
	global_load_dword v6, v[0:1], off
	s_movk_i32 s22, 0x7fff
	s_waitcnt vmcnt(0)
	v_cvt_f32_u32_e32 v6, v6
	v_bfe_u32 v7, v6, 16, 1
	v_add3_u32 v6, v6, v7, s22
	v_lshrrev_b32_e32 v6, 16, v6
	s_mov_b64 s[22:23], 0
	s_branch .LBB142_2038
.LBB142_2036:
	s_mov_b64 s[22:23], -1
                                        ; implicit-def: $vgpr6
	s_branch .LBB142_2041
.LBB142_2037:
	s_mov_b64 s[22:23], -1
                                        ; implicit-def: $vgpr6
.LBB142_2038:
	s_andn2_b64 vcc, exec, s[22:23]
	s_cbranch_vccnz .LBB142_2040
; %bb.2039:
	global_load_ushort v6, v[0:1], off
	s_movk_i32 s22, 0x7fff
	s_waitcnt vmcnt(0)
	v_cvt_f32_u32_e32 v6, v6
	v_bfe_u32 v7, v6, 16, 1
	v_add3_u32 v6, v6, v7, s22
	v_lshrrev_b32_e32 v6, 16, v6
.LBB142_2040:
	s_mov_b64 s[22:23], 0
.LBB142_2041:
	s_andn2_b64 vcc, exec, s[22:23]
	s_cbranch_vccnz .LBB142_2049
; %bb.2042:
	global_load_ubyte v6, v[0:1], off
	s_movk_i32 s22, 0x7f
	s_waitcnt vmcnt(0)
	v_cmp_lt_i16_e32 vcc, s22, v6
	s_mov_b64 s[22:23], 0
	s_and_saveexec_b64 s[24:25], vcc
	s_xor_b64 s[24:25], exec, s[24:25]
	s_cbranch_execz .LBB142_2063
; %bb.2043:
	s_movk_i32 s22, 0x80
	v_cmp_eq_u16_e32 vcc, s22, v6
	s_mov_b64 s[22:23], -1
	s_and_saveexec_b64 s[26:27], vcc
; %bb.2044:
	s_xor_b64 s[22:23], exec, -1
; %bb.2045:
	s_or_b64 exec, exec, s[26:27]
	s_and_b64 s[22:23], s[22:23], exec
	s_or_saveexec_b64 s[24:25], s[24:25]
	v_mov_b32_e32 v7, 0x7f800001
	s_xor_b64 exec, exec, s[24:25]
	s_cbranch_execnz .LBB142_2064
.LBB142_2046:
	s_or_b64 exec, exec, s[24:25]
	s_and_saveexec_b64 s[24:25], s[22:23]
	s_cbranch_execz .LBB142_2048
.LBB142_2047:
	v_lshlrev_b32_e32 v7, 24, v6
	v_and_b32_e32 v6, 0xffff, v6
	v_and_b32_e32 v8, 7, v6
	v_ffbh_u32_e32 v10, v8
	v_min_u32_e32 v10, 32, v10
	v_subrev_u32_e32 v11, 28, v10
	v_bfe_u32 v9, v6, 3, 4
	v_lshlrev_b32_e32 v6, v11, v6
	v_sub_u32_e32 v10, 29, v10
	v_and_b32_e32 v6, 7, v6
	v_cmp_eq_u32_e32 vcc, 0, v9
	v_cndmask_b32_e32 v9, v9, v10, vcc
	v_cndmask_b32_e32 v6, v8, v6, vcc
	v_mov_b32_e32 v8, 0x3b800000
	v_lshlrev_b32_e32 v6, 20, v6
	v_and_b32_e32 v7, 0x80000000, v7
	v_lshl_add_u32 v8, v9, 23, v8
	v_or3_b32 v7, v7, v8, v6
.LBB142_2048:
	s_or_b64 exec, exec, s[24:25]
	v_bfe_u32 v6, v7, 16, 1
	s_movk_i32 s22, 0x7fff
	v_add3_u32 v6, v7, v6, s22
	v_cmp_o_f32_e32 vcc, v7, v7
	v_mov_b32_e32 v7, 0x7fc0
	v_cndmask_b32_sdwa v6, v7, v6, vcc dst_sel:DWORD dst_unused:UNUSED_PAD src0_sel:DWORD src1_sel:WORD_1
.LBB142_2049:
	s_mov_b64 s[22:23], -1
.LBB142_2050:
	s_mov_b64 s[24:25], 0
.LBB142_2051:
	s_and_b64 vcc, exec, s[24:25]
	s_cbranch_vccz .LBB142_2084
; %bb.2052:
	s_cmp_gt_i32 s28, 22
	s_cbranch_scc0 .LBB142_2062
; %bb.2053:
	s_cmp_lt_i32 s28, 24
	s_cbranch_scc1 .LBB142_2065
; %bb.2054:
	s_cmp_gt_i32 s28, 24
	s_cbranch_scc0 .LBB142_2066
; %bb.2055:
	global_load_ubyte v6, v[0:1], off
	s_movk_i32 s20, 0x7f
	s_waitcnt vmcnt(0)
	v_cmp_lt_i16_e32 vcc, s20, v6
	s_mov_b64 s[20:21], 0
	s_and_saveexec_b64 s[22:23], vcc
	s_xor_b64 s[22:23], exec, s[22:23]
	s_cbranch_execz .LBB142_2078
; %bb.2056:
	s_movk_i32 s20, 0x80
	v_cmp_eq_u16_e32 vcc, s20, v6
	s_mov_b64 s[20:21], -1
	s_and_saveexec_b64 s[24:25], vcc
; %bb.2057:
	s_xor_b64 s[20:21], exec, -1
; %bb.2058:
	s_or_b64 exec, exec, s[24:25]
	s_and_b64 s[20:21], s[20:21], exec
	s_or_saveexec_b64 s[22:23], s[22:23]
	v_mov_b32_e32 v7, 0x7f800001
	s_xor_b64 exec, exec, s[22:23]
	s_cbranch_execnz .LBB142_2079
.LBB142_2059:
	s_or_b64 exec, exec, s[22:23]
	s_and_saveexec_b64 s[22:23], s[20:21]
	s_cbranch_execz .LBB142_2061
.LBB142_2060:
	v_lshlrev_b32_e32 v7, 24, v6
	v_and_b32_e32 v6, 0xffff, v6
	v_and_b32_e32 v8, 3, v6
	v_ffbh_u32_e32 v10, v8
	v_min_u32_e32 v10, 32, v10
	v_subrev_u32_e32 v11, 29, v10
	v_bfe_u32 v9, v6, 2, 5
	v_lshlrev_b32_e32 v6, v11, v6
	v_sub_u32_e32 v10, 30, v10
	v_and_b32_e32 v6, 3, v6
	v_cmp_eq_u32_e32 vcc, 0, v9
	v_cndmask_b32_e32 v9, v9, v10, vcc
	v_cndmask_b32_e32 v6, v8, v6, vcc
	v_mov_b32_e32 v8, 0x37800000
	v_lshlrev_b32_e32 v6, 21, v6
	v_and_b32_e32 v7, 0x80000000, v7
	v_lshl_add_u32 v8, v9, 23, v8
	v_or3_b32 v7, v7, v8, v6
.LBB142_2061:
	s_or_b64 exec, exec, s[22:23]
	v_bfe_u32 v6, v7, 16, 1
	s_movk_i32 s20, 0x7fff
	v_add3_u32 v6, v7, v6, s20
	v_cmp_o_f32_e32 vcc, v7, v7
	v_mov_b32_e32 v7, 0x7fc0
	v_cndmask_b32_sdwa v6, v7, v6, vcc dst_sel:DWORD dst_unused:UNUSED_PAD src0_sel:DWORD src1_sel:WORD_1
	s_mov_b64 s[20:21], 0
	s_branch .LBB142_2067
.LBB142_2062:
	s_mov_b64 s[20:21], -1
                                        ; implicit-def: $vgpr6
	s_branch .LBB142_2073
.LBB142_2063:
	s_or_saveexec_b64 s[24:25], s[24:25]
	v_mov_b32_e32 v7, 0x7f800001
	s_xor_b64 exec, exec, s[24:25]
	s_cbranch_execz .LBB142_2046
.LBB142_2064:
	v_cmp_ne_u16_e32 vcc, 0, v6
	s_andn2_b64 s[22:23], s[22:23], exec
	s_and_b64 s[26:27], vcc, exec
	v_mov_b32_e32 v7, 0
	s_or_b64 s[22:23], s[22:23], s[26:27]
	s_or_b64 exec, exec, s[24:25]
	s_and_saveexec_b64 s[24:25], s[22:23]
	s_cbranch_execnz .LBB142_2047
	s_branch .LBB142_2048
.LBB142_2065:
	s_mov_b64 s[20:21], -1
                                        ; implicit-def: $vgpr6
	s_branch .LBB142_2070
.LBB142_2066:
	s_mov_b64 s[20:21], -1
                                        ; implicit-def: $vgpr6
.LBB142_2067:
	s_and_b64 vcc, exec, s[20:21]
	s_cbranch_vccz .LBB142_2069
; %bb.2068:
	global_load_ubyte v6, v[0:1], off
	s_mov_b32 s20, 0x7f800000
	s_brev_b32 s21, 1
	s_movk_i32 s22, 0x7fff
	s_waitcnt vmcnt(0)
	v_lshlrev_b32_e32 v6, 24, v6
	v_and_b32_e32 v7, 0x7f000000, v6
	v_ffbh_u32_e32 v8, v7
	v_min_u32_e32 v8, 32, v8
	v_sub_u32_e64 v8, v8, 4 clamp
	v_lshlrev_b32_e32 v10, v8, v7
	v_lshlrev_b32_e32 v8, 23, v8
	v_lshrrev_b32_e32 v10, 4, v10
	v_add_u32_e32 v9, 0x1000000, v7
	v_sub_u32_e32 v8, v10, v8
	v_ashrrev_i32_e32 v9, 8, v9
	v_add_u32_e32 v8, 0x3c000000, v8
	v_and_or_b32 v8, v9, s20, v8
	v_cmp_ne_u32_e32 vcc, 0, v7
	v_cndmask_b32_e32 v7, 0, v8, vcc
	v_and_or_b32 v6, v6, s21, v7
	v_bfe_u32 v7, v7, 16, 1
	v_add3_u32 v7, v6, v7, s22
	v_cmp_o_f32_e32 vcc, v6, v6
	v_mov_b32_e32 v6, 0x7fc0
	v_cndmask_b32_sdwa v6, v6, v7, vcc dst_sel:DWORD dst_unused:UNUSED_PAD src0_sel:DWORD src1_sel:WORD_1
.LBB142_2069:
	s_mov_b64 s[20:21], 0
.LBB142_2070:
	s_andn2_b64 vcc, exec, s[20:21]
	s_cbranch_vccnz .LBB142_2072
; %bb.2071:
	global_load_ubyte v6, v[0:1], off
	s_movk_i32 s20, 0x7f00
	s_brev_b32 s21, 16
	s_brev_b32 s22, 1
	s_movk_i32 s23, 0x7fff
	s_waitcnt vmcnt(0)
	v_lshlrev_b16_e32 v7, 8, v6
	v_lshlrev_b32_e32 v6, 25, v6
	v_lshrrev_b32_e32 v8, 4, v6
	v_and_or_b32 v9, v7, s20, 0.5
	v_or_b32_e32 v8, 0x70000000, v8
	v_add_f32_e32 v9, -0.5, v9
	v_mul_f32_e32 v8, 0x7800000, v8
	v_cmp_gt_u32_e32 vcc, s21, v6
	v_bfe_i32 v7, v7, 0, 16
	v_cndmask_b32_e32 v6, v8, v9, vcc
	v_and_or_b32 v7, v7, s22, v6
	v_bfe_u32 v6, v6, 16, 1
	v_add3_u32 v6, v7, v6, s23
	v_cmp_o_f32_e32 vcc, v7, v7
	v_mov_b32_e32 v7, 0x7fc0
	v_cndmask_b32_sdwa v6, v7, v6, vcc dst_sel:DWORD dst_unused:UNUSED_PAD src0_sel:DWORD src1_sel:WORD_1
.LBB142_2072:
	s_mov_b64 s[20:21], 0
	s_mov_b64 s[22:23], -1
.LBB142_2073:
	s_andn2_b64 vcc, exec, s[20:21]
	s_mov_b64 s[20:21], 0
	s_cbranch_vccnz .LBB142_2084
; %bb.2074:
	s_cmp_gt_i32 s28, 14
	s_cbranch_scc0 .LBB142_2077
; %bb.2075:
	s_cmp_eq_u32 s28, 15
	s_cbranch_scc0 .LBB142_2080
; %bb.2076:
	global_load_ushort v6, v[0:1], off
	s_mov_b64 s[0:1], 0
	s_mov_b64 s[22:23], -1
	s_branch .LBB142_2081
.LBB142_2077:
	s_mov_b64 s[24:25], -1
                                        ; implicit-def: $vgpr6
	s_branch .LBB142_2082
.LBB142_2078:
	s_or_saveexec_b64 s[22:23], s[22:23]
	v_mov_b32_e32 v7, 0x7f800001
	s_xor_b64 exec, exec, s[22:23]
	s_cbranch_execz .LBB142_2059
.LBB142_2079:
	v_cmp_ne_u16_e32 vcc, 0, v6
	s_andn2_b64 s[20:21], s[20:21], exec
	s_and_b64 s[24:25], vcc, exec
	v_mov_b32_e32 v7, 0
	s_or_b64 s[20:21], s[20:21], s[24:25]
	s_or_b64 exec, exec, s[22:23]
	s_and_saveexec_b64 s[22:23], s[20:21]
	s_cbranch_execnz .LBB142_2060
	s_branch .LBB142_2061
.LBB142_2080:
	s_mov_b64 s[0:1], -1
                                        ; implicit-def: $vgpr6
.LBB142_2081:
	s_mov_b64 s[24:25], 0
.LBB142_2082:
	s_and_b64 vcc, exec, s[24:25]
	s_cbranch_vccz .LBB142_2084
; %bb.2083:
	s_cmp_lg_u32 s28, 11
	s_mov_b64 s[20:21], -1
	s_cselect_b64 s[0:1], -1, 0
.LBB142_2084:
	s_and_b64 vcc, exec, s[0:1]
	s_cbranch_vccnz .LBB142_2166
; %bb.2085:
	s_andn2_b64 vcc, exec, s[20:21]
	s_cbranch_vccnz .LBB142_2087
.LBB142_2086:
	global_load_ubyte v6, v[0:1], off
	s_mov_b64 s[22:23], -1
	s_waitcnt vmcnt(0)
	v_cmp_ne_u16_e32 vcc, 0, v6
	v_cndmask_b32_e64 v6, 0, 1.0, vcc
	v_lshrrev_b32_e32 v6, 16, v6
.LBB142_2087:
	s_mov_b64 s[0:1], 0
.LBB142_2088:
	s_and_b64 vcc, exec, s[0:1]
	s_cbranch_vccz .LBB142_2137
; %bb.2089:
	s_and_b32 s20, 0xffff, s31
	s_cmp_lt_i32 s20, 5
	s_cbranch_scc1 .LBB142_2094
; %bb.2090:
	s_cmp_lt_i32 s20, 8
	s_cbranch_scc1 .LBB142_2095
; %bb.2091:
	;; [unrolled: 3-line block ×3, first 2 shown]
	s_cmp_gt_i32 s20, 9
	s_cbranch_scc0 .LBB142_2097
; %bb.2093:
	global_load_dwordx2 v[6:7], v[0:1], off
	s_movk_i32 s0, 0x7fff
	s_waitcnt vmcnt(0)
	v_cvt_f32_f64_e32 v6, v[6:7]
	v_mov_b32_e32 v7, 0x7fc0
	v_bfe_u32 v8, v6, 16, 1
	v_cmp_o_f32_e32 vcc, v6, v6
	v_add3_u32 v6, v6, v8, s0
	v_cndmask_b32_sdwa v6, v7, v6, vcc dst_sel:DWORD dst_unused:UNUSED_PAD src0_sel:DWORD src1_sel:WORD_1
	s_mov_b64 s[0:1], 0
	s_branch .LBB142_2098
.LBB142_2094:
	s_mov_b64 s[0:1], -1
                                        ; implicit-def: $vgpr6
	s_branch .LBB142_2116
.LBB142_2095:
	s_mov_b64 s[0:1], -1
                                        ; implicit-def: $vgpr6
	s_branch .LBB142_2104
.LBB142_2096:
	s_mov_b64 s[0:1], -1
                                        ; implicit-def: $vgpr6
	s_branch .LBB142_2101
.LBB142_2097:
	s_mov_b64 s[0:1], -1
                                        ; implicit-def: $vgpr6
.LBB142_2098:
	s_andn2_b64 vcc, exec, s[0:1]
	s_cbranch_vccnz .LBB142_2100
; %bb.2099:
	global_load_dword v6, v[0:1], off
	s_movk_i32 s0, 0x7fff
	v_mov_b32_e32 v7, 0x7fc0
	s_waitcnt vmcnt(0)
	v_bfe_u32 v8, v6, 16, 1
	v_cmp_o_f32_e32 vcc, v6, v6
	v_add3_u32 v6, v6, v8, s0
	v_cndmask_b32_sdwa v6, v7, v6, vcc dst_sel:DWORD dst_unused:UNUSED_PAD src0_sel:DWORD src1_sel:WORD_1
.LBB142_2100:
	s_mov_b64 s[0:1], 0
.LBB142_2101:
	s_andn2_b64 vcc, exec, s[0:1]
	s_cbranch_vccnz .LBB142_2103
; %bb.2102:
	global_load_dword v6, v[0:1], off
	s_movk_i32 s0, 0x7fff
	v_mov_b32_e32 v8, 0x7fc0
	s_waitcnt vmcnt(0)
	v_cvt_f32_f16_e32 v7, v6
	v_cmp_o_f16_e32 vcc, v6, v6
	v_bfe_u32 v6, v7, 16, 1
	v_add3_u32 v6, v7, v6, s0
	v_cndmask_b32_sdwa v6, v8, v6, vcc dst_sel:DWORD dst_unused:UNUSED_PAD src0_sel:DWORD src1_sel:WORD_1
.LBB142_2103:
	s_mov_b64 s[0:1], 0
.LBB142_2104:
	s_andn2_b64 vcc, exec, s[0:1]
	s_cbranch_vccnz .LBB142_2115
; %bb.2105:
	s_cmp_lt_i32 s20, 6
	s_cbranch_scc1 .LBB142_2108
; %bb.2106:
	s_cmp_gt_i32 s20, 6
	s_cbranch_scc0 .LBB142_2109
; %bb.2107:
	global_load_dwordx2 v[6:7], v[0:1], off
	s_movk_i32 s0, 0x7fff
	s_waitcnt vmcnt(0)
	v_cvt_f32_f64_e32 v6, v[6:7]
	v_mov_b32_e32 v7, 0x7fc0
	v_bfe_u32 v8, v6, 16, 1
	v_cmp_o_f32_e32 vcc, v6, v6
	v_add3_u32 v6, v6, v8, s0
	v_cndmask_b32_sdwa v6, v7, v6, vcc dst_sel:DWORD dst_unused:UNUSED_PAD src0_sel:DWORD src1_sel:WORD_1
	s_mov_b64 s[0:1], 0
	s_branch .LBB142_2110
.LBB142_2108:
	s_mov_b64 s[0:1], -1
                                        ; implicit-def: $vgpr6
	s_branch .LBB142_2113
.LBB142_2109:
	s_mov_b64 s[0:1], -1
                                        ; implicit-def: $vgpr6
.LBB142_2110:
	s_andn2_b64 vcc, exec, s[0:1]
	s_cbranch_vccnz .LBB142_2112
; %bb.2111:
	global_load_dword v6, v[0:1], off
	s_movk_i32 s0, 0x7fff
	v_mov_b32_e32 v7, 0x7fc0
	s_waitcnt vmcnt(0)
	v_bfe_u32 v8, v6, 16, 1
	v_cmp_o_f32_e32 vcc, v6, v6
	v_add3_u32 v6, v6, v8, s0
	v_cndmask_b32_sdwa v6, v7, v6, vcc dst_sel:DWORD dst_unused:UNUSED_PAD src0_sel:DWORD src1_sel:WORD_1
.LBB142_2112:
	s_mov_b64 s[0:1], 0
.LBB142_2113:
	s_andn2_b64 vcc, exec, s[0:1]
	s_cbranch_vccnz .LBB142_2115
; %bb.2114:
	global_load_ushort v6, v[0:1], off
	s_movk_i32 s0, 0x7fff
	v_mov_b32_e32 v8, 0x7fc0
	s_waitcnt vmcnt(0)
	v_cvt_f32_f16_e32 v7, v6
	v_cmp_o_f16_e32 vcc, v6, v6
	v_bfe_u32 v6, v7, 16, 1
	v_add3_u32 v6, v7, v6, s0
	v_cndmask_b32_sdwa v6, v8, v6, vcc dst_sel:DWORD dst_unused:UNUSED_PAD src0_sel:DWORD src1_sel:WORD_1
.LBB142_2115:
	s_mov_b64 s[0:1], 0
.LBB142_2116:
	s_andn2_b64 vcc, exec, s[0:1]
	s_cbranch_vccnz .LBB142_2136
; %bb.2117:
	s_cmp_lt_i32 s20, 2
	s_cbranch_scc1 .LBB142_2121
; %bb.2118:
	s_cmp_lt_i32 s20, 3
	s_cbranch_scc1 .LBB142_2122
; %bb.2119:
	s_cmp_gt_i32 s20, 3
	s_cbranch_scc0 .LBB142_2123
; %bb.2120:
	global_load_dwordx2 v[6:7], v[0:1], off
	s_movk_i32 s0, 0x7fff
	s_waitcnt vmcnt(0)
	v_xor_b32_e32 v9, v6, v7
	v_ffbh_i32_e32 v8, v7
	v_ashrrev_i32_e32 v9, 31, v9
	v_add_u32_e32 v8, -1, v8
	v_add_u32_e32 v9, 32, v9
	v_min_u32_e32 v8, v8, v9
	v_lshlrev_b64 v[6:7], v8, v[6:7]
	v_min_u32_e32 v6, 1, v6
	v_or_b32_e32 v6, v7, v6
	v_cvt_f32_i32_e32 v6, v6
	v_sub_u32_e32 v7, 32, v8
	v_ldexp_f32 v6, v6, v7
	v_bfe_u32 v7, v6, 16, 1
	v_add3_u32 v6, v6, v7, s0
	v_lshrrev_b32_e32 v6, 16, v6
	s_mov_b64 s[0:1], 0
	s_branch .LBB142_2124
.LBB142_2121:
	s_mov_b64 s[0:1], -1
                                        ; implicit-def: $vgpr6
	s_branch .LBB142_2130
.LBB142_2122:
	s_mov_b64 s[0:1], -1
                                        ; implicit-def: $vgpr6
	s_branch .LBB142_2127
.LBB142_2123:
	s_mov_b64 s[0:1], -1
                                        ; implicit-def: $vgpr6
.LBB142_2124:
	s_andn2_b64 vcc, exec, s[0:1]
	s_cbranch_vccnz .LBB142_2126
; %bb.2125:
	global_load_dword v6, v[0:1], off
	s_movk_i32 s0, 0x7fff
	s_waitcnt vmcnt(0)
	v_cvt_f32_i32_e32 v6, v6
	v_bfe_u32 v7, v6, 16, 1
	v_add3_u32 v6, v6, v7, s0
	v_lshrrev_b32_e32 v6, 16, v6
.LBB142_2126:
	s_mov_b64 s[0:1], 0
.LBB142_2127:
	s_andn2_b64 vcc, exec, s[0:1]
	s_cbranch_vccnz .LBB142_2129
; %bb.2128:
	global_load_sshort v6, v[0:1], off
	s_movk_i32 s0, 0x7fff
	s_waitcnt vmcnt(0)
	v_cvt_f32_i32_e32 v6, v6
	v_bfe_u32 v7, v6, 16, 1
	v_add3_u32 v6, v6, v7, s0
	v_lshrrev_b32_e32 v6, 16, v6
.LBB142_2129:
	s_mov_b64 s[0:1], 0
.LBB142_2130:
	s_andn2_b64 vcc, exec, s[0:1]
	s_cbranch_vccnz .LBB142_2136
; %bb.2131:
	s_cmp_gt_i32 s20, 0
	s_cbranch_scc0 .LBB142_2133
; %bb.2132:
	global_load_sbyte v6, v[0:1], off
	s_movk_i32 s0, 0x7fff
	s_waitcnt vmcnt(0)
	v_cvt_f32_i32_e32 v6, v6
	v_bfe_u32 v7, v6, 16, 1
	v_add3_u32 v6, v6, v7, s0
	v_lshrrev_b32_e32 v6, 16, v6
	s_mov_b64 s[0:1], 0
	s_branch .LBB142_2134
.LBB142_2133:
	s_mov_b64 s[0:1], -1
                                        ; implicit-def: $vgpr6
.LBB142_2134:
	s_andn2_b64 vcc, exec, s[0:1]
	s_cbranch_vccnz .LBB142_2136
; %bb.2135:
	global_load_ubyte v0, v[0:1], off
	s_movk_i32 s0, 0x7fff
	s_waitcnt vmcnt(0)
	v_cvt_f32_ubyte0_e32 v0, v0
	v_bfe_u32 v1, v0, 16, 1
	v_add3_u32 v0, v0, v1, s0
	v_lshrrev_b32_e32 v6, 16, v0
.LBB142_2136:
	s_mov_b64 s[22:23], -1
.LBB142_2137:
	s_andn2_b64 vcc, exec, s[22:23]
	s_cbranch_vccnz .LBB142_2698
; %bb.2138:
	s_waitcnt vmcnt(0)
	v_lshlrev_b32_e32 v0, 16, v5
	v_lshlrev_b32_e32 v1, 16, v6
	s_cmp_lt_i32 s15, 1
	s_mov_b64 s[0:1], 0
	s_cbranch_scc1 .LBB142_2142
; %bb.2139:
	s_cmp_gt_i32 s15, 1
	s_cbranch_scc0 .LBB142_2143
; %bb.2140:
	s_cmp_eq_u32 s15, 2
	s_cbranch_scc0 .LBB142_2144
; %bb.2141:
	v_cmp_le_f32_e64 s[20:21], v0, v1
	s_mov_b64 s[22:23], 0
	s_branch .LBB142_2145
.LBB142_2142:
	s_mov_b64 s[24:25], -1
                                        ; implicit-def: $sgpr20_sgpr21
	s_mov_b64 s[22:23], 0
	s_branch .LBB142_2149
.LBB142_2143:
	s_mov_b64 s[24:25], -1
	s_mov_b64 s[22:23], 0
                                        ; implicit-def: $sgpr20_sgpr21
	s_branch .LBB142_2146
.LBB142_2144:
	s_mov_b64 s[22:23], -1
                                        ; implicit-def: $sgpr20_sgpr21
.LBB142_2145:
	s_mov_b64 s[24:25], 0
.LBB142_2146:
	s_and_b64 vcc, exec, s[24:25]
	s_cbranch_vccz .LBB142_2148
; %bb.2147:
	v_cmp_gt_f32_e32 vcc, v0, v1
	s_andn2_b64 s[20:21], s[20:21], exec
	s_and_b64 s[24:25], vcc, exec
	s_or_b64 s[20:21], s[20:21], s[24:25]
.LBB142_2148:
	s_mov_b64 s[24:25], 0
.LBB142_2149:
	s_and_b64 vcc, exec, s[24:25]
	s_cbranch_vccz .LBB142_2160
; %bb.2150:
	s_cmp_lg_u32 s15, 0
	s_mov_b64 s[0:1], -1
	s_cselect_b64 s[22:23], -1, 0
	s_andn2_b64 vcc, exec, s[22:23]
	s_cbranch_vccz .LBB142_2161
.LBB142_2151:
	s_andn2_b64 vcc, exec, s[0:1]
	s_cbranch_vccnz .LBB142_2153
.LBB142_2152:
	v_cmp_ge_f32_e32 vcc, v0, v1
	s_andn2_b64 s[0:1], s[20:21], exec
	s_and_b64 s[20:21], vcc, exec
	s_or_b64 s[20:21], s[0:1], s[20:21]
.LBB142_2153:
	v_add_u32_e32 v3, s13, v3
	v_ashrrev_i32_e32 v1, 31, v3
	v_mov_b32_e32 v5, s11
	v_add_co_u32_e32 v0, vcc, s10, v3
	s_cmp_lt_i32 s30, 11
	v_addc_co_u32_e32 v1, vcc, v5, v1, vcc
	s_cbranch_scc1 .LBB142_2162
; %bb.2154:
	s_and_b32 s34, 0xffff, s30
	s_cmp_gt_i32 s34, 25
	s_mov_b64 s[22:23], 0
	s_cbranch_scc0 .LBB142_2163
; %bb.2155:
	s_cmp_gt_i32 s34, 28
	s_cbranch_scc0 .LBB142_2164
; %bb.2156:
	s_cmp_gt_i32 s34, 43
	;; [unrolled: 3-line block ×3, first 2 shown]
	s_cbranch_scc0 .LBB142_2167
; %bb.2158:
	s_cmp_eq_u32 s34, 46
	s_mov_b64 s[26:27], 0
	s_cbranch_scc0 .LBB142_2168
; %bb.2159:
	global_load_dword v5, v[0:1], off
	s_mov_b64 s[0:1], 0
	s_mov_b64 s[24:25], -1
	s_branch .LBB142_2169
.LBB142_2160:
	s_andn2_b64 vcc, exec, s[22:23]
	s_cbranch_vccnz .LBB142_2151
.LBB142_2161:
	v_cmp_lt_f32_e32 vcc, v0, v1
	s_andn2_b64 s[20:21], s[20:21], exec
	s_and_b64 s[22:23], vcc, exec
	s_or_b64 s[20:21], s[20:21], s[22:23]
	s_cbranch_execz .LBB142_2152
	s_branch .LBB142_2153
.LBB142_2162:
	s_mov_b64 s[0:1], -1
	s_mov_b64 s[24:25], 0
                                        ; implicit-def: $vgpr5
	s_branch .LBB142_2235
.LBB142_2163:
	s_mov_b64 s[26:27], -1
	s_mov_b64 s[24:25], 0
	s_mov_b64 s[0:1], 0
                                        ; implicit-def: $vgpr5
	s_branch .LBB142_2198
.LBB142_2164:
	s_mov_b64 s[26:27], -1
	s_mov_b64 s[24:25], 0
	s_mov_b64 s[0:1], 0
                                        ; implicit-def: $vgpr5
	s_branch .LBB142_2179
.LBB142_2165:
	s_mov_b64 s[26:27], -1
	s_mov_b64 s[24:25], 0
	s_mov_b64 s[0:1], 0
                                        ; implicit-def: $vgpr5
	s_branch .LBB142_2174
.LBB142_2166:
	s_trap 2
	s_or_b64 s[18:19], s[18:19], exec
	s_cbranch_execz .LBB142_2086
	s_branch .LBB142_2087
.LBB142_2167:
	s_mov_b64 s[26:27], -1
	s_mov_b64 s[24:25], 0
	s_mov_b64 s[0:1], 0
                                        ; implicit-def: $vgpr5
	s_branch .LBB142_2169
.LBB142_2168:
	s_mov_b64 s[0:1], -1
                                        ; implicit-def: $vgpr5
	s_mov_b64 s[24:25], 0
.LBB142_2169:
	s_and_b64 vcc, exec, s[26:27]
	s_cbranch_vccz .LBB142_2173
; %bb.2170:
	s_cmp_eq_u32 s34, 44
	s_cbranch_scc0 .LBB142_2172
; %bb.2171:
	global_load_ubyte v5, v[0:1], off
	s_movk_i32 s24, 0xff
	v_mov_b32_e32 v6, 0x7f800001
	v_mov_b32_e32 v7, 0x400000
	;; [unrolled: 1-line block ×3, first 2 shown]
	s_mov_b64 s[0:1], 0
	s_waitcnt vmcnt(0)
	v_lshlrev_b32_e32 v9, 23, v5
	v_cmp_ne_u32_e32 vcc, s24, v5
	v_cndmask_b32_e32 v6, v6, v9, vcc
	v_cmp_ne_u32_e32 vcc, 0, v5
	v_cndmask_b32_e32 v5, v7, v6, vcc
	v_add_u32_e32 v6, 0x7fff, v5
	v_cmp_o_f32_e32 vcc, v5, v5
	v_cndmask_b32_sdwa v5, v8, v6, vcc dst_sel:DWORD dst_unused:UNUSED_PAD src0_sel:DWORD src1_sel:WORD_1
	s_mov_b64 s[24:25], -1
	s_branch .LBB142_2173
.LBB142_2172:
	s_mov_b64 s[0:1], -1
                                        ; implicit-def: $vgpr5
.LBB142_2173:
	s_mov_b64 s[26:27], 0
.LBB142_2174:
	s_and_b64 vcc, exec, s[26:27]
	s_cbranch_vccz .LBB142_2178
; %bb.2175:
	s_cmp_eq_u32 s34, 29
	s_cbranch_scc0 .LBB142_2177
; %bb.2176:
	global_load_dwordx2 v[5:6], v[0:1], off
	s_movk_i32 s24, 0x7fff
	s_mov_b64 s[0:1], 0
	s_mov_b64 s[26:27], 0
	s_waitcnt vmcnt(0)
	v_ffbh_u32_e32 v7, v6
	v_min_u32_e32 v7, 32, v7
	v_lshlrev_b64 v[5:6], v7, v[5:6]
	v_min_u32_e32 v5, 1, v5
	v_or_b32_e32 v5, v6, v5
	v_cvt_f32_u32_e32 v5, v5
	v_sub_u32_e32 v6, 32, v7
	v_ldexp_f32 v5, v5, v6
	v_bfe_u32 v6, v5, 16, 1
	v_add3_u32 v5, v5, v6, s24
	v_lshrrev_b32_e32 v5, 16, v5
	s_mov_b64 s[24:25], -1
	s_branch .LBB142_2179
.LBB142_2177:
	s_mov_b64 s[0:1], -1
                                        ; implicit-def: $vgpr5
.LBB142_2178:
	s_mov_b64 s[26:27], 0
.LBB142_2179:
	s_and_b64 vcc, exec, s[26:27]
	s_cbranch_vccz .LBB142_2197
; %bb.2180:
	s_cmp_lt_i32 s34, 27
	s_cbranch_scc1 .LBB142_2183
; %bb.2181:
	s_cmp_gt_i32 s34, 27
	s_cbranch_scc0 .LBB142_2184
; %bb.2182:
	global_load_dword v5, v[0:1], off
	s_movk_i32 s24, 0x7fff
	s_waitcnt vmcnt(0)
	v_cvt_f32_u32_e32 v5, v5
	v_bfe_u32 v6, v5, 16, 1
	v_add3_u32 v5, v5, v6, s24
	v_lshrrev_b32_e32 v5, 16, v5
	s_mov_b64 s[24:25], 0
	s_branch .LBB142_2185
.LBB142_2183:
	s_mov_b64 s[24:25], -1
                                        ; implicit-def: $vgpr5
	s_branch .LBB142_2188
.LBB142_2184:
	s_mov_b64 s[24:25], -1
                                        ; implicit-def: $vgpr5
.LBB142_2185:
	s_andn2_b64 vcc, exec, s[24:25]
	s_cbranch_vccnz .LBB142_2187
; %bb.2186:
	global_load_ushort v5, v[0:1], off
	s_movk_i32 s24, 0x7fff
	s_waitcnt vmcnt(0)
	v_cvt_f32_u32_e32 v5, v5
	v_bfe_u32 v6, v5, 16, 1
	v_add3_u32 v5, v5, v6, s24
	v_lshrrev_b32_e32 v5, 16, v5
.LBB142_2187:
	s_mov_b64 s[24:25], 0
.LBB142_2188:
	s_andn2_b64 vcc, exec, s[24:25]
	s_cbranch_vccnz .LBB142_2196
; %bb.2189:
	global_load_ubyte v5, v[0:1], off
	s_movk_i32 s24, 0x7f
	s_waitcnt vmcnt(0)
	v_cmp_lt_i16_e32 vcc, s24, v5
	s_mov_b64 s[24:25], 0
	s_and_saveexec_b64 s[26:27], vcc
	s_xor_b64 s[26:27], exec, s[26:27]
	s_cbranch_execz .LBB142_2210
; %bb.2190:
	s_movk_i32 s24, 0x80
	v_cmp_eq_u16_e32 vcc, s24, v5
	s_mov_b64 s[24:25], -1
	s_and_saveexec_b64 s[28:29], vcc
; %bb.2191:
	s_xor_b64 s[24:25], exec, -1
; %bb.2192:
	s_or_b64 exec, exec, s[28:29]
	s_and_b64 s[24:25], s[24:25], exec
	s_or_saveexec_b64 s[26:27], s[26:27]
	v_mov_b32_e32 v6, 0x7f800001
	s_xor_b64 exec, exec, s[26:27]
	s_cbranch_execnz .LBB142_2211
.LBB142_2193:
	s_or_b64 exec, exec, s[26:27]
	s_and_saveexec_b64 s[26:27], s[24:25]
	s_cbranch_execz .LBB142_2195
.LBB142_2194:
	v_lshlrev_b32_e32 v6, 24, v5
	v_and_b32_e32 v5, 0xffff, v5
	v_and_b32_e32 v7, 7, v5
	v_ffbh_u32_e32 v9, v7
	v_min_u32_e32 v9, 32, v9
	v_subrev_u32_e32 v10, 28, v9
	v_bfe_u32 v8, v5, 3, 4
	v_lshlrev_b32_e32 v5, v10, v5
	v_sub_u32_e32 v9, 29, v9
	v_and_b32_e32 v5, 7, v5
	v_cmp_eq_u32_e32 vcc, 0, v8
	v_cndmask_b32_e32 v8, v8, v9, vcc
	v_cndmask_b32_e32 v5, v7, v5, vcc
	v_mov_b32_e32 v7, 0x3b800000
	v_lshlrev_b32_e32 v5, 20, v5
	v_and_b32_e32 v6, 0x80000000, v6
	v_lshl_add_u32 v7, v8, 23, v7
	v_or3_b32 v6, v6, v7, v5
.LBB142_2195:
	s_or_b64 exec, exec, s[26:27]
	v_bfe_u32 v5, v6, 16, 1
	s_movk_i32 s24, 0x7fff
	v_add3_u32 v5, v6, v5, s24
	v_cmp_o_f32_e32 vcc, v6, v6
	v_mov_b32_e32 v6, 0x7fc0
	v_cndmask_b32_sdwa v5, v6, v5, vcc dst_sel:DWORD dst_unused:UNUSED_PAD src0_sel:DWORD src1_sel:WORD_1
.LBB142_2196:
	s_mov_b64 s[24:25], -1
.LBB142_2197:
	s_mov_b64 s[26:27], 0
.LBB142_2198:
	s_and_b64 vcc, exec, s[26:27]
	s_cbranch_vccz .LBB142_2231
; %bb.2199:
	s_cmp_gt_i32 s34, 22
	s_cbranch_scc0 .LBB142_2209
; %bb.2200:
	s_cmp_lt_i32 s34, 24
	s_cbranch_scc1 .LBB142_2212
; %bb.2201:
	s_cmp_gt_i32 s34, 24
	s_cbranch_scc0 .LBB142_2213
; %bb.2202:
	global_load_ubyte v5, v[0:1], off
	s_movk_i32 s22, 0x7f
	s_waitcnt vmcnt(0)
	v_cmp_lt_i16_e32 vcc, s22, v5
	s_mov_b64 s[22:23], 0
	s_and_saveexec_b64 s[24:25], vcc
	s_xor_b64 s[24:25], exec, s[24:25]
	s_cbranch_execz .LBB142_2225
; %bb.2203:
	s_movk_i32 s22, 0x80
	v_cmp_eq_u16_e32 vcc, s22, v5
	s_mov_b64 s[22:23], -1
	s_and_saveexec_b64 s[26:27], vcc
; %bb.2204:
	s_xor_b64 s[22:23], exec, -1
; %bb.2205:
	s_or_b64 exec, exec, s[26:27]
	s_and_b64 s[22:23], s[22:23], exec
	s_or_saveexec_b64 s[24:25], s[24:25]
	v_mov_b32_e32 v6, 0x7f800001
	s_xor_b64 exec, exec, s[24:25]
	s_cbranch_execnz .LBB142_2226
.LBB142_2206:
	s_or_b64 exec, exec, s[24:25]
	s_and_saveexec_b64 s[24:25], s[22:23]
	s_cbranch_execz .LBB142_2208
.LBB142_2207:
	v_lshlrev_b32_e32 v6, 24, v5
	v_and_b32_e32 v5, 0xffff, v5
	v_and_b32_e32 v7, 3, v5
	v_ffbh_u32_e32 v9, v7
	v_min_u32_e32 v9, 32, v9
	v_subrev_u32_e32 v10, 29, v9
	v_bfe_u32 v8, v5, 2, 5
	v_lshlrev_b32_e32 v5, v10, v5
	v_sub_u32_e32 v9, 30, v9
	v_and_b32_e32 v5, 3, v5
	v_cmp_eq_u32_e32 vcc, 0, v8
	v_cndmask_b32_e32 v8, v8, v9, vcc
	v_cndmask_b32_e32 v5, v7, v5, vcc
	v_mov_b32_e32 v7, 0x37800000
	v_lshlrev_b32_e32 v5, 21, v5
	v_and_b32_e32 v6, 0x80000000, v6
	v_lshl_add_u32 v7, v8, 23, v7
	v_or3_b32 v6, v6, v7, v5
.LBB142_2208:
	s_or_b64 exec, exec, s[24:25]
	v_bfe_u32 v5, v6, 16, 1
	s_movk_i32 s22, 0x7fff
	v_add3_u32 v5, v6, v5, s22
	v_cmp_o_f32_e32 vcc, v6, v6
	v_mov_b32_e32 v6, 0x7fc0
	v_cndmask_b32_sdwa v5, v6, v5, vcc dst_sel:DWORD dst_unused:UNUSED_PAD src0_sel:DWORD src1_sel:WORD_1
	s_mov_b64 s[22:23], 0
	s_branch .LBB142_2214
.LBB142_2209:
	s_mov_b64 s[22:23], -1
                                        ; implicit-def: $vgpr5
	s_branch .LBB142_2220
.LBB142_2210:
	s_or_saveexec_b64 s[26:27], s[26:27]
	v_mov_b32_e32 v6, 0x7f800001
	s_xor_b64 exec, exec, s[26:27]
	s_cbranch_execz .LBB142_2193
.LBB142_2211:
	v_cmp_ne_u16_e32 vcc, 0, v5
	s_andn2_b64 s[24:25], s[24:25], exec
	s_and_b64 s[28:29], vcc, exec
	v_mov_b32_e32 v6, 0
	s_or_b64 s[24:25], s[24:25], s[28:29]
	s_or_b64 exec, exec, s[26:27]
	s_and_saveexec_b64 s[26:27], s[24:25]
	s_cbranch_execnz .LBB142_2194
	s_branch .LBB142_2195
.LBB142_2212:
	s_mov_b64 s[22:23], -1
                                        ; implicit-def: $vgpr5
	s_branch .LBB142_2217
.LBB142_2213:
	s_mov_b64 s[22:23], -1
                                        ; implicit-def: $vgpr5
.LBB142_2214:
	s_and_b64 vcc, exec, s[22:23]
	s_cbranch_vccz .LBB142_2216
; %bb.2215:
	global_load_ubyte v5, v[0:1], off
	s_mov_b32 s22, 0x7f800000
	s_brev_b32 s23, 1
	s_movk_i32 s24, 0x7fff
	s_waitcnt vmcnt(0)
	v_lshlrev_b32_e32 v5, 24, v5
	v_and_b32_e32 v6, 0x7f000000, v5
	v_ffbh_u32_e32 v7, v6
	v_min_u32_e32 v7, 32, v7
	v_sub_u32_e64 v7, v7, 4 clamp
	v_lshlrev_b32_e32 v9, v7, v6
	v_lshlrev_b32_e32 v7, 23, v7
	v_lshrrev_b32_e32 v9, 4, v9
	v_add_u32_e32 v8, 0x1000000, v6
	v_sub_u32_e32 v7, v9, v7
	v_ashrrev_i32_e32 v8, 8, v8
	v_add_u32_e32 v7, 0x3c000000, v7
	v_and_or_b32 v7, v8, s22, v7
	v_cmp_ne_u32_e32 vcc, 0, v6
	v_cndmask_b32_e32 v6, 0, v7, vcc
	v_and_or_b32 v5, v5, s23, v6
	v_bfe_u32 v6, v6, 16, 1
	v_add3_u32 v6, v5, v6, s24
	v_cmp_o_f32_e32 vcc, v5, v5
	v_mov_b32_e32 v5, 0x7fc0
	v_cndmask_b32_sdwa v5, v5, v6, vcc dst_sel:DWORD dst_unused:UNUSED_PAD src0_sel:DWORD src1_sel:WORD_1
.LBB142_2216:
	s_mov_b64 s[22:23], 0
.LBB142_2217:
	s_andn2_b64 vcc, exec, s[22:23]
	s_cbranch_vccnz .LBB142_2219
; %bb.2218:
	global_load_ubyte v5, v[0:1], off
	s_movk_i32 s22, 0x7f00
	s_brev_b32 s23, 16
	s_brev_b32 s24, 1
	s_movk_i32 s25, 0x7fff
	s_waitcnt vmcnt(0)
	v_lshlrev_b16_e32 v6, 8, v5
	v_lshlrev_b32_e32 v5, 25, v5
	v_lshrrev_b32_e32 v7, 4, v5
	v_and_or_b32 v8, v6, s22, 0.5
	v_or_b32_e32 v7, 0x70000000, v7
	v_add_f32_e32 v8, -0.5, v8
	v_mul_f32_e32 v7, 0x7800000, v7
	v_cmp_gt_u32_e32 vcc, s23, v5
	v_bfe_i32 v6, v6, 0, 16
	v_cndmask_b32_e32 v5, v7, v8, vcc
	v_and_or_b32 v6, v6, s24, v5
	v_bfe_u32 v5, v5, 16, 1
	v_add3_u32 v5, v6, v5, s25
	v_cmp_o_f32_e32 vcc, v6, v6
	v_mov_b32_e32 v6, 0x7fc0
	v_cndmask_b32_sdwa v5, v6, v5, vcc dst_sel:DWORD dst_unused:UNUSED_PAD src0_sel:DWORD src1_sel:WORD_1
.LBB142_2219:
	s_mov_b64 s[22:23], 0
	s_mov_b64 s[24:25], -1
.LBB142_2220:
	s_andn2_b64 vcc, exec, s[22:23]
	s_mov_b64 s[22:23], 0
	s_cbranch_vccnz .LBB142_2231
; %bb.2221:
	s_cmp_gt_i32 s34, 14
	s_cbranch_scc0 .LBB142_2224
; %bb.2222:
	s_cmp_eq_u32 s34, 15
	s_cbranch_scc0 .LBB142_2227
; %bb.2223:
	global_load_ushort v5, v[0:1], off
	s_mov_b64 s[0:1], 0
	s_mov_b64 s[24:25], -1
	s_branch .LBB142_2228
.LBB142_2224:
	s_mov_b64 s[26:27], -1
                                        ; implicit-def: $vgpr5
	s_branch .LBB142_2229
.LBB142_2225:
	s_or_saveexec_b64 s[24:25], s[24:25]
	v_mov_b32_e32 v6, 0x7f800001
	s_xor_b64 exec, exec, s[24:25]
	s_cbranch_execz .LBB142_2206
.LBB142_2226:
	v_cmp_ne_u16_e32 vcc, 0, v5
	s_andn2_b64 s[22:23], s[22:23], exec
	s_and_b64 s[26:27], vcc, exec
	v_mov_b32_e32 v6, 0
	s_or_b64 s[22:23], s[22:23], s[26:27]
	s_or_b64 exec, exec, s[24:25]
	s_and_saveexec_b64 s[24:25], s[22:23]
	s_cbranch_execnz .LBB142_2207
	s_branch .LBB142_2208
.LBB142_2227:
	s_mov_b64 s[0:1], -1
                                        ; implicit-def: $vgpr5
.LBB142_2228:
	s_mov_b64 s[26:27], 0
.LBB142_2229:
	s_and_b64 vcc, exec, s[26:27]
	s_cbranch_vccz .LBB142_2231
; %bb.2230:
	s_cmp_lg_u32 s34, 11
	s_mov_b64 s[22:23], -1
	s_cselect_b64 s[0:1], -1, 0
.LBB142_2231:
	s_and_b64 vcc, exec, s[0:1]
	s_cbranch_vccnz .LBB142_2296
; %bb.2232:
	s_andn2_b64 vcc, exec, s[22:23]
	s_cbranch_vccnz .LBB142_2234
.LBB142_2233:
	global_load_ubyte v5, v[0:1], off
	s_mov_b64 s[24:25], -1
	s_waitcnt vmcnt(0)
	v_cmp_ne_u16_e32 vcc, 0, v5
	v_cndmask_b32_e64 v5, 0, 1.0, vcc
	v_lshrrev_b32_e32 v5, 16, v5
.LBB142_2234:
	s_mov_b64 s[0:1], 0
.LBB142_2235:
	s_and_b64 vcc, exec, s[0:1]
	s_cbranch_vccz .LBB142_2284
; %bb.2236:
	s_and_b32 s22, 0xffff, s30
	s_cmp_lt_i32 s22, 5
	s_cbranch_scc1 .LBB142_2241
; %bb.2237:
	s_cmp_lt_i32 s22, 8
	s_cbranch_scc1 .LBB142_2242
; %bb.2238:
	;; [unrolled: 3-line block ×3, first 2 shown]
	s_cmp_gt_i32 s22, 9
	s_cbranch_scc0 .LBB142_2244
; %bb.2240:
	global_load_dwordx2 v[5:6], v[0:1], off
	s_movk_i32 s0, 0x7fff
	s_waitcnt vmcnt(0)
	v_cvt_f32_f64_e32 v5, v[5:6]
	v_mov_b32_e32 v6, 0x7fc0
	v_bfe_u32 v7, v5, 16, 1
	v_cmp_o_f32_e32 vcc, v5, v5
	v_add3_u32 v5, v5, v7, s0
	v_cndmask_b32_sdwa v5, v6, v5, vcc dst_sel:DWORD dst_unused:UNUSED_PAD src0_sel:DWORD src1_sel:WORD_1
	s_mov_b64 s[0:1], 0
	s_branch .LBB142_2245
.LBB142_2241:
	s_mov_b64 s[0:1], -1
                                        ; implicit-def: $vgpr5
	s_branch .LBB142_2263
.LBB142_2242:
	s_mov_b64 s[0:1], -1
                                        ; implicit-def: $vgpr5
	s_branch .LBB142_2251
.LBB142_2243:
	s_mov_b64 s[0:1], -1
                                        ; implicit-def: $vgpr5
	s_branch .LBB142_2248
.LBB142_2244:
	s_mov_b64 s[0:1], -1
                                        ; implicit-def: $vgpr5
.LBB142_2245:
	s_andn2_b64 vcc, exec, s[0:1]
	s_cbranch_vccnz .LBB142_2247
; %bb.2246:
	global_load_dword v5, v[0:1], off
	s_movk_i32 s0, 0x7fff
	v_mov_b32_e32 v6, 0x7fc0
	s_waitcnt vmcnt(0)
	v_bfe_u32 v7, v5, 16, 1
	v_cmp_o_f32_e32 vcc, v5, v5
	v_add3_u32 v5, v5, v7, s0
	v_cndmask_b32_sdwa v5, v6, v5, vcc dst_sel:DWORD dst_unused:UNUSED_PAD src0_sel:DWORD src1_sel:WORD_1
.LBB142_2247:
	s_mov_b64 s[0:1], 0
.LBB142_2248:
	s_andn2_b64 vcc, exec, s[0:1]
	s_cbranch_vccnz .LBB142_2250
; %bb.2249:
	global_load_dword v5, v[0:1], off
	s_movk_i32 s0, 0x7fff
	v_mov_b32_e32 v7, 0x7fc0
	s_waitcnt vmcnt(0)
	v_cvt_f32_f16_e32 v6, v5
	v_cmp_o_f16_e32 vcc, v5, v5
	v_bfe_u32 v5, v6, 16, 1
	v_add3_u32 v5, v6, v5, s0
	v_cndmask_b32_sdwa v5, v7, v5, vcc dst_sel:DWORD dst_unused:UNUSED_PAD src0_sel:DWORD src1_sel:WORD_1
.LBB142_2250:
	s_mov_b64 s[0:1], 0
.LBB142_2251:
	s_andn2_b64 vcc, exec, s[0:1]
	s_cbranch_vccnz .LBB142_2262
; %bb.2252:
	s_cmp_lt_i32 s22, 6
	s_cbranch_scc1 .LBB142_2255
; %bb.2253:
	s_cmp_gt_i32 s22, 6
	s_cbranch_scc0 .LBB142_2256
; %bb.2254:
	global_load_dwordx2 v[5:6], v[0:1], off
	s_movk_i32 s0, 0x7fff
	s_waitcnt vmcnt(0)
	v_cvt_f32_f64_e32 v5, v[5:6]
	v_mov_b32_e32 v6, 0x7fc0
	v_bfe_u32 v7, v5, 16, 1
	v_cmp_o_f32_e32 vcc, v5, v5
	v_add3_u32 v5, v5, v7, s0
	v_cndmask_b32_sdwa v5, v6, v5, vcc dst_sel:DWORD dst_unused:UNUSED_PAD src0_sel:DWORD src1_sel:WORD_1
	s_mov_b64 s[0:1], 0
	s_branch .LBB142_2257
.LBB142_2255:
	s_mov_b64 s[0:1], -1
                                        ; implicit-def: $vgpr5
	s_branch .LBB142_2260
.LBB142_2256:
	s_mov_b64 s[0:1], -1
                                        ; implicit-def: $vgpr5
.LBB142_2257:
	s_andn2_b64 vcc, exec, s[0:1]
	s_cbranch_vccnz .LBB142_2259
; %bb.2258:
	global_load_dword v5, v[0:1], off
	s_movk_i32 s0, 0x7fff
	v_mov_b32_e32 v6, 0x7fc0
	s_waitcnt vmcnt(0)
	v_bfe_u32 v7, v5, 16, 1
	v_cmp_o_f32_e32 vcc, v5, v5
	v_add3_u32 v5, v5, v7, s0
	v_cndmask_b32_sdwa v5, v6, v5, vcc dst_sel:DWORD dst_unused:UNUSED_PAD src0_sel:DWORD src1_sel:WORD_1
.LBB142_2259:
	s_mov_b64 s[0:1], 0
.LBB142_2260:
	s_andn2_b64 vcc, exec, s[0:1]
	s_cbranch_vccnz .LBB142_2262
; %bb.2261:
	global_load_ushort v5, v[0:1], off
	s_movk_i32 s0, 0x7fff
	v_mov_b32_e32 v7, 0x7fc0
	s_waitcnt vmcnt(0)
	v_cvt_f32_f16_e32 v6, v5
	v_cmp_o_f16_e32 vcc, v5, v5
	v_bfe_u32 v5, v6, 16, 1
	v_add3_u32 v5, v6, v5, s0
	v_cndmask_b32_sdwa v5, v7, v5, vcc dst_sel:DWORD dst_unused:UNUSED_PAD src0_sel:DWORD src1_sel:WORD_1
.LBB142_2262:
	s_mov_b64 s[0:1], 0
.LBB142_2263:
	s_andn2_b64 vcc, exec, s[0:1]
	s_cbranch_vccnz .LBB142_2283
; %bb.2264:
	s_cmp_lt_i32 s22, 2
	s_cbranch_scc1 .LBB142_2268
; %bb.2265:
	s_cmp_lt_i32 s22, 3
	s_cbranch_scc1 .LBB142_2269
; %bb.2266:
	s_cmp_gt_i32 s22, 3
	s_cbranch_scc0 .LBB142_2270
; %bb.2267:
	global_load_dwordx2 v[5:6], v[0:1], off
	s_movk_i32 s0, 0x7fff
	s_waitcnt vmcnt(0)
	v_xor_b32_e32 v8, v5, v6
	v_ffbh_i32_e32 v7, v6
	v_ashrrev_i32_e32 v8, 31, v8
	v_add_u32_e32 v7, -1, v7
	v_add_u32_e32 v8, 32, v8
	v_min_u32_e32 v7, v7, v8
	v_lshlrev_b64 v[5:6], v7, v[5:6]
	v_min_u32_e32 v5, 1, v5
	v_or_b32_e32 v5, v6, v5
	v_cvt_f32_i32_e32 v5, v5
	v_sub_u32_e32 v6, 32, v7
	v_ldexp_f32 v5, v5, v6
	v_bfe_u32 v6, v5, 16, 1
	v_add3_u32 v5, v5, v6, s0
	v_lshrrev_b32_e32 v5, 16, v5
	s_mov_b64 s[0:1], 0
	s_branch .LBB142_2271
.LBB142_2268:
	s_mov_b64 s[0:1], -1
                                        ; implicit-def: $vgpr5
	s_branch .LBB142_2277
.LBB142_2269:
	s_mov_b64 s[0:1], -1
                                        ; implicit-def: $vgpr5
	s_branch .LBB142_2274
.LBB142_2270:
	s_mov_b64 s[0:1], -1
                                        ; implicit-def: $vgpr5
.LBB142_2271:
	s_andn2_b64 vcc, exec, s[0:1]
	s_cbranch_vccnz .LBB142_2273
; %bb.2272:
	global_load_dword v5, v[0:1], off
	s_movk_i32 s0, 0x7fff
	s_waitcnt vmcnt(0)
	v_cvt_f32_i32_e32 v5, v5
	v_bfe_u32 v6, v5, 16, 1
	v_add3_u32 v5, v5, v6, s0
	v_lshrrev_b32_e32 v5, 16, v5
.LBB142_2273:
	s_mov_b64 s[0:1], 0
.LBB142_2274:
	s_andn2_b64 vcc, exec, s[0:1]
	s_cbranch_vccnz .LBB142_2276
; %bb.2275:
	global_load_sshort v5, v[0:1], off
	s_movk_i32 s0, 0x7fff
	s_waitcnt vmcnt(0)
	v_cvt_f32_i32_e32 v5, v5
	v_bfe_u32 v6, v5, 16, 1
	v_add3_u32 v5, v5, v6, s0
	v_lshrrev_b32_e32 v5, 16, v5
.LBB142_2276:
	s_mov_b64 s[0:1], 0
.LBB142_2277:
	s_andn2_b64 vcc, exec, s[0:1]
	s_cbranch_vccnz .LBB142_2283
; %bb.2278:
	s_cmp_gt_i32 s22, 0
	s_cbranch_scc0 .LBB142_2280
; %bb.2279:
	global_load_sbyte v5, v[0:1], off
	s_movk_i32 s0, 0x7fff
	s_waitcnt vmcnt(0)
	v_cvt_f32_i32_e32 v5, v5
	v_bfe_u32 v6, v5, 16, 1
	v_add3_u32 v5, v5, v6, s0
	v_lshrrev_b32_e32 v5, 16, v5
	s_mov_b64 s[0:1], 0
	s_branch .LBB142_2281
.LBB142_2280:
	s_mov_b64 s[0:1], -1
                                        ; implicit-def: $vgpr5
.LBB142_2281:
	s_andn2_b64 vcc, exec, s[0:1]
	s_cbranch_vccnz .LBB142_2283
; %bb.2282:
	global_load_ubyte v0, v[0:1], off
	s_movk_i32 s0, 0x7fff
	s_waitcnt vmcnt(0)
	v_cvt_f32_ubyte0_e32 v0, v0
	v_bfe_u32 v1, v0, 16, 1
	v_add3_u32 v0, v0, v1, s0
	v_lshrrev_b32_e32 v5, 16, v0
.LBB142_2283:
	s_mov_b64 s[24:25], -1
.LBB142_2284:
	s_andn2_b64 vcc, exec, s[24:25]
	s_cbranch_vccnz .LBB142_2698
; %bb.2285:
	v_add_u32_e32 v4, s14, v4
	v_ashrrev_i32_e32 v1, 31, v4
	v_mov_b32_e32 v6, s3
	v_add_co_u32_e32 v0, vcc, s2, v4
	s_cmp_lt_i32 s31, 11
	v_addc_co_u32_e32 v1, vcc, v6, v1, vcc
	s_cbranch_scc1 .LBB142_2292
; %bb.2286:
	s_and_b32 s34, 0xffff, s31
	s_cmp_gt_i32 s34, 25
	s_mov_b64 s[22:23], 0
	s_cbranch_scc0 .LBB142_2293
; %bb.2287:
	s_cmp_gt_i32 s34, 28
	s_cbranch_scc0 .LBB142_2294
; %bb.2288:
	s_cmp_gt_i32 s34, 43
	;; [unrolled: 3-line block ×3, first 2 shown]
	s_cbranch_scc0 .LBB142_2297
; %bb.2290:
	s_cmp_eq_u32 s34, 46
	s_mov_b64 s[26:27], 0
	s_cbranch_scc0 .LBB142_2300
; %bb.2291:
	global_load_dword v6, v[0:1], off
	s_mov_b64 s[0:1], 0
	s_mov_b64 s[24:25], -1
	s_branch .LBB142_2301
.LBB142_2292:
	s_mov_b64 s[0:1], -1
	s_mov_b64 s[24:25], 0
                                        ; implicit-def: $vgpr6
	s_branch .LBB142_2367
.LBB142_2293:
	s_mov_b64 s[26:27], -1
	s_mov_b64 s[24:25], 0
	s_mov_b64 s[0:1], 0
                                        ; implicit-def: $vgpr6
	s_branch .LBB142_2330
.LBB142_2294:
	s_mov_b64 s[26:27], -1
	s_mov_b64 s[24:25], 0
	s_mov_b64 s[0:1], 0
                                        ; implicit-def: $vgpr6
	s_branch .LBB142_2311
.LBB142_2295:
	s_mov_b64 s[26:27], -1
	s_mov_b64 s[24:25], 0
	s_mov_b64 s[0:1], 0
                                        ; implicit-def: $vgpr6
	s_branch .LBB142_2306
.LBB142_2296:
	s_trap 2
	s_or_b64 s[18:19], s[18:19], exec
	s_cbranch_execz .LBB142_2233
	s_branch .LBB142_2234
.LBB142_2297:
	s_mov_b64 s[26:27], -1
	s_mov_b64 s[24:25], 0
	s_mov_b64 s[0:1], 0
                                        ; implicit-def: $vgpr6
	s_branch .LBB142_2301
.LBB142_2298:
	s_andn2_saveexec_b64 s[46:47], s[46:47]
	s_cbranch_execz .LBB142_1135
.LBB142_2299:
	v_add_f32_e32 v3, 0x42800000, v4
	v_and_b32_e32 v3, 0xff, v3
	v_cmp_ne_u32_e32 vcc, 0, v3
	s_andn2_b64 s[44:45], s[44:45], exec
	s_and_b64 s[52:53], vcc, exec
	s_or_b64 s[44:45], s[44:45], s[52:53]
	s_or_b64 exec, exec, s[46:47]
	v_mov_b32_e32 v5, 0
	s_and_saveexec_b64 s[46:47], s[44:45]
	s_cbranch_execnz .LBB142_1136
	s_branch .LBB142_1137
.LBB142_2300:
	s_mov_b64 s[0:1], -1
                                        ; implicit-def: $vgpr6
	s_mov_b64 s[24:25], 0
.LBB142_2301:
	s_and_b64 vcc, exec, s[26:27]
	s_cbranch_vccz .LBB142_2305
; %bb.2302:
	s_cmp_eq_u32 s34, 44
	s_cbranch_scc0 .LBB142_2304
; %bb.2303:
	global_load_ubyte v6, v[0:1], off
	s_movk_i32 s24, 0xff
	v_mov_b32_e32 v7, 0x7f800001
	v_mov_b32_e32 v8, 0x400000
	;; [unrolled: 1-line block ×3, first 2 shown]
	s_mov_b64 s[0:1], 0
	s_waitcnt vmcnt(0)
	v_lshlrev_b32_e32 v10, 23, v6
	v_cmp_ne_u32_e32 vcc, s24, v6
	v_cndmask_b32_e32 v7, v7, v10, vcc
	v_cmp_ne_u32_e32 vcc, 0, v6
	v_cndmask_b32_e32 v6, v8, v7, vcc
	v_add_u32_e32 v7, 0x7fff, v6
	v_cmp_o_f32_e32 vcc, v6, v6
	v_cndmask_b32_sdwa v6, v9, v7, vcc dst_sel:DWORD dst_unused:UNUSED_PAD src0_sel:DWORD src1_sel:WORD_1
	s_mov_b64 s[24:25], -1
	s_branch .LBB142_2305
.LBB142_2304:
	s_mov_b64 s[0:1], -1
                                        ; implicit-def: $vgpr6
.LBB142_2305:
	s_mov_b64 s[26:27], 0
.LBB142_2306:
	s_and_b64 vcc, exec, s[26:27]
	s_cbranch_vccz .LBB142_2310
; %bb.2307:
	s_cmp_eq_u32 s34, 29
	s_cbranch_scc0 .LBB142_2309
; %bb.2308:
	global_load_dwordx2 v[6:7], v[0:1], off
	s_movk_i32 s24, 0x7fff
	s_mov_b64 s[0:1], 0
	s_mov_b64 s[26:27], 0
	s_waitcnt vmcnt(0)
	v_ffbh_u32_e32 v8, v7
	v_min_u32_e32 v8, 32, v8
	v_lshlrev_b64 v[6:7], v8, v[6:7]
	v_min_u32_e32 v6, 1, v6
	v_or_b32_e32 v6, v7, v6
	v_cvt_f32_u32_e32 v6, v6
	v_sub_u32_e32 v7, 32, v8
	v_ldexp_f32 v6, v6, v7
	v_bfe_u32 v7, v6, 16, 1
	v_add3_u32 v6, v6, v7, s24
	v_lshrrev_b32_e32 v6, 16, v6
	s_mov_b64 s[24:25], -1
	s_branch .LBB142_2311
.LBB142_2309:
	s_mov_b64 s[0:1], -1
                                        ; implicit-def: $vgpr6
.LBB142_2310:
	s_mov_b64 s[26:27], 0
.LBB142_2311:
	s_and_b64 vcc, exec, s[26:27]
	s_cbranch_vccz .LBB142_2329
; %bb.2312:
	s_cmp_lt_i32 s34, 27
	s_cbranch_scc1 .LBB142_2315
; %bb.2313:
	s_cmp_gt_i32 s34, 27
	s_cbranch_scc0 .LBB142_2316
; %bb.2314:
	global_load_dword v6, v[0:1], off
	s_movk_i32 s24, 0x7fff
	s_waitcnt vmcnt(0)
	v_cvt_f32_u32_e32 v6, v6
	v_bfe_u32 v7, v6, 16, 1
	v_add3_u32 v6, v6, v7, s24
	v_lshrrev_b32_e32 v6, 16, v6
	s_mov_b64 s[24:25], 0
	s_branch .LBB142_2317
.LBB142_2315:
	s_mov_b64 s[24:25], -1
                                        ; implicit-def: $vgpr6
	s_branch .LBB142_2320
.LBB142_2316:
	s_mov_b64 s[24:25], -1
                                        ; implicit-def: $vgpr6
.LBB142_2317:
	s_andn2_b64 vcc, exec, s[24:25]
	s_cbranch_vccnz .LBB142_2319
; %bb.2318:
	global_load_ushort v6, v[0:1], off
	s_movk_i32 s24, 0x7fff
	s_waitcnt vmcnt(0)
	v_cvt_f32_u32_e32 v6, v6
	v_bfe_u32 v7, v6, 16, 1
	v_add3_u32 v6, v6, v7, s24
	v_lshrrev_b32_e32 v6, 16, v6
.LBB142_2319:
	s_mov_b64 s[24:25], 0
.LBB142_2320:
	s_andn2_b64 vcc, exec, s[24:25]
	s_cbranch_vccnz .LBB142_2328
; %bb.2321:
	global_load_ubyte v6, v[0:1], off
	s_movk_i32 s24, 0x7f
	s_waitcnt vmcnt(0)
	v_cmp_lt_i16_e32 vcc, s24, v6
	s_mov_b64 s[24:25], 0
	s_and_saveexec_b64 s[26:27], vcc
	s_xor_b64 s[26:27], exec, s[26:27]
	s_cbranch_execz .LBB142_2342
; %bb.2322:
	s_movk_i32 s24, 0x80
	v_cmp_eq_u16_e32 vcc, s24, v6
	s_mov_b64 s[24:25], -1
	s_and_saveexec_b64 s[28:29], vcc
; %bb.2323:
	s_xor_b64 s[24:25], exec, -1
; %bb.2324:
	s_or_b64 exec, exec, s[28:29]
	s_and_b64 s[24:25], s[24:25], exec
	s_or_saveexec_b64 s[26:27], s[26:27]
	v_mov_b32_e32 v7, 0x7f800001
	s_xor_b64 exec, exec, s[26:27]
	s_cbranch_execnz .LBB142_2343
.LBB142_2325:
	s_or_b64 exec, exec, s[26:27]
	s_and_saveexec_b64 s[26:27], s[24:25]
	s_cbranch_execz .LBB142_2327
.LBB142_2326:
	v_lshlrev_b32_e32 v7, 24, v6
	v_and_b32_e32 v6, 0xffff, v6
	v_and_b32_e32 v8, 7, v6
	v_ffbh_u32_e32 v10, v8
	v_min_u32_e32 v10, 32, v10
	v_subrev_u32_e32 v11, 28, v10
	v_bfe_u32 v9, v6, 3, 4
	v_lshlrev_b32_e32 v6, v11, v6
	v_sub_u32_e32 v10, 29, v10
	v_and_b32_e32 v6, 7, v6
	v_cmp_eq_u32_e32 vcc, 0, v9
	v_cndmask_b32_e32 v9, v9, v10, vcc
	v_cndmask_b32_e32 v6, v8, v6, vcc
	v_mov_b32_e32 v8, 0x3b800000
	v_lshlrev_b32_e32 v6, 20, v6
	v_and_b32_e32 v7, 0x80000000, v7
	v_lshl_add_u32 v8, v9, 23, v8
	v_or3_b32 v7, v7, v8, v6
.LBB142_2327:
	s_or_b64 exec, exec, s[26:27]
	v_bfe_u32 v6, v7, 16, 1
	s_movk_i32 s24, 0x7fff
	v_add3_u32 v6, v7, v6, s24
	v_cmp_o_f32_e32 vcc, v7, v7
	v_mov_b32_e32 v7, 0x7fc0
	v_cndmask_b32_sdwa v6, v7, v6, vcc dst_sel:DWORD dst_unused:UNUSED_PAD src0_sel:DWORD src1_sel:WORD_1
.LBB142_2328:
	s_mov_b64 s[24:25], -1
.LBB142_2329:
	s_mov_b64 s[26:27], 0
.LBB142_2330:
	s_and_b64 vcc, exec, s[26:27]
	s_cbranch_vccz .LBB142_2363
; %bb.2331:
	s_cmp_gt_i32 s34, 22
	s_cbranch_scc0 .LBB142_2341
; %bb.2332:
	s_cmp_lt_i32 s34, 24
	s_cbranch_scc1 .LBB142_2344
; %bb.2333:
	s_cmp_gt_i32 s34, 24
	s_cbranch_scc0 .LBB142_2345
; %bb.2334:
	global_load_ubyte v6, v[0:1], off
	s_movk_i32 s22, 0x7f
	s_waitcnt vmcnt(0)
	v_cmp_lt_i16_e32 vcc, s22, v6
	s_mov_b64 s[22:23], 0
	s_and_saveexec_b64 s[24:25], vcc
	s_xor_b64 s[24:25], exec, s[24:25]
	s_cbranch_execz .LBB142_2357
; %bb.2335:
	s_movk_i32 s22, 0x80
	v_cmp_eq_u16_e32 vcc, s22, v6
	s_mov_b64 s[22:23], -1
	s_and_saveexec_b64 s[26:27], vcc
; %bb.2336:
	s_xor_b64 s[22:23], exec, -1
; %bb.2337:
	s_or_b64 exec, exec, s[26:27]
	s_and_b64 s[22:23], s[22:23], exec
	s_or_saveexec_b64 s[24:25], s[24:25]
	v_mov_b32_e32 v7, 0x7f800001
	s_xor_b64 exec, exec, s[24:25]
	s_cbranch_execnz .LBB142_2358
.LBB142_2338:
	s_or_b64 exec, exec, s[24:25]
	s_and_saveexec_b64 s[24:25], s[22:23]
	s_cbranch_execz .LBB142_2340
.LBB142_2339:
	v_lshlrev_b32_e32 v7, 24, v6
	v_and_b32_e32 v6, 0xffff, v6
	v_and_b32_e32 v8, 3, v6
	v_ffbh_u32_e32 v10, v8
	v_min_u32_e32 v10, 32, v10
	v_subrev_u32_e32 v11, 29, v10
	v_bfe_u32 v9, v6, 2, 5
	v_lshlrev_b32_e32 v6, v11, v6
	v_sub_u32_e32 v10, 30, v10
	v_and_b32_e32 v6, 3, v6
	v_cmp_eq_u32_e32 vcc, 0, v9
	v_cndmask_b32_e32 v9, v9, v10, vcc
	v_cndmask_b32_e32 v6, v8, v6, vcc
	v_mov_b32_e32 v8, 0x37800000
	v_lshlrev_b32_e32 v6, 21, v6
	v_and_b32_e32 v7, 0x80000000, v7
	v_lshl_add_u32 v8, v9, 23, v8
	v_or3_b32 v7, v7, v8, v6
.LBB142_2340:
	s_or_b64 exec, exec, s[24:25]
	v_bfe_u32 v6, v7, 16, 1
	s_movk_i32 s22, 0x7fff
	v_add3_u32 v6, v7, v6, s22
	v_cmp_o_f32_e32 vcc, v7, v7
	v_mov_b32_e32 v7, 0x7fc0
	v_cndmask_b32_sdwa v6, v7, v6, vcc dst_sel:DWORD dst_unused:UNUSED_PAD src0_sel:DWORD src1_sel:WORD_1
	s_mov_b64 s[22:23], 0
	s_branch .LBB142_2346
.LBB142_2341:
	s_mov_b64 s[22:23], -1
                                        ; implicit-def: $vgpr6
	s_branch .LBB142_2352
.LBB142_2342:
	s_or_saveexec_b64 s[26:27], s[26:27]
	v_mov_b32_e32 v7, 0x7f800001
	s_xor_b64 exec, exec, s[26:27]
	s_cbranch_execz .LBB142_2325
.LBB142_2343:
	v_cmp_ne_u16_e32 vcc, 0, v6
	s_andn2_b64 s[24:25], s[24:25], exec
	s_and_b64 s[28:29], vcc, exec
	v_mov_b32_e32 v7, 0
	s_or_b64 s[24:25], s[24:25], s[28:29]
	s_or_b64 exec, exec, s[26:27]
	s_and_saveexec_b64 s[26:27], s[24:25]
	s_cbranch_execnz .LBB142_2326
	s_branch .LBB142_2327
.LBB142_2344:
	s_mov_b64 s[22:23], -1
                                        ; implicit-def: $vgpr6
	s_branch .LBB142_2349
.LBB142_2345:
	s_mov_b64 s[22:23], -1
                                        ; implicit-def: $vgpr6
.LBB142_2346:
	s_and_b64 vcc, exec, s[22:23]
	s_cbranch_vccz .LBB142_2348
; %bb.2347:
	global_load_ubyte v6, v[0:1], off
	s_mov_b32 s22, 0x7f800000
	s_brev_b32 s23, 1
	s_movk_i32 s24, 0x7fff
	s_waitcnt vmcnt(0)
	v_lshlrev_b32_e32 v6, 24, v6
	v_and_b32_e32 v7, 0x7f000000, v6
	v_ffbh_u32_e32 v8, v7
	v_min_u32_e32 v8, 32, v8
	v_sub_u32_e64 v8, v8, 4 clamp
	v_lshlrev_b32_e32 v10, v8, v7
	v_lshlrev_b32_e32 v8, 23, v8
	v_lshrrev_b32_e32 v10, 4, v10
	v_add_u32_e32 v9, 0x1000000, v7
	v_sub_u32_e32 v8, v10, v8
	v_ashrrev_i32_e32 v9, 8, v9
	v_add_u32_e32 v8, 0x3c000000, v8
	v_and_or_b32 v8, v9, s22, v8
	v_cmp_ne_u32_e32 vcc, 0, v7
	v_cndmask_b32_e32 v7, 0, v8, vcc
	v_and_or_b32 v6, v6, s23, v7
	v_bfe_u32 v7, v7, 16, 1
	v_add3_u32 v7, v6, v7, s24
	v_cmp_o_f32_e32 vcc, v6, v6
	v_mov_b32_e32 v6, 0x7fc0
	v_cndmask_b32_sdwa v6, v6, v7, vcc dst_sel:DWORD dst_unused:UNUSED_PAD src0_sel:DWORD src1_sel:WORD_1
.LBB142_2348:
	s_mov_b64 s[22:23], 0
.LBB142_2349:
	s_andn2_b64 vcc, exec, s[22:23]
	s_cbranch_vccnz .LBB142_2351
; %bb.2350:
	global_load_ubyte v6, v[0:1], off
	s_movk_i32 s22, 0x7f00
	s_brev_b32 s23, 16
	s_brev_b32 s24, 1
	s_movk_i32 s25, 0x7fff
	s_waitcnt vmcnt(0)
	v_lshlrev_b16_e32 v7, 8, v6
	v_lshlrev_b32_e32 v6, 25, v6
	v_lshrrev_b32_e32 v8, 4, v6
	v_and_or_b32 v9, v7, s22, 0.5
	v_or_b32_e32 v8, 0x70000000, v8
	v_add_f32_e32 v9, -0.5, v9
	v_mul_f32_e32 v8, 0x7800000, v8
	v_cmp_gt_u32_e32 vcc, s23, v6
	v_bfe_i32 v7, v7, 0, 16
	v_cndmask_b32_e32 v6, v8, v9, vcc
	v_and_or_b32 v7, v7, s24, v6
	v_bfe_u32 v6, v6, 16, 1
	v_add3_u32 v6, v7, v6, s25
	v_cmp_o_f32_e32 vcc, v7, v7
	v_mov_b32_e32 v7, 0x7fc0
	v_cndmask_b32_sdwa v6, v7, v6, vcc dst_sel:DWORD dst_unused:UNUSED_PAD src0_sel:DWORD src1_sel:WORD_1
.LBB142_2351:
	s_mov_b64 s[22:23], 0
	s_mov_b64 s[24:25], -1
.LBB142_2352:
	s_andn2_b64 vcc, exec, s[22:23]
	s_mov_b64 s[22:23], 0
	s_cbranch_vccnz .LBB142_2363
; %bb.2353:
	s_cmp_gt_i32 s34, 14
	s_cbranch_scc0 .LBB142_2356
; %bb.2354:
	s_cmp_eq_u32 s34, 15
	s_cbranch_scc0 .LBB142_2359
; %bb.2355:
	global_load_ushort v6, v[0:1], off
	s_mov_b64 s[0:1], 0
	s_mov_b64 s[24:25], -1
	s_branch .LBB142_2360
.LBB142_2356:
	s_mov_b64 s[26:27], -1
                                        ; implicit-def: $vgpr6
	s_branch .LBB142_2361
.LBB142_2357:
	s_or_saveexec_b64 s[24:25], s[24:25]
	v_mov_b32_e32 v7, 0x7f800001
	s_xor_b64 exec, exec, s[24:25]
	s_cbranch_execz .LBB142_2338
.LBB142_2358:
	v_cmp_ne_u16_e32 vcc, 0, v6
	s_andn2_b64 s[22:23], s[22:23], exec
	s_and_b64 s[26:27], vcc, exec
	v_mov_b32_e32 v7, 0
	s_or_b64 s[22:23], s[22:23], s[26:27]
	s_or_b64 exec, exec, s[24:25]
	s_and_saveexec_b64 s[24:25], s[22:23]
	s_cbranch_execnz .LBB142_2339
	s_branch .LBB142_2340
.LBB142_2359:
	s_mov_b64 s[0:1], -1
                                        ; implicit-def: $vgpr6
.LBB142_2360:
	s_mov_b64 s[26:27], 0
.LBB142_2361:
	s_and_b64 vcc, exec, s[26:27]
	s_cbranch_vccz .LBB142_2363
; %bb.2362:
	s_cmp_lg_u32 s34, 11
	s_mov_b64 s[22:23], -1
	s_cselect_b64 s[0:1], -1, 0
.LBB142_2363:
	s_and_b64 vcc, exec, s[0:1]
	s_cbranch_vccnz .LBB142_2445
; %bb.2364:
	s_andn2_b64 vcc, exec, s[22:23]
	s_cbranch_vccnz .LBB142_2366
.LBB142_2365:
	global_load_ubyte v6, v[0:1], off
	s_mov_b64 s[24:25], -1
	s_waitcnt vmcnt(0)
	v_cmp_ne_u16_e32 vcc, 0, v6
	v_cndmask_b32_e64 v6, 0, 1.0, vcc
	v_lshrrev_b32_e32 v6, 16, v6
.LBB142_2366:
	s_mov_b64 s[0:1], 0
.LBB142_2367:
	s_and_b64 vcc, exec, s[0:1]
	s_cbranch_vccz .LBB142_2416
; %bb.2368:
	s_and_b32 s22, 0xffff, s31
	s_cmp_lt_i32 s22, 5
	s_cbranch_scc1 .LBB142_2373
; %bb.2369:
	s_cmp_lt_i32 s22, 8
	s_cbranch_scc1 .LBB142_2374
; %bb.2370:
	;; [unrolled: 3-line block ×3, first 2 shown]
	s_cmp_gt_i32 s22, 9
	s_cbranch_scc0 .LBB142_2376
; %bb.2372:
	global_load_dwordx2 v[6:7], v[0:1], off
	s_movk_i32 s0, 0x7fff
	s_waitcnt vmcnt(0)
	v_cvt_f32_f64_e32 v6, v[6:7]
	v_mov_b32_e32 v7, 0x7fc0
	v_bfe_u32 v8, v6, 16, 1
	v_cmp_o_f32_e32 vcc, v6, v6
	v_add3_u32 v6, v6, v8, s0
	v_cndmask_b32_sdwa v6, v7, v6, vcc dst_sel:DWORD dst_unused:UNUSED_PAD src0_sel:DWORD src1_sel:WORD_1
	s_mov_b64 s[0:1], 0
	s_branch .LBB142_2377
.LBB142_2373:
	s_mov_b64 s[0:1], -1
                                        ; implicit-def: $vgpr6
	s_branch .LBB142_2395
.LBB142_2374:
	s_mov_b64 s[0:1], -1
                                        ; implicit-def: $vgpr6
	s_branch .LBB142_2383
.LBB142_2375:
	s_mov_b64 s[0:1], -1
                                        ; implicit-def: $vgpr6
	s_branch .LBB142_2380
.LBB142_2376:
	s_mov_b64 s[0:1], -1
                                        ; implicit-def: $vgpr6
.LBB142_2377:
	s_andn2_b64 vcc, exec, s[0:1]
	s_cbranch_vccnz .LBB142_2379
; %bb.2378:
	global_load_dword v6, v[0:1], off
	s_movk_i32 s0, 0x7fff
	v_mov_b32_e32 v7, 0x7fc0
	s_waitcnt vmcnt(0)
	v_bfe_u32 v8, v6, 16, 1
	v_cmp_o_f32_e32 vcc, v6, v6
	v_add3_u32 v6, v6, v8, s0
	v_cndmask_b32_sdwa v6, v7, v6, vcc dst_sel:DWORD dst_unused:UNUSED_PAD src0_sel:DWORD src1_sel:WORD_1
.LBB142_2379:
	s_mov_b64 s[0:1], 0
.LBB142_2380:
	s_andn2_b64 vcc, exec, s[0:1]
	s_cbranch_vccnz .LBB142_2382
; %bb.2381:
	global_load_dword v6, v[0:1], off
	s_movk_i32 s0, 0x7fff
	v_mov_b32_e32 v8, 0x7fc0
	s_waitcnt vmcnt(0)
	v_cvt_f32_f16_e32 v7, v6
	v_cmp_o_f16_e32 vcc, v6, v6
	v_bfe_u32 v6, v7, 16, 1
	v_add3_u32 v6, v7, v6, s0
	v_cndmask_b32_sdwa v6, v8, v6, vcc dst_sel:DWORD dst_unused:UNUSED_PAD src0_sel:DWORD src1_sel:WORD_1
.LBB142_2382:
	s_mov_b64 s[0:1], 0
.LBB142_2383:
	s_andn2_b64 vcc, exec, s[0:1]
	s_cbranch_vccnz .LBB142_2394
; %bb.2384:
	s_cmp_lt_i32 s22, 6
	s_cbranch_scc1 .LBB142_2387
; %bb.2385:
	s_cmp_gt_i32 s22, 6
	s_cbranch_scc0 .LBB142_2388
; %bb.2386:
	global_load_dwordx2 v[6:7], v[0:1], off
	s_movk_i32 s0, 0x7fff
	s_waitcnt vmcnt(0)
	v_cvt_f32_f64_e32 v6, v[6:7]
	v_mov_b32_e32 v7, 0x7fc0
	v_bfe_u32 v8, v6, 16, 1
	v_cmp_o_f32_e32 vcc, v6, v6
	v_add3_u32 v6, v6, v8, s0
	v_cndmask_b32_sdwa v6, v7, v6, vcc dst_sel:DWORD dst_unused:UNUSED_PAD src0_sel:DWORD src1_sel:WORD_1
	s_mov_b64 s[0:1], 0
	s_branch .LBB142_2389
.LBB142_2387:
	s_mov_b64 s[0:1], -1
                                        ; implicit-def: $vgpr6
	s_branch .LBB142_2392
.LBB142_2388:
	s_mov_b64 s[0:1], -1
                                        ; implicit-def: $vgpr6
.LBB142_2389:
	s_andn2_b64 vcc, exec, s[0:1]
	s_cbranch_vccnz .LBB142_2391
; %bb.2390:
	global_load_dword v6, v[0:1], off
	s_movk_i32 s0, 0x7fff
	v_mov_b32_e32 v7, 0x7fc0
	s_waitcnt vmcnt(0)
	v_bfe_u32 v8, v6, 16, 1
	v_cmp_o_f32_e32 vcc, v6, v6
	v_add3_u32 v6, v6, v8, s0
	v_cndmask_b32_sdwa v6, v7, v6, vcc dst_sel:DWORD dst_unused:UNUSED_PAD src0_sel:DWORD src1_sel:WORD_1
.LBB142_2391:
	s_mov_b64 s[0:1], 0
.LBB142_2392:
	s_andn2_b64 vcc, exec, s[0:1]
	s_cbranch_vccnz .LBB142_2394
; %bb.2393:
	global_load_ushort v6, v[0:1], off
	s_movk_i32 s0, 0x7fff
	v_mov_b32_e32 v8, 0x7fc0
	s_waitcnt vmcnt(0)
	v_cvt_f32_f16_e32 v7, v6
	v_cmp_o_f16_e32 vcc, v6, v6
	v_bfe_u32 v6, v7, 16, 1
	v_add3_u32 v6, v7, v6, s0
	v_cndmask_b32_sdwa v6, v8, v6, vcc dst_sel:DWORD dst_unused:UNUSED_PAD src0_sel:DWORD src1_sel:WORD_1
.LBB142_2394:
	s_mov_b64 s[0:1], 0
.LBB142_2395:
	s_andn2_b64 vcc, exec, s[0:1]
	s_cbranch_vccnz .LBB142_2415
; %bb.2396:
	s_cmp_lt_i32 s22, 2
	s_cbranch_scc1 .LBB142_2400
; %bb.2397:
	s_cmp_lt_i32 s22, 3
	s_cbranch_scc1 .LBB142_2401
; %bb.2398:
	s_cmp_gt_i32 s22, 3
	s_cbranch_scc0 .LBB142_2402
; %bb.2399:
	global_load_dwordx2 v[6:7], v[0:1], off
	s_movk_i32 s0, 0x7fff
	s_waitcnt vmcnt(0)
	v_xor_b32_e32 v9, v6, v7
	v_ffbh_i32_e32 v8, v7
	v_ashrrev_i32_e32 v9, 31, v9
	v_add_u32_e32 v8, -1, v8
	v_add_u32_e32 v9, 32, v9
	v_min_u32_e32 v8, v8, v9
	v_lshlrev_b64 v[6:7], v8, v[6:7]
	v_min_u32_e32 v6, 1, v6
	v_or_b32_e32 v6, v7, v6
	v_cvt_f32_i32_e32 v6, v6
	v_sub_u32_e32 v7, 32, v8
	v_ldexp_f32 v6, v6, v7
	v_bfe_u32 v7, v6, 16, 1
	v_add3_u32 v6, v6, v7, s0
	v_lshrrev_b32_e32 v6, 16, v6
	s_mov_b64 s[0:1], 0
	s_branch .LBB142_2403
.LBB142_2400:
	s_mov_b64 s[0:1], -1
                                        ; implicit-def: $vgpr6
	s_branch .LBB142_2409
.LBB142_2401:
	s_mov_b64 s[0:1], -1
                                        ; implicit-def: $vgpr6
	s_branch .LBB142_2406
.LBB142_2402:
	s_mov_b64 s[0:1], -1
                                        ; implicit-def: $vgpr6
.LBB142_2403:
	s_andn2_b64 vcc, exec, s[0:1]
	s_cbranch_vccnz .LBB142_2405
; %bb.2404:
	global_load_dword v6, v[0:1], off
	s_movk_i32 s0, 0x7fff
	s_waitcnt vmcnt(0)
	v_cvt_f32_i32_e32 v6, v6
	v_bfe_u32 v7, v6, 16, 1
	v_add3_u32 v6, v6, v7, s0
	v_lshrrev_b32_e32 v6, 16, v6
.LBB142_2405:
	s_mov_b64 s[0:1], 0
.LBB142_2406:
	s_andn2_b64 vcc, exec, s[0:1]
	s_cbranch_vccnz .LBB142_2408
; %bb.2407:
	global_load_sshort v6, v[0:1], off
	s_movk_i32 s0, 0x7fff
	s_waitcnt vmcnt(0)
	v_cvt_f32_i32_e32 v6, v6
	v_bfe_u32 v7, v6, 16, 1
	v_add3_u32 v6, v6, v7, s0
	v_lshrrev_b32_e32 v6, 16, v6
.LBB142_2408:
	s_mov_b64 s[0:1], 0
.LBB142_2409:
	s_andn2_b64 vcc, exec, s[0:1]
	s_cbranch_vccnz .LBB142_2415
; %bb.2410:
	s_cmp_gt_i32 s22, 0
	s_cbranch_scc0 .LBB142_2412
; %bb.2411:
	global_load_sbyte v6, v[0:1], off
	s_movk_i32 s0, 0x7fff
	s_waitcnt vmcnt(0)
	v_cvt_f32_i32_e32 v6, v6
	v_bfe_u32 v7, v6, 16, 1
	v_add3_u32 v6, v6, v7, s0
	v_lshrrev_b32_e32 v6, 16, v6
	s_mov_b64 s[0:1], 0
	s_branch .LBB142_2413
.LBB142_2412:
	s_mov_b64 s[0:1], -1
                                        ; implicit-def: $vgpr6
.LBB142_2413:
	s_andn2_b64 vcc, exec, s[0:1]
	s_cbranch_vccnz .LBB142_2415
; %bb.2414:
	global_load_ubyte v0, v[0:1], off
	s_movk_i32 s0, 0x7fff
	s_waitcnt vmcnt(0)
	v_cvt_f32_ubyte0_e32 v0, v0
	v_bfe_u32 v1, v0, 16, 1
	v_add3_u32 v0, v0, v1, s0
	v_lshrrev_b32_e32 v6, 16, v0
.LBB142_2415:
	s_mov_b64 s[24:25], -1
.LBB142_2416:
	s_andn2_b64 vcc, exec, s[24:25]
	s_cbranch_vccnz .LBB142_2698
; %bb.2417:
	s_waitcnt vmcnt(0)
	v_lshlrev_b32_e32 v0, 16, v5
	v_lshlrev_b32_e32 v1, 16, v6
	s_cmp_lt_i32 s15, 1
	s_mov_b64 s[0:1], 0
	s_cbranch_scc1 .LBB142_2421
; %bb.2418:
	s_cmp_gt_i32 s15, 1
	s_cbranch_scc0 .LBB142_2422
; %bb.2419:
	s_cmp_eq_u32 s15, 2
	s_cbranch_scc0 .LBB142_2423
; %bb.2420:
	v_cmp_le_f32_e64 s[22:23], v0, v1
	s_mov_b64 s[24:25], 0
	s_branch .LBB142_2424
.LBB142_2421:
	s_mov_b64 s[26:27], -1
                                        ; implicit-def: $sgpr22_sgpr23
	s_mov_b64 s[24:25], 0
	s_branch .LBB142_2428
.LBB142_2422:
	s_mov_b64 s[26:27], -1
	s_mov_b64 s[24:25], 0
                                        ; implicit-def: $sgpr22_sgpr23
	s_branch .LBB142_2425
.LBB142_2423:
	s_mov_b64 s[24:25], -1
                                        ; implicit-def: $sgpr22_sgpr23
.LBB142_2424:
	s_mov_b64 s[26:27], 0
.LBB142_2425:
	s_and_b64 vcc, exec, s[26:27]
	s_cbranch_vccz .LBB142_2427
; %bb.2426:
	v_cmp_gt_f32_e32 vcc, v0, v1
	s_andn2_b64 s[22:23], s[22:23], exec
	s_and_b64 s[26:27], vcc, exec
	s_or_b64 s[22:23], s[22:23], s[26:27]
.LBB142_2427:
	s_mov_b64 s[26:27], 0
.LBB142_2428:
	s_and_b64 vcc, exec, s[26:27]
	s_cbranch_vccz .LBB142_2439
; %bb.2429:
	s_cmp_lg_u32 s15, 0
	s_mov_b64 s[0:1], -1
	s_cselect_b64 s[24:25], -1, 0
	s_andn2_b64 vcc, exec, s[24:25]
	s_cbranch_vccz .LBB142_2440
.LBB142_2430:
	s_andn2_b64 vcc, exec, s[0:1]
	s_cbranch_vccnz .LBB142_2432
.LBB142_2431:
	v_cmp_ge_f32_e32 vcc, v0, v1
	s_andn2_b64 s[0:1], s[22:23], exec
	s_and_b64 s[22:23], vcc, exec
	s_or_b64 s[22:23], s[0:1], s[22:23]
.LBB142_2432:
	v_add_u32_e32 v0, s13, v3
	v_ashrrev_i32_e32 v1, 31, v0
	v_mov_b32_e32 v3, s11
	v_add_co_u32_e32 v0, vcc, s10, v0
	s_cmp_lt_i32 s30, 11
	v_addc_co_u32_e32 v1, vcc, v3, v1, vcc
	s_cbranch_scc1 .LBB142_2441
; %bb.2433:
	s_and_b32 s13, 0xffff, s30
	s_cmp_gt_i32 s13, 25
	s_mov_b64 s[10:11], 0
	s_cbranch_scc0 .LBB142_2442
; %bb.2434:
	s_cmp_gt_i32 s13, 28
	s_cbranch_scc0 .LBB142_2443
; %bb.2435:
	s_cmp_gt_i32 s13, 43
	;; [unrolled: 3-line block ×3, first 2 shown]
	s_cbranch_scc0 .LBB142_2446
; %bb.2437:
	s_cmp_eq_u32 s13, 46
	s_mov_b64 s[26:27], 0
	s_cbranch_scc0 .LBB142_2447
; %bb.2438:
	global_load_dword v3, v[0:1], off
	s_mov_b64 s[0:1], 0
	s_mov_b64 s[24:25], -1
	s_branch .LBB142_2448
.LBB142_2439:
	s_andn2_b64 vcc, exec, s[24:25]
	s_cbranch_vccnz .LBB142_2430
.LBB142_2440:
	v_cmp_lt_f32_e32 vcc, v0, v1
	s_andn2_b64 s[22:23], s[22:23], exec
	s_and_b64 s[24:25], vcc, exec
	s_or_b64 s[22:23], s[22:23], s[24:25]
	s_cbranch_execz .LBB142_2431
	s_branch .LBB142_2432
.LBB142_2441:
	s_mov_b64 s[0:1], -1
	s_mov_b64 s[24:25], 0
                                        ; implicit-def: $vgpr3
	s_branch .LBB142_2514
.LBB142_2442:
	s_mov_b64 s[26:27], -1
	s_mov_b64 s[24:25], 0
	s_mov_b64 s[0:1], 0
                                        ; implicit-def: $vgpr3
	s_branch .LBB142_2477
.LBB142_2443:
	s_mov_b64 s[26:27], -1
	s_mov_b64 s[24:25], 0
	s_mov_b64 s[0:1], 0
                                        ; implicit-def: $vgpr3
	s_branch .LBB142_2458
.LBB142_2444:
	s_mov_b64 s[26:27], -1
	s_mov_b64 s[24:25], 0
	s_mov_b64 s[0:1], 0
                                        ; implicit-def: $vgpr3
	s_branch .LBB142_2453
.LBB142_2445:
	s_trap 2
	s_or_b64 s[18:19], s[18:19], exec
	s_cbranch_execz .LBB142_2365
	s_branch .LBB142_2366
.LBB142_2446:
	s_mov_b64 s[26:27], -1
	s_mov_b64 s[24:25], 0
	s_mov_b64 s[0:1], 0
                                        ; implicit-def: $vgpr3
	s_branch .LBB142_2448
.LBB142_2447:
	s_mov_b64 s[0:1], -1
                                        ; implicit-def: $vgpr3
	s_mov_b64 s[24:25], 0
.LBB142_2448:
	s_and_b64 vcc, exec, s[26:27]
	s_cbranch_vccz .LBB142_2452
; %bb.2449:
	s_cmp_eq_u32 s13, 44
	s_cbranch_scc0 .LBB142_2451
; %bb.2450:
	global_load_ubyte v3, v[0:1], off
	s_movk_i32 s24, 0xff
	v_mov_b32_e32 v5, 0x7f800001
	v_mov_b32_e32 v6, 0x400000
	;; [unrolled: 1-line block ×3, first 2 shown]
	s_mov_b64 s[0:1], 0
	s_waitcnt vmcnt(0)
	v_lshlrev_b32_e32 v8, 23, v3
	v_cmp_ne_u32_e32 vcc, s24, v3
	v_cndmask_b32_e32 v5, v5, v8, vcc
	v_cmp_ne_u32_e32 vcc, 0, v3
	v_cndmask_b32_e32 v3, v6, v5, vcc
	v_add_u32_e32 v5, 0x7fff, v3
	v_cmp_o_f32_e32 vcc, v3, v3
	v_cndmask_b32_sdwa v3, v7, v5, vcc dst_sel:DWORD dst_unused:UNUSED_PAD src0_sel:DWORD src1_sel:WORD_1
	s_mov_b64 s[24:25], -1
	s_branch .LBB142_2452
.LBB142_2451:
	s_mov_b64 s[0:1], -1
                                        ; implicit-def: $vgpr3
.LBB142_2452:
	s_mov_b64 s[26:27], 0
.LBB142_2453:
	s_and_b64 vcc, exec, s[26:27]
	s_cbranch_vccz .LBB142_2457
; %bb.2454:
	s_cmp_eq_u32 s13, 29
	s_cbranch_scc0 .LBB142_2456
; %bb.2455:
	global_load_dwordx2 v[5:6], v[0:1], off
	s_movk_i32 s24, 0x7fff
	s_mov_b64 s[0:1], 0
	s_mov_b64 s[26:27], 0
	s_waitcnt vmcnt(0)
	v_ffbh_u32_e32 v3, v6
	v_min_u32_e32 v3, 32, v3
	v_lshlrev_b64 v[5:6], v3, v[5:6]
	v_sub_u32_e32 v3, 32, v3
	v_min_u32_e32 v5, 1, v5
	v_or_b32_e32 v5, v6, v5
	v_cvt_f32_u32_e32 v5, v5
	v_ldexp_f32 v3, v5, v3
	v_bfe_u32 v5, v3, 16, 1
	v_add3_u32 v3, v3, v5, s24
	v_lshrrev_b32_e32 v3, 16, v3
	s_mov_b64 s[24:25], -1
	s_branch .LBB142_2458
.LBB142_2456:
	s_mov_b64 s[0:1], -1
                                        ; implicit-def: $vgpr3
.LBB142_2457:
	s_mov_b64 s[26:27], 0
.LBB142_2458:
	s_and_b64 vcc, exec, s[26:27]
	s_cbranch_vccz .LBB142_2476
; %bb.2459:
	s_cmp_lt_i32 s13, 27
	s_cbranch_scc1 .LBB142_2462
; %bb.2460:
	s_cmp_gt_i32 s13, 27
	s_cbranch_scc0 .LBB142_2463
; %bb.2461:
	global_load_dword v3, v[0:1], off
	s_movk_i32 s24, 0x7fff
	s_waitcnt vmcnt(0)
	v_cvt_f32_u32_e32 v3, v3
	v_bfe_u32 v5, v3, 16, 1
	v_add3_u32 v3, v3, v5, s24
	v_lshrrev_b32_e32 v3, 16, v3
	s_mov_b64 s[24:25], 0
	s_branch .LBB142_2464
.LBB142_2462:
	s_mov_b64 s[24:25], -1
                                        ; implicit-def: $vgpr3
	s_branch .LBB142_2467
.LBB142_2463:
	s_mov_b64 s[24:25], -1
                                        ; implicit-def: $vgpr3
.LBB142_2464:
	s_andn2_b64 vcc, exec, s[24:25]
	s_cbranch_vccnz .LBB142_2466
; %bb.2465:
	global_load_ushort v3, v[0:1], off
	s_movk_i32 s24, 0x7fff
	s_waitcnt vmcnt(0)
	v_cvt_f32_u32_e32 v3, v3
	v_bfe_u32 v5, v3, 16, 1
	v_add3_u32 v3, v3, v5, s24
	v_lshrrev_b32_e32 v3, 16, v3
.LBB142_2466:
	s_mov_b64 s[24:25], 0
.LBB142_2467:
	s_andn2_b64 vcc, exec, s[24:25]
	s_cbranch_vccnz .LBB142_2475
; %bb.2468:
	global_load_ubyte v3, v[0:1], off
	s_movk_i32 s24, 0x7f
	s_waitcnt vmcnt(0)
	v_cmp_lt_i16_e32 vcc, s24, v3
	s_mov_b64 s[24:25], 0
	s_and_saveexec_b64 s[26:27], vcc
	s_xor_b64 s[26:27], exec, s[26:27]
	s_cbranch_execz .LBB142_2489
; %bb.2469:
	s_movk_i32 s24, 0x80
	v_cmp_eq_u16_e32 vcc, s24, v3
	s_mov_b64 s[24:25], -1
	s_and_saveexec_b64 s[28:29], vcc
; %bb.2470:
	s_xor_b64 s[24:25], exec, -1
; %bb.2471:
	s_or_b64 exec, exec, s[28:29]
	s_and_b64 s[24:25], s[24:25], exec
	s_or_saveexec_b64 s[26:27], s[26:27]
	v_mov_b32_e32 v5, 0x7f800001
	s_xor_b64 exec, exec, s[26:27]
	s_cbranch_execnz .LBB142_2490
.LBB142_2472:
	s_or_b64 exec, exec, s[26:27]
	s_and_saveexec_b64 s[26:27], s[24:25]
	s_cbranch_execz .LBB142_2474
.LBB142_2473:
	v_lshlrev_b32_e32 v5, 24, v3
	v_and_b32_e32 v3, 0xffff, v3
	v_and_b32_e32 v6, 7, v3
	v_ffbh_u32_e32 v8, v6
	v_min_u32_e32 v8, 32, v8
	v_subrev_u32_e32 v9, 28, v8
	v_bfe_u32 v7, v3, 3, 4
	v_lshlrev_b32_e32 v3, v9, v3
	v_sub_u32_e32 v8, 29, v8
	v_and_b32_e32 v3, 7, v3
	v_cmp_eq_u32_e32 vcc, 0, v7
	v_cndmask_b32_e32 v7, v7, v8, vcc
	v_cndmask_b32_e32 v3, v6, v3, vcc
	v_mov_b32_e32 v6, 0x3b800000
	v_lshlrev_b32_e32 v3, 20, v3
	v_and_b32_e32 v5, 0x80000000, v5
	v_lshl_add_u32 v6, v7, 23, v6
	v_or3_b32 v5, v5, v6, v3
.LBB142_2474:
	s_or_b64 exec, exec, s[26:27]
	v_bfe_u32 v3, v5, 16, 1
	s_movk_i32 s24, 0x7fff
	v_add3_u32 v3, v5, v3, s24
	v_cmp_o_f32_e32 vcc, v5, v5
	v_mov_b32_e32 v5, 0x7fc0
	v_cndmask_b32_sdwa v3, v5, v3, vcc dst_sel:DWORD dst_unused:UNUSED_PAD src0_sel:DWORD src1_sel:WORD_1
.LBB142_2475:
	s_mov_b64 s[24:25], -1
.LBB142_2476:
	s_mov_b64 s[26:27], 0
.LBB142_2477:
	s_and_b64 vcc, exec, s[26:27]
	s_cbranch_vccz .LBB142_2510
; %bb.2478:
	s_cmp_gt_i32 s13, 22
	s_cbranch_scc0 .LBB142_2488
; %bb.2479:
	s_cmp_lt_i32 s13, 24
	s_cbranch_scc1 .LBB142_2491
; %bb.2480:
	s_cmp_gt_i32 s13, 24
	s_cbranch_scc0 .LBB142_2492
; %bb.2481:
	global_load_ubyte v3, v[0:1], off
	s_movk_i32 s10, 0x7f
	s_waitcnt vmcnt(0)
	v_cmp_lt_i16_e32 vcc, s10, v3
	s_mov_b64 s[10:11], 0
	s_and_saveexec_b64 s[24:25], vcc
	s_xor_b64 s[24:25], exec, s[24:25]
	s_cbranch_execz .LBB142_2504
; %bb.2482:
	s_movk_i32 s10, 0x80
	v_cmp_eq_u16_e32 vcc, s10, v3
	s_mov_b64 s[10:11], -1
	s_and_saveexec_b64 s[26:27], vcc
; %bb.2483:
	s_xor_b64 s[10:11], exec, -1
; %bb.2484:
	s_or_b64 exec, exec, s[26:27]
	s_and_b64 s[10:11], s[10:11], exec
	s_or_saveexec_b64 s[24:25], s[24:25]
	v_mov_b32_e32 v5, 0x7f800001
	s_xor_b64 exec, exec, s[24:25]
	s_cbranch_execnz .LBB142_2505
.LBB142_2485:
	s_or_b64 exec, exec, s[24:25]
	s_and_saveexec_b64 s[24:25], s[10:11]
	s_cbranch_execz .LBB142_2487
.LBB142_2486:
	v_lshlrev_b32_e32 v5, 24, v3
	v_and_b32_e32 v3, 0xffff, v3
	v_and_b32_e32 v6, 3, v3
	v_ffbh_u32_e32 v8, v6
	v_min_u32_e32 v8, 32, v8
	v_subrev_u32_e32 v9, 29, v8
	v_bfe_u32 v7, v3, 2, 5
	v_lshlrev_b32_e32 v3, v9, v3
	v_sub_u32_e32 v8, 30, v8
	v_and_b32_e32 v3, 3, v3
	v_cmp_eq_u32_e32 vcc, 0, v7
	v_cndmask_b32_e32 v7, v7, v8, vcc
	v_cndmask_b32_e32 v3, v6, v3, vcc
	v_mov_b32_e32 v6, 0x37800000
	v_lshlrev_b32_e32 v3, 21, v3
	v_and_b32_e32 v5, 0x80000000, v5
	v_lshl_add_u32 v6, v7, 23, v6
	v_or3_b32 v5, v5, v6, v3
.LBB142_2487:
	s_or_b64 exec, exec, s[24:25]
	v_bfe_u32 v3, v5, 16, 1
	s_movk_i32 s10, 0x7fff
	v_add3_u32 v3, v5, v3, s10
	v_cmp_o_f32_e32 vcc, v5, v5
	v_mov_b32_e32 v5, 0x7fc0
	v_cndmask_b32_sdwa v3, v5, v3, vcc dst_sel:DWORD dst_unused:UNUSED_PAD src0_sel:DWORD src1_sel:WORD_1
	s_mov_b64 s[10:11], 0
	s_branch .LBB142_2493
.LBB142_2488:
	s_mov_b64 s[10:11], -1
                                        ; implicit-def: $vgpr3
	s_branch .LBB142_2499
.LBB142_2489:
	s_or_saveexec_b64 s[26:27], s[26:27]
	v_mov_b32_e32 v5, 0x7f800001
	s_xor_b64 exec, exec, s[26:27]
	s_cbranch_execz .LBB142_2472
.LBB142_2490:
	v_cmp_ne_u16_e32 vcc, 0, v3
	s_andn2_b64 s[24:25], s[24:25], exec
	s_and_b64 s[28:29], vcc, exec
	v_mov_b32_e32 v5, 0
	s_or_b64 s[24:25], s[24:25], s[28:29]
	s_or_b64 exec, exec, s[26:27]
	s_and_saveexec_b64 s[26:27], s[24:25]
	s_cbranch_execnz .LBB142_2473
	s_branch .LBB142_2474
.LBB142_2491:
	s_mov_b64 s[10:11], -1
                                        ; implicit-def: $vgpr3
	s_branch .LBB142_2496
.LBB142_2492:
	s_mov_b64 s[10:11], -1
                                        ; implicit-def: $vgpr3
.LBB142_2493:
	s_and_b64 vcc, exec, s[10:11]
	s_cbranch_vccz .LBB142_2495
; %bb.2494:
	global_load_ubyte v3, v[0:1], off
	s_mov_b32 s10, 0x7f800000
	s_brev_b32 s11, 1
	s_movk_i32 s24, 0x7fff
	s_waitcnt vmcnt(0)
	v_lshlrev_b32_e32 v3, 24, v3
	v_and_b32_e32 v5, 0x7f000000, v3
	v_ffbh_u32_e32 v6, v5
	v_min_u32_e32 v6, 32, v6
	v_sub_u32_e64 v6, v6, 4 clamp
	v_lshlrev_b32_e32 v8, v6, v5
	v_lshlrev_b32_e32 v6, 23, v6
	v_lshrrev_b32_e32 v8, 4, v8
	v_add_u32_e32 v7, 0x1000000, v5
	v_sub_u32_e32 v6, v8, v6
	v_ashrrev_i32_e32 v7, 8, v7
	v_add_u32_e32 v6, 0x3c000000, v6
	v_and_or_b32 v6, v7, s10, v6
	v_cmp_ne_u32_e32 vcc, 0, v5
	v_cndmask_b32_e32 v5, 0, v6, vcc
	v_and_or_b32 v3, v3, s11, v5
	v_bfe_u32 v5, v5, 16, 1
	v_add3_u32 v5, v3, v5, s24
	v_cmp_o_f32_e32 vcc, v3, v3
	v_mov_b32_e32 v3, 0x7fc0
	v_cndmask_b32_sdwa v3, v3, v5, vcc dst_sel:DWORD dst_unused:UNUSED_PAD src0_sel:DWORD src1_sel:WORD_1
.LBB142_2495:
	s_mov_b64 s[10:11], 0
.LBB142_2496:
	s_andn2_b64 vcc, exec, s[10:11]
	s_cbranch_vccnz .LBB142_2498
; %bb.2497:
	global_load_ubyte v3, v[0:1], off
	s_movk_i32 s10, 0x7f00
	s_brev_b32 s11, 16
	s_brev_b32 s24, 1
	s_movk_i32 s25, 0x7fff
	s_waitcnt vmcnt(0)
	v_lshlrev_b16_e32 v5, 8, v3
	v_lshlrev_b32_e32 v3, 25, v3
	v_lshrrev_b32_e32 v6, 4, v3
	v_and_or_b32 v7, v5, s10, 0.5
	v_or_b32_e32 v6, 0x70000000, v6
	v_add_f32_e32 v7, -0.5, v7
	v_mul_f32_e32 v6, 0x7800000, v6
	v_cmp_gt_u32_e32 vcc, s11, v3
	v_bfe_i32 v5, v5, 0, 16
	v_cndmask_b32_e32 v3, v6, v7, vcc
	v_and_or_b32 v5, v5, s24, v3
	v_bfe_u32 v3, v3, 16, 1
	v_add3_u32 v3, v5, v3, s25
	v_cmp_o_f32_e32 vcc, v5, v5
	v_mov_b32_e32 v5, 0x7fc0
	v_cndmask_b32_sdwa v3, v5, v3, vcc dst_sel:DWORD dst_unused:UNUSED_PAD src0_sel:DWORD src1_sel:WORD_1
.LBB142_2498:
	s_mov_b64 s[10:11], 0
	s_mov_b64 s[24:25], -1
.LBB142_2499:
	s_andn2_b64 vcc, exec, s[10:11]
	s_mov_b64 s[10:11], 0
	s_cbranch_vccnz .LBB142_2510
; %bb.2500:
	s_cmp_gt_i32 s13, 14
	s_cbranch_scc0 .LBB142_2503
; %bb.2501:
	s_cmp_eq_u32 s13, 15
	s_cbranch_scc0 .LBB142_2506
; %bb.2502:
	global_load_ushort v3, v[0:1], off
	s_mov_b64 s[0:1], 0
	s_mov_b64 s[24:25], -1
	s_branch .LBB142_2507
.LBB142_2503:
	s_mov_b64 s[26:27], -1
                                        ; implicit-def: $vgpr3
	s_branch .LBB142_2508
.LBB142_2504:
	s_or_saveexec_b64 s[24:25], s[24:25]
	v_mov_b32_e32 v5, 0x7f800001
	s_xor_b64 exec, exec, s[24:25]
	s_cbranch_execz .LBB142_2485
.LBB142_2505:
	v_cmp_ne_u16_e32 vcc, 0, v3
	s_andn2_b64 s[10:11], s[10:11], exec
	s_and_b64 s[26:27], vcc, exec
	v_mov_b32_e32 v5, 0
	s_or_b64 s[10:11], s[10:11], s[26:27]
	s_or_b64 exec, exec, s[24:25]
	s_and_saveexec_b64 s[24:25], s[10:11]
	s_cbranch_execnz .LBB142_2486
	s_branch .LBB142_2487
.LBB142_2506:
	s_mov_b64 s[0:1], -1
                                        ; implicit-def: $vgpr3
.LBB142_2507:
	s_mov_b64 s[26:27], 0
.LBB142_2508:
	s_and_b64 vcc, exec, s[26:27]
	s_cbranch_vccz .LBB142_2510
; %bb.2509:
	s_cmp_lg_u32 s13, 11
	s_mov_b64 s[10:11], -1
	s_cselect_b64 s[0:1], -1, 0
.LBB142_2510:
	s_and_b64 vcc, exec, s[0:1]
	s_cbranch_vccnz .LBB142_2575
; %bb.2511:
	s_andn2_b64 vcc, exec, s[10:11]
	s_cbranch_vccnz .LBB142_2513
.LBB142_2512:
	global_load_ubyte v3, v[0:1], off
	s_mov_b64 s[24:25], -1
	s_waitcnt vmcnt(0)
	v_cmp_ne_u16_e32 vcc, 0, v3
	v_cndmask_b32_e64 v3, 0, 1.0, vcc
	v_lshrrev_b32_e32 v3, 16, v3
.LBB142_2513:
	s_mov_b64 s[0:1], 0
.LBB142_2514:
	s_and_b64 vcc, exec, s[0:1]
	s_cbranch_vccz .LBB142_2563
; %bb.2515:
	s_and_b32 s10, 0xffff, s30
	s_cmp_lt_i32 s10, 5
	s_cbranch_scc1 .LBB142_2520
; %bb.2516:
	s_cmp_lt_i32 s10, 8
	s_cbranch_scc1 .LBB142_2521
; %bb.2517:
	;; [unrolled: 3-line block ×3, first 2 shown]
	s_cmp_gt_i32 s10, 9
	s_cbranch_scc0 .LBB142_2523
; %bb.2519:
	global_load_dwordx2 v[5:6], v[0:1], off
	s_movk_i32 s0, 0x7fff
	s_waitcnt vmcnt(0)
	v_cvt_f32_f64_e32 v3, v[5:6]
	v_mov_b32_e32 v5, 0x7fc0
	v_bfe_u32 v6, v3, 16, 1
	v_cmp_o_f32_e32 vcc, v3, v3
	v_add3_u32 v3, v3, v6, s0
	v_cndmask_b32_sdwa v3, v5, v3, vcc dst_sel:DWORD dst_unused:UNUSED_PAD src0_sel:DWORD src1_sel:WORD_1
	s_mov_b64 s[0:1], 0
	s_branch .LBB142_2524
.LBB142_2520:
	s_mov_b64 s[0:1], -1
                                        ; implicit-def: $vgpr3
	s_branch .LBB142_2542
.LBB142_2521:
	s_mov_b64 s[0:1], -1
                                        ; implicit-def: $vgpr3
	s_branch .LBB142_2530
.LBB142_2522:
	s_mov_b64 s[0:1], -1
                                        ; implicit-def: $vgpr3
	s_branch .LBB142_2527
.LBB142_2523:
	s_mov_b64 s[0:1], -1
                                        ; implicit-def: $vgpr3
.LBB142_2524:
	s_andn2_b64 vcc, exec, s[0:1]
	s_cbranch_vccnz .LBB142_2526
; %bb.2525:
	global_load_dword v3, v[0:1], off
	s_movk_i32 s0, 0x7fff
	v_mov_b32_e32 v5, 0x7fc0
	s_waitcnt vmcnt(0)
	v_bfe_u32 v6, v3, 16, 1
	v_cmp_o_f32_e32 vcc, v3, v3
	v_add3_u32 v3, v3, v6, s0
	v_cndmask_b32_sdwa v3, v5, v3, vcc dst_sel:DWORD dst_unused:UNUSED_PAD src0_sel:DWORD src1_sel:WORD_1
.LBB142_2526:
	s_mov_b64 s[0:1], 0
.LBB142_2527:
	s_andn2_b64 vcc, exec, s[0:1]
	s_cbranch_vccnz .LBB142_2529
; %bb.2528:
	global_load_dword v3, v[0:1], off
	s_movk_i32 s0, 0x7fff
	v_mov_b32_e32 v6, 0x7fc0
	s_waitcnt vmcnt(0)
	v_cvt_f32_f16_e32 v5, v3
	v_cmp_o_f16_e32 vcc, v3, v3
	v_bfe_u32 v3, v5, 16, 1
	v_add3_u32 v3, v5, v3, s0
	v_cndmask_b32_sdwa v3, v6, v3, vcc dst_sel:DWORD dst_unused:UNUSED_PAD src0_sel:DWORD src1_sel:WORD_1
.LBB142_2529:
	s_mov_b64 s[0:1], 0
.LBB142_2530:
	s_andn2_b64 vcc, exec, s[0:1]
	s_cbranch_vccnz .LBB142_2541
; %bb.2531:
	s_cmp_lt_i32 s10, 6
	s_cbranch_scc1 .LBB142_2534
; %bb.2532:
	s_cmp_gt_i32 s10, 6
	s_cbranch_scc0 .LBB142_2535
; %bb.2533:
	global_load_dwordx2 v[5:6], v[0:1], off
	s_movk_i32 s0, 0x7fff
	s_waitcnt vmcnt(0)
	v_cvt_f32_f64_e32 v3, v[5:6]
	v_mov_b32_e32 v5, 0x7fc0
	v_bfe_u32 v6, v3, 16, 1
	v_cmp_o_f32_e32 vcc, v3, v3
	v_add3_u32 v3, v3, v6, s0
	v_cndmask_b32_sdwa v3, v5, v3, vcc dst_sel:DWORD dst_unused:UNUSED_PAD src0_sel:DWORD src1_sel:WORD_1
	s_mov_b64 s[0:1], 0
	s_branch .LBB142_2536
.LBB142_2534:
	s_mov_b64 s[0:1], -1
                                        ; implicit-def: $vgpr3
	s_branch .LBB142_2539
.LBB142_2535:
	s_mov_b64 s[0:1], -1
                                        ; implicit-def: $vgpr3
.LBB142_2536:
	s_andn2_b64 vcc, exec, s[0:1]
	s_cbranch_vccnz .LBB142_2538
; %bb.2537:
	global_load_dword v3, v[0:1], off
	s_movk_i32 s0, 0x7fff
	v_mov_b32_e32 v5, 0x7fc0
	s_waitcnt vmcnt(0)
	v_bfe_u32 v6, v3, 16, 1
	v_cmp_o_f32_e32 vcc, v3, v3
	v_add3_u32 v3, v3, v6, s0
	v_cndmask_b32_sdwa v3, v5, v3, vcc dst_sel:DWORD dst_unused:UNUSED_PAD src0_sel:DWORD src1_sel:WORD_1
.LBB142_2538:
	s_mov_b64 s[0:1], 0
.LBB142_2539:
	s_andn2_b64 vcc, exec, s[0:1]
	s_cbranch_vccnz .LBB142_2541
; %bb.2540:
	global_load_ushort v3, v[0:1], off
	s_movk_i32 s0, 0x7fff
	v_mov_b32_e32 v6, 0x7fc0
	s_waitcnt vmcnt(0)
	v_cvt_f32_f16_e32 v5, v3
	v_cmp_o_f16_e32 vcc, v3, v3
	v_bfe_u32 v3, v5, 16, 1
	v_add3_u32 v3, v5, v3, s0
	v_cndmask_b32_sdwa v3, v6, v3, vcc dst_sel:DWORD dst_unused:UNUSED_PAD src0_sel:DWORD src1_sel:WORD_1
.LBB142_2541:
	s_mov_b64 s[0:1], 0
.LBB142_2542:
	s_andn2_b64 vcc, exec, s[0:1]
	s_cbranch_vccnz .LBB142_2562
; %bb.2543:
	s_cmp_lt_i32 s10, 2
	s_cbranch_scc1 .LBB142_2547
; %bb.2544:
	s_cmp_lt_i32 s10, 3
	s_cbranch_scc1 .LBB142_2548
; %bb.2545:
	s_cmp_gt_i32 s10, 3
	s_cbranch_scc0 .LBB142_2549
; %bb.2546:
	global_load_dwordx2 v[5:6], v[0:1], off
	s_movk_i32 s0, 0x7fff
	s_waitcnt vmcnt(0)
	v_xor_b32_e32 v7, v5, v6
	v_ffbh_i32_e32 v3, v6
	v_ashrrev_i32_e32 v7, 31, v7
	v_add_u32_e32 v3, -1, v3
	v_add_u32_e32 v7, 32, v7
	v_min_u32_e32 v3, v3, v7
	v_lshlrev_b64 v[5:6], v3, v[5:6]
	v_sub_u32_e32 v3, 32, v3
	v_min_u32_e32 v5, 1, v5
	v_or_b32_e32 v5, v6, v5
	v_cvt_f32_i32_e32 v5, v5
	v_ldexp_f32 v3, v5, v3
	v_bfe_u32 v5, v3, 16, 1
	v_add3_u32 v3, v3, v5, s0
	v_lshrrev_b32_e32 v3, 16, v3
	s_mov_b64 s[0:1], 0
	s_branch .LBB142_2550
.LBB142_2547:
	s_mov_b64 s[0:1], -1
                                        ; implicit-def: $vgpr3
	s_branch .LBB142_2556
.LBB142_2548:
	s_mov_b64 s[0:1], -1
                                        ; implicit-def: $vgpr3
	s_branch .LBB142_2553
.LBB142_2549:
	s_mov_b64 s[0:1], -1
                                        ; implicit-def: $vgpr3
.LBB142_2550:
	s_andn2_b64 vcc, exec, s[0:1]
	s_cbranch_vccnz .LBB142_2552
; %bb.2551:
	global_load_dword v3, v[0:1], off
	s_movk_i32 s0, 0x7fff
	s_waitcnt vmcnt(0)
	v_cvt_f32_i32_e32 v3, v3
	v_bfe_u32 v5, v3, 16, 1
	v_add3_u32 v3, v3, v5, s0
	v_lshrrev_b32_e32 v3, 16, v3
.LBB142_2552:
	s_mov_b64 s[0:1], 0
.LBB142_2553:
	s_andn2_b64 vcc, exec, s[0:1]
	s_cbranch_vccnz .LBB142_2555
; %bb.2554:
	global_load_sshort v3, v[0:1], off
	s_movk_i32 s0, 0x7fff
	s_waitcnt vmcnt(0)
	v_cvt_f32_i32_e32 v3, v3
	v_bfe_u32 v5, v3, 16, 1
	v_add3_u32 v3, v3, v5, s0
	v_lshrrev_b32_e32 v3, 16, v3
.LBB142_2555:
	s_mov_b64 s[0:1], 0
.LBB142_2556:
	s_andn2_b64 vcc, exec, s[0:1]
	s_cbranch_vccnz .LBB142_2562
; %bb.2557:
	s_cmp_gt_i32 s10, 0
	s_cbranch_scc0 .LBB142_2559
; %bb.2558:
	global_load_sbyte v3, v[0:1], off
	s_movk_i32 s0, 0x7fff
	s_waitcnt vmcnt(0)
	v_cvt_f32_i32_e32 v3, v3
	v_bfe_u32 v5, v3, 16, 1
	v_add3_u32 v3, v3, v5, s0
	v_lshrrev_b32_e32 v3, 16, v3
	s_mov_b64 s[0:1], 0
	s_branch .LBB142_2560
.LBB142_2559:
	s_mov_b64 s[0:1], -1
                                        ; implicit-def: $vgpr3
.LBB142_2560:
	s_andn2_b64 vcc, exec, s[0:1]
	s_cbranch_vccnz .LBB142_2562
; %bb.2561:
	global_load_ubyte v0, v[0:1], off
	s_movk_i32 s0, 0x7fff
	s_waitcnt vmcnt(0)
	v_cvt_f32_ubyte0_e32 v0, v0
	v_bfe_u32 v1, v0, 16, 1
	v_add3_u32 v0, v0, v1, s0
	v_lshrrev_b32_e32 v3, 16, v0
.LBB142_2562:
	s_mov_b64 s[24:25], -1
.LBB142_2563:
	s_andn2_b64 vcc, exec, s[24:25]
	s_cbranch_vccnz .LBB142_2698
; %bb.2564:
	v_add_u32_e32 v0, s14, v4
	v_ashrrev_i32_e32 v1, 31, v0
	v_mov_b32_e32 v4, s3
	v_add_co_u32_e32 v0, vcc, s2, v0
	s_cmp_lt_i32 s31, 11
	v_addc_co_u32_e32 v1, vcc, v4, v1, vcc
	s_cbranch_scc1 .LBB142_2571
; %bb.2565:
	s_and_b32 s13, 0xffff, s31
	s_cmp_gt_i32 s13, 25
	s_mov_b64 s[2:3], 0
	s_cbranch_scc0 .LBB142_2572
; %bb.2566:
	s_cmp_gt_i32 s13, 28
	s_cbranch_scc0 .LBB142_2573
; %bb.2567:
	s_cmp_gt_i32 s13, 43
	s_cbranch_scc0 .LBB142_2574
; %bb.2568:
	s_cmp_gt_i32 s13, 45
	s_cbranch_scc0 .LBB142_2576
; %bb.2569:
	s_cmp_eq_u32 s13, 46
	s_mov_b64 s[24:25], 0
	s_cbranch_scc0 .LBB142_2577
; %bb.2570:
	global_load_dword v4, v[0:1], off
	s_mov_b64 s[0:1], 0
	s_mov_b64 s[10:11], -1
	s_branch .LBB142_2578
.LBB142_2571:
	s_mov_b64 s[0:1], -1
	s_mov_b64 s[10:11], 0
                                        ; implicit-def: $vgpr4
	s_branch .LBB142_2644
.LBB142_2572:
	s_mov_b64 s[24:25], -1
	s_mov_b64 s[10:11], 0
	s_mov_b64 s[0:1], 0
                                        ; implicit-def: $vgpr4
	s_branch .LBB142_2607
.LBB142_2573:
	s_mov_b64 s[24:25], -1
	s_mov_b64 s[10:11], 0
	s_mov_b64 s[0:1], 0
                                        ; implicit-def: $vgpr4
	s_branch .LBB142_2588
.LBB142_2574:
	s_mov_b64 s[24:25], -1
	s_mov_b64 s[10:11], 0
	s_mov_b64 s[0:1], 0
                                        ; implicit-def: $vgpr4
	s_branch .LBB142_2583
.LBB142_2575:
	s_trap 2
	s_or_b64 s[18:19], s[18:19], exec
	s_cbranch_execz .LBB142_2512
	s_branch .LBB142_2513
.LBB142_2576:
	s_mov_b64 s[24:25], -1
	s_mov_b64 s[10:11], 0
	s_mov_b64 s[0:1], 0
                                        ; implicit-def: $vgpr4
	s_branch .LBB142_2578
.LBB142_2577:
	s_mov_b64 s[0:1], -1
                                        ; implicit-def: $vgpr4
	s_mov_b64 s[10:11], 0
.LBB142_2578:
	s_and_b64 vcc, exec, s[24:25]
	s_cbranch_vccz .LBB142_2582
; %bb.2579:
	s_cmp_eq_u32 s13, 44
	s_cbranch_scc0 .LBB142_2581
; %bb.2580:
	global_load_ubyte v4, v[0:1], off
	s_movk_i32 s10, 0xff
	v_mov_b32_e32 v5, 0x7f800001
	v_mov_b32_e32 v6, 0x400000
	;; [unrolled: 1-line block ×3, first 2 shown]
	s_mov_b64 s[0:1], 0
	s_waitcnt vmcnt(0)
	v_lshlrev_b32_e32 v8, 23, v4
	v_cmp_ne_u32_e32 vcc, s10, v4
	v_cndmask_b32_e32 v5, v5, v8, vcc
	v_cmp_ne_u32_e32 vcc, 0, v4
	v_cndmask_b32_e32 v4, v6, v5, vcc
	v_add_u32_e32 v5, 0x7fff, v4
	v_cmp_o_f32_e32 vcc, v4, v4
	v_cndmask_b32_sdwa v4, v7, v5, vcc dst_sel:DWORD dst_unused:UNUSED_PAD src0_sel:DWORD src1_sel:WORD_1
	s_mov_b64 s[10:11], -1
	s_branch .LBB142_2582
.LBB142_2581:
	s_mov_b64 s[0:1], -1
                                        ; implicit-def: $vgpr4
.LBB142_2582:
	s_mov_b64 s[24:25], 0
.LBB142_2583:
	s_and_b64 vcc, exec, s[24:25]
	s_cbranch_vccz .LBB142_2587
; %bb.2584:
	s_cmp_eq_u32 s13, 29
	s_cbranch_scc0 .LBB142_2586
; %bb.2585:
	global_load_dwordx2 v[4:5], v[0:1], off
	s_movk_i32 s10, 0x7fff
	s_mov_b64 s[0:1], 0
	s_mov_b64 s[24:25], 0
	s_waitcnt vmcnt(0)
	v_ffbh_u32_e32 v6, v5
	v_min_u32_e32 v6, 32, v6
	v_lshlrev_b64 v[4:5], v6, v[4:5]
	v_min_u32_e32 v4, 1, v4
	v_or_b32_e32 v4, v5, v4
	v_cvt_f32_u32_e32 v4, v4
	v_sub_u32_e32 v5, 32, v6
	v_ldexp_f32 v4, v4, v5
	v_bfe_u32 v5, v4, 16, 1
	v_add3_u32 v4, v4, v5, s10
	v_lshrrev_b32_e32 v4, 16, v4
	s_mov_b64 s[10:11], -1
	s_branch .LBB142_2588
.LBB142_2586:
	s_mov_b64 s[0:1], -1
                                        ; implicit-def: $vgpr4
.LBB142_2587:
	s_mov_b64 s[24:25], 0
.LBB142_2588:
	s_and_b64 vcc, exec, s[24:25]
	s_cbranch_vccz .LBB142_2606
; %bb.2589:
	s_cmp_lt_i32 s13, 27
	s_cbranch_scc1 .LBB142_2592
; %bb.2590:
	s_cmp_gt_i32 s13, 27
	s_cbranch_scc0 .LBB142_2593
; %bb.2591:
	global_load_dword v4, v[0:1], off
	s_movk_i32 s10, 0x7fff
	s_waitcnt vmcnt(0)
	v_cvt_f32_u32_e32 v4, v4
	v_bfe_u32 v5, v4, 16, 1
	v_add3_u32 v4, v4, v5, s10
	v_lshrrev_b32_e32 v4, 16, v4
	s_mov_b64 s[10:11], 0
	s_branch .LBB142_2594
.LBB142_2592:
	s_mov_b64 s[10:11], -1
                                        ; implicit-def: $vgpr4
	s_branch .LBB142_2597
.LBB142_2593:
	s_mov_b64 s[10:11], -1
                                        ; implicit-def: $vgpr4
.LBB142_2594:
	s_andn2_b64 vcc, exec, s[10:11]
	s_cbranch_vccnz .LBB142_2596
; %bb.2595:
	global_load_ushort v4, v[0:1], off
	s_movk_i32 s10, 0x7fff
	s_waitcnt vmcnt(0)
	v_cvt_f32_u32_e32 v4, v4
	v_bfe_u32 v5, v4, 16, 1
	v_add3_u32 v4, v4, v5, s10
	v_lshrrev_b32_e32 v4, 16, v4
.LBB142_2596:
	s_mov_b64 s[10:11], 0
.LBB142_2597:
	s_andn2_b64 vcc, exec, s[10:11]
	s_cbranch_vccnz .LBB142_2605
; %bb.2598:
	global_load_ubyte v4, v[0:1], off
	s_movk_i32 s10, 0x7f
	s_waitcnt vmcnt(0)
	v_cmp_lt_i16_e32 vcc, s10, v4
	s_mov_b64 s[10:11], 0
	s_and_saveexec_b64 s[24:25], vcc
	s_xor_b64 s[24:25], exec, s[24:25]
	s_cbranch_execz .LBB142_2619
; %bb.2599:
	s_movk_i32 s10, 0x80
	v_cmp_eq_u16_e32 vcc, s10, v4
	s_mov_b64 s[10:11], -1
	s_and_saveexec_b64 s[26:27], vcc
; %bb.2600:
	s_xor_b64 s[10:11], exec, -1
; %bb.2601:
	s_or_b64 exec, exec, s[26:27]
	s_and_b64 s[10:11], s[10:11], exec
	s_or_saveexec_b64 s[24:25], s[24:25]
	v_mov_b32_e32 v5, 0x7f800001
	s_xor_b64 exec, exec, s[24:25]
	s_cbranch_execnz .LBB142_2620
.LBB142_2602:
	s_or_b64 exec, exec, s[24:25]
	s_and_saveexec_b64 s[24:25], s[10:11]
	s_cbranch_execz .LBB142_2604
.LBB142_2603:
	v_lshlrev_b32_e32 v5, 24, v4
	v_and_b32_e32 v4, 0xffff, v4
	v_and_b32_e32 v6, 7, v4
	v_ffbh_u32_e32 v8, v6
	v_min_u32_e32 v8, 32, v8
	v_subrev_u32_e32 v9, 28, v8
	v_bfe_u32 v7, v4, 3, 4
	v_lshlrev_b32_e32 v4, v9, v4
	v_sub_u32_e32 v8, 29, v8
	v_and_b32_e32 v4, 7, v4
	v_cmp_eq_u32_e32 vcc, 0, v7
	v_cndmask_b32_e32 v7, v7, v8, vcc
	v_cndmask_b32_e32 v4, v6, v4, vcc
	v_mov_b32_e32 v6, 0x3b800000
	v_lshlrev_b32_e32 v4, 20, v4
	v_and_b32_e32 v5, 0x80000000, v5
	v_lshl_add_u32 v6, v7, 23, v6
	v_or3_b32 v5, v5, v6, v4
.LBB142_2604:
	s_or_b64 exec, exec, s[24:25]
	v_bfe_u32 v4, v5, 16, 1
	s_movk_i32 s10, 0x7fff
	v_add3_u32 v4, v5, v4, s10
	v_cmp_o_f32_e32 vcc, v5, v5
	v_mov_b32_e32 v5, 0x7fc0
	v_cndmask_b32_sdwa v4, v5, v4, vcc dst_sel:DWORD dst_unused:UNUSED_PAD src0_sel:DWORD src1_sel:WORD_1
.LBB142_2605:
	s_mov_b64 s[10:11], -1
.LBB142_2606:
	s_mov_b64 s[24:25], 0
.LBB142_2607:
	s_and_b64 vcc, exec, s[24:25]
	s_cbranch_vccz .LBB142_2640
; %bb.2608:
	s_cmp_gt_i32 s13, 22
	s_cbranch_scc0 .LBB142_2618
; %bb.2609:
	s_cmp_lt_i32 s13, 24
	s_cbranch_scc1 .LBB142_2621
; %bb.2610:
	s_cmp_gt_i32 s13, 24
	s_cbranch_scc0 .LBB142_2622
; %bb.2611:
	global_load_ubyte v4, v[0:1], off
	s_movk_i32 s2, 0x7f
	s_waitcnt vmcnt(0)
	v_cmp_lt_i16_e32 vcc, s2, v4
	s_mov_b64 s[2:3], 0
	s_and_saveexec_b64 s[10:11], vcc
	s_xor_b64 s[10:11], exec, s[10:11]
	s_cbranch_execz .LBB142_2634
; %bb.2612:
	s_movk_i32 s2, 0x80
	v_cmp_eq_u16_e32 vcc, s2, v4
	s_mov_b64 s[2:3], -1
	s_and_saveexec_b64 s[24:25], vcc
; %bb.2613:
	s_xor_b64 s[2:3], exec, -1
; %bb.2614:
	s_or_b64 exec, exec, s[24:25]
	s_and_b64 s[2:3], s[2:3], exec
	s_or_saveexec_b64 s[10:11], s[10:11]
	v_mov_b32_e32 v5, 0x7f800001
	s_xor_b64 exec, exec, s[10:11]
	s_cbranch_execnz .LBB142_2635
.LBB142_2615:
	s_or_b64 exec, exec, s[10:11]
	s_and_saveexec_b64 s[10:11], s[2:3]
	s_cbranch_execz .LBB142_2617
.LBB142_2616:
	v_lshlrev_b32_e32 v5, 24, v4
	v_and_b32_e32 v4, 0xffff, v4
	v_and_b32_e32 v6, 3, v4
	v_ffbh_u32_e32 v8, v6
	v_min_u32_e32 v8, 32, v8
	v_subrev_u32_e32 v9, 29, v8
	v_bfe_u32 v7, v4, 2, 5
	v_lshlrev_b32_e32 v4, v9, v4
	v_sub_u32_e32 v8, 30, v8
	v_and_b32_e32 v4, 3, v4
	v_cmp_eq_u32_e32 vcc, 0, v7
	v_cndmask_b32_e32 v7, v7, v8, vcc
	v_cndmask_b32_e32 v4, v6, v4, vcc
	v_mov_b32_e32 v6, 0x37800000
	v_lshlrev_b32_e32 v4, 21, v4
	v_and_b32_e32 v5, 0x80000000, v5
	v_lshl_add_u32 v6, v7, 23, v6
	v_or3_b32 v5, v5, v6, v4
.LBB142_2617:
	s_or_b64 exec, exec, s[10:11]
	v_bfe_u32 v4, v5, 16, 1
	s_movk_i32 s2, 0x7fff
	v_add3_u32 v4, v5, v4, s2
	v_cmp_o_f32_e32 vcc, v5, v5
	v_mov_b32_e32 v5, 0x7fc0
	v_cndmask_b32_sdwa v4, v5, v4, vcc dst_sel:DWORD dst_unused:UNUSED_PAD src0_sel:DWORD src1_sel:WORD_1
	s_mov_b64 s[2:3], 0
	s_branch .LBB142_2623
.LBB142_2618:
	s_mov_b64 s[2:3], -1
                                        ; implicit-def: $vgpr4
	s_branch .LBB142_2629
.LBB142_2619:
	s_or_saveexec_b64 s[24:25], s[24:25]
	v_mov_b32_e32 v5, 0x7f800001
	s_xor_b64 exec, exec, s[24:25]
	s_cbranch_execz .LBB142_2602
.LBB142_2620:
	v_cmp_ne_u16_e32 vcc, 0, v4
	s_andn2_b64 s[10:11], s[10:11], exec
	s_and_b64 s[26:27], vcc, exec
	v_mov_b32_e32 v5, 0
	s_or_b64 s[10:11], s[10:11], s[26:27]
	s_or_b64 exec, exec, s[24:25]
	s_and_saveexec_b64 s[24:25], s[10:11]
	s_cbranch_execnz .LBB142_2603
	s_branch .LBB142_2604
.LBB142_2621:
	s_mov_b64 s[2:3], -1
                                        ; implicit-def: $vgpr4
	s_branch .LBB142_2626
.LBB142_2622:
	s_mov_b64 s[2:3], -1
                                        ; implicit-def: $vgpr4
.LBB142_2623:
	s_and_b64 vcc, exec, s[2:3]
	s_cbranch_vccz .LBB142_2625
; %bb.2624:
	global_load_ubyte v4, v[0:1], off
	s_mov_b32 s2, 0x7f800000
	s_brev_b32 s3, 1
	s_movk_i32 s10, 0x7fff
	s_waitcnt vmcnt(0)
	v_lshlrev_b32_e32 v4, 24, v4
	v_and_b32_e32 v5, 0x7f000000, v4
	v_ffbh_u32_e32 v6, v5
	v_min_u32_e32 v6, 32, v6
	v_sub_u32_e64 v6, v6, 4 clamp
	v_lshlrev_b32_e32 v8, v6, v5
	v_lshlrev_b32_e32 v6, 23, v6
	v_lshrrev_b32_e32 v8, 4, v8
	v_add_u32_e32 v7, 0x1000000, v5
	v_sub_u32_e32 v6, v8, v6
	v_ashrrev_i32_e32 v7, 8, v7
	v_add_u32_e32 v6, 0x3c000000, v6
	v_and_or_b32 v6, v7, s2, v6
	v_cmp_ne_u32_e32 vcc, 0, v5
	v_cndmask_b32_e32 v5, 0, v6, vcc
	v_and_or_b32 v4, v4, s3, v5
	v_bfe_u32 v5, v5, 16, 1
	v_add3_u32 v5, v4, v5, s10
	v_cmp_o_f32_e32 vcc, v4, v4
	v_mov_b32_e32 v4, 0x7fc0
	v_cndmask_b32_sdwa v4, v4, v5, vcc dst_sel:DWORD dst_unused:UNUSED_PAD src0_sel:DWORD src1_sel:WORD_1
.LBB142_2625:
	s_mov_b64 s[2:3], 0
.LBB142_2626:
	s_andn2_b64 vcc, exec, s[2:3]
	s_cbranch_vccnz .LBB142_2628
; %bb.2627:
	global_load_ubyte v4, v[0:1], off
	s_movk_i32 s2, 0x7f00
	s_brev_b32 s3, 16
	s_brev_b32 s10, 1
	s_movk_i32 s11, 0x7fff
	s_waitcnt vmcnt(0)
	v_lshlrev_b16_e32 v5, 8, v4
	v_lshlrev_b32_e32 v4, 25, v4
	v_lshrrev_b32_e32 v6, 4, v4
	v_and_or_b32 v7, v5, s2, 0.5
	v_or_b32_e32 v6, 0x70000000, v6
	v_add_f32_e32 v7, -0.5, v7
	v_mul_f32_e32 v6, 0x7800000, v6
	v_cmp_gt_u32_e32 vcc, s3, v4
	v_bfe_i32 v5, v5, 0, 16
	v_cndmask_b32_e32 v4, v6, v7, vcc
	v_and_or_b32 v5, v5, s10, v4
	v_bfe_u32 v4, v4, 16, 1
	v_add3_u32 v4, v5, v4, s11
	v_cmp_o_f32_e32 vcc, v5, v5
	v_mov_b32_e32 v5, 0x7fc0
	v_cndmask_b32_sdwa v4, v5, v4, vcc dst_sel:DWORD dst_unused:UNUSED_PAD src0_sel:DWORD src1_sel:WORD_1
.LBB142_2628:
	s_mov_b64 s[2:3], 0
	s_mov_b64 s[10:11], -1
.LBB142_2629:
	s_andn2_b64 vcc, exec, s[2:3]
	s_mov_b64 s[2:3], 0
	s_cbranch_vccnz .LBB142_2640
; %bb.2630:
	s_cmp_gt_i32 s13, 14
	s_cbranch_scc0 .LBB142_2633
; %bb.2631:
	s_cmp_eq_u32 s13, 15
	s_cbranch_scc0 .LBB142_2636
; %bb.2632:
	global_load_ushort v4, v[0:1], off
	s_mov_b64 s[0:1], 0
	s_mov_b64 s[10:11], -1
	s_branch .LBB142_2637
.LBB142_2633:
	s_mov_b64 s[24:25], -1
                                        ; implicit-def: $vgpr4
	s_branch .LBB142_2638
.LBB142_2634:
	s_or_saveexec_b64 s[10:11], s[10:11]
	v_mov_b32_e32 v5, 0x7f800001
	s_xor_b64 exec, exec, s[10:11]
	s_cbranch_execz .LBB142_2615
.LBB142_2635:
	v_cmp_ne_u16_e32 vcc, 0, v4
	s_andn2_b64 s[2:3], s[2:3], exec
	s_and_b64 s[24:25], vcc, exec
	v_mov_b32_e32 v5, 0
	s_or_b64 s[2:3], s[2:3], s[24:25]
	s_or_b64 exec, exec, s[10:11]
	s_and_saveexec_b64 s[10:11], s[2:3]
	s_cbranch_execnz .LBB142_2616
	s_branch .LBB142_2617
.LBB142_2636:
	s_mov_b64 s[0:1], -1
                                        ; implicit-def: $vgpr4
.LBB142_2637:
	s_mov_b64 s[24:25], 0
.LBB142_2638:
	s_and_b64 vcc, exec, s[24:25]
	s_cbranch_vccz .LBB142_2640
; %bb.2639:
	s_cmp_lg_u32 s13, 11
	s_mov_b64 s[2:3], -1
	s_cselect_b64 s[0:1], -1, 0
.LBB142_2640:
	s_and_b64 vcc, exec, s[0:1]
	s_cbranch_vccnz .LBB142_3192
; %bb.2641:
	s_andn2_b64 vcc, exec, s[2:3]
	s_cbranch_vccnz .LBB142_2643
.LBB142_2642:
	global_load_ubyte v4, v[0:1], off
	s_mov_b64 s[10:11], -1
	s_waitcnt vmcnt(0)
	v_cmp_ne_u16_e32 vcc, 0, v4
	v_cndmask_b32_e64 v4, 0, 1.0, vcc
	v_lshrrev_b32_e32 v4, 16, v4
.LBB142_2643:
	s_mov_b64 s[0:1], 0
.LBB142_2644:
	s_and_b64 vcc, exec, s[0:1]
	s_cbranch_vccz .LBB142_2693
; %bb.2645:
	s_and_b32 s2, 0xffff, s31
	s_cmp_lt_i32 s2, 5
	s_cbranch_scc1 .LBB142_2650
; %bb.2646:
	s_cmp_lt_i32 s2, 8
	s_cbranch_scc1 .LBB142_2651
; %bb.2647:
	;; [unrolled: 3-line block ×3, first 2 shown]
	s_cmp_gt_i32 s2, 9
	s_cbranch_scc0 .LBB142_2653
; %bb.2649:
	global_load_dwordx2 v[4:5], v[0:1], off
	s_movk_i32 s0, 0x7fff
	s_waitcnt vmcnt(0)
	v_cvt_f32_f64_e32 v4, v[4:5]
	v_mov_b32_e32 v5, 0x7fc0
	v_bfe_u32 v6, v4, 16, 1
	v_cmp_o_f32_e32 vcc, v4, v4
	v_add3_u32 v4, v4, v6, s0
	v_cndmask_b32_sdwa v4, v5, v4, vcc dst_sel:DWORD dst_unused:UNUSED_PAD src0_sel:DWORD src1_sel:WORD_1
	s_mov_b64 s[0:1], 0
	s_branch .LBB142_2654
.LBB142_2650:
	s_mov_b64 s[0:1], -1
                                        ; implicit-def: $vgpr4
	s_branch .LBB142_2672
.LBB142_2651:
	s_mov_b64 s[0:1], -1
                                        ; implicit-def: $vgpr4
	s_branch .LBB142_2660
.LBB142_2652:
	s_mov_b64 s[0:1], -1
                                        ; implicit-def: $vgpr4
	s_branch .LBB142_2657
.LBB142_2653:
	s_mov_b64 s[0:1], -1
                                        ; implicit-def: $vgpr4
.LBB142_2654:
	s_andn2_b64 vcc, exec, s[0:1]
	s_cbranch_vccnz .LBB142_2656
; %bb.2655:
	global_load_dword v4, v[0:1], off
	s_movk_i32 s0, 0x7fff
	v_mov_b32_e32 v5, 0x7fc0
	s_waitcnt vmcnt(0)
	v_bfe_u32 v6, v4, 16, 1
	v_cmp_o_f32_e32 vcc, v4, v4
	v_add3_u32 v4, v4, v6, s0
	v_cndmask_b32_sdwa v4, v5, v4, vcc dst_sel:DWORD dst_unused:UNUSED_PAD src0_sel:DWORD src1_sel:WORD_1
.LBB142_2656:
	s_mov_b64 s[0:1], 0
.LBB142_2657:
	s_andn2_b64 vcc, exec, s[0:1]
	s_cbranch_vccnz .LBB142_2659
; %bb.2658:
	global_load_dword v4, v[0:1], off
	s_movk_i32 s0, 0x7fff
	v_mov_b32_e32 v6, 0x7fc0
	s_waitcnt vmcnt(0)
	v_cvt_f32_f16_e32 v5, v4
	v_cmp_o_f16_e32 vcc, v4, v4
	v_bfe_u32 v4, v5, 16, 1
	v_add3_u32 v4, v5, v4, s0
	v_cndmask_b32_sdwa v4, v6, v4, vcc dst_sel:DWORD dst_unused:UNUSED_PAD src0_sel:DWORD src1_sel:WORD_1
.LBB142_2659:
	s_mov_b64 s[0:1], 0
.LBB142_2660:
	s_andn2_b64 vcc, exec, s[0:1]
	s_cbranch_vccnz .LBB142_2671
; %bb.2661:
	s_cmp_lt_i32 s2, 6
	s_cbranch_scc1 .LBB142_2664
; %bb.2662:
	s_cmp_gt_i32 s2, 6
	s_cbranch_scc0 .LBB142_2665
; %bb.2663:
	global_load_dwordx2 v[4:5], v[0:1], off
	s_movk_i32 s0, 0x7fff
	s_waitcnt vmcnt(0)
	v_cvt_f32_f64_e32 v4, v[4:5]
	v_mov_b32_e32 v5, 0x7fc0
	v_bfe_u32 v6, v4, 16, 1
	v_cmp_o_f32_e32 vcc, v4, v4
	v_add3_u32 v4, v4, v6, s0
	v_cndmask_b32_sdwa v4, v5, v4, vcc dst_sel:DWORD dst_unused:UNUSED_PAD src0_sel:DWORD src1_sel:WORD_1
	s_mov_b64 s[0:1], 0
	s_branch .LBB142_2666
.LBB142_2664:
	s_mov_b64 s[0:1], -1
                                        ; implicit-def: $vgpr4
	s_branch .LBB142_2669
.LBB142_2665:
	s_mov_b64 s[0:1], -1
                                        ; implicit-def: $vgpr4
.LBB142_2666:
	s_andn2_b64 vcc, exec, s[0:1]
	s_cbranch_vccnz .LBB142_2668
; %bb.2667:
	global_load_dword v4, v[0:1], off
	s_movk_i32 s0, 0x7fff
	v_mov_b32_e32 v5, 0x7fc0
	s_waitcnt vmcnt(0)
	v_bfe_u32 v6, v4, 16, 1
	v_cmp_o_f32_e32 vcc, v4, v4
	v_add3_u32 v4, v4, v6, s0
	v_cndmask_b32_sdwa v4, v5, v4, vcc dst_sel:DWORD dst_unused:UNUSED_PAD src0_sel:DWORD src1_sel:WORD_1
.LBB142_2668:
	s_mov_b64 s[0:1], 0
.LBB142_2669:
	s_andn2_b64 vcc, exec, s[0:1]
	s_cbranch_vccnz .LBB142_2671
; %bb.2670:
	global_load_ushort v4, v[0:1], off
	s_movk_i32 s0, 0x7fff
	v_mov_b32_e32 v6, 0x7fc0
	s_waitcnt vmcnt(0)
	v_cvt_f32_f16_e32 v5, v4
	v_cmp_o_f16_e32 vcc, v4, v4
	v_bfe_u32 v4, v5, 16, 1
	v_add3_u32 v4, v5, v4, s0
	v_cndmask_b32_sdwa v4, v6, v4, vcc dst_sel:DWORD dst_unused:UNUSED_PAD src0_sel:DWORD src1_sel:WORD_1
.LBB142_2671:
	s_mov_b64 s[0:1], 0
.LBB142_2672:
	s_andn2_b64 vcc, exec, s[0:1]
	s_cbranch_vccnz .LBB142_2692
; %bb.2673:
	s_cmp_lt_i32 s2, 2
	s_cbranch_scc1 .LBB142_2677
; %bb.2674:
	s_cmp_lt_i32 s2, 3
	s_cbranch_scc1 .LBB142_2678
; %bb.2675:
	s_cmp_gt_i32 s2, 3
	s_cbranch_scc0 .LBB142_2679
; %bb.2676:
	global_load_dwordx2 v[4:5], v[0:1], off
	s_movk_i32 s0, 0x7fff
	s_waitcnt vmcnt(0)
	v_xor_b32_e32 v7, v4, v5
	v_ffbh_i32_e32 v6, v5
	v_ashrrev_i32_e32 v7, 31, v7
	v_add_u32_e32 v6, -1, v6
	v_add_u32_e32 v7, 32, v7
	v_min_u32_e32 v6, v6, v7
	v_lshlrev_b64 v[4:5], v6, v[4:5]
	v_min_u32_e32 v4, 1, v4
	v_or_b32_e32 v4, v5, v4
	v_cvt_f32_i32_e32 v4, v4
	v_sub_u32_e32 v5, 32, v6
	v_ldexp_f32 v4, v4, v5
	v_bfe_u32 v5, v4, 16, 1
	v_add3_u32 v4, v4, v5, s0
	v_lshrrev_b32_e32 v4, 16, v4
	s_mov_b64 s[0:1], 0
	s_branch .LBB142_2680
.LBB142_2677:
	s_mov_b64 s[0:1], -1
                                        ; implicit-def: $vgpr4
	s_branch .LBB142_2686
.LBB142_2678:
	s_mov_b64 s[0:1], -1
                                        ; implicit-def: $vgpr4
	s_branch .LBB142_2683
.LBB142_2679:
	s_mov_b64 s[0:1], -1
                                        ; implicit-def: $vgpr4
.LBB142_2680:
	s_andn2_b64 vcc, exec, s[0:1]
	s_cbranch_vccnz .LBB142_2682
; %bb.2681:
	global_load_dword v4, v[0:1], off
	s_movk_i32 s0, 0x7fff
	s_waitcnt vmcnt(0)
	v_cvt_f32_i32_e32 v4, v4
	v_bfe_u32 v5, v4, 16, 1
	v_add3_u32 v4, v4, v5, s0
	v_lshrrev_b32_e32 v4, 16, v4
.LBB142_2682:
	s_mov_b64 s[0:1], 0
.LBB142_2683:
	s_andn2_b64 vcc, exec, s[0:1]
	s_cbranch_vccnz .LBB142_2685
; %bb.2684:
	global_load_sshort v4, v[0:1], off
	s_movk_i32 s0, 0x7fff
	s_waitcnt vmcnt(0)
	v_cvt_f32_i32_e32 v4, v4
	v_bfe_u32 v5, v4, 16, 1
	v_add3_u32 v4, v4, v5, s0
	v_lshrrev_b32_e32 v4, 16, v4
.LBB142_2685:
	s_mov_b64 s[0:1], 0
.LBB142_2686:
	s_andn2_b64 vcc, exec, s[0:1]
	s_cbranch_vccnz .LBB142_2692
; %bb.2687:
	s_cmp_gt_i32 s2, 0
	s_cbranch_scc0 .LBB142_2689
; %bb.2688:
	global_load_sbyte v4, v[0:1], off
	s_movk_i32 s0, 0x7fff
	s_waitcnt vmcnt(0)
	v_cvt_f32_i32_e32 v4, v4
	v_bfe_u32 v5, v4, 16, 1
	v_add3_u32 v4, v4, v5, s0
	v_lshrrev_b32_e32 v4, 16, v4
	s_mov_b64 s[0:1], 0
	s_branch .LBB142_2690
.LBB142_2689:
	s_mov_b64 s[0:1], -1
                                        ; implicit-def: $vgpr4
.LBB142_2690:
	s_andn2_b64 vcc, exec, s[0:1]
	s_cbranch_vccnz .LBB142_2692
; %bb.2691:
	global_load_ubyte v0, v[0:1], off
	s_movk_i32 s0, 0x7fff
	s_waitcnt vmcnt(0)
	v_cvt_f32_ubyte0_e32 v0, v0
	v_bfe_u32 v1, v0, 16, 1
	v_add3_u32 v0, v0, v1, s0
	v_lshrrev_b32_e32 v4, 16, v0
.LBB142_2692:
	s_mov_b64 s[10:11], -1
.LBB142_2693:
	s_andn2_b64 vcc, exec, s[10:11]
	s_cbranch_vccnz .LBB142_2698
; %bb.2694:
	s_waitcnt vmcnt(0)
	v_lshlrev_b32_e32 v0, 16, v3
	v_lshlrev_b32_e32 v1, 16, v4
	s_cmp_lt_i32 s15, 1
	s_mov_b64 s[0:1], 0
	s_cbranch_scc1 .LBB142_2744
; %bb.2695:
	s_cmp_gt_i32 s15, 1
	s_cbranch_scc0 .LBB142_2745
; %bb.2696:
	s_cmp_eq_u32 s15, 2
	s_cbranch_scc0 .LBB142_2746
; %bb.2697:
	v_cmp_le_f32_e64 s[24:25], v0, v1
	s_mov_b64 s[2:3], 0
	s_branch .LBB142_2747
.LBB142_2698:
	s_mov_b64 s[0:1], 0
                                        ; implicit-def: $sgpr24_sgpr25
.LBB142_2699:
	s_mov_b64 s[2:3], 0
                                        ; implicit-def: $sgpr28
                                        ; implicit-def: $vgpr0_vgpr1
.LBB142_2700:
	s_and_b64 s[4:5], s[2:3], exec
	s_andn2_b64 s[2:3], s[16:17], exec
	s_and_b64 s[8:9], s[18:19], exec
	s_and_b64 s[0:1], s[0:1], exec
	s_or_b64 s[16:17], s[2:3], s[8:9]
.LBB142_2701:
	s_or_b64 exec, exec, s[6:7]
	s_and_saveexec_b64 s[2:3], s[16:17]
	s_cbranch_execz .LBB142_2704
; %bb.2702:
	; divergent unreachable
	s_or_b64 exec, exec, s[2:3]
	s_and_saveexec_b64 s[2:3], s[4:5]
	s_xor_b64 s[2:3], exec, s[2:3]
	s_cbranch_execnz .LBB142_2705
.LBB142_2703:
	s_or_b64 exec, exec, s[2:3]
	s_and_saveexec_b64 s[2:3], s[0:1]
	s_cbranch_execnz .LBB142_2706
	s_branch .LBB142_2743
.LBB142_2704:
	s_or_b64 exec, exec, s[2:3]
	s_and_saveexec_b64 s[2:3], s[4:5]
	s_xor_b64 s[2:3], exec, s[2:3]
	s_cbranch_execz .LBB142_2703
.LBB142_2705:
	v_cndmask_b32_e64 v2, 0, 1, s[24:25]
	global_store_byte v[0:1], v2, off
	s_or_b64 exec, exec, s[2:3]
	s_and_saveexec_b64 s[2:3], s[0:1]
	s_cbranch_execz .LBB142_2743
.LBB142_2706:
	s_sext_i32_i16 s2, s28
	s_cmp_lt_i32 s2, 5
	s_mov_b64 s[0:1], -1
	s_cbranch_scc1 .LBB142_2727
; %bb.2707:
	s_cmp_lt_i32 s2, 8
	s_cbranch_scc1 .LBB142_2717
; %bb.2708:
	s_cmp_lt_i32 s2, 9
	s_cbranch_scc1 .LBB142_2714
; %bb.2709:
	s_cmp_gt_i32 s2, 9
	s_cbranch_scc0 .LBB142_2711
; %bb.2710:
	v_cndmask_b32_e64 v2, 0, 1, s[24:25]
	s_waitcnt vmcnt(0)
	v_cvt_f64_u32_e32 v[2:3], v2
	v_mov_b32_e32 v4, 0
	v_mov_b32_e32 v5, v4
	s_mov_b64 s[0:1], 0
	global_store_dwordx4 v[0:1], v[2:5], off
.LBB142_2711:
	s_andn2_b64 vcc, exec, s[0:1]
	s_cbranch_vccnz .LBB142_2713
; %bb.2712:
	v_cndmask_b32_e64 v2, 0, 1.0, s[24:25]
	s_waitcnt vmcnt(0)
	v_mov_b32_e32 v3, 0
	global_store_dwordx2 v[0:1], v[2:3], off
.LBB142_2713:
	s_mov_b64 s[0:1], 0
.LBB142_2714:
	s_andn2_b64 vcc, exec, s[0:1]
	s_cbranch_vccnz .LBB142_2716
; %bb.2715:
	v_cndmask_b32_e64 v2, 0, 1.0, s[24:25]
	v_cvt_f16_f32_e32 v2, v2
	global_store_dword v[0:1], v2, off
.LBB142_2716:
	s_mov_b64 s[0:1], 0
.LBB142_2717:
	s_andn2_b64 vcc, exec, s[0:1]
	s_cbranch_vccnz .LBB142_2726
; %bb.2718:
	s_sext_i32_i16 s2, s28
	s_cmp_lt_i32 s2, 6
	s_mov_b64 s[0:1], -1
	s_cbranch_scc1 .LBB142_2724
; %bb.2719:
	s_cmp_gt_i32 s2, 6
	s_cbranch_scc0 .LBB142_2721
; %bb.2720:
	v_cndmask_b32_e64 v2, 0, 1, s[24:25]
	s_waitcnt vmcnt(0)
	v_cvt_f64_u32_e32 v[2:3], v2
	s_mov_b64 s[0:1], 0
	global_store_dwordx2 v[0:1], v[2:3], off
.LBB142_2721:
	s_andn2_b64 vcc, exec, s[0:1]
	s_cbranch_vccnz .LBB142_2723
; %bb.2722:
	v_cndmask_b32_e64 v2, 0, 1.0, s[24:25]
	global_store_dword v[0:1], v2, off
.LBB142_2723:
	s_mov_b64 s[0:1], 0
.LBB142_2724:
	s_andn2_b64 vcc, exec, s[0:1]
	s_cbranch_vccnz .LBB142_2726
; %bb.2725:
	v_cndmask_b32_e64 v2, 0, 1.0, s[24:25]
	v_cvt_f16_f32_e32 v2, v2
	global_store_short v[0:1], v2, off
.LBB142_2726:
	s_mov_b64 s[0:1], 0
.LBB142_2727:
	s_andn2_b64 vcc, exec, s[0:1]
	s_cbranch_vccnz .LBB142_2743
; %bb.2728:
	s_sext_i32_i16 s2, s28
	s_cmp_lt_i32 s2, 2
	s_mov_b64 s[0:1], -1
	s_cbranch_scc1 .LBB142_2738
; %bb.2729:
	s_cmp_lt_i32 s2, 3
	s_cbranch_scc1 .LBB142_2735
; %bb.2730:
	s_cmp_gt_i32 s2, 3
	s_cbranch_scc0 .LBB142_2732
; %bb.2731:
	s_mov_b32 s0, 0
	v_cndmask_b32_e64 v2, 0, 1, s[24:25]
	s_waitcnt vmcnt(0)
	v_mov_b32_e32 v3, s0
	global_store_dwordx2 v[0:1], v[2:3], off
	s_mov_b64 s[0:1], 0
.LBB142_2732:
	s_andn2_b64 vcc, exec, s[0:1]
	s_cbranch_vccnz .LBB142_2734
; %bb.2733:
	v_cndmask_b32_e64 v2, 0, 1, s[24:25]
	global_store_dword v[0:1], v2, off
.LBB142_2734:
	s_mov_b64 s[0:1], 0
.LBB142_2735:
	s_andn2_b64 vcc, exec, s[0:1]
	s_cbranch_vccnz .LBB142_2737
; %bb.2736:
	v_cndmask_b32_e64 v2, 0, 1, s[24:25]
	global_store_short v[0:1], v2, off
.LBB142_2737:
	s_mov_b64 s[0:1], 0
.LBB142_2738:
	s_andn2_b64 vcc, exec, s[0:1]
	s_cbranch_vccnz .LBB142_2743
; %bb.2739:
	s_sext_i32_i16 s2, s28
	s_mov_b64 s[0:1], -1
	s_cmp_gt_i32 s2, 0
	v_cndmask_b32_e64 v2, 0, 1, s[24:25]
	s_cbranch_scc0 .LBB142_2741
; %bb.2740:
	global_store_byte v[0:1], v2, off
	s_mov_b64 s[0:1], 0
.LBB142_2741:
	s_andn2_b64 vcc, exec, s[0:1]
	s_cbranch_vccnz .LBB142_2743
; %bb.2742:
	global_store_byte v[0:1], v2, off
	s_endpgm
.LBB142_2743:
	s_endpgm
.LBB142_2744:
	s_mov_b64 s[10:11], -1
                                        ; implicit-def: $sgpr24_sgpr25
	s_mov_b64 s[2:3], 0
	s_branch .LBB142_2751
.LBB142_2745:
	s_mov_b64 s[10:11], -1
	s_mov_b64 s[2:3], 0
                                        ; implicit-def: $sgpr24_sgpr25
	s_branch .LBB142_2748
.LBB142_2746:
	s_mov_b64 s[2:3], -1
                                        ; implicit-def: $sgpr24_sgpr25
.LBB142_2747:
	s_mov_b64 s[10:11], 0
.LBB142_2748:
	s_and_b64 vcc, exec, s[10:11]
	s_cbranch_vccz .LBB142_2750
; %bb.2749:
	v_cmp_gt_f32_e32 vcc, v0, v1
	s_andn2_b64 s[10:11], s[24:25], exec
	s_and_b64 s[24:25], vcc, exec
	s_or_b64 s[24:25], s[10:11], s[24:25]
.LBB142_2750:
	s_mov_b64 s[10:11], 0
.LBB142_2751:
	s_and_b64 vcc, exec, s[10:11]
	s_cbranch_vccz .LBB142_2833
; %bb.2752:
	s_cmp_lg_u32 s15, 0
	s_mov_b64 s[0:1], -1
	s_cselect_b64 s[2:3], -1, 0
	s_andn2_b64 vcc, exec, s[2:3]
	s_cbranch_vccz .LBB142_2834
.LBB142_2753:
	s_andn2_b64 vcc, exec, s[0:1]
	s_cbranch_vccnz .LBB142_2755
.LBB142_2754:
	v_cmp_ge_f32_e32 vcc, v0, v1
	s_andn2_b64 s[0:1], s[24:25], exec
	s_and_b64 s[2:3], vcc, exec
	s_or_b64 s[24:25], s[0:1], s[2:3]
.LBB142_2755:
	v_mul_lo_u32 v2, s12, v2
	v_mov_b32_e32 v1, s9
	s_and_b32 s28, s33, 0xff
	s_cmp_lt_i32 s28, 11
	v_ashrrev_i32_e32 v3, 31, v2
	v_add_co_u32_e32 v0, vcc, s8, v2
	v_addc_co_u32_e32 v1, vcc, v1, v3, vcc
	s_cbranch_scc1 .LBB142_2835
; %bb.2756:
	s_and_b32 s13, 0xffff, s28
	s_mov_b64 s[14:15], -1
	s_mov_b64 s[2:3], 0
	s_cmp_gt_i32 s13, 25
	s_mov_b64 s[10:11], 0
	s_mov_b64 s[0:1], 0
	s_cbranch_scc0 .LBB142_2789
; %bb.2757:
	s_cmp_gt_i32 s13, 28
	s_cbranch_scc0 .LBB142_2772
; %bb.2758:
	s_cmp_gt_i32 s13, 43
	;; [unrolled: 3-line block ×3, first 2 shown]
	s_cbranch_scc0 .LBB142_2762
; %bb.2760:
	s_mov_b64 s[0:1], -1
	s_mov_b64 s[14:15], 0
	s_cmp_eq_u32 s13, 46
	s_cbranch_scc0 .LBB142_2762
; %bb.2761:
	v_cndmask_b32_e64 v3, 0, 1.0, s[4:5]
	v_bfe_u32 v4, v3, 16, 1
	s_movk_i32 s0, 0x7fff
	v_add3_u32 v3, v3, v4, s0
	v_lshrrev_b32_e32 v3, 16, v3
	global_store_dword v[0:1], v3, off
	s_mov_b64 s[0:1], 0
	s_mov_b64 s[10:11], -1
.LBB142_2762:
	s_and_b64 vcc, exec, s[14:15]
	s_cbranch_vccz .LBB142_2767
; %bb.2763:
	s_cmp_eq_u32 s13, 44
	s_mov_b64 s[0:1], -1
	s_cbranch_scc0 .LBB142_2767
; %bb.2764:
	v_cndmask_b32_e64 v4, 0, 1.0, s[4:5]
	v_lshrrev_b32_e32 v3, 23, v4
	s_movk_i32 s0, 0xff
	v_cmp_ne_u32_e32 vcc, s0, v3
	v_mov_b32_e32 v5, 0xff
	s_and_saveexec_b64 s[10:11], vcc
; %bb.2765:
	s_mov_b32 s0, 0x3fffff
	v_and_b32_e32 v5, 0x400000, v4
	v_and_or_b32 v4, v4, s0, v3
	v_cmp_ne_u32_e32 vcc, 0, v5
	v_cmp_ne_u32_e64 s[0:1], 0, v4
	s_and_b64 s[0:1], vcc, s[0:1]
	v_cndmask_b32_e64 v4, 0, 1, s[0:1]
	v_add_u32_e32 v5, v3, v4
; %bb.2766:
	s_or_b64 exec, exec, s[10:11]
	s_mov_b64 s[0:1], 0
	s_mov_b64 s[10:11], -1
	global_store_byte v[0:1], v5, off
.LBB142_2767:
	s_mov_b64 s[14:15], 0
.LBB142_2768:
	s_and_b64 vcc, exec, s[14:15]
	s_cbranch_vccz .LBB142_2771
; %bb.2769:
	s_cmp_eq_u32 s13, 29
	s_mov_b64 s[0:1], -1
	s_cbranch_scc0 .LBB142_2771
; %bb.2770:
	s_mov_b32 s0, 0
	v_cndmask_b32_e64 v3, 0, 1, s[4:5]
	v_mov_b32_e32 v4, s0
	global_store_dwordx2 v[0:1], v[3:4], off
	s_mov_b64 s[0:1], 0
	s_mov_b64 s[10:11], -1
.LBB142_2771:
	s_mov_b64 s[14:15], 0
.LBB142_2772:
	s_and_b64 vcc, exec, s[14:15]
	s_cbranch_vccz .LBB142_2788
; %bb.2773:
	s_cmp_lt_i32 s13, 27
	s_mov_b64 s[10:11], -1
	s_cbranch_scc1 .LBB142_2779
; %bb.2774:
	s_cmp_gt_i32 s13, 27
	s_cbranch_scc0 .LBB142_2776
; %bb.2775:
	v_cndmask_b32_e64 v3, 0, 1, s[4:5]
	s_mov_b64 s[10:11], 0
	global_store_dword v[0:1], v3, off
.LBB142_2776:
	s_andn2_b64 vcc, exec, s[10:11]
	s_cbranch_vccnz .LBB142_2778
; %bb.2777:
	v_cndmask_b32_e64 v3, 0, 1, s[4:5]
	global_store_short v[0:1], v3, off
.LBB142_2778:
	s_mov_b64 s[10:11], 0
.LBB142_2779:
	s_andn2_b64 vcc, exec, s[10:11]
	s_cbranch_vccnz .LBB142_2787
; %bb.2780:
	v_cndmask_b32_e64 v4, 0, 1.0, s[4:5]
	s_mov_b32 s10, 0x43800000
	v_cmp_gt_u32_e32 vcc, s10, v4
	v_mov_b32_e32 v5, 0x80
	s_and_saveexec_b64 s[10:11], vcc
	s_cbranch_execz .LBB142_2786
; %bb.2781:
	s_mov_b32 s14, 0x3bffffff
	v_cmp_lt_u32_e32 vcc, s14, v4
	s_mov_b64 s[14:15], 0
                                        ; implicit-def: $vgpr3
	s_and_saveexec_b64 s[26:27], vcc
	s_xor_b64 s[26:27], exec, s[26:27]
	s_cbranch_execz .LBB142_3193
; %bb.2782:
	v_bfe_u32 v3, v4, 20, 1
	s_mov_b32 s29, 0x487ffff
	v_add3_u32 v3, v4, v3, s29
	s_mov_b64 s[14:15], exec
	v_lshrrev_b32_e32 v3, 20, v3
                                        ; implicit-def: $vgpr4
	s_andn2_saveexec_b64 s[26:27], s[26:27]
	s_cbranch_execnz .LBB142_3194
.LBB142_2783:
	s_or_b64 exec, exec, s[26:27]
	v_mov_b32_e32 v5, 0
	s_and_saveexec_b64 s[26:27], s[14:15]
.LBB142_2784:
	v_mov_b32_e32 v5, v3
.LBB142_2785:
	s_or_b64 exec, exec, s[26:27]
.LBB142_2786:
	s_or_b64 exec, exec, s[10:11]
	global_store_byte v[0:1], v5, off
.LBB142_2787:
	s_mov_b64 s[10:11], -1
.LBB142_2788:
	s_mov_b64 s[14:15], 0
.LBB142_2789:
	s_and_b64 vcc, exec, s[14:15]
	s_cbranch_vccz .LBB142_2829
; %bb.2790:
	s_cmp_gt_i32 s13, 22
	s_mov_b64 s[2:3], -1
	s_cbranch_scc0 .LBB142_2822
; %bb.2791:
	s_cmp_lt_i32 s13, 24
	s_cbranch_scc1 .LBB142_2811
; %bb.2792:
	s_cmp_gt_i32 s13, 24
	s_cbranch_scc0 .LBB142_2800
; %bb.2793:
	v_cndmask_b32_e64 v4, 0, 1.0, s[4:5]
	s_mov_b32 s2, 0x47800000
	v_cmp_gt_u32_e32 vcc, s2, v4
	v_mov_b32_e32 v5, 0x80
	s_and_saveexec_b64 s[2:3], vcc
	s_cbranch_execz .LBB142_2799
; %bb.2794:
	s_mov_b32 s10, 0x37ffffff
	v_cmp_lt_u32_e32 vcc, s10, v4
	s_mov_b64 s[10:11], 0
                                        ; implicit-def: $vgpr3
	s_and_saveexec_b64 s[14:15], vcc
	s_xor_b64 s[14:15], exec, s[14:15]
	s_cbranch_execz .LBB142_3196
; %bb.2795:
	v_bfe_u32 v3, v4, 21, 1
	s_mov_b32 s26, 0x88fffff
	v_add3_u32 v3, v4, v3, s26
	s_mov_b64 s[10:11], exec
	v_lshrrev_b32_e32 v3, 21, v3
                                        ; implicit-def: $vgpr4
	s_andn2_saveexec_b64 s[14:15], s[14:15]
	s_cbranch_execnz .LBB142_3197
.LBB142_2796:
	s_or_b64 exec, exec, s[14:15]
	v_mov_b32_e32 v5, 0
	s_and_saveexec_b64 s[14:15], s[10:11]
.LBB142_2797:
	v_mov_b32_e32 v5, v3
.LBB142_2798:
	s_or_b64 exec, exec, s[14:15]
.LBB142_2799:
	s_or_b64 exec, exec, s[2:3]
	s_mov_b64 s[2:3], 0
	global_store_byte v[0:1], v5, off
.LBB142_2800:
	s_and_b64 vcc, exec, s[2:3]
	s_cbranch_vccz .LBB142_2810
; %bb.2801:
	v_cndmask_b32_e64 v3, 0, 1.0, s[4:5]
	s_mov_b32 s2, 0x43f00000
	v_cmp_gt_u32_e32 vcc, s2, v3
                                        ; implicit-def: $vgpr4
	s_and_saveexec_b64 s[2:3], vcc
	s_xor_b64 s[2:3], exec, s[2:3]
	s_cbranch_execz .LBB142_2807
; %bb.2802:
	s_mov_b32 s10, 0x3c7fffff
	v_cmp_lt_u32_e32 vcc, s10, v3
                                        ; implicit-def: $vgpr4
	s_and_saveexec_b64 s[10:11], vcc
	s_xor_b64 s[10:11], exec, s[10:11]
; %bb.2803:
	v_bfe_u32 v4, v3, 20, 1
	s_mov_b32 s14, 0x407ffff
	v_add3_u32 v3, v3, v4, s14
	v_lshrrev_b32_e32 v4, 20, v3
	v_and_b32_e32 v3, 0xff00000, v3
	s_mov_b32 s14, 0x7f00000
	v_mov_b32_e32 v5, 0x7e
	v_cmp_ne_u32_e32 vcc, s14, v3
	v_cndmask_b32_e32 v4, v5, v4, vcc
                                        ; implicit-def: $vgpr3
; %bb.2804:
	s_andn2_saveexec_b64 s[10:11], s[10:11]
; %bb.2805:
	v_add_f32_e32 v4, 0x46800000, v3
; %bb.2806:
	s_or_b64 exec, exec, s[10:11]
                                        ; implicit-def: $vgpr3
.LBB142_2807:
	s_andn2_saveexec_b64 s[2:3], s[2:3]
; %bb.2808:
	s_mov_b32 s10, 0x7f800000
	v_mov_b32_e32 v4, 0x7e
	v_mov_b32_e32 v5, 0x7f
	v_cmp_lt_u32_e32 vcc, s10, v3
	v_cndmask_b32_e32 v4, v4, v5, vcc
; %bb.2809:
	s_or_b64 exec, exec, s[2:3]
	global_store_byte v[0:1], v4, off
.LBB142_2810:
	s_mov_b64 s[2:3], 0
.LBB142_2811:
	s_andn2_b64 vcc, exec, s[2:3]
	s_cbranch_vccnz .LBB142_2821
; %bb.2812:
	v_cndmask_b32_e64 v3, 0, 1.0, s[4:5]
	s_mov_b32 s2, 0x47800000
	v_cmp_gt_u32_e32 vcc, s2, v3
                                        ; implicit-def: $vgpr4
	s_and_saveexec_b64 s[2:3], vcc
	s_xor_b64 s[2:3], exec, s[2:3]
	s_cbranch_execz .LBB142_2818
; %bb.2813:
	s_mov_b32 s10, 0x387fffff
	v_cmp_lt_u32_e32 vcc, s10, v3
                                        ; implicit-def: $vgpr4
	s_and_saveexec_b64 s[10:11], vcc
	s_xor_b64 s[10:11], exec, s[10:11]
; %bb.2814:
	v_bfe_u32 v4, v3, 21, 1
	s_mov_b32 s14, 0x80fffff
	v_add3_u32 v3, v3, v4, s14
	v_lshrrev_b32_e32 v4, 21, v3
                                        ; implicit-def: $vgpr3
; %bb.2815:
	s_andn2_saveexec_b64 s[10:11], s[10:11]
; %bb.2816:
	v_add_f32_e32 v4, 0x43000000, v3
; %bb.2817:
	s_or_b64 exec, exec, s[10:11]
                                        ; implicit-def: $vgpr3
.LBB142_2818:
	s_andn2_saveexec_b64 s[2:3], s[2:3]
; %bb.2819:
	s_mov_b32 s10, 0x7f800000
	v_mov_b32_e32 v4, 0x7c
	v_mov_b32_e32 v5, 0x7f
	v_cmp_lt_u32_e32 vcc, s10, v3
	v_cndmask_b32_e32 v4, v4, v5, vcc
; %bb.2820:
	s_or_b64 exec, exec, s[2:3]
	global_store_byte v[0:1], v4, off
.LBB142_2821:
	s_mov_b64 s[2:3], 0
	s_mov_b64 s[10:11], -1
.LBB142_2822:
	s_andn2_b64 vcc, exec, s[2:3]
	s_mov_b64 s[2:3], 0
	s_cbranch_vccnz .LBB142_2829
; %bb.2823:
	s_cmp_gt_i32 s13, 14
	s_mov_b64 s[14:15], -1
	s_cbranch_scc0 .LBB142_2827
; %bb.2824:
	s_cmp_eq_u32 s13, 15
	s_mov_b64 s[0:1], -1
	s_cbranch_scc0 .LBB142_2826
; %bb.2825:
	v_cndmask_b32_e64 v3, 0, 1.0, s[4:5]
	v_bfe_u32 v4, v3, 16, 1
	s_movk_i32 s0, 0x7fff
	v_add3_u32 v3, v3, v4, s0
	global_store_short_d16_hi v[0:1], v3, off
	s_mov_b64 s[0:1], 0
	s_mov_b64 s[10:11], -1
.LBB142_2826:
	s_mov_b64 s[14:15], 0
.LBB142_2827:
	s_and_b64 vcc, exec, s[14:15]
	s_cbranch_vccz .LBB142_2829
; %bb.2828:
	s_cmp_lg_u32 s13, 11
	s_mov_b64 s[2:3], -1
	s_cselect_b64 s[0:1], -1, 0
.LBB142_2829:
	s_and_b64 vcc, exec, s[0:1]
	s_cbranch_vccnz .LBB142_3195
; %bb.2830:
	s_andn2_b64 vcc, exec, s[2:3]
	s_cbranch_vccnz .LBB142_2832
.LBB142_2831:
	v_cndmask_b32_e64 v3, 0, 1, s[4:5]
	s_mov_b64 s[10:11], -1
	global_store_byte v[0:1], v3, off
.LBB142_2832:
	s_mov_b64 s[0:1], 0
	s_branch .LBB142_2836
.LBB142_2833:
	s_andn2_b64 vcc, exec, s[2:3]
	s_cbranch_vccnz .LBB142_2753
.LBB142_2834:
	v_cmp_lt_f32_e32 vcc, v0, v1
	s_andn2_b64 s[2:3], s[24:25], exec
	s_and_b64 s[10:11], vcc, exec
	s_or_b64 s[24:25], s[2:3], s[10:11]
	s_cbranch_execz .LBB142_2754
	s_branch .LBB142_2755
.LBB142_2835:
	s_mov_b64 s[0:1], -1
	s_mov_b64 s[10:11], 0
.LBB142_2836:
	s_and_b64 vcc, exec, s[0:1]
	s_cbranch_vccz .LBB142_2875
; %bb.2837:
	s_and_b32 s2, 0xffff, s28
	s_cmp_lt_i32 s2, 5
	s_mov_b64 s[0:1], -1
	s_cbranch_scc1 .LBB142_2858
; %bb.2838:
	s_cmp_lt_i32 s2, 8
	s_cbranch_scc1 .LBB142_2848
; %bb.2839:
	s_cmp_lt_i32 s2, 9
	s_cbranch_scc1 .LBB142_2845
; %bb.2840:
	s_cmp_gt_i32 s2, 9
	s_cbranch_scc0 .LBB142_2842
; %bb.2841:
	v_cndmask_b32_e64 v3, 0, 1, s[4:5]
	v_cvt_f64_u32_e32 v[3:4], v3
	v_mov_b32_e32 v5, 0
	v_mov_b32_e32 v6, v5
	s_mov_b64 s[0:1], 0
	global_store_dwordx4 v[0:1], v[3:6], off
.LBB142_2842:
	s_andn2_b64 vcc, exec, s[0:1]
	s_cbranch_vccnz .LBB142_2844
; %bb.2843:
	v_cndmask_b32_e64 v3, 0, 1.0, s[4:5]
	v_mov_b32_e32 v4, 0
	global_store_dwordx2 v[0:1], v[3:4], off
.LBB142_2844:
	s_mov_b64 s[0:1], 0
.LBB142_2845:
	s_andn2_b64 vcc, exec, s[0:1]
	s_cbranch_vccnz .LBB142_2847
; %bb.2846:
	v_cndmask_b32_e64 v3, 0, 1.0, s[4:5]
	v_cvt_f16_f32_e32 v3, v3
	global_store_dword v[0:1], v3, off
.LBB142_2847:
	s_mov_b64 s[0:1], 0
.LBB142_2848:
	s_andn2_b64 vcc, exec, s[0:1]
	s_cbranch_vccnz .LBB142_2857
; %bb.2849:
	s_cmp_lt_i32 s2, 6
	s_mov_b64 s[0:1], -1
	s_cbranch_scc1 .LBB142_2855
; %bb.2850:
	s_cmp_gt_i32 s2, 6
	s_cbranch_scc0 .LBB142_2852
; %bb.2851:
	v_cndmask_b32_e64 v3, 0, 1, s[4:5]
	v_cvt_f64_u32_e32 v[3:4], v3
	s_mov_b64 s[0:1], 0
	global_store_dwordx2 v[0:1], v[3:4], off
.LBB142_2852:
	s_andn2_b64 vcc, exec, s[0:1]
	s_cbranch_vccnz .LBB142_2854
; %bb.2853:
	v_cndmask_b32_e64 v3, 0, 1.0, s[4:5]
	global_store_dword v[0:1], v3, off
.LBB142_2854:
	s_mov_b64 s[0:1], 0
.LBB142_2855:
	s_andn2_b64 vcc, exec, s[0:1]
	s_cbranch_vccnz .LBB142_2857
; %bb.2856:
	v_cndmask_b32_e64 v3, 0, 1.0, s[4:5]
	v_cvt_f16_f32_e32 v3, v3
	global_store_short v[0:1], v3, off
.LBB142_2857:
	s_mov_b64 s[0:1], 0
.LBB142_2858:
	s_andn2_b64 vcc, exec, s[0:1]
	s_cbranch_vccnz .LBB142_2874
; %bb.2859:
	s_cmp_lt_i32 s2, 2
	s_mov_b64 s[0:1], -1
	s_cbranch_scc1 .LBB142_2869
; %bb.2860:
	s_cmp_lt_i32 s2, 3
	s_cbranch_scc1 .LBB142_2866
; %bb.2861:
	s_cmp_gt_i32 s2, 3
	s_cbranch_scc0 .LBB142_2863
; %bb.2862:
	s_mov_b32 s0, 0
	v_cndmask_b32_e64 v3, 0, 1, s[4:5]
	v_mov_b32_e32 v4, s0
	global_store_dwordx2 v[0:1], v[3:4], off
	s_mov_b64 s[0:1], 0
.LBB142_2863:
	s_andn2_b64 vcc, exec, s[0:1]
	s_cbranch_vccnz .LBB142_2865
; %bb.2864:
	v_cndmask_b32_e64 v3, 0, 1, s[4:5]
	global_store_dword v[0:1], v3, off
.LBB142_2865:
	s_mov_b64 s[0:1], 0
.LBB142_2866:
	s_andn2_b64 vcc, exec, s[0:1]
	s_cbranch_vccnz .LBB142_2868
; %bb.2867:
	v_cndmask_b32_e64 v3, 0, 1, s[4:5]
	global_store_short v[0:1], v3, off
.LBB142_2868:
	s_mov_b64 s[0:1], 0
.LBB142_2869:
	s_andn2_b64 vcc, exec, s[0:1]
	s_cbranch_vccnz .LBB142_2874
; %bb.2870:
	s_mov_b64 s[0:1], -1
	s_cmp_gt_i32 s2, 0
	v_cndmask_b32_e64 v3, 0, 1, s[4:5]
	s_cbranch_scc0 .LBB142_2872
; %bb.2871:
	global_store_byte v[0:1], v3, off
	s_mov_b64 s[0:1], 0
.LBB142_2872:
	s_andn2_b64 vcc, exec, s[0:1]
	s_cbranch_vccnz .LBB142_2874
; %bb.2873:
	global_store_byte v[0:1], v3, off
.LBB142_2874:
	s_mov_b64 s[10:11], -1
.LBB142_2875:
	s_andn2_b64 vcc, exec, s[10:11]
	s_cbranch_vccnz .LBB142_3190
; %bb.2876:
	s_lshl_b32 s14, s12, 7
	v_add_u32_e32 v2, s14, v2
	v_ashrrev_i32_e32 v1, 31, v2
	v_mov_b32_e32 v3, s9
	v_add_co_u32_e32 v0, vcc, s8, v2
	s_cmp_lt_i32 s28, 11
	v_addc_co_u32_e32 v1, vcc, v3, v1, vcc
	s_cbranch_scc1 .LBB142_2954
; %bb.2877:
	s_and_b32 s15, 0xffff, s28
	s_mov_b64 s[10:11], -1
	s_mov_b64 s[2:3], 0
	s_cmp_gt_i32 s15, 25
	s_mov_b64 s[4:5], 0
	s_mov_b64 s[0:1], 0
	s_cbranch_scc0 .LBB142_2910
; %bb.2878:
	s_cmp_gt_i32 s15, 28
	s_cbranch_scc0 .LBB142_2893
; %bb.2879:
	s_cmp_gt_i32 s15, 43
	;; [unrolled: 3-line block ×3, first 2 shown]
	s_cbranch_scc0 .LBB142_2883
; %bb.2881:
	s_mov_b64 s[0:1], -1
	s_mov_b64 s[10:11], 0
	s_cmp_eq_u32 s15, 46
	s_cbranch_scc0 .LBB142_2883
; %bb.2882:
	v_cndmask_b32_e64 v3, 0, 1.0, s[20:21]
	v_bfe_u32 v4, v3, 16, 1
	s_movk_i32 s0, 0x7fff
	v_add3_u32 v3, v3, v4, s0
	v_lshrrev_b32_e32 v3, 16, v3
	global_store_dword v[0:1], v3, off
	s_mov_b64 s[0:1], 0
	s_mov_b64 s[4:5], -1
.LBB142_2883:
	s_and_b64 vcc, exec, s[10:11]
	s_cbranch_vccz .LBB142_2888
; %bb.2884:
	s_cmp_eq_u32 s15, 44
	s_mov_b64 s[0:1], -1
	s_cbranch_scc0 .LBB142_2888
; %bb.2885:
	v_cndmask_b32_e64 v4, 0, 1.0, s[20:21]
	v_lshrrev_b32_e32 v3, 23, v4
	s_movk_i32 s0, 0xff
	v_cmp_ne_u32_e32 vcc, s0, v3
	v_mov_b32_e32 v5, 0xff
	s_and_saveexec_b64 s[4:5], vcc
; %bb.2886:
	s_mov_b32 s0, 0x3fffff
	v_and_b32_e32 v5, 0x400000, v4
	v_and_or_b32 v4, v4, s0, v3
	v_cmp_ne_u32_e32 vcc, 0, v5
	v_cmp_ne_u32_e64 s[0:1], 0, v4
	s_and_b64 s[0:1], vcc, s[0:1]
	v_cndmask_b32_e64 v4, 0, 1, s[0:1]
	v_add_u32_e32 v5, v3, v4
; %bb.2887:
	s_or_b64 exec, exec, s[4:5]
	s_mov_b64 s[0:1], 0
	s_mov_b64 s[4:5], -1
	global_store_byte v[0:1], v5, off
.LBB142_2888:
	s_mov_b64 s[10:11], 0
.LBB142_2889:
	s_and_b64 vcc, exec, s[10:11]
	s_cbranch_vccz .LBB142_2892
; %bb.2890:
	s_cmp_eq_u32 s15, 29
	s_mov_b64 s[0:1], -1
	s_cbranch_scc0 .LBB142_2892
; %bb.2891:
	s_mov_b32 s0, 0
	v_cndmask_b32_e64 v3, 0, 1, s[20:21]
	v_mov_b32_e32 v4, s0
	global_store_dwordx2 v[0:1], v[3:4], off
	s_mov_b64 s[0:1], 0
	s_mov_b64 s[4:5], -1
.LBB142_2892:
	s_mov_b64 s[10:11], 0
.LBB142_2893:
	s_and_b64 vcc, exec, s[10:11]
	s_cbranch_vccz .LBB142_2909
; %bb.2894:
	s_cmp_lt_i32 s15, 27
	s_mov_b64 s[4:5], -1
	s_cbranch_scc1 .LBB142_2900
; %bb.2895:
	s_cmp_gt_i32 s15, 27
	s_cbranch_scc0 .LBB142_2897
; %bb.2896:
	v_cndmask_b32_e64 v3, 0, 1, s[20:21]
	s_mov_b64 s[4:5], 0
	global_store_dword v[0:1], v3, off
.LBB142_2897:
	s_andn2_b64 vcc, exec, s[4:5]
	s_cbranch_vccnz .LBB142_2899
; %bb.2898:
	v_cndmask_b32_e64 v3, 0, 1, s[20:21]
	global_store_short v[0:1], v3, off
.LBB142_2899:
	s_mov_b64 s[4:5], 0
.LBB142_2900:
	s_andn2_b64 vcc, exec, s[4:5]
	s_cbranch_vccnz .LBB142_2908
; %bb.2901:
	v_cndmask_b32_e64 v4, 0, 1.0, s[20:21]
	s_mov_b32 s4, 0x43800000
	v_cmp_gt_u32_e32 vcc, s4, v4
	v_mov_b32_e32 v5, 0x80
	s_and_saveexec_b64 s[4:5], vcc
	s_cbranch_execz .LBB142_2907
; %bb.2902:
	s_mov_b32 s10, 0x3bffffff
	v_cmp_lt_u32_e32 vcc, s10, v4
	s_mov_b64 s[10:11], 0
                                        ; implicit-def: $vgpr3
	s_and_saveexec_b64 s[12:13], vcc
	s_xor_b64 s[12:13], exec, s[12:13]
	s_cbranch_execz .LBB142_3198
; %bb.2903:
	v_bfe_u32 v3, v4, 20, 1
	s_mov_b32 s26, 0x487ffff
	v_add3_u32 v3, v4, v3, s26
	s_mov_b64 s[10:11], exec
	v_lshrrev_b32_e32 v3, 20, v3
                                        ; implicit-def: $vgpr4
	s_andn2_saveexec_b64 s[12:13], s[12:13]
	s_cbranch_execnz .LBB142_3199
.LBB142_2904:
	s_or_b64 exec, exec, s[12:13]
	v_mov_b32_e32 v5, 0
	s_and_saveexec_b64 s[12:13], s[10:11]
.LBB142_2905:
	v_mov_b32_e32 v5, v3
.LBB142_2906:
	s_or_b64 exec, exec, s[12:13]
.LBB142_2907:
	s_or_b64 exec, exec, s[4:5]
	global_store_byte v[0:1], v5, off
.LBB142_2908:
	s_mov_b64 s[4:5], -1
.LBB142_2909:
	s_mov_b64 s[10:11], 0
.LBB142_2910:
	s_and_b64 vcc, exec, s[10:11]
	s_cbranch_vccz .LBB142_2950
; %bb.2911:
	s_cmp_gt_i32 s15, 22
	s_mov_b64 s[2:3], -1
	s_cbranch_scc0 .LBB142_2943
; %bb.2912:
	s_cmp_lt_i32 s15, 24
	s_cbranch_scc1 .LBB142_2932
; %bb.2913:
	s_cmp_gt_i32 s15, 24
	s_cbranch_scc0 .LBB142_2921
; %bb.2914:
	v_cndmask_b32_e64 v4, 0, 1.0, s[20:21]
	s_mov_b32 s2, 0x47800000
	v_cmp_gt_u32_e32 vcc, s2, v4
	v_mov_b32_e32 v5, 0x80
	s_and_saveexec_b64 s[2:3], vcc
	s_cbranch_execz .LBB142_2920
; %bb.2915:
	s_mov_b32 s4, 0x37ffffff
	v_cmp_lt_u32_e32 vcc, s4, v4
	s_mov_b64 s[4:5], 0
                                        ; implicit-def: $vgpr3
	s_and_saveexec_b64 s[10:11], vcc
	s_xor_b64 s[10:11], exec, s[10:11]
	s_cbranch_execz .LBB142_3201
; %bb.2916:
	v_bfe_u32 v3, v4, 21, 1
	s_mov_b32 s12, 0x88fffff
	v_add3_u32 v3, v4, v3, s12
	s_mov_b64 s[4:5], exec
	v_lshrrev_b32_e32 v3, 21, v3
                                        ; implicit-def: $vgpr4
	s_andn2_saveexec_b64 s[10:11], s[10:11]
	s_cbranch_execnz .LBB142_3202
.LBB142_2917:
	s_or_b64 exec, exec, s[10:11]
	v_mov_b32_e32 v5, 0
	s_and_saveexec_b64 s[10:11], s[4:5]
.LBB142_2918:
	v_mov_b32_e32 v5, v3
.LBB142_2919:
	s_or_b64 exec, exec, s[10:11]
.LBB142_2920:
	s_or_b64 exec, exec, s[2:3]
	s_mov_b64 s[2:3], 0
	global_store_byte v[0:1], v5, off
.LBB142_2921:
	s_and_b64 vcc, exec, s[2:3]
	s_cbranch_vccz .LBB142_2931
; %bb.2922:
	v_cndmask_b32_e64 v3, 0, 1.0, s[20:21]
	s_mov_b32 s2, 0x43f00000
	v_cmp_gt_u32_e32 vcc, s2, v3
                                        ; implicit-def: $vgpr4
	s_and_saveexec_b64 s[2:3], vcc
	s_xor_b64 s[2:3], exec, s[2:3]
	s_cbranch_execz .LBB142_2928
; %bb.2923:
	s_mov_b32 s4, 0x3c7fffff
	v_cmp_lt_u32_e32 vcc, s4, v3
                                        ; implicit-def: $vgpr4
	s_and_saveexec_b64 s[4:5], vcc
	s_xor_b64 s[4:5], exec, s[4:5]
; %bb.2924:
	v_bfe_u32 v4, v3, 20, 1
	s_mov_b32 s10, 0x407ffff
	v_add3_u32 v3, v3, v4, s10
	v_lshrrev_b32_e32 v4, 20, v3
	v_and_b32_e32 v3, 0xff00000, v3
	s_mov_b32 s10, 0x7f00000
	v_mov_b32_e32 v5, 0x7e
	v_cmp_ne_u32_e32 vcc, s10, v3
	v_cndmask_b32_e32 v4, v5, v4, vcc
                                        ; implicit-def: $vgpr3
; %bb.2925:
	s_andn2_saveexec_b64 s[4:5], s[4:5]
; %bb.2926:
	v_add_f32_e32 v4, 0x46800000, v3
; %bb.2927:
	s_or_b64 exec, exec, s[4:5]
                                        ; implicit-def: $vgpr3
.LBB142_2928:
	s_andn2_saveexec_b64 s[2:3], s[2:3]
; %bb.2929:
	s_mov_b32 s4, 0x7f800000
	v_mov_b32_e32 v4, 0x7e
	v_mov_b32_e32 v5, 0x7f
	v_cmp_lt_u32_e32 vcc, s4, v3
	v_cndmask_b32_e32 v4, v4, v5, vcc
; %bb.2930:
	s_or_b64 exec, exec, s[2:3]
	global_store_byte v[0:1], v4, off
.LBB142_2931:
	s_mov_b64 s[2:3], 0
.LBB142_2932:
	s_andn2_b64 vcc, exec, s[2:3]
	s_cbranch_vccnz .LBB142_2942
; %bb.2933:
	v_cndmask_b32_e64 v3, 0, 1.0, s[20:21]
	s_mov_b32 s2, 0x47800000
	v_cmp_gt_u32_e32 vcc, s2, v3
                                        ; implicit-def: $vgpr4
	s_and_saveexec_b64 s[2:3], vcc
	s_xor_b64 s[2:3], exec, s[2:3]
	s_cbranch_execz .LBB142_2939
; %bb.2934:
	s_mov_b32 s4, 0x387fffff
	v_cmp_lt_u32_e32 vcc, s4, v3
                                        ; implicit-def: $vgpr4
	s_and_saveexec_b64 s[4:5], vcc
	s_xor_b64 s[4:5], exec, s[4:5]
; %bb.2935:
	v_bfe_u32 v4, v3, 21, 1
	s_mov_b32 s10, 0x80fffff
	v_add3_u32 v3, v3, v4, s10
	v_lshrrev_b32_e32 v4, 21, v3
                                        ; implicit-def: $vgpr3
; %bb.2936:
	s_andn2_saveexec_b64 s[4:5], s[4:5]
; %bb.2937:
	v_add_f32_e32 v4, 0x43000000, v3
; %bb.2938:
	s_or_b64 exec, exec, s[4:5]
                                        ; implicit-def: $vgpr3
.LBB142_2939:
	s_andn2_saveexec_b64 s[2:3], s[2:3]
; %bb.2940:
	s_mov_b32 s4, 0x7f800000
	v_mov_b32_e32 v4, 0x7c
	v_mov_b32_e32 v5, 0x7f
	v_cmp_lt_u32_e32 vcc, s4, v3
	v_cndmask_b32_e32 v4, v4, v5, vcc
; %bb.2941:
	s_or_b64 exec, exec, s[2:3]
	global_store_byte v[0:1], v4, off
.LBB142_2942:
	s_mov_b64 s[2:3], 0
	s_mov_b64 s[4:5], -1
.LBB142_2943:
	s_andn2_b64 vcc, exec, s[2:3]
	s_mov_b64 s[2:3], 0
	s_cbranch_vccnz .LBB142_2950
; %bb.2944:
	s_cmp_gt_i32 s15, 14
	s_mov_b64 s[10:11], -1
	s_cbranch_scc0 .LBB142_2948
; %bb.2945:
	s_cmp_eq_u32 s15, 15
	s_mov_b64 s[0:1], -1
	s_cbranch_scc0 .LBB142_2947
; %bb.2946:
	v_cndmask_b32_e64 v3, 0, 1.0, s[20:21]
	v_bfe_u32 v4, v3, 16, 1
	s_movk_i32 s0, 0x7fff
	v_add3_u32 v3, v3, v4, s0
	global_store_short_d16_hi v[0:1], v3, off
	s_mov_b64 s[0:1], 0
	s_mov_b64 s[4:5], -1
.LBB142_2947:
	s_mov_b64 s[10:11], 0
.LBB142_2948:
	s_and_b64 vcc, exec, s[10:11]
	s_cbranch_vccz .LBB142_2950
; %bb.2949:
	s_cmp_lg_u32 s15, 11
	s_mov_b64 s[2:3], -1
	s_cselect_b64 s[0:1], -1, 0
.LBB142_2950:
	s_and_b64 vcc, exec, s[0:1]
	s_cbranch_vccnz .LBB142_3200
; %bb.2951:
	s_andn2_b64 vcc, exec, s[2:3]
	s_cbranch_vccnz .LBB142_2953
.LBB142_2952:
	v_cndmask_b32_e64 v3, 0, 1, s[20:21]
	s_mov_b64 s[4:5], -1
	global_store_byte v[0:1], v3, off
.LBB142_2953:
	s_mov_b64 s[0:1], 0
	s_branch .LBB142_2955
.LBB142_2954:
	s_mov_b64 s[0:1], -1
	s_mov_b64 s[4:5], 0
.LBB142_2955:
	s_and_b64 vcc, exec, s[0:1]
	s_cbranch_vccz .LBB142_2994
; %bb.2956:
	s_and_b32 s2, 0xffff, s28
	s_cmp_lt_i32 s2, 5
	s_mov_b64 s[0:1], -1
	s_cbranch_scc1 .LBB142_2977
; %bb.2957:
	s_cmp_lt_i32 s2, 8
	s_cbranch_scc1 .LBB142_2967
; %bb.2958:
	s_cmp_lt_i32 s2, 9
	s_cbranch_scc1 .LBB142_2964
; %bb.2959:
	s_cmp_gt_i32 s2, 9
	s_cbranch_scc0 .LBB142_2961
; %bb.2960:
	v_cndmask_b32_e64 v3, 0, 1, s[20:21]
	v_cvt_f64_u32_e32 v[3:4], v3
	v_mov_b32_e32 v5, 0
	v_mov_b32_e32 v6, v5
	s_mov_b64 s[0:1], 0
	global_store_dwordx4 v[0:1], v[3:6], off
.LBB142_2961:
	s_andn2_b64 vcc, exec, s[0:1]
	s_cbranch_vccnz .LBB142_2963
; %bb.2962:
	v_cndmask_b32_e64 v3, 0, 1.0, s[20:21]
	v_mov_b32_e32 v4, 0
	global_store_dwordx2 v[0:1], v[3:4], off
.LBB142_2963:
	s_mov_b64 s[0:1], 0
.LBB142_2964:
	s_andn2_b64 vcc, exec, s[0:1]
	s_cbranch_vccnz .LBB142_2966
; %bb.2965:
	v_cndmask_b32_e64 v3, 0, 1.0, s[20:21]
	v_cvt_f16_f32_e32 v3, v3
	global_store_dword v[0:1], v3, off
.LBB142_2966:
	s_mov_b64 s[0:1], 0
.LBB142_2967:
	s_andn2_b64 vcc, exec, s[0:1]
	s_cbranch_vccnz .LBB142_2976
; %bb.2968:
	s_cmp_lt_i32 s2, 6
	s_mov_b64 s[0:1], -1
	s_cbranch_scc1 .LBB142_2974
; %bb.2969:
	s_cmp_gt_i32 s2, 6
	s_cbranch_scc0 .LBB142_2971
; %bb.2970:
	v_cndmask_b32_e64 v3, 0, 1, s[20:21]
	v_cvt_f64_u32_e32 v[3:4], v3
	s_mov_b64 s[0:1], 0
	global_store_dwordx2 v[0:1], v[3:4], off
.LBB142_2971:
	s_andn2_b64 vcc, exec, s[0:1]
	s_cbranch_vccnz .LBB142_2973
; %bb.2972:
	v_cndmask_b32_e64 v3, 0, 1.0, s[20:21]
	global_store_dword v[0:1], v3, off
.LBB142_2973:
	s_mov_b64 s[0:1], 0
.LBB142_2974:
	s_andn2_b64 vcc, exec, s[0:1]
	s_cbranch_vccnz .LBB142_2976
; %bb.2975:
	v_cndmask_b32_e64 v3, 0, 1.0, s[20:21]
	v_cvt_f16_f32_e32 v3, v3
	global_store_short v[0:1], v3, off
.LBB142_2976:
	s_mov_b64 s[0:1], 0
.LBB142_2977:
	s_andn2_b64 vcc, exec, s[0:1]
	s_cbranch_vccnz .LBB142_2993
; %bb.2978:
	s_cmp_lt_i32 s2, 2
	s_mov_b64 s[0:1], -1
	s_cbranch_scc1 .LBB142_2988
; %bb.2979:
	s_cmp_lt_i32 s2, 3
	s_cbranch_scc1 .LBB142_2985
; %bb.2980:
	s_cmp_gt_i32 s2, 3
	s_cbranch_scc0 .LBB142_2982
; %bb.2981:
	s_mov_b32 s0, 0
	v_cndmask_b32_e64 v3, 0, 1, s[20:21]
	v_mov_b32_e32 v4, s0
	global_store_dwordx2 v[0:1], v[3:4], off
	s_mov_b64 s[0:1], 0
.LBB142_2982:
	s_andn2_b64 vcc, exec, s[0:1]
	s_cbranch_vccnz .LBB142_2984
; %bb.2983:
	v_cndmask_b32_e64 v3, 0, 1, s[20:21]
	global_store_dword v[0:1], v3, off
.LBB142_2984:
	s_mov_b64 s[0:1], 0
.LBB142_2985:
	s_andn2_b64 vcc, exec, s[0:1]
	s_cbranch_vccnz .LBB142_2987
; %bb.2986:
	v_cndmask_b32_e64 v3, 0, 1, s[20:21]
	global_store_short v[0:1], v3, off
.LBB142_2987:
	s_mov_b64 s[0:1], 0
.LBB142_2988:
	s_andn2_b64 vcc, exec, s[0:1]
	s_cbranch_vccnz .LBB142_2993
; %bb.2989:
	s_mov_b64 s[0:1], -1
	s_cmp_gt_i32 s2, 0
	v_cndmask_b32_e64 v3, 0, 1, s[20:21]
	s_cbranch_scc0 .LBB142_2991
; %bb.2990:
	global_store_byte v[0:1], v3, off
	s_mov_b64 s[0:1], 0
.LBB142_2991:
	s_andn2_b64 vcc, exec, s[0:1]
	s_cbranch_vccnz .LBB142_2993
; %bb.2992:
	global_store_byte v[0:1], v3, off
.LBB142_2993:
	s_mov_b64 s[4:5], -1
.LBB142_2994:
	s_andn2_b64 vcc, exec, s[4:5]
	s_cbranch_vccnz .LBB142_3190
; %bb.2995:
	v_add_u32_e32 v2, s14, v2
	v_ashrrev_i32_e32 v1, 31, v2
	v_mov_b32_e32 v3, s9
	v_add_co_u32_e32 v0, vcc, s8, v2
	s_cmp_lt_i32 s28, 11
	v_addc_co_u32_e32 v1, vcc, v3, v1, vcc
	s_cbranch_scc1 .LBB142_3073
; %bb.2996:
	s_and_b32 s15, 0xffff, s28
	s_mov_b64 s[10:11], -1
	s_mov_b64 s[2:3], 0
	s_cmp_gt_i32 s15, 25
	s_mov_b64 s[4:5], 0
	s_mov_b64 s[0:1], 0
	s_cbranch_scc0 .LBB142_3029
; %bb.2997:
	s_cmp_gt_i32 s15, 28
	s_cbranch_scc0 .LBB142_3012
; %bb.2998:
	s_cmp_gt_i32 s15, 43
	;; [unrolled: 3-line block ×3, first 2 shown]
	s_cbranch_scc0 .LBB142_3002
; %bb.3000:
	s_mov_b64 s[0:1], -1
	s_mov_b64 s[10:11], 0
	s_cmp_eq_u32 s15, 46
	s_cbranch_scc0 .LBB142_3002
; %bb.3001:
	v_cndmask_b32_e64 v3, 0, 1.0, s[22:23]
	v_bfe_u32 v4, v3, 16, 1
	s_movk_i32 s0, 0x7fff
	v_add3_u32 v3, v3, v4, s0
	v_lshrrev_b32_e32 v3, 16, v3
	global_store_dword v[0:1], v3, off
	s_mov_b64 s[0:1], 0
	s_mov_b64 s[4:5], -1
.LBB142_3002:
	s_and_b64 vcc, exec, s[10:11]
	s_cbranch_vccz .LBB142_3007
; %bb.3003:
	s_cmp_eq_u32 s15, 44
	s_mov_b64 s[0:1], -1
	s_cbranch_scc0 .LBB142_3007
; %bb.3004:
	v_cndmask_b32_e64 v4, 0, 1.0, s[22:23]
	v_lshrrev_b32_e32 v3, 23, v4
	s_movk_i32 s0, 0xff
	v_cmp_ne_u32_e32 vcc, s0, v3
	v_mov_b32_e32 v5, 0xff
	s_and_saveexec_b64 s[4:5], vcc
; %bb.3005:
	s_mov_b32 s0, 0x3fffff
	v_and_b32_e32 v5, 0x400000, v4
	v_and_or_b32 v4, v4, s0, v3
	v_cmp_ne_u32_e32 vcc, 0, v5
	v_cmp_ne_u32_e64 s[0:1], 0, v4
	s_and_b64 s[0:1], vcc, s[0:1]
	v_cndmask_b32_e64 v4, 0, 1, s[0:1]
	v_add_u32_e32 v5, v3, v4
; %bb.3006:
	s_or_b64 exec, exec, s[4:5]
	s_mov_b64 s[0:1], 0
	s_mov_b64 s[4:5], -1
	global_store_byte v[0:1], v5, off
.LBB142_3007:
	s_mov_b64 s[10:11], 0
.LBB142_3008:
	s_and_b64 vcc, exec, s[10:11]
	s_cbranch_vccz .LBB142_3011
; %bb.3009:
	s_cmp_eq_u32 s15, 29
	s_mov_b64 s[0:1], -1
	s_cbranch_scc0 .LBB142_3011
; %bb.3010:
	s_mov_b32 s0, 0
	v_cndmask_b32_e64 v3, 0, 1, s[22:23]
	v_mov_b32_e32 v4, s0
	global_store_dwordx2 v[0:1], v[3:4], off
	s_mov_b64 s[0:1], 0
	s_mov_b64 s[4:5], -1
.LBB142_3011:
	s_mov_b64 s[10:11], 0
.LBB142_3012:
	s_and_b64 vcc, exec, s[10:11]
	s_cbranch_vccz .LBB142_3028
; %bb.3013:
	s_cmp_lt_i32 s15, 27
	s_mov_b64 s[4:5], -1
	s_cbranch_scc1 .LBB142_3019
; %bb.3014:
	s_cmp_gt_i32 s15, 27
	s_cbranch_scc0 .LBB142_3016
; %bb.3015:
	v_cndmask_b32_e64 v3, 0, 1, s[22:23]
	s_mov_b64 s[4:5], 0
	global_store_dword v[0:1], v3, off
.LBB142_3016:
	s_andn2_b64 vcc, exec, s[4:5]
	s_cbranch_vccnz .LBB142_3018
; %bb.3017:
	v_cndmask_b32_e64 v3, 0, 1, s[22:23]
	global_store_short v[0:1], v3, off
.LBB142_3018:
	s_mov_b64 s[4:5], 0
.LBB142_3019:
	s_andn2_b64 vcc, exec, s[4:5]
	s_cbranch_vccnz .LBB142_3027
; %bb.3020:
	v_cndmask_b32_e64 v4, 0, 1.0, s[22:23]
	s_mov_b32 s4, 0x43800000
	v_cmp_gt_u32_e32 vcc, s4, v4
	v_mov_b32_e32 v5, 0x80
	s_and_saveexec_b64 s[4:5], vcc
	s_cbranch_execz .LBB142_3026
; %bb.3021:
	s_mov_b32 s10, 0x3bffffff
	v_cmp_lt_u32_e32 vcc, s10, v4
	s_mov_b64 s[10:11], 0
                                        ; implicit-def: $vgpr3
	s_and_saveexec_b64 s[12:13], vcc
	s_xor_b64 s[12:13], exec, s[12:13]
	s_cbranch_execz .LBB142_3203
; %bb.3022:
	v_bfe_u32 v3, v4, 20, 1
	s_mov_b32 s20, 0x487ffff
	v_add3_u32 v3, v4, v3, s20
	s_mov_b64 s[10:11], exec
	v_lshrrev_b32_e32 v3, 20, v3
                                        ; implicit-def: $vgpr4
	s_andn2_saveexec_b64 s[12:13], s[12:13]
	s_cbranch_execnz .LBB142_3204
.LBB142_3023:
	s_or_b64 exec, exec, s[12:13]
	v_mov_b32_e32 v5, 0
	s_and_saveexec_b64 s[12:13], s[10:11]
.LBB142_3024:
	v_mov_b32_e32 v5, v3
.LBB142_3025:
	s_or_b64 exec, exec, s[12:13]
.LBB142_3026:
	s_or_b64 exec, exec, s[4:5]
	global_store_byte v[0:1], v5, off
.LBB142_3027:
	s_mov_b64 s[4:5], -1
.LBB142_3028:
	s_mov_b64 s[10:11], 0
.LBB142_3029:
	s_and_b64 vcc, exec, s[10:11]
	s_cbranch_vccz .LBB142_3069
; %bb.3030:
	s_cmp_gt_i32 s15, 22
	s_mov_b64 s[2:3], -1
	s_cbranch_scc0 .LBB142_3062
; %bb.3031:
	s_cmp_lt_i32 s15, 24
	s_cbranch_scc1 .LBB142_3051
; %bb.3032:
	s_cmp_gt_i32 s15, 24
	s_cbranch_scc0 .LBB142_3040
; %bb.3033:
	v_cndmask_b32_e64 v4, 0, 1.0, s[22:23]
	s_mov_b32 s2, 0x47800000
	v_cmp_gt_u32_e32 vcc, s2, v4
	v_mov_b32_e32 v5, 0x80
	s_and_saveexec_b64 s[2:3], vcc
	s_cbranch_execz .LBB142_3039
; %bb.3034:
	s_mov_b32 s4, 0x37ffffff
	v_cmp_lt_u32_e32 vcc, s4, v4
	s_mov_b64 s[4:5], 0
                                        ; implicit-def: $vgpr3
	s_and_saveexec_b64 s[10:11], vcc
	s_xor_b64 s[10:11], exec, s[10:11]
	s_cbranch_execz .LBB142_3206
; %bb.3035:
	v_bfe_u32 v3, v4, 21, 1
	s_mov_b32 s12, 0x88fffff
	v_add3_u32 v3, v4, v3, s12
	s_mov_b64 s[4:5], exec
	v_lshrrev_b32_e32 v3, 21, v3
                                        ; implicit-def: $vgpr4
	s_andn2_saveexec_b64 s[10:11], s[10:11]
	s_cbranch_execnz .LBB142_3207
.LBB142_3036:
	s_or_b64 exec, exec, s[10:11]
	v_mov_b32_e32 v5, 0
	s_and_saveexec_b64 s[10:11], s[4:5]
.LBB142_3037:
	v_mov_b32_e32 v5, v3
.LBB142_3038:
	s_or_b64 exec, exec, s[10:11]
.LBB142_3039:
	s_or_b64 exec, exec, s[2:3]
	s_mov_b64 s[2:3], 0
	global_store_byte v[0:1], v5, off
.LBB142_3040:
	s_and_b64 vcc, exec, s[2:3]
	s_cbranch_vccz .LBB142_3050
; %bb.3041:
	v_cndmask_b32_e64 v3, 0, 1.0, s[22:23]
	s_mov_b32 s2, 0x43f00000
	v_cmp_gt_u32_e32 vcc, s2, v3
                                        ; implicit-def: $vgpr4
	s_and_saveexec_b64 s[2:3], vcc
	s_xor_b64 s[2:3], exec, s[2:3]
	s_cbranch_execz .LBB142_3047
; %bb.3042:
	s_mov_b32 s4, 0x3c7fffff
	v_cmp_lt_u32_e32 vcc, s4, v3
                                        ; implicit-def: $vgpr4
	s_and_saveexec_b64 s[4:5], vcc
	s_xor_b64 s[4:5], exec, s[4:5]
; %bb.3043:
	v_bfe_u32 v4, v3, 20, 1
	s_mov_b32 s10, 0x407ffff
	v_add3_u32 v3, v3, v4, s10
	v_lshrrev_b32_e32 v4, 20, v3
	v_and_b32_e32 v3, 0xff00000, v3
	s_mov_b32 s10, 0x7f00000
	v_mov_b32_e32 v5, 0x7e
	v_cmp_ne_u32_e32 vcc, s10, v3
	v_cndmask_b32_e32 v4, v5, v4, vcc
                                        ; implicit-def: $vgpr3
; %bb.3044:
	s_andn2_saveexec_b64 s[4:5], s[4:5]
; %bb.3045:
	v_add_f32_e32 v4, 0x46800000, v3
; %bb.3046:
	s_or_b64 exec, exec, s[4:5]
                                        ; implicit-def: $vgpr3
.LBB142_3047:
	s_andn2_saveexec_b64 s[2:3], s[2:3]
; %bb.3048:
	s_mov_b32 s4, 0x7f800000
	v_mov_b32_e32 v4, 0x7e
	v_mov_b32_e32 v5, 0x7f
	v_cmp_lt_u32_e32 vcc, s4, v3
	v_cndmask_b32_e32 v4, v4, v5, vcc
; %bb.3049:
	s_or_b64 exec, exec, s[2:3]
	global_store_byte v[0:1], v4, off
.LBB142_3050:
	s_mov_b64 s[2:3], 0
.LBB142_3051:
	s_andn2_b64 vcc, exec, s[2:3]
	s_cbranch_vccnz .LBB142_3061
; %bb.3052:
	v_cndmask_b32_e64 v3, 0, 1.0, s[22:23]
	s_mov_b32 s2, 0x47800000
	v_cmp_gt_u32_e32 vcc, s2, v3
                                        ; implicit-def: $vgpr4
	s_and_saveexec_b64 s[2:3], vcc
	s_xor_b64 s[2:3], exec, s[2:3]
	s_cbranch_execz .LBB142_3058
; %bb.3053:
	s_mov_b32 s4, 0x387fffff
	v_cmp_lt_u32_e32 vcc, s4, v3
                                        ; implicit-def: $vgpr4
	s_and_saveexec_b64 s[4:5], vcc
	s_xor_b64 s[4:5], exec, s[4:5]
; %bb.3054:
	v_bfe_u32 v4, v3, 21, 1
	s_mov_b32 s10, 0x80fffff
	v_add3_u32 v3, v3, v4, s10
	v_lshrrev_b32_e32 v4, 21, v3
                                        ; implicit-def: $vgpr3
; %bb.3055:
	s_andn2_saveexec_b64 s[4:5], s[4:5]
; %bb.3056:
	v_add_f32_e32 v4, 0x43000000, v3
; %bb.3057:
	s_or_b64 exec, exec, s[4:5]
                                        ; implicit-def: $vgpr3
.LBB142_3058:
	s_andn2_saveexec_b64 s[2:3], s[2:3]
; %bb.3059:
	s_mov_b32 s4, 0x7f800000
	v_mov_b32_e32 v4, 0x7c
	v_mov_b32_e32 v5, 0x7f
	v_cmp_lt_u32_e32 vcc, s4, v3
	v_cndmask_b32_e32 v4, v4, v5, vcc
; %bb.3060:
	s_or_b64 exec, exec, s[2:3]
	global_store_byte v[0:1], v4, off
.LBB142_3061:
	s_mov_b64 s[2:3], 0
	s_mov_b64 s[4:5], -1
.LBB142_3062:
	s_andn2_b64 vcc, exec, s[2:3]
	s_mov_b64 s[2:3], 0
	s_cbranch_vccnz .LBB142_3069
; %bb.3063:
	s_cmp_gt_i32 s15, 14
	s_mov_b64 s[10:11], -1
	s_cbranch_scc0 .LBB142_3067
; %bb.3064:
	s_cmp_eq_u32 s15, 15
	s_mov_b64 s[0:1], -1
	s_cbranch_scc0 .LBB142_3066
; %bb.3065:
	v_cndmask_b32_e64 v3, 0, 1.0, s[22:23]
	v_bfe_u32 v4, v3, 16, 1
	s_movk_i32 s0, 0x7fff
	v_add3_u32 v3, v3, v4, s0
	global_store_short_d16_hi v[0:1], v3, off
	s_mov_b64 s[0:1], 0
	s_mov_b64 s[4:5], -1
.LBB142_3066:
	s_mov_b64 s[10:11], 0
.LBB142_3067:
	s_and_b64 vcc, exec, s[10:11]
	s_cbranch_vccz .LBB142_3069
; %bb.3068:
	s_cmp_lg_u32 s15, 11
	s_mov_b64 s[2:3], -1
	s_cselect_b64 s[0:1], -1, 0
.LBB142_3069:
	s_and_b64 vcc, exec, s[0:1]
	s_cbranch_vccnz .LBB142_3205
; %bb.3070:
	s_andn2_b64 vcc, exec, s[2:3]
	s_cbranch_vccnz .LBB142_3072
.LBB142_3071:
	v_cndmask_b32_e64 v3, 0, 1, s[22:23]
	s_mov_b64 s[4:5], -1
	global_store_byte v[0:1], v3, off
.LBB142_3072:
	s_mov_b64 s[0:1], 0
	s_branch .LBB142_3074
.LBB142_3073:
	s_mov_b64 s[0:1], -1
	s_mov_b64 s[4:5], 0
.LBB142_3074:
	s_and_b64 vcc, exec, s[0:1]
	s_cbranch_vccz .LBB142_3113
; %bb.3075:
	s_and_b32 s2, 0xffff, s28
	s_cmp_lt_i32 s2, 5
	s_mov_b64 s[0:1], -1
	s_cbranch_scc1 .LBB142_3096
; %bb.3076:
	s_cmp_lt_i32 s2, 8
	s_cbranch_scc1 .LBB142_3086
; %bb.3077:
	s_cmp_lt_i32 s2, 9
	s_cbranch_scc1 .LBB142_3083
; %bb.3078:
	s_cmp_gt_i32 s2, 9
	s_cbranch_scc0 .LBB142_3080
; %bb.3079:
	v_cndmask_b32_e64 v3, 0, 1, s[22:23]
	v_cvt_f64_u32_e32 v[3:4], v3
	v_mov_b32_e32 v5, 0
	v_mov_b32_e32 v6, v5
	s_mov_b64 s[0:1], 0
	global_store_dwordx4 v[0:1], v[3:6], off
.LBB142_3080:
	s_andn2_b64 vcc, exec, s[0:1]
	s_cbranch_vccnz .LBB142_3082
; %bb.3081:
	v_cndmask_b32_e64 v3, 0, 1.0, s[22:23]
	v_mov_b32_e32 v4, 0
	global_store_dwordx2 v[0:1], v[3:4], off
.LBB142_3082:
	s_mov_b64 s[0:1], 0
.LBB142_3083:
	s_andn2_b64 vcc, exec, s[0:1]
	s_cbranch_vccnz .LBB142_3085
; %bb.3084:
	v_cndmask_b32_e64 v3, 0, 1.0, s[22:23]
	v_cvt_f16_f32_e32 v3, v3
	global_store_dword v[0:1], v3, off
.LBB142_3085:
	s_mov_b64 s[0:1], 0
.LBB142_3086:
	s_andn2_b64 vcc, exec, s[0:1]
	s_cbranch_vccnz .LBB142_3095
; %bb.3087:
	s_cmp_lt_i32 s2, 6
	s_mov_b64 s[0:1], -1
	s_cbranch_scc1 .LBB142_3093
; %bb.3088:
	s_cmp_gt_i32 s2, 6
	s_cbranch_scc0 .LBB142_3090
; %bb.3089:
	v_cndmask_b32_e64 v3, 0, 1, s[22:23]
	v_cvt_f64_u32_e32 v[3:4], v3
	s_mov_b64 s[0:1], 0
	global_store_dwordx2 v[0:1], v[3:4], off
.LBB142_3090:
	s_andn2_b64 vcc, exec, s[0:1]
	s_cbranch_vccnz .LBB142_3092
; %bb.3091:
	v_cndmask_b32_e64 v3, 0, 1.0, s[22:23]
	global_store_dword v[0:1], v3, off
.LBB142_3092:
	s_mov_b64 s[0:1], 0
.LBB142_3093:
	s_andn2_b64 vcc, exec, s[0:1]
	s_cbranch_vccnz .LBB142_3095
; %bb.3094:
	v_cndmask_b32_e64 v3, 0, 1.0, s[22:23]
	v_cvt_f16_f32_e32 v3, v3
	global_store_short v[0:1], v3, off
.LBB142_3095:
	s_mov_b64 s[0:1], 0
.LBB142_3096:
	s_andn2_b64 vcc, exec, s[0:1]
	s_cbranch_vccnz .LBB142_3112
; %bb.3097:
	s_cmp_lt_i32 s2, 2
	s_mov_b64 s[0:1], -1
	s_cbranch_scc1 .LBB142_3107
; %bb.3098:
	s_cmp_lt_i32 s2, 3
	s_cbranch_scc1 .LBB142_3104
; %bb.3099:
	s_cmp_gt_i32 s2, 3
	s_cbranch_scc0 .LBB142_3101
; %bb.3100:
	s_mov_b32 s0, 0
	v_cndmask_b32_e64 v3, 0, 1, s[22:23]
	v_mov_b32_e32 v4, s0
	global_store_dwordx2 v[0:1], v[3:4], off
	s_mov_b64 s[0:1], 0
.LBB142_3101:
	s_andn2_b64 vcc, exec, s[0:1]
	s_cbranch_vccnz .LBB142_3103
; %bb.3102:
	v_cndmask_b32_e64 v3, 0, 1, s[22:23]
	global_store_dword v[0:1], v3, off
.LBB142_3103:
	s_mov_b64 s[0:1], 0
.LBB142_3104:
	s_andn2_b64 vcc, exec, s[0:1]
	s_cbranch_vccnz .LBB142_3106
; %bb.3105:
	v_cndmask_b32_e64 v3, 0, 1, s[22:23]
	global_store_short v[0:1], v3, off
.LBB142_3106:
	s_mov_b64 s[0:1], 0
.LBB142_3107:
	s_andn2_b64 vcc, exec, s[0:1]
	s_cbranch_vccnz .LBB142_3112
; %bb.3108:
	s_mov_b64 s[0:1], -1
	s_cmp_gt_i32 s2, 0
	v_cndmask_b32_e64 v3, 0, 1, s[22:23]
	s_cbranch_scc0 .LBB142_3110
; %bb.3109:
	global_store_byte v[0:1], v3, off
	s_mov_b64 s[0:1], 0
.LBB142_3110:
	s_andn2_b64 vcc, exec, s[0:1]
	s_cbranch_vccnz .LBB142_3112
; %bb.3111:
	global_store_byte v[0:1], v3, off
.LBB142_3112:
	s_mov_b64 s[4:5], -1
.LBB142_3113:
	s_andn2_b64 vcc, exec, s[4:5]
	s_cbranch_vccnz .LBB142_3190
; %bb.3114:
	v_add_u32_e32 v0, s14, v2
	v_ashrrev_i32_e32 v1, 31, v0
	v_mov_b32_e32 v2, s9
	v_add_co_u32_e32 v0, vcc, s8, v0
	s_cmp_lt_i32 s28, 11
	v_addc_co_u32_e32 v1, vcc, v2, v1, vcc
	s_cbranch_scc1 .LBB142_3191
; %bb.3115:
	s_and_b32 s12, 0xffff, s28
	s_mov_b64 s[4:5], -1
	s_mov_b64 s[2:3], 0
	s_cmp_gt_i32 s12, 25
	s_mov_b64 s[0:1], 0
	s_cbranch_scc0 .LBB142_3148
; %bb.3116:
	s_cmp_gt_i32 s12, 28
	s_cbranch_scc0 .LBB142_3132
; %bb.3117:
	s_cmp_gt_i32 s12, 43
	s_cbranch_scc0 .LBB142_3128
; %bb.3118:
	s_cmp_gt_i32 s12, 45
	s_cbranch_scc0 .LBB142_3122
; %bb.3119:
	s_cmp_eq_u32 s12, 46
	s_mov_b64 s[0:1], -1
	s_cbranch_scc0 .LBB142_3121
; %bb.3120:
	v_cndmask_b32_e64 v2, 0, 1.0, s[24:25]
	v_bfe_u32 v3, v2, 16, 1
	s_movk_i32 s0, 0x7fff
	v_add3_u32 v2, v2, v3, s0
	v_lshrrev_b32_e32 v2, 16, v2
	global_store_dword v[0:1], v2, off
	s_mov_b64 s[0:1], 0
.LBB142_3121:
	s_mov_b64 s[4:5], 0
.LBB142_3122:
	s_and_b64 vcc, exec, s[4:5]
	s_cbranch_vccz .LBB142_3127
; %bb.3123:
	s_cmp_eq_u32 s12, 44
	s_mov_b64 s[0:1], -1
	s_cbranch_scc0 .LBB142_3127
; %bb.3124:
	v_cndmask_b32_e64 v3, 0, 1.0, s[24:25]
	v_lshrrev_b32_e32 v2, 23, v3
	s_movk_i32 s0, 0xff
	v_cmp_ne_u32_e32 vcc, s0, v2
	v_mov_b32_e32 v4, 0xff
	s_and_saveexec_b64 s[4:5], vcc
; %bb.3125:
	s_mov_b32 s0, 0x3fffff
	v_and_b32_e32 v4, 0x400000, v3
	v_and_or_b32 v3, v3, s0, v2
	v_cmp_ne_u32_e32 vcc, 0, v4
	v_cmp_ne_u32_e64 s[0:1], 0, v3
	s_and_b64 s[0:1], vcc, s[0:1]
	v_cndmask_b32_e64 v3, 0, 1, s[0:1]
	v_add_u32_e32 v4, v2, v3
; %bb.3126:
	s_or_b64 exec, exec, s[4:5]
	s_mov_b64 s[0:1], 0
	global_store_byte v[0:1], v4, off
.LBB142_3127:
	s_mov_b64 s[4:5], 0
.LBB142_3128:
	s_and_b64 vcc, exec, s[4:5]
	s_cbranch_vccz .LBB142_3131
; %bb.3129:
	s_cmp_eq_u32 s12, 29
	s_mov_b64 s[0:1], -1
	s_cbranch_scc0 .LBB142_3131
; %bb.3130:
	s_mov_b32 s0, 0
	v_cndmask_b32_e64 v2, 0, 1, s[24:25]
	v_mov_b32_e32 v3, s0
	global_store_dwordx2 v[0:1], v[2:3], off
	s_mov_b64 s[0:1], 0
.LBB142_3131:
	s_mov_b64 s[4:5], 0
.LBB142_3132:
	s_and_b64 vcc, exec, s[4:5]
	s_cbranch_vccz .LBB142_3147
; %bb.3133:
	s_cmp_lt_i32 s12, 27
	s_mov_b64 s[4:5], -1
	s_cbranch_scc1 .LBB142_3139
; %bb.3134:
	s_cmp_gt_i32 s12, 27
	v_cndmask_b32_e64 v2, 0, 1, s[24:25]
	s_cbranch_scc0 .LBB142_3136
; %bb.3135:
	global_store_dword v[0:1], v2, off
	s_mov_b64 s[4:5], 0
.LBB142_3136:
	s_andn2_b64 vcc, exec, s[4:5]
	s_cbranch_vccnz .LBB142_3138
; %bb.3137:
	global_store_short v[0:1], v2, off
.LBB142_3138:
	s_mov_b64 s[4:5], 0
.LBB142_3139:
	s_andn2_b64 vcc, exec, s[4:5]
	s_cbranch_vccnz .LBB142_3147
; %bb.3140:
	v_cndmask_b32_e64 v3, 0, 1.0, s[24:25]
	s_mov_b32 s4, 0x43800000
	v_cmp_gt_u32_e32 vcc, s4, v3
	v_mov_b32_e32 v4, 0x80
	s_and_saveexec_b64 s[4:5], vcc
	s_cbranch_execz .LBB142_3146
; %bb.3141:
	s_mov_b32 s8, 0x3bffffff
	v_cmp_lt_u32_e32 vcc, s8, v3
	s_mov_b64 s[8:9], 0
                                        ; implicit-def: $vgpr2
	s_and_saveexec_b64 s[10:11], vcc
	s_xor_b64 s[10:11], exec, s[10:11]
	s_cbranch_execz .LBB142_3208
; %bb.3142:
	v_bfe_u32 v2, v3, 20, 1
	s_mov_b32 s13, 0x487ffff
	v_add3_u32 v2, v3, v2, s13
	s_mov_b64 s[8:9], exec
	v_lshrrev_b32_e32 v2, 20, v2
                                        ; implicit-def: $vgpr3
	s_andn2_saveexec_b64 s[10:11], s[10:11]
	s_cbranch_execnz .LBB142_3209
.LBB142_3143:
	s_or_b64 exec, exec, s[10:11]
	v_mov_b32_e32 v4, 0
	s_and_saveexec_b64 s[10:11], s[8:9]
.LBB142_3144:
	v_mov_b32_e32 v4, v2
.LBB142_3145:
	s_or_b64 exec, exec, s[10:11]
.LBB142_3146:
	s_or_b64 exec, exec, s[4:5]
	global_store_byte v[0:1], v4, off
.LBB142_3147:
	s_mov_b64 s[4:5], 0
.LBB142_3148:
	s_and_b64 vcc, exec, s[4:5]
	s_cbranch_vccz .LBB142_3188
; %bb.3149:
	s_cmp_gt_i32 s12, 22
	s_mov_b64 s[2:3], -1
	s_cbranch_scc0 .LBB142_3181
; %bb.3150:
	s_cmp_lt_i32 s12, 24
	s_cbranch_scc1 .LBB142_3170
; %bb.3151:
	s_cmp_gt_i32 s12, 24
	s_cbranch_scc0 .LBB142_3159
; %bb.3152:
	v_cndmask_b32_e64 v3, 0, 1.0, s[24:25]
	s_mov_b32 s2, 0x47800000
	v_cmp_gt_u32_e32 vcc, s2, v3
	v_mov_b32_e32 v4, 0x80
	s_and_saveexec_b64 s[2:3], vcc
	s_cbranch_execz .LBB142_3158
; %bb.3153:
	s_mov_b32 s4, 0x37ffffff
	v_cmp_lt_u32_e32 vcc, s4, v3
	s_mov_b64 s[4:5], 0
                                        ; implicit-def: $vgpr2
	s_and_saveexec_b64 s[8:9], vcc
	s_xor_b64 s[8:9], exec, s[8:9]
	s_cbranch_execz .LBB142_3211
; %bb.3154:
	v_bfe_u32 v2, v3, 21, 1
	s_mov_b32 s10, 0x88fffff
	v_add3_u32 v2, v3, v2, s10
	s_mov_b64 s[4:5], exec
	v_lshrrev_b32_e32 v2, 21, v2
                                        ; implicit-def: $vgpr3
	s_andn2_saveexec_b64 s[8:9], s[8:9]
	s_cbranch_execnz .LBB142_3212
.LBB142_3155:
	s_or_b64 exec, exec, s[8:9]
	v_mov_b32_e32 v4, 0
	s_and_saveexec_b64 s[8:9], s[4:5]
.LBB142_3156:
	v_mov_b32_e32 v4, v2
.LBB142_3157:
	s_or_b64 exec, exec, s[8:9]
.LBB142_3158:
	s_or_b64 exec, exec, s[2:3]
	s_mov_b64 s[2:3], 0
	global_store_byte v[0:1], v4, off
.LBB142_3159:
	s_and_b64 vcc, exec, s[2:3]
	s_cbranch_vccz .LBB142_3169
; %bb.3160:
	v_cndmask_b32_e64 v2, 0, 1.0, s[24:25]
	s_mov_b32 s2, 0x43f00000
	v_cmp_gt_u32_e32 vcc, s2, v2
                                        ; implicit-def: $vgpr3
	s_and_saveexec_b64 s[2:3], vcc
	s_xor_b64 s[2:3], exec, s[2:3]
	s_cbranch_execz .LBB142_3166
; %bb.3161:
	s_mov_b32 s4, 0x3c7fffff
	v_cmp_lt_u32_e32 vcc, s4, v2
                                        ; implicit-def: $vgpr3
	s_and_saveexec_b64 s[4:5], vcc
	s_xor_b64 s[4:5], exec, s[4:5]
; %bb.3162:
	v_bfe_u32 v3, v2, 20, 1
	s_mov_b32 s8, 0x407ffff
	v_add3_u32 v2, v2, v3, s8
	v_lshrrev_b32_e32 v3, 20, v2
	v_and_b32_e32 v2, 0xff00000, v2
	s_mov_b32 s8, 0x7f00000
	v_mov_b32_e32 v4, 0x7e
	v_cmp_ne_u32_e32 vcc, s8, v2
	v_cndmask_b32_e32 v3, v4, v3, vcc
                                        ; implicit-def: $vgpr2
; %bb.3163:
	s_andn2_saveexec_b64 s[4:5], s[4:5]
; %bb.3164:
	v_add_f32_e32 v3, 0x46800000, v2
; %bb.3165:
	s_or_b64 exec, exec, s[4:5]
                                        ; implicit-def: $vgpr2
.LBB142_3166:
	s_andn2_saveexec_b64 s[2:3], s[2:3]
; %bb.3167:
	s_mov_b32 s4, 0x7f800000
	v_mov_b32_e32 v3, 0x7e
	v_mov_b32_e32 v4, 0x7f
	v_cmp_lt_u32_e32 vcc, s4, v2
	v_cndmask_b32_e32 v3, v3, v4, vcc
; %bb.3168:
	s_or_b64 exec, exec, s[2:3]
	global_store_byte v[0:1], v3, off
.LBB142_3169:
	s_mov_b64 s[2:3], 0
.LBB142_3170:
	s_andn2_b64 vcc, exec, s[2:3]
	s_cbranch_vccnz .LBB142_3180
; %bb.3171:
	v_cndmask_b32_e64 v2, 0, 1.0, s[24:25]
	s_mov_b32 s2, 0x47800000
	v_cmp_gt_u32_e32 vcc, s2, v2
                                        ; implicit-def: $vgpr3
	s_and_saveexec_b64 s[2:3], vcc
	s_xor_b64 s[2:3], exec, s[2:3]
	s_cbranch_execz .LBB142_3177
; %bb.3172:
	s_mov_b32 s4, 0x387fffff
	v_cmp_lt_u32_e32 vcc, s4, v2
                                        ; implicit-def: $vgpr3
	s_and_saveexec_b64 s[4:5], vcc
	s_xor_b64 s[4:5], exec, s[4:5]
; %bb.3173:
	v_bfe_u32 v3, v2, 21, 1
	s_mov_b32 s8, 0x80fffff
	v_add3_u32 v2, v2, v3, s8
	v_lshrrev_b32_e32 v3, 21, v2
                                        ; implicit-def: $vgpr2
; %bb.3174:
	s_andn2_saveexec_b64 s[4:5], s[4:5]
; %bb.3175:
	v_add_f32_e32 v3, 0x43000000, v2
; %bb.3176:
	s_or_b64 exec, exec, s[4:5]
                                        ; implicit-def: $vgpr2
.LBB142_3177:
	s_andn2_saveexec_b64 s[2:3], s[2:3]
; %bb.3178:
	s_mov_b32 s4, 0x7f800000
	v_mov_b32_e32 v3, 0x7c
	v_mov_b32_e32 v4, 0x7f
	v_cmp_lt_u32_e32 vcc, s4, v2
	v_cndmask_b32_e32 v3, v3, v4, vcc
; %bb.3179:
	s_or_b64 exec, exec, s[2:3]
	global_store_byte v[0:1], v3, off
.LBB142_3180:
	s_mov_b64 s[2:3], 0
.LBB142_3181:
	s_andn2_b64 vcc, exec, s[2:3]
	s_mov_b64 s[2:3], 0
	s_cbranch_vccnz .LBB142_3188
; %bb.3182:
	s_cmp_gt_i32 s12, 14
	s_mov_b64 s[4:5], -1
	s_cbranch_scc0 .LBB142_3186
; %bb.3183:
	s_cmp_eq_u32 s12, 15
	s_mov_b64 s[0:1], -1
	s_cbranch_scc0 .LBB142_3185
; %bb.3184:
	v_cndmask_b32_e64 v2, 0, 1.0, s[24:25]
	v_bfe_u32 v3, v2, 16, 1
	s_movk_i32 s0, 0x7fff
	v_add3_u32 v2, v2, v3, s0
	global_store_short_d16_hi v[0:1], v2, off
	s_mov_b64 s[0:1], 0
.LBB142_3185:
	s_mov_b64 s[4:5], 0
.LBB142_3186:
	s_and_b64 vcc, exec, s[4:5]
	s_cbranch_vccz .LBB142_3188
; %bb.3187:
	s_cmp_lg_u32 s12, 11
	s_mov_b64 s[2:3], -1
	s_cselect_b64 s[0:1], -1, 0
.LBB142_3188:
	s_and_b64 vcc, exec, s[0:1]
	s_cbranch_vccnz .LBB142_3210
.LBB142_3189:
	s_mov_b64 s[0:1], 0
	s_branch .LBB142_2700
.LBB142_3190:
	s_mov_b64 s[0:1], 0
	s_branch .LBB142_2699
.LBB142_3191:
	s_mov_b64 s[2:3], 0
	s_mov_b64 s[0:1], -1
	s_branch .LBB142_2700
.LBB142_3192:
	s_trap 2
	s_or_b64 s[18:19], s[18:19], exec
	s_cbranch_execz .LBB142_2642
	s_branch .LBB142_2643
.LBB142_3193:
	s_andn2_saveexec_b64 s[26:27], s[26:27]
	s_cbranch_execz .LBB142_2783
.LBB142_3194:
	v_add_f32_e32 v3, 0x46000000, v4
	v_and_b32_e32 v3, 0xff, v3
	v_cmp_ne_u32_e32 vcc, 0, v3
	s_andn2_b64 s[14:15], s[14:15], exec
	s_and_b64 s[30:31], vcc, exec
	s_or_b64 s[14:15], s[14:15], s[30:31]
	s_or_b64 exec, exec, s[26:27]
	v_mov_b32_e32 v5, 0
	s_and_saveexec_b64 s[26:27], s[14:15]
	s_cbranch_execnz .LBB142_2784
	s_branch .LBB142_2785
.LBB142_3195:
	s_trap 2
	s_or_b64 s[18:19], s[18:19], exec
	s_cbranch_execz .LBB142_2831
	s_branch .LBB142_2832
.LBB142_3196:
	s_andn2_saveexec_b64 s[14:15], s[14:15]
	s_cbranch_execz .LBB142_2796
.LBB142_3197:
	v_add_f32_e32 v3, 0x42800000, v4
	v_and_b32_e32 v3, 0xff, v3
	v_cmp_ne_u32_e32 vcc, 0, v3
	s_andn2_b64 s[10:11], s[10:11], exec
	s_and_b64 s[26:27], vcc, exec
	s_or_b64 s[10:11], s[10:11], s[26:27]
	s_or_b64 exec, exec, s[14:15]
	v_mov_b32_e32 v5, 0
	s_and_saveexec_b64 s[14:15], s[10:11]
	s_cbranch_execnz .LBB142_2797
	s_branch .LBB142_2798
.LBB142_3198:
	s_andn2_saveexec_b64 s[12:13], s[12:13]
	s_cbranch_execz .LBB142_2904
.LBB142_3199:
	v_add_f32_e32 v3, 0x46000000, v4
	v_and_b32_e32 v3, 0xff, v3
	v_cmp_ne_u32_e32 vcc, 0, v3
	s_andn2_b64 s[10:11], s[10:11], exec
	s_and_b64 s[26:27], vcc, exec
	s_or_b64 s[10:11], s[10:11], s[26:27]
	s_or_b64 exec, exec, s[12:13]
	v_mov_b32_e32 v5, 0
	s_and_saveexec_b64 s[12:13], s[10:11]
	s_cbranch_execnz .LBB142_2905
	s_branch .LBB142_2906
.LBB142_3200:
	s_trap 2
	s_or_b64 s[18:19], s[18:19], exec
	s_cbranch_execz .LBB142_2952
	s_branch .LBB142_2953
.LBB142_3201:
	s_andn2_saveexec_b64 s[10:11], s[10:11]
	s_cbranch_execz .LBB142_2917
.LBB142_3202:
	v_add_f32_e32 v3, 0x42800000, v4
	v_and_b32_e32 v3, 0xff, v3
	v_cmp_ne_u32_e32 vcc, 0, v3
	s_andn2_b64 s[4:5], s[4:5], exec
	s_and_b64 s[12:13], vcc, exec
	s_or_b64 s[4:5], s[4:5], s[12:13]
	s_or_b64 exec, exec, s[10:11]
	v_mov_b32_e32 v5, 0
	s_and_saveexec_b64 s[10:11], s[4:5]
	s_cbranch_execnz .LBB142_2918
	s_branch .LBB142_2919
.LBB142_3203:
	s_andn2_saveexec_b64 s[12:13], s[12:13]
	s_cbranch_execz .LBB142_3023
.LBB142_3204:
	v_add_f32_e32 v3, 0x46000000, v4
	v_and_b32_e32 v3, 0xff, v3
	v_cmp_ne_u32_e32 vcc, 0, v3
	s_andn2_b64 s[10:11], s[10:11], exec
	s_and_b64 s[20:21], vcc, exec
	s_or_b64 s[10:11], s[10:11], s[20:21]
	s_or_b64 exec, exec, s[12:13]
	v_mov_b32_e32 v5, 0
	s_and_saveexec_b64 s[12:13], s[10:11]
	s_cbranch_execnz .LBB142_3024
	s_branch .LBB142_3025
.LBB142_3205:
	s_trap 2
	s_or_b64 s[18:19], s[18:19], exec
	s_cbranch_execz .LBB142_3071
	s_branch .LBB142_3072
.LBB142_3206:
	s_andn2_saveexec_b64 s[10:11], s[10:11]
	s_cbranch_execz .LBB142_3036
.LBB142_3207:
	v_add_f32_e32 v3, 0x42800000, v4
	v_and_b32_e32 v3, 0xff, v3
	v_cmp_ne_u32_e32 vcc, 0, v3
	s_andn2_b64 s[4:5], s[4:5], exec
	s_and_b64 s[12:13], vcc, exec
	s_or_b64 s[4:5], s[4:5], s[12:13]
	s_or_b64 exec, exec, s[10:11]
	v_mov_b32_e32 v5, 0
	s_and_saveexec_b64 s[10:11], s[4:5]
	s_cbranch_execnz .LBB142_3037
	s_branch .LBB142_3038
.LBB142_3208:
	s_andn2_saveexec_b64 s[10:11], s[10:11]
	s_cbranch_execz .LBB142_3143
.LBB142_3209:
	v_add_f32_e32 v2, 0x46000000, v3
	v_and_b32_e32 v2, 0xff, v2
	v_cmp_ne_u32_e32 vcc, 0, v2
	s_andn2_b64 s[8:9], s[8:9], exec
	s_and_b64 s[14:15], vcc, exec
	s_or_b64 s[8:9], s[8:9], s[14:15]
	s_or_b64 exec, exec, s[10:11]
	v_mov_b32_e32 v4, 0
	s_and_saveexec_b64 s[10:11], s[8:9]
	s_cbranch_execnz .LBB142_3144
	s_branch .LBB142_3145
.LBB142_3210:
	s_mov_b64 s[2:3], 0
	s_or_b64 s[18:19], s[18:19], exec
	s_trap 2
	s_branch .LBB142_3189
.LBB142_3211:
	s_andn2_saveexec_b64 s[8:9], s[8:9]
	s_cbranch_execz .LBB142_3155
.LBB142_3212:
	v_add_f32_e32 v2, 0x42800000, v3
	v_and_b32_e32 v2, 0xff, v2
	v_cmp_ne_u32_e32 vcc, 0, v2
	s_andn2_b64 s[4:5], s[4:5], exec
	s_and_b64 s[10:11], vcc, exec
	s_or_b64 s[4:5], s[4:5], s[10:11]
	s_or_b64 exec, exec, s[8:9]
	v_mov_b32_e32 v4, 0
	s_and_saveexec_b64 s[8:9], s[4:5]
	s_cbranch_execnz .LBB142_3156
	s_branch .LBB142_3157
	.section	.rodata,"a",@progbits
	.p2align	6, 0x0
	.amdhsa_kernel _ZN2at6native32elementwise_kernel_manual_unrollILi128ELi4EZNS0_15gpu_kernel_implINS0_12_GLOBAL__N_114CompareFunctorIN3c108BFloat16EEEEEvRNS_18TensorIteratorBaseERKT_EUlibE_EEviT1_
		.amdhsa_group_segment_fixed_size 0
		.amdhsa_private_segment_fixed_size 0
		.amdhsa_kernarg_size 56
		.amdhsa_user_sgpr_count 6
		.amdhsa_user_sgpr_private_segment_buffer 1
		.amdhsa_user_sgpr_dispatch_ptr 0
		.amdhsa_user_sgpr_queue_ptr 0
		.amdhsa_user_sgpr_kernarg_segment_ptr 1
		.amdhsa_user_sgpr_dispatch_id 0
		.amdhsa_user_sgpr_flat_scratch_init 0
		.amdhsa_user_sgpr_private_segment_size 0
		.amdhsa_uses_dynamic_stack 0
		.amdhsa_system_sgpr_private_segment_wavefront_offset 0
		.amdhsa_system_sgpr_workgroup_id_x 1
		.amdhsa_system_sgpr_workgroup_id_y 0
		.amdhsa_system_sgpr_workgroup_id_z 0
		.amdhsa_system_sgpr_workgroup_info 0
		.amdhsa_system_vgpr_workitem_id 0
		.amdhsa_next_free_vgpr 12
		.amdhsa_next_free_sgpr 57
		.amdhsa_reserve_vcc 1
		.amdhsa_reserve_flat_scratch 0
		.amdhsa_float_round_mode_32 0
		.amdhsa_float_round_mode_16_64 0
		.amdhsa_float_denorm_mode_32 3
		.amdhsa_float_denorm_mode_16_64 3
		.amdhsa_dx10_clamp 1
		.amdhsa_ieee_mode 1
		.amdhsa_fp16_overflow 0
		.amdhsa_exception_fp_ieee_invalid_op 0
		.amdhsa_exception_fp_denorm_src 0
		.amdhsa_exception_fp_ieee_div_zero 0
		.amdhsa_exception_fp_ieee_overflow 0
		.amdhsa_exception_fp_ieee_underflow 0
		.amdhsa_exception_fp_ieee_inexact 0
		.amdhsa_exception_int_div_zero 0
	.end_amdhsa_kernel
	.section	.text._ZN2at6native32elementwise_kernel_manual_unrollILi128ELi4EZNS0_15gpu_kernel_implINS0_12_GLOBAL__N_114CompareFunctorIN3c108BFloat16EEEEEvRNS_18TensorIteratorBaseERKT_EUlibE_EEviT1_,"axG",@progbits,_ZN2at6native32elementwise_kernel_manual_unrollILi128ELi4EZNS0_15gpu_kernel_implINS0_12_GLOBAL__N_114CompareFunctorIN3c108BFloat16EEEEEvRNS_18TensorIteratorBaseERKT_EUlibE_EEviT1_,comdat
.Lfunc_end142:
	.size	_ZN2at6native32elementwise_kernel_manual_unrollILi128ELi4EZNS0_15gpu_kernel_implINS0_12_GLOBAL__N_114CompareFunctorIN3c108BFloat16EEEEEvRNS_18TensorIteratorBaseERKT_EUlibE_EEviT1_, .Lfunc_end142-_ZN2at6native32elementwise_kernel_manual_unrollILi128ELi4EZNS0_15gpu_kernel_implINS0_12_GLOBAL__N_114CompareFunctorIN3c108BFloat16EEEEEvRNS_18TensorIteratorBaseERKT_EUlibE_EEviT1_
                                        ; -- End function
	.set _ZN2at6native32elementwise_kernel_manual_unrollILi128ELi4EZNS0_15gpu_kernel_implINS0_12_GLOBAL__N_114CompareFunctorIN3c108BFloat16EEEEEvRNS_18TensorIteratorBaseERKT_EUlibE_EEviT1_.num_vgpr, 12
	.set _ZN2at6native32elementwise_kernel_manual_unrollILi128ELi4EZNS0_15gpu_kernel_implINS0_12_GLOBAL__N_114CompareFunctorIN3c108BFloat16EEEEEvRNS_18TensorIteratorBaseERKT_EUlibE_EEviT1_.num_agpr, 0
	.set _ZN2at6native32elementwise_kernel_manual_unrollILi128ELi4EZNS0_15gpu_kernel_implINS0_12_GLOBAL__N_114CompareFunctorIN3c108BFloat16EEEEEvRNS_18TensorIteratorBaseERKT_EUlibE_EEviT1_.numbered_sgpr, 57
	.set _ZN2at6native32elementwise_kernel_manual_unrollILi128ELi4EZNS0_15gpu_kernel_implINS0_12_GLOBAL__N_114CompareFunctorIN3c108BFloat16EEEEEvRNS_18TensorIteratorBaseERKT_EUlibE_EEviT1_.num_named_barrier, 0
	.set _ZN2at6native32elementwise_kernel_manual_unrollILi128ELi4EZNS0_15gpu_kernel_implINS0_12_GLOBAL__N_114CompareFunctorIN3c108BFloat16EEEEEvRNS_18TensorIteratorBaseERKT_EUlibE_EEviT1_.private_seg_size, 0
	.set _ZN2at6native32elementwise_kernel_manual_unrollILi128ELi4EZNS0_15gpu_kernel_implINS0_12_GLOBAL__N_114CompareFunctorIN3c108BFloat16EEEEEvRNS_18TensorIteratorBaseERKT_EUlibE_EEviT1_.uses_vcc, 1
	.set _ZN2at6native32elementwise_kernel_manual_unrollILi128ELi4EZNS0_15gpu_kernel_implINS0_12_GLOBAL__N_114CompareFunctorIN3c108BFloat16EEEEEvRNS_18TensorIteratorBaseERKT_EUlibE_EEviT1_.uses_flat_scratch, 0
	.set _ZN2at6native32elementwise_kernel_manual_unrollILi128ELi4EZNS0_15gpu_kernel_implINS0_12_GLOBAL__N_114CompareFunctorIN3c108BFloat16EEEEEvRNS_18TensorIteratorBaseERKT_EUlibE_EEviT1_.has_dyn_sized_stack, 0
	.set _ZN2at6native32elementwise_kernel_manual_unrollILi128ELi4EZNS0_15gpu_kernel_implINS0_12_GLOBAL__N_114CompareFunctorIN3c108BFloat16EEEEEvRNS_18TensorIteratorBaseERKT_EUlibE_EEviT1_.has_recursion, 0
	.set _ZN2at6native32elementwise_kernel_manual_unrollILi128ELi4EZNS0_15gpu_kernel_implINS0_12_GLOBAL__N_114CompareFunctorIN3c108BFloat16EEEEEvRNS_18TensorIteratorBaseERKT_EUlibE_EEviT1_.has_indirect_call, 0
	.section	.AMDGPU.csdata,"",@progbits
; Kernel info:
; codeLenInByte = 57992
; TotalNumSgprs: 61
; NumVgprs: 12
; ScratchSize: 0
; MemoryBound: 0
; FloatMode: 240
; IeeeMode: 1
; LDSByteSize: 0 bytes/workgroup (compile time only)
; SGPRBlocks: 7
; VGPRBlocks: 2
; NumSGPRsForWavesPerEU: 61
; NumVGPRsForWavesPerEU: 12
; Occupancy: 10
; WaveLimiterHint : 0
; COMPUTE_PGM_RSRC2:SCRATCH_EN: 0
; COMPUTE_PGM_RSRC2:USER_SGPR: 6
; COMPUTE_PGM_RSRC2:TRAP_HANDLER: 0
; COMPUTE_PGM_RSRC2:TGID_X_EN: 1
; COMPUTE_PGM_RSRC2:TGID_Y_EN: 0
; COMPUTE_PGM_RSRC2:TGID_Z_EN: 0
; COMPUTE_PGM_RSRC2:TIDIG_COMP_CNT: 0
	.section	.text._ZN2at6native32elementwise_kernel_manual_unrollILi128ELi4EZNS0_15gpu_kernel_implINS0_12_GLOBAL__N_114CompareFunctorIN3c108BFloat16EEEEEvRNS_18TensorIteratorBaseERKT_EUlibE0_EEviT1_,"axG",@progbits,_ZN2at6native32elementwise_kernel_manual_unrollILi128ELi4EZNS0_15gpu_kernel_implINS0_12_GLOBAL__N_114CompareFunctorIN3c108BFloat16EEEEEvRNS_18TensorIteratorBaseERKT_EUlibE0_EEviT1_,comdat
	.globl	_ZN2at6native32elementwise_kernel_manual_unrollILi128ELi4EZNS0_15gpu_kernel_implINS0_12_GLOBAL__N_114CompareFunctorIN3c108BFloat16EEEEEvRNS_18TensorIteratorBaseERKT_EUlibE0_EEviT1_ ; -- Begin function _ZN2at6native32elementwise_kernel_manual_unrollILi128ELi4EZNS0_15gpu_kernel_implINS0_12_GLOBAL__N_114CompareFunctorIN3c108BFloat16EEEEEvRNS_18TensorIteratorBaseERKT_EUlibE0_EEviT1_
	.p2align	8
	.type	_ZN2at6native32elementwise_kernel_manual_unrollILi128ELi4EZNS0_15gpu_kernel_implINS0_12_GLOBAL__N_114CompareFunctorIN3c108BFloat16EEEEEvRNS_18TensorIteratorBaseERKT_EUlibE0_EEviT1_,@function
_ZN2at6native32elementwise_kernel_manual_unrollILi128ELi4EZNS0_15gpu_kernel_implINS0_12_GLOBAL__N_114CompareFunctorIN3c108BFloat16EEEEEvRNS_18TensorIteratorBaseERKT_EUlibE0_EEviT1_: ; @_ZN2at6native32elementwise_kernel_manual_unrollILi128ELi4EZNS0_15gpu_kernel_implINS0_12_GLOBAL__N_114CompareFunctorIN3c108BFloat16EEEEEvRNS_18TensorIteratorBaseERKT_EUlibE0_EEviT1_
; %bb.0:
	s_load_dword s68, s[4:5], 0x0
	s_load_dword s33, s[4:5], 0x8
	s_add_u32 s2, s4, 8
	s_addc_u32 s3, s5, 0
	v_lshl_or_b32 v8, s6, 9, v0
	v_or_b32_e32 v23, 0x180, v8
	s_waitcnt lgkmcnt(0)
	s_add_i32 s70, s33, -1
	s_cmp_gt_u32 s70, 1
	v_cmp_le_i32_e32 vcc, s68, v23
	s_cselect_b64 s[24:25], -1, 0
	s_mov_b64 s[6:7], 0
	s_mov_b64 s[12:13], 0
	s_and_saveexec_b64 s[0:1], vcc
	s_xor_b64 s[26:27], exec, s[0:1]
	s_cbranch_execz .LBB143_1655
; %bb.1:
	s_cmp_lg_u32 s33, 0
	s_load_dwordx4 s[16:19], s[2:3], 0x4
	s_load_dwordx2 s[30:31], s[2:3], 0x14
	s_load_dwordx8 s[8:15], s[2:3], 0x188
	s_load_dwordx4 s[20:23], s[2:3], 0xc4
	s_load_dwordx2 s[28:29], s[2:3], 0xd4
	s_cselect_b64 s[36:37], -1, 0
	s_min_u32 s73, s70, 15
	s_cmp_gt_u32 s33, 1
	s_cselect_b64 s[34:35], -1, 0
	s_waitcnt lgkmcnt(0)
	s_lshr_b32 s72, s15, 8
	s_lshr_b32 s71, s15, 16
	v_cmp_gt_i32_e32 vcc, s68, v8
	s_mov_b64 s[0:1], -1
	s_mov_b64 s[48:49], 0
	s_mov_b64 s[42:43], 0
	;; [unrolled: 1-line block ×4, first 2 shown]
	s_and_saveexec_b64 s[44:45], vcc
	s_cbranch_execz .LBB143_410
; %bb.2:
	s_andn2_b64 vcc, exec, s[24:25]
	s_cbranch_vccnz .LBB143_8
; %bb.3:
	s_andn2_b64 vcc, exec, s[36:37]
	s_cbranch_vccnz .LBB143_9
; %bb.4:
	s_add_i32 s0, s73, 1
	s_and_b32 s38, s0, 30
	s_add_u32 s0, s2, 0xffffffe8
	s_addc_u32 s1, s3, -1
	v_mov_b32_e32 v2, 0
	v_mov_b32_e32 v4, 0
	;; [unrolled: 1-line block ×4, first 2 shown]
.LBB143_5:                              ; =>This Inner Loop Header: Depth=1
	s_load_dwordx4 s[40:43], s[0:1], 0x1c
	s_load_dwordx2 s[46:47], s[0:1], 0x2c
	s_load_dwordx2 s[50:51], s[0:1], 0xec
	s_load_dwordx4 s[52:55], s[0:1], 0xdc
	s_add_u32 s0, s0, 24
	s_waitcnt lgkmcnt(0)
	v_mul_hi_u32 v3, s41, v1
	s_addc_u32 s1, s1, 0
	s_add_i32 s38, s38, -2
	s_cmp_lg_u32 s38, 0
	v_add_u32_e32 v3, v1, v3
	v_lshrrev_b32_e32 v3, s42, v3
	v_mul_lo_u32 v5, v3, s40
	v_mul_hi_u32 v6, s46, v3
	v_sub_u32_e32 v5, v1, v5
	v_add_u32_e32 v1, v3, v6
	v_lshrrev_b32_e32 v1, s47, v1
	v_mul_lo_u32 v9, v1, s43
	v_mul_lo_u32 v6, v5, s52
	;; [unrolled: 1-line block ×4, first 2 shown]
	v_sub_u32_e32 v3, v3, v9
	v_mul_lo_u32 v9, v3, s55
	v_mul_lo_u32 v10, v3, s50
	;; [unrolled: 1-line block ×3, first 2 shown]
	v_add3_u32 v0, v6, v0, v9
	v_add3_u32 v4, v7, v4, v10
	;; [unrolled: 1-line block ×3, first 2 shown]
	s_cbranch_scc1 .LBB143_5
; %bb.6:
	s_bitcmp1_b32 s73, 0
	s_cselect_b64 s[38:39], -1, 0
	s_and_b64 vcc, exec, s[38:39]
	s_cbranch_vccnz .LBB143_10
; %bb.7:
	s_load_dwordx2 s[38:39], s[0:1], 0x1c
	s_load_dword s42, s[0:1], 0x24
	s_load_dwordx2 s[40:41], s[0:1], 0xdc
	s_waitcnt lgkmcnt(0)
	v_mul_hi_u32 v3, s39, v1
	v_add_u32_e32 v3, v1, v3
	v_lshrrev_b32_e32 v3, s42, v3
	v_mul_lo_u32 v3, v3, s38
	s_load_dword s38, s[0:1], 0xe4
	v_sub_u32_e32 v3, v1, v3
	v_mad_u64_u32 v[0:1], s[0:1], v3, s40, v[0:1]
	v_mad_u64_u32 v[4:5], s[0:1], v3, s41, v[4:5]
	s_waitcnt lgkmcnt(0)
	v_mad_u64_u32 v[2:3], s[0:1], v3, s38, v[2:3]
	s_cbranch_execz .LBB143_11
	s_branch .LBB143_13
.LBB143_8:
                                        ; implicit-def: $vgpr0
                                        ; implicit-def: $vgpr4
                                        ; implicit-def: $vgpr2
	s_andn2_b64 vcc, exec, s[0:1]
	s_cbranch_vccz .LBB143_11
	s_branch .LBB143_13
.LBB143_9:
	v_mov_b32_e32 v0, 0
	v_mov_b32_e32 v4, 0
	;; [unrolled: 1-line block ×3, first 2 shown]
.LBB143_10:
	s_cbranch_execnz .LBB143_13
.LBB143_11:
	v_mul_hi_u32 v0, s17, v8
	s_andn2_b64 vcc, exec, s[34:35]
	v_add_u32_e32 v0, v8, v0
	v_lshrrev_b32_e32 v1, s18, v0
	v_mul_lo_u32 v0, v1, s16
	v_sub_u32_e32 v2, v8, v0
	v_mul_lo_u32 v0, v2, s20
	v_mul_lo_u32 v4, v2, s21
	v_mul_lo_u32 v2, v2, s22
	s_cbranch_vccnz .LBB143_13
; %bb.12:
	v_mul_hi_u32 v3, s30, v1
	v_add_u32_e32 v3, v1, v3
	v_lshrrev_b32_e32 v3, s31, v3
	v_mul_lo_u32 v3, v3, s19
	v_sub_u32_e32 v3, v1, v3
	v_mad_u64_u32 v[0:1], s[0:1], v3, s23, v[0:1]
	v_mad_u64_u32 v[4:5], s[0:1], v3, s28, v[4:5]
	;; [unrolled: 1-line block ×3, first 2 shown]
.LBB143_13:
	v_mov_b32_e32 v1, s11
	s_and_b32 s46, s72, 0xff
	v_add_co_u32_e32 v3, vcc, s10, v4
	s_cmp_lt_i32 s46, 11
	v_addc_co_u32_e32 v4, vcc, 0, v1, vcc
	s_cbranch_scc1 .LBB143_20
; %bb.14:
	s_and_b32 s47, 0xffff, s46
	s_cmp_gt_i32 s47, 25
	s_cbranch_scc0 .LBB143_29
; %bb.15:
	s_cmp_gt_i32 s47, 28
	s_cbranch_scc0 .LBB143_36
; %bb.16:
	;; [unrolled: 3-line block ×4, first 2 shown]
	s_cmp_eq_u32 s47, 46
	s_mov_b64 s[38:39], 0
	s_cbranch_scc0 .LBB143_64
; %bb.19:
	global_load_dword v5, v[3:4], off
	s_mov_b64 s[0:1], -1
	s_mov_b64 s[42:43], 0
	s_branch .LBB143_66
.LBB143_20:
	s_mov_b64 s[42:43], 0
                                        ; implicit-def: $vgpr5
	s_mov_b64 s[0:1], 0
	s_cbranch_execnz .LBB143_132
.LBB143_21:
	s_andn2_b64 vcc, exec, s[0:1]
	s_cbranch_vccnz .LBB143_179
.LBB143_22:
	v_mov_b32_e32 v3, s13
	s_and_b32 s50, s71, 0xff
	v_add_co_u32_e32 v1, vcc, s12, v2
	s_cmp_lt_i32 s50, 11
	v_addc_co_u32_e32 v2, vcc, 0, v3, vcc
	s_cbranch_scc1 .LBB143_30
; %bb.23:
	s_and_b32 s51, 0xffff, s50
	s_cmp_gt_i32 s51, 25
	s_cbranch_scc0 .LBB143_37
; %bb.24:
	s_cmp_gt_i32 s51, 28
	s_cbranch_scc0 .LBB143_42
; %bb.25:
	;; [unrolled: 3-line block ×4, first 2 shown]
	s_cmp_eq_u32 s51, 46
	s_mov_b64 s[38:39], 0
	s_cbranch_scc0 .LBB143_180
; %bb.28:
	global_load_dword v3, v[1:2], off
	s_mov_b64 s[0:1], -1
	s_mov_b64 s[40:41], 0
	s_branch .LBB143_182
.LBB143_29:
	s_mov_b64 s[42:43], 0
	s_mov_b64 s[0:1], 0
                                        ; implicit-def: $vgpr5
	s_cbranch_execnz .LBB143_97
	s_branch .LBB143_131
.LBB143_30:
	s_mov_b64 s[40:41], 0
                                        ; implicit-def: $vgpr3
	s_mov_b64 s[0:1], 0
	s_cbranch_execnz .LBB143_359
.LBB143_31:
	s_andn2_b64 vcc, exec, s[0:1]
	s_cbranch_vccnz .LBB143_407
.LBB143_32:
	s_waitcnt vmcnt(0)
	v_lshlrev_b32_e32 v1, 16, v5
	v_lshlrev_b32_e32 v2, 16, v3
	s_cmp_lt_i32 s14, 1
	s_mov_b64 s[0:1], 0
	s_cbranch_scc1 .LBB143_38
; %bb.33:
	s_cmp_gt_i32 s14, 1
	s_cbranch_scc0 .LBB143_43
; %bb.34:
	s_cmp_eq_u32 s14, 2
	s_cbranch_scc0 .LBB143_46
; %bb.35:
	v_cmp_le_f32_e64 s[38:39], v1, v2
	s_mov_b64 s[46:47], 0
	s_branch .LBB143_47
.LBB143_36:
	s_mov_b64 s[38:39], -1
	s_mov_b64 s[42:43], 0
	s_mov_b64 s[0:1], 0
                                        ; implicit-def: $vgpr5
	s_branch .LBB143_78
.LBB143_37:
	s_mov_b64 s[38:39], -1
	s_mov_b64 s[40:41], 0
	s_mov_b64 s[0:1], 0
                                        ; implicit-def: $vgpr3
	s_branch .LBB143_323
.LBB143_38:
                                        ; implicit-def: $sgpr38_sgpr39
	s_mov_b64 s[46:47], 0
	s_cbranch_execnz .LBB143_51
.LBB143_39:
	s_andn2_b64 vcc, exec, s[46:47]
	s_cbranch_vccnz .LBB143_52
.LBB143_40:
	v_cmp_lt_f32_e32 vcc, v1, v2
	s_andn2_b64 s[38:39], s[38:39], exec
	s_and_b64 s[46:47], vcc, exec
	s_or_b64 s[38:39], s[38:39], s[46:47]
	s_cbranch_execz .LBB143_53
	s_branch .LBB143_54
.LBB143_41:
	s_mov_b64 s[38:39], -1
	s_mov_b64 s[42:43], 0
	s_mov_b64 s[0:1], 0
                                        ; implicit-def: $vgpr5
	s_branch .LBB143_73
.LBB143_42:
	s_mov_b64 s[38:39], -1
	s_mov_b64 s[40:41], 0
	s_mov_b64 s[0:1], 0
                                        ; implicit-def: $vgpr3
	s_branch .LBB143_304
.LBB143_43:
	s_mov_b64 s[50:51], -1
	s_mov_b64 s[46:47], 0
                                        ; implicit-def: $sgpr38_sgpr39
	s_branch .LBB143_48
.LBB143_44:
	s_mov_b64 s[38:39], -1
	s_mov_b64 s[42:43], 0
	s_branch .LBB143_65
.LBB143_45:
	s_mov_b64 s[38:39], -1
	s_mov_b64 s[40:41], 0
	s_mov_b64 s[0:1], 0
                                        ; implicit-def: $vgpr3
	s_branch .LBB143_299
.LBB143_46:
	s_mov_b64 s[46:47], -1
                                        ; implicit-def: $sgpr38_sgpr39
.LBB143_47:
	s_mov_b64 s[50:51], 0
.LBB143_48:
	s_and_b64 vcc, exec, s[50:51]
	s_cbranch_vccz .LBB143_50
; %bb.49:
	v_cmp_gt_f32_e32 vcc, v1, v2
	s_andn2_b64 s[38:39], s[38:39], exec
	s_and_b64 s[50:51], vcc, exec
	s_or_b64 s[38:39], s[38:39], s[50:51]
.LBB143_50:
	s_branch .LBB143_39
.LBB143_51:
	s_cmp_lg_u32 s14, 0
	s_mov_b64 s[0:1], -1
	s_cselect_b64 s[46:47], -1, 0
	s_andn2_b64 vcc, exec, s[46:47]
	s_cbranch_vccz .LBB143_40
.LBB143_52:
	s_andn2_b64 vcc, exec, s[0:1]
	s_cbranch_vccnz .LBB143_54
.LBB143_53:
	v_cmp_ge_f32_e32 vcc, v1, v2
	s_andn2_b64 s[0:1], s[38:39], exec
	s_and_b64 s[38:39], vcc, exec
	s_or_b64 s[38:39], s[0:1], s[38:39]
.LBB143_54:
	v_mov_b32_e32 v1, s9
	s_and_b32 s54, s15, 0xff
	v_add_co_u32_e32 v0, vcc, s8, v0
	s_cmp_lt_i32 s54, 11
	v_addc_co_u32_e32 v1, vcc, 0, v1, vcc
	s_cbranch_scc1 .LBB143_61
; %bb.55:
	s_and_b32 s55, 0xffff, s54
	s_cmp_gt_i32 s55, 25
	s_cbranch_scc0 .LBB143_62
; %bb.56:
	s_cmp_gt_i32 s55, 28
	s_cbranch_scc0 .LBB143_63
; %bb.57:
	;; [unrolled: 3-line block ×4, first 2 shown]
	s_mov_b64 s[50:51], 0
	s_mov_b64 s[0:1], -1
	s_cmp_eq_u32 s55, 46
	s_mov_b64 s[46:47], 0
	s_cbranch_scc0 .LBB143_186
; %bb.60:
	v_cndmask_b32_e64 v2, 0, 1.0, s[38:39]
	v_bfe_u32 v3, v2, 16, 1
	s_movk_i32 s0, 0x7fff
	v_add3_u32 v2, v2, v3, s0
	v_lshrrev_b32_e32 v2, 16, v2
	global_store_dword v[0:1], v2, off
	s_mov_b64 s[46:47], -1
	s_mov_b64 s[0:1], 0
	s_branch .LBB143_186
.LBB143_61:
	s_mov_b64 s[50:51], -1
	s_mov_b64 s[0:1], 0
	s_mov_b64 s[46:47], 0
	s_branch .LBB143_255
.LBB143_62:
	s_mov_b64 s[50:51], -1
	s_mov_b64 s[0:1], 0
	s_mov_b64 s[46:47], 0
	s_branch .LBB143_213
.LBB143_63:
	s_mov_b64 s[50:51], -1
	s_mov_b64 s[0:1], 0
	s_mov_b64 s[46:47], 0
	s_branch .LBB143_196
.LBB143_64:
	s_mov_b64 s[42:43], -1
.LBB143_65:
	s_mov_b64 s[0:1], 0
                                        ; implicit-def: $vgpr5
.LBB143_66:
	s_and_b64 vcc, exec, s[38:39]
	s_cbranch_vccz .LBB143_72
; %bb.67:
	s_cmp_eq_u32 s47, 44
	s_cbranch_scc0 .LBB143_71
; %bb.68:
	global_load_ubyte v1, v[3:4], off
	s_movk_i32 s38, 0xff
	s_waitcnt vmcnt(1)
	v_mov_b32_e32 v5, 0x7f800001
	v_mov_b32_e32 v6, 0x400000
	;; [unrolled: 1-line block ×3, first 2 shown]
	s_mov_b64 s[0:1], -1
	s_mov_b64 s[42:43], 0
	s_waitcnt vmcnt(0)
	v_lshlrev_b32_e32 v9, 23, v1
	v_cmp_ne_u32_e32 vcc, s38, v1
	v_cndmask_b32_e32 v5, v5, v9, vcc
	v_cmp_ne_u32_e32 vcc, 0, v1
	v_cndmask_b32_e32 v1, v6, v5, vcc
	v_add_u32_e32 v5, 0x7fff, v1
	v_cmp_o_f32_e32 vcc, v1, v1
	v_cndmask_b32_sdwa v5, v7, v5, vcc dst_sel:DWORD dst_unused:UNUSED_PAD src0_sel:DWORD src1_sel:WORD_1
	s_branch .LBB143_72
.LBB143_69:
	s_mov_b64 s[38:39], -1
	s_mov_b64 s[40:41], 0
	s_branch .LBB143_181
.LBB143_70:
	s_mov_b64 s[50:51], -1
	s_mov_b64 s[0:1], 0
	s_mov_b64 s[46:47], 0
	s_branch .LBB143_192
.LBB143_71:
	s_mov_b64 s[42:43], -1
                                        ; implicit-def: $vgpr5
.LBB143_72:
	s_mov_b64 s[38:39], 0
.LBB143_73:
	s_and_b64 vcc, exec, s[38:39]
	s_cbranch_vccz .LBB143_77
; %bb.74:
	s_cmp_eq_u32 s47, 29
	s_cbranch_scc0 .LBB143_76
; %bb.75:
	global_load_dwordx2 v[5:6], v[3:4], off
	s_movk_i32 s38, 0x7fff
	s_mov_b64 s[0:1], -1
	s_mov_b64 s[42:43], 0
	s_waitcnt vmcnt(0)
	v_ffbh_u32_e32 v1, v6
	v_min_u32_e32 v1, 32, v1
	v_lshlrev_b64 v[5:6], v1, v[5:6]
	v_sub_u32_e32 v1, 32, v1
	v_min_u32_e32 v5, 1, v5
	v_or_b32_e32 v5, v6, v5
	v_cvt_f32_u32_e32 v5, v5
	v_ldexp_f32 v1, v5, v1
	v_bfe_u32 v5, v1, 16, 1
	v_add3_u32 v1, v1, v5, s38
	v_lshrrev_b32_e32 v5, 16, v1
	s_branch .LBB143_77
.LBB143_76:
	s_mov_b64 s[42:43], -1
                                        ; implicit-def: $vgpr5
.LBB143_77:
	s_mov_b64 s[38:39], 0
.LBB143_78:
	s_and_b64 vcc, exec, s[38:39]
	s_cbranch_vccz .LBB143_96
; %bb.79:
	s_cmp_lt_i32 s47, 27
	s_cbranch_scc1 .LBB143_82
; %bb.80:
	s_cmp_gt_i32 s47, 27
	s_cbranch_scc0 .LBB143_83
; %bb.81:
	global_load_dword v1, v[3:4], off
	s_movk_i32 s0, 0x7fff
	s_waitcnt vmcnt(0)
	v_cvt_f32_u32_e32 v1, v1
	v_bfe_u32 v5, v1, 16, 1
	v_add3_u32 v1, v1, v5, s0
	v_lshrrev_b32_e32 v5, 16, v1
	s_mov_b64 s[0:1], 0
	s_branch .LBB143_84
.LBB143_82:
	s_mov_b64 s[0:1], -1
                                        ; implicit-def: $vgpr5
	s_branch .LBB143_87
.LBB143_83:
	s_mov_b64 s[0:1], -1
                                        ; implicit-def: $vgpr5
.LBB143_84:
	s_andn2_b64 vcc, exec, s[0:1]
	s_cbranch_vccnz .LBB143_86
; %bb.85:
	global_load_ushort v1, v[3:4], off
	s_movk_i32 s0, 0x7fff
	s_waitcnt vmcnt(0)
	v_cvt_f32_u32_e32 v1, v1
	v_bfe_u32 v5, v1, 16, 1
	v_add3_u32 v1, v1, v5, s0
	v_lshrrev_b32_e32 v5, 16, v1
.LBB143_86:
	s_mov_b64 s[0:1], 0
.LBB143_87:
	s_andn2_b64 vcc, exec, s[0:1]
	s_cbranch_vccnz .LBB143_95
; %bb.88:
	global_load_ubyte v1, v[3:4], off
	s_movk_i32 s0, 0x7f
	s_waitcnt vmcnt(0)
	v_cmp_lt_i16_e32 vcc, s0, v1
	s_mov_b64 s[0:1], 0
	s_and_saveexec_b64 s[38:39], vcc
	s_xor_b64 s[38:39], exec, s[38:39]
	s_cbranch_execz .LBB143_108
; %bb.89:
	s_movk_i32 s0, 0x80
	v_cmp_eq_u16_e32 vcc, s0, v1
	s_mov_b64 s[0:1], -1
	s_and_saveexec_b64 s[40:41], vcc
; %bb.90:
	s_xor_b64 s[0:1], exec, -1
; %bb.91:
	s_or_b64 exec, exec, s[40:41]
	s_and_b64 s[0:1], s[0:1], exec
	s_or_saveexec_b64 s[38:39], s[38:39]
	v_mov_b32_e32 v5, 0x7f800001
	s_xor_b64 exec, exec, s[38:39]
	s_cbranch_execnz .LBB143_109
.LBB143_92:
	s_or_b64 exec, exec, s[38:39]
	s_and_saveexec_b64 s[38:39], s[0:1]
	s_cbranch_execz .LBB143_94
.LBB143_93:
	v_lshlrev_b32_e32 v5, 24, v1
	v_and_b32_e32 v1, 0xffff, v1
	v_and_b32_e32 v6, 7, v1
	v_ffbh_u32_e32 v9, v6
	v_min_u32_e32 v9, 32, v9
	v_subrev_u32_e32 v10, 28, v9
	v_bfe_u32 v7, v1, 3, 4
	v_lshlrev_b32_e32 v1, v10, v1
	v_sub_u32_e32 v9, 29, v9
	v_and_b32_e32 v1, 7, v1
	v_cmp_eq_u32_e32 vcc, 0, v7
	v_cndmask_b32_e32 v7, v7, v9, vcc
	v_cndmask_b32_e32 v1, v6, v1, vcc
	v_mov_b32_e32 v6, 0x3b800000
	v_lshlrev_b32_e32 v1, 20, v1
	v_and_b32_e32 v5, 0x80000000, v5
	v_lshl_add_u32 v6, v7, 23, v6
	v_or3_b32 v5, v5, v6, v1
.LBB143_94:
	s_or_b64 exec, exec, s[38:39]
	v_bfe_u32 v1, v5, 16, 1
	s_movk_i32 s0, 0x7fff
	v_add3_u32 v1, v5, v1, s0
	v_cmp_o_f32_e32 vcc, v5, v5
	v_mov_b32_e32 v5, 0x7fc0
	v_cndmask_b32_sdwa v5, v5, v1, vcc dst_sel:DWORD dst_unused:UNUSED_PAD src0_sel:DWORD src1_sel:WORD_1
.LBB143_95:
	s_mov_b64 s[0:1], -1
.LBB143_96:
	s_branch .LBB143_131
.LBB143_97:
	s_cmp_gt_i32 s47, 22
	s_cbranch_scc0 .LBB143_107
; %bb.98:
	s_cmp_lt_i32 s47, 24
	s_cbranch_scc1 .LBB143_110
; %bb.99:
	s_cmp_gt_i32 s47, 24
	s_cbranch_scc0 .LBB143_111
; %bb.100:
	global_load_ubyte v1, v[3:4], off
	s_movk_i32 s0, 0x7f
	s_waitcnt vmcnt(0)
	v_cmp_lt_i16_e32 vcc, s0, v1
	s_mov_b64 s[0:1], 0
	s_and_saveexec_b64 s[38:39], vcc
	s_xor_b64 s[38:39], exec, s[38:39]
	s_cbranch_execz .LBB143_123
; %bb.101:
	s_movk_i32 s0, 0x80
	v_cmp_eq_u16_e32 vcc, s0, v1
	s_mov_b64 s[0:1], -1
	s_and_saveexec_b64 s[40:41], vcc
; %bb.102:
	s_xor_b64 s[0:1], exec, -1
; %bb.103:
	s_or_b64 exec, exec, s[40:41]
	s_and_b64 s[0:1], s[0:1], exec
	s_or_saveexec_b64 s[38:39], s[38:39]
	v_mov_b32_e32 v5, 0x7f800001
	s_xor_b64 exec, exec, s[38:39]
	s_cbranch_execnz .LBB143_124
.LBB143_104:
	s_or_b64 exec, exec, s[38:39]
	s_and_saveexec_b64 s[38:39], s[0:1]
	s_cbranch_execz .LBB143_106
.LBB143_105:
	v_lshlrev_b32_e32 v5, 24, v1
	v_and_b32_e32 v1, 0xffff, v1
	v_and_b32_e32 v6, 3, v1
	v_ffbh_u32_e32 v9, v6
	v_min_u32_e32 v9, 32, v9
	v_subrev_u32_e32 v10, 29, v9
	v_bfe_u32 v7, v1, 2, 5
	v_lshlrev_b32_e32 v1, v10, v1
	v_sub_u32_e32 v9, 30, v9
	v_and_b32_e32 v1, 3, v1
	v_cmp_eq_u32_e32 vcc, 0, v7
	v_cndmask_b32_e32 v7, v7, v9, vcc
	v_cndmask_b32_e32 v1, v6, v1, vcc
	v_mov_b32_e32 v6, 0x37800000
	v_lshlrev_b32_e32 v1, 21, v1
	v_and_b32_e32 v5, 0x80000000, v5
	v_lshl_add_u32 v6, v7, 23, v6
	v_or3_b32 v5, v5, v6, v1
.LBB143_106:
	s_or_b64 exec, exec, s[38:39]
	v_bfe_u32 v1, v5, 16, 1
	s_movk_i32 s0, 0x7fff
	v_add3_u32 v1, v5, v1, s0
	v_cmp_o_f32_e32 vcc, v5, v5
	v_mov_b32_e32 v5, 0x7fc0
	v_cndmask_b32_sdwa v5, v5, v1, vcc dst_sel:DWORD dst_unused:UNUSED_PAD src0_sel:DWORD src1_sel:WORD_1
	s_mov_b64 s[0:1], 0
	s_branch .LBB143_112
.LBB143_107:
	s_mov_b64 s[38:39], -1
                                        ; implicit-def: $vgpr5
	s_branch .LBB143_118
.LBB143_108:
	s_or_saveexec_b64 s[38:39], s[38:39]
	v_mov_b32_e32 v5, 0x7f800001
	s_xor_b64 exec, exec, s[38:39]
	s_cbranch_execz .LBB143_92
.LBB143_109:
	v_cmp_ne_u16_e32 vcc, 0, v1
	s_andn2_b64 s[0:1], s[0:1], exec
	s_and_b64 s[40:41], vcc, exec
	v_mov_b32_e32 v5, 0
	s_or_b64 s[0:1], s[0:1], s[40:41]
	s_or_b64 exec, exec, s[38:39]
	s_and_saveexec_b64 s[38:39], s[0:1]
	s_cbranch_execnz .LBB143_93
	s_branch .LBB143_94
.LBB143_110:
	s_mov_b64 s[0:1], -1
                                        ; implicit-def: $vgpr5
	s_branch .LBB143_115
.LBB143_111:
	s_mov_b64 s[0:1], -1
                                        ; implicit-def: $vgpr5
.LBB143_112:
	s_and_b64 vcc, exec, s[0:1]
	s_cbranch_vccz .LBB143_114
; %bb.113:
	global_load_ubyte v1, v[3:4], off
	s_mov_b32 s0, 0x7f800000
	s_brev_b32 s1, 1
	s_movk_i32 s38, 0x7fff
	s_waitcnt vmcnt(0)
	v_lshlrev_b32_e32 v1, 24, v1
	v_and_b32_e32 v5, 0x7f000000, v1
	v_ffbh_u32_e32 v6, v5
	v_min_u32_e32 v6, 32, v6
	v_sub_u32_e64 v6, v6, 4 clamp
	v_lshlrev_b32_e32 v9, v6, v5
	v_lshlrev_b32_e32 v6, 23, v6
	v_lshrrev_b32_e32 v9, 4, v9
	v_add_u32_e32 v7, 0x1000000, v5
	v_sub_u32_e32 v6, v9, v6
	v_ashrrev_i32_e32 v7, 8, v7
	v_add_u32_e32 v6, 0x3c000000, v6
	v_and_or_b32 v6, v7, s0, v6
	v_cmp_ne_u32_e32 vcc, 0, v5
	v_cndmask_b32_e32 v5, 0, v6, vcc
	v_and_or_b32 v1, v1, s1, v5
	v_bfe_u32 v5, v5, 16, 1
	v_add3_u32 v5, v1, v5, s38
	v_cmp_o_f32_e32 vcc, v1, v1
	v_mov_b32_e32 v1, 0x7fc0
	v_cndmask_b32_sdwa v5, v1, v5, vcc dst_sel:DWORD dst_unused:UNUSED_PAD src0_sel:DWORD src1_sel:WORD_1
.LBB143_114:
	s_mov_b64 s[0:1], 0
.LBB143_115:
	s_andn2_b64 vcc, exec, s[0:1]
	s_cbranch_vccnz .LBB143_117
; %bb.116:
	global_load_ubyte v1, v[3:4], off
	s_movk_i32 s0, 0x7f00
	s_brev_b32 s1, 16
	s_brev_b32 s38, 1
	s_movk_i32 s39, 0x7fff
	s_waitcnt vmcnt(0)
	v_lshlrev_b16_e32 v5, 8, v1
	v_lshlrev_b32_e32 v1, 25, v1
	v_lshrrev_b32_e32 v6, 4, v1
	v_and_or_b32 v7, v5, s0, 0.5
	v_or_b32_e32 v6, 0x70000000, v6
	v_add_f32_e32 v7, -0.5, v7
	v_mul_f32_e32 v6, 0x7800000, v6
	v_cmp_gt_u32_e32 vcc, s1, v1
	v_bfe_i32 v5, v5, 0, 16
	v_cndmask_b32_e32 v1, v6, v7, vcc
	v_and_or_b32 v5, v5, s38, v1
	v_bfe_u32 v1, v1, 16, 1
	v_add3_u32 v1, v5, v1, s39
	v_cmp_o_f32_e32 vcc, v5, v5
	v_mov_b32_e32 v5, 0x7fc0
	v_cndmask_b32_sdwa v5, v5, v1, vcc dst_sel:DWORD dst_unused:UNUSED_PAD src0_sel:DWORD src1_sel:WORD_1
.LBB143_117:
	s_mov_b64 s[38:39], 0
	s_mov_b64 s[0:1], -1
.LBB143_118:
	s_andn2_b64 vcc, exec, s[38:39]
	s_cbranch_vccnz .LBB143_131
; %bb.119:
	s_cmp_gt_i32 s47, 14
	s_cbranch_scc0 .LBB143_122
; %bb.120:
	s_cmp_eq_u32 s47, 15
	s_cbranch_scc0 .LBB143_125
; %bb.121:
	global_load_ushort v5, v[3:4], off
	s_mov_b64 s[0:1], -1
	s_mov_b64 s[42:43], 0
	s_branch .LBB143_126
.LBB143_122:
	s_mov_b64 s[38:39], -1
                                        ; implicit-def: $vgpr5
	s_branch .LBB143_127
.LBB143_123:
	s_or_saveexec_b64 s[38:39], s[38:39]
	v_mov_b32_e32 v5, 0x7f800001
	s_xor_b64 exec, exec, s[38:39]
	s_cbranch_execz .LBB143_104
.LBB143_124:
	v_cmp_ne_u16_e32 vcc, 0, v1
	s_andn2_b64 s[0:1], s[0:1], exec
	s_and_b64 s[40:41], vcc, exec
	v_mov_b32_e32 v5, 0
	s_or_b64 s[0:1], s[0:1], s[40:41]
	s_or_b64 exec, exec, s[38:39]
	s_and_saveexec_b64 s[38:39], s[0:1]
	s_cbranch_execnz .LBB143_105
	s_branch .LBB143_106
.LBB143_125:
	s_mov_b64 s[42:43], -1
                                        ; implicit-def: $vgpr5
.LBB143_126:
	s_mov_b64 s[38:39], 0
.LBB143_127:
	s_and_b64 vcc, exec, s[38:39]
	s_cbranch_vccz .LBB143_131
; %bb.128:
	s_cmp_eq_u32 s47, 11
	s_cbranch_scc0 .LBB143_130
; %bb.129:
	global_load_ubyte v1, v[3:4], off
	s_mov_b64 s[0:1], -1
	s_mov_b64 s[42:43], 0
	s_waitcnt vmcnt(0)
	v_cmp_ne_u16_e32 vcc, 0, v1
	v_cndmask_b32_e64 v1, 0, 1.0, vcc
	v_lshrrev_b32_e32 v5, 16, v1
	s_branch .LBB143_131
.LBB143_130:
	s_mov_b64 s[42:43], -1
                                        ; implicit-def: $vgpr5
.LBB143_131:
	s_branch .LBB143_21
.LBB143_132:
	s_and_b32 s38, 0xffff, s46
	s_cmp_lt_i32 s38, 5
	s_cbranch_scc1 .LBB143_137
; %bb.133:
	s_cmp_lt_i32 s38, 8
	s_cbranch_scc1 .LBB143_138
; %bb.134:
	;; [unrolled: 3-line block ×3, first 2 shown]
	s_cmp_gt_i32 s38, 9
	s_cbranch_scc0 .LBB143_140
; %bb.136:
	global_load_dwordx2 v[5:6], v[3:4], off
	s_movk_i32 s0, 0x7fff
	s_waitcnt vmcnt(0)
	v_cvt_f32_f64_e32 v1, v[5:6]
	v_mov_b32_e32 v5, 0x7fc0
	v_bfe_u32 v6, v1, 16, 1
	v_cmp_o_f32_e32 vcc, v1, v1
	v_add3_u32 v1, v1, v6, s0
	v_cndmask_b32_sdwa v5, v5, v1, vcc dst_sel:DWORD dst_unused:UNUSED_PAD src0_sel:DWORD src1_sel:WORD_1
	s_mov_b64 s[0:1], 0
	s_branch .LBB143_141
.LBB143_137:
                                        ; implicit-def: $vgpr5
	s_branch .LBB143_159
.LBB143_138:
	s_mov_b64 s[0:1], -1
                                        ; implicit-def: $vgpr5
	s_branch .LBB143_147
.LBB143_139:
	s_mov_b64 s[0:1], -1
                                        ; implicit-def: $vgpr5
	s_branch .LBB143_144
.LBB143_140:
	s_mov_b64 s[0:1], -1
                                        ; implicit-def: $vgpr5
.LBB143_141:
	s_andn2_b64 vcc, exec, s[0:1]
	s_cbranch_vccnz .LBB143_143
; %bb.142:
	global_load_dword v1, v[3:4], off
	s_movk_i32 s0, 0x7fff
	s_waitcnt vmcnt(1)
	v_mov_b32_e32 v5, 0x7fc0
	s_waitcnt vmcnt(0)
	v_bfe_u32 v6, v1, 16, 1
	v_cmp_o_f32_e32 vcc, v1, v1
	v_add3_u32 v1, v1, v6, s0
	v_cndmask_b32_sdwa v5, v5, v1, vcc dst_sel:DWORD dst_unused:UNUSED_PAD src0_sel:DWORD src1_sel:WORD_1
.LBB143_143:
	s_mov_b64 s[0:1], 0
.LBB143_144:
	s_andn2_b64 vcc, exec, s[0:1]
	s_cbranch_vccnz .LBB143_146
; %bb.145:
	global_load_dword v1, v[3:4], off
	s_movk_i32 s0, 0x7fff
	v_mov_b32_e32 v6, 0x7fc0
	s_waitcnt vmcnt(0)
	v_cvt_f32_f16_e32 v5, v1
	v_cmp_o_f16_e32 vcc, v1, v1
	v_bfe_u32 v1, v5, 16, 1
	v_add3_u32 v1, v5, v1, s0
	v_cndmask_b32_sdwa v5, v6, v1, vcc dst_sel:DWORD dst_unused:UNUSED_PAD src0_sel:DWORD src1_sel:WORD_1
.LBB143_146:
	s_mov_b64 s[0:1], 0
.LBB143_147:
	s_andn2_b64 vcc, exec, s[0:1]
	s_cbranch_vccnz .LBB143_158
; %bb.148:
	s_cmp_lt_i32 s38, 6
	s_cbranch_scc1 .LBB143_151
; %bb.149:
	s_cmp_gt_i32 s38, 6
	s_cbranch_scc0 .LBB143_152
; %bb.150:
	global_load_dwordx2 v[5:6], v[3:4], off
	s_movk_i32 s0, 0x7fff
	s_waitcnt vmcnt(0)
	v_cvt_f32_f64_e32 v1, v[5:6]
	v_mov_b32_e32 v5, 0x7fc0
	v_bfe_u32 v6, v1, 16, 1
	v_cmp_o_f32_e32 vcc, v1, v1
	v_add3_u32 v1, v1, v6, s0
	v_cndmask_b32_sdwa v5, v5, v1, vcc dst_sel:DWORD dst_unused:UNUSED_PAD src0_sel:DWORD src1_sel:WORD_1
	s_mov_b64 s[0:1], 0
	s_branch .LBB143_153
.LBB143_151:
	s_mov_b64 s[0:1], -1
                                        ; implicit-def: $vgpr5
	s_branch .LBB143_156
.LBB143_152:
	s_mov_b64 s[0:1], -1
                                        ; implicit-def: $vgpr5
.LBB143_153:
	s_andn2_b64 vcc, exec, s[0:1]
	s_cbranch_vccnz .LBB143_155
; %bb.154:
	global_load_dword v1, v[3:4], off
	s_movk_i32 s0, 0x7fff
	s_waitcnt vmcnt(1)
	v_mov_b32_e32 v5, 0x7fc0
	s_waitcnt vmcnt(0)
	v_bfe_u32 v6, v1, 16, 1
	v_cmp_o_f32_e32 vcc, v1, v1
	v_add3_u32 v1, v1, v6, s0
	v_cndmask_b32_sdwa v5, v5, v1, vcc dst_sel:DWORD dst_unused:UNUSED_PAD src0_sel:DWORD src1_sel:WORD_1
.LBB143_155:
	s_mov_b64 s[0:1], 0
.LBB143_156:
	s_andn2_b64 vcc, exec, s[0:1]
	s_cbranch_vccnz .LBB143_158
; %bb.157:
	global_load_ushort v1, v[3:4], off
	s_movk_i32 s0, 0x7fff
	v_mov_b32_e32 v6, 0x7fc0
	s_waitcnt vmcnt(0)
	v_cvt_f32_f16_e32 v5, v1
	v_cmp_o_f16_e32 vcc, v1, v1
	v_bfe_u32 v1, v5, 16, 1
	v_add3_u32 v1, v5, v1, s0
	v_cndmask_b32_sdwa v5, v6, v1, vcc dst_sel:DWORD dst_unused:UNUSED_PAD src0_sel:DWORD src1_sel:WORD_1
.LBB143_158:
	s_cbranch_execnz .LBB143_178
.LBB143_159:
	s_cmp_lt_i32 s38, 2
	s_cbranch_scc1 .LBB143_163
; %bb.160:
	s_cmp_lt_i32 s38, 3
	s_cbranch_scc1 .LBB143_164
; %bb.161:
	s_cmp_gt_i32 s38, 3
	s_cbranch_scc0 .LBB143_165
; %bb.162:
	global_load_dwordx2 v[5:6], v[3:4], off
	s_movk_i32 s0, 0x7fff
	s_waitcnt vmcnt(0)
	v_xor_b32_e32 v7, v5, v6
	v_ffbh_i32_e32 v1, v6
	v_ashrrev_i32_e32 v7, 31, v7
	v_add_u32_e32 v1, -1, v1
	v_add_u32_e32 v7, 32, v7
	v_min_u32_e32 v1, v1, v7
	v_lshlrev_b64 v[5:6], v1, v[5:6]
	v_sub_u32_e32 v1, 32, v1
	v_min_u32_e32 v5, 1, v5
	v_or_b32_e32 v5, v6, v5
	v_cvt_f32_i32_e32 v5, v5
	v_ldexp_f32 v1, v5, v1
	v_bfe_u32 v5, v1, 16, 1
	v_add3_u32 v1, v1, v5, s0
	v_lshrrev_b32_e32 v5, 16, v1
	s_mov_b64 s[0:1], 0
	s_branch .LBB143_166
.LBB143_163:
	s_mov_b64 s[0:1], -1
                                        ; implicit-def: $vgpr5
	s_branch .LBB143_172
.LBB143_164:
	s_mov_b64 s[0:1], -1
                                        ; implicit-def: $vgpr5
	s_branch .LBB143_169
.LBB143_165:
	s_mov_b64 s[0:1], -1
                                        ; implicit-def: $vgpr5
.LBB143_166:
	s_andn2_b64 vcc, exec, s[0:1]
	s_cbranch_vccnz .LBB143_168
; %bb.167:
	global_load_dword v1, v[3:4], off
	s_movk_i32 s0, 0x7fff
	s_waitcnt vmcnt(0)
	v_cvt_f32_i32_e32 v1, v1
	v_bfe_u32 v5, v1, 16, 1
	v_add3_u32 v1, v1, v5, s0
	v_lshrrev_b32_e32 v5, 16, v1
.LBB143_168:
	s_mov_b64 s[0:1], 0
.LBB143_169:
	s_andn2_b64 vcc, exec, s[0:1]
	s_cbranch_vccnz .LBB143_171
; %bb.170:
	global_load_sshort v1, v[3:4], off
	s_movk_i32 s0, 0x7fff
	s_waitcnt vmcnt(0)
	v_cvt_f32_i32_e32 v1, v1
	v_bfe_u32 v5, v1, 16, 1
	v_add3_u32 v1, v1, v5, s0
	v_lshrrev_b32_e32 v5, 16, v1
.LBB143_171:
	s_mov_b64 s[0:1], 0
.LBB143_172:
	s_andn2_b64 vcc, exec, s[0:1]
	s_cbranch_vccnz .LBB143_178
; %bb.173:
	s_cmp_gt_i32 s38, 0
	s_cbranch_scc0 .LBB143_175
; %bb.174:
	global_load_sbyte v1, v[3:4], off
	s_movk_i32 s0, 0x7fff
	s_waitcnt vmcnt(0)
	v_cvt_f32_i32_e32 v1, v1
	v_bfe_u32 v5, v1, 16, 1
	v_add3_u32 v1, v1, v5, s0
	v_lshrrev_b32_e32 v5, 16, v1
	s_mov_b64 s[0:1], 0
	s_branch .LBB143_176
.LBB143_175:
	s_mov_b64 s[0:1], -1
                                        ; implicit-def: $vgpr5
.LBB143_176:
	s_andn2_b64 vcc, exec, s[0:1]
	s_cbranch_vccnz .LBB143_178
; %bb.177:
	global_load_ubyte v1, v[3:4], off
	s_movk_i32 s0, 0x7fff
	s_waitcnt vmcnt(0)
	v_cvt_f32_ubyte0_e32 v1, v1
	v_bfe_u32 v3, v1, 16, 1
	v_add3_u32 v1, v1, v3, s0
	v_lshrrev_b32_e32 v5, 16, v1
.LBB143_178:
	s_branch .LBB143_22
.LBB143_179:
	s_mov_b64 s[0:1], 0
	s_mov_b64 s[40:41], 0
	s_branch .LBB143_408
.LBB143_180:
	s_mov_b64 s[40:41], -1
.LBB143_181:
	s_mov_b64 s[0:1], 0
                                        ; implicit-def: $vgpr3
.LBB143_182:
	s_and_b64 vcc, exec, s[38:39]
	s_cbranch_vccz .LBB143_298
; %bb.183:
	s_cmp_eq_u32 s51, 44
	s_cbranch_scc0 .LBB143_297
; %bb.184:
	global_load_ubyte v3, v[1:2], off
	s_movk_i32 s38, 0xff
	v_mov_b32_e32 v4, 0x7f800001
	v_mov_b32_e32 v6, 0x400000
	;; [unrolled: 1-line block ×3, first 2 shown]
	s_mov_b64 s[0:1], -1
	s_mov_b64 s[40:41], 0
	s_waitcnt vmcnt(0)
	v_lshlrev_b32_e32 v9, 23, v3
	v_cmp_ne_u32_e32 vcc, s38, v3
	v_cndmask_b32_e32 v4, v4, v9, vcc
	v_cmp_ne_u32_e32 vcc, 0, v3
	v_cndmask_b32_e32 v3, v6, v4, vcc
	v_add_u32_e32 v4, 0x7fff, v3
	v_cmp_o_f32_e32 vcc, v3, v3
	v_cndmask_b32_sdwa v3, v7, v4, vcc dst_sel:DWORD dst_unused:UNUSED_PAD src0_sel:DWORD src1_sel:WORD_1
	s_branch .LBB143_298
.LBB143_185:
	s_mov_b64 s[50:51], -1
	s_mov_b64 s[0:1], 0
	s_mov_b64 s[46:47], 0
.LBB143_186:
	s_and_b64 vcc, exec, s[50:51]
	s_cbranch_vccz .LBB143_191
; %bb.187:
	s_cmp_eq_u32 s55, 44
	s_mov_b64 s[0:1], -1
	s_cbranch_scc0 .LBB143_191
; %bb.188:
	v_cndmask_b32_e64 v3, 0, 1.0, s[38:39]
	v_lshrrev_b32_e32 v2, 23, v3
	s_movk_i32 s0, 0xff
	v_cmp_ne_u32_e32 vcc, s0, v2
	v_mov_b32_e32 v4, 0xff
	s_and_saveexec_b64 s[46:47], vcc
; %bb.189:
	s_mov_b32 s0, 0x3fffff
	v_and_b32_e32 v4, 0x400000, v3
	v_and_or_b32 v3, v3, s0, v2
	v_cmp_ne_u32_e32 vcc, 0, v4
	v_cmp_ne_u32_e64 s[0:1], 0, v3
	s_and_b64 s[0:1], vcc, s[0:1]
	v_cndmask_b32_e64 v3, 0, 1, s[0:1]
	v_add_u32_e32 v4, v2, v3
; %bb.190:
	s_or_b64 exec, exec, s[46:47]
	s_mov_b64 s[46:47], -1
	s_mov_b64 s[0:1], 0
	global_store_byte v[0:1], v4, off
.LBB143_191:
	s_mov_b64 s[50:51], 0
.LBB143_192:
	s_and_b64 vcc, exec, s[50:51]
	s_cbranch_vccz .LBB143_195
; %bb.193:
	s_cmp_eq_u32 s55, 29
	s_mov_b64 s[0:1], -1
	s_cbranch_scc0 .LBB143_195
; %bb.194:
	s_mov_b32 s0, 0
	v_cndmask_b32_e64 v2, 0, 1, s[38:39]
	v_mov_b32_e32 v3, s0
	global_store_dwordx2 v[0:1], v[2:3], off
	s_mov_b64 s[46:47], -1
	s_mov_b64 s[0:1], 0
.LBB143_195:
	s_mov_b64 s[50:51], 0
.LBB143_196:
	s_and_b64 vcc, exec, s[50:51]
	s_cbranch_vccz .LBB143_212
; %bb.197:
	s_cmp_lt_i32 s55, 27
	s_mov_b64 s[46:47], -1
	s_cbranch_scc1 .LBB143_203
; %bb.198:
	s_cmp_gt_i32 s55, 27
	s_cbranch_scc0 .LBB143_200
; %bb.199:
	v_cndmask_b32_e64 v2, 0, 1, s[38:39]
	s_mov_b64 s[46:47], 0
	global_store_dword v[0:1], v2, off
.LBB143_200:
	s_andn2_b64 vcc, exec, s[46:47]
	s_cbranch_vccnz .LBB143_202
; %bb.201:
	v_cndmask_b32_e64 v2, 0, 1, s[38:39]
	global_store_short v[0:1], v2, off
.LBB143_202:
	s_mov_b64 s[46:47], 0
.LBB143_203:
	s_andn2_b64 vcc, exec, s[46:47]
	s_cbranch_vccnz .LBB143_211
; %bb.204:
	v_cndmask_b32_e64 v3, 0, 1.0, s[38:39]
	s_mov_b32 s46, 0x43800000
	v_cmp_gt_u32_e32 vcc, s46, v3
	v_mov_b32_e32 v4, 0x80
	s_and_saveexec_b64 s[46:47], vcc
	s_cbranch_execz .LBB143_210
; %bb.205:
	s_mov_b32 s50, 0x3bffffff
	v_cmp_lt_u32_e32 vcc, s50, v3
	s_mov_b64 s[50:51], 0
                                        ; implicit-def: $vgpr2
	s_and_saveexec_b64 s[52:53], vcc
	s_xor_b64 s[52:53], exec, s[52:53]
	s_cbranch_execz .LBB143_450
; %bb.206:
	v_bfe_u32 v2, v3, 20, 1
	s_mov_b32 s56, 0x487ffff
	v_add3_u32 v2, v3, v2, s56
	s_mov_b64 s[50:51], exec
	v_lshrrev_b32_e32 v2, 20, v2
                                        ; implicit-def: $vgpr3
	s_andn2_saveexec_b64 s[52:53], s[52:53]
	s_cbranch_execnz .LBB143_451
.LBB143_207:
	s_or_b64 exec, exec, s[52:53]
	v_mov_b32_e32 v4, 0
	s_and_saveexec_b64 s[52:53], s[50:51]
.LBB143_208:
	v_mov_b32_e32 v4, v2
.LBB143_209:
	s_or_b64 exec, exec, s[52:53]
.LBB143_210:
	s_or_b64 exec, exec, s[46:47]
	global_store_byte v[0:1], v4, off
.LBB143_211:
	s_mov_b64 s[46:47], -1
.LBB143_212:
	s_mov_b64 s[50:51], 0
.LBB143_213:
	s_and_b64 vcc, exec, s[50:51]
	s_cbranch_vccz .LBB143_254
; %bb.214:
	s_cmp_gt_i32 s55, 22
	s_mov_b64 s[50:51], -1
	s_cbranch_scc0 .LBB143_246
; %bb.215:
	s_cmp_lt_i32 s55, 24
	s_mov_b64 s[46:47], -1
	s_cbranch_scc1 .LBB143_235
; %bb.216:
	s_cmp_gt_i32 s55, 24
	s_cbranch_scc0 .LBB143_224
; %bb.217:
	v_cndmask_b32_e64 v3, 0, 1.0, s[38:39]
	s_mov_b32 s46, 0x47800000
	v_cmp_gt_u32_e32 vcc, s46, v3
	v_mov_b32_e32 v4, 0x80
	s_and_saveexec_b64 s[46:47], vcc
	s_cbranch_execz .LBB143_223
; %bb.218:
	s_mov_b32 s50, 0x37ffffff
	v_cmp_lt_u32_e32 vcc, s50, v3
	s_mov_b64 s[50:51], 0
                                        ; implicit-def: $vgpr2
	s_and_saveexec_b64 s[52:53], vcc
	s_xor_b64 s[52:53], exec, s[52:53]
	s_cbranch_execz .LBB143_569
; %bb.219:
	v_bfe_u32 v2, v3, 21, 1
	s_mov_b32 s56, 0x88fffff
	v_add3_u32 v2, v3, v2, s56
	s_mov_b64 s[50:51], exec
	v_lshrrev_b32_e32 v2, 21, v2
                                        ; implicit-def: $vgpr3
	s_andn2_saveexec_b64 s[52:53], s[52:53]
	s_cbranch_execnz .LBB143_570
.LBB143_220:
	s_or_b64 exec, exec, s[52:53]
	v_mov_b32_e32 v4, 0
	s_and_saveexec_b64 s[52:53], s[50:51]
.LBB143_221:
	v_mov_b32_e32 v4, v2
.LBB143_222:
	s_or_b64 exec, exec, s[52:53]
.LBB143_223:
	s_or_b64 exec, exec, s[46:47]
	s_mov_b64 s[46:47], 0
	global_store_byte v[0:1], v4, off
.LBB143_224:
	s_and_b64 vcc, exec, s[46:47]
	s_cbranch_vccz .LBB143_234
; %bb.225:
	v_cndmask_b32_e64 v2, 0, 1.0, s[38:39]
	s_mov_b32 s46, 0x43f00000
	v_cmp_gt_u32_e32 vcc, s46, v2
                                        ; implicit-def: $vgpr3
	s_and_saveexec_b64 s[46:47], vcc
	s_xor_b64 s[46:47], exec, s[46:47]
	s_cbranch_execz .LBB143_231
; %bb.226:
	s_mov_b32 s50, 0x3c7fffff
	v_cmp_lt_u32_e32 vcc, s50, v2
                                        ; implicit-def: $vgpr3
	s_and_saveexec_b64 s[50:51], vcc
	s_xor_b64 s[50:51], exec, s[50:51]
; %bb.227:
	v_bfe_u32 v3, v2, 20, 1
	s_mov_b32 s52, 0x407ffff
	v_add3_u32 v2, v2, v3, s52
	v_lshrrev_b32_e32 v3, 20, v2
	v_and_b32_e32 v2, 0xff00000, v2
	s_mov_b32 s52, 0x7f00000
	v_mov_b32_e32 v4, 0x7e
	v_cmp_ne_u32_e32 vcc, s52, v2
	v_cndmask_b32_e32 v3, v4, v3, vcc
                                        ; implicit-def: $vgpr2
; %bb.228:
	s_andn2_saveexec_b64 s[50:51], s[50:51]
; %bb.229:
	v_add_f32_e32 v3, 0x46800000, v2
; %bb.230:
	s_or_b64 exec, exec, s[50:51]
                                        ; implicit-def: $vgpr2
.LBB143_231:
	s_andn2_saveexec_b64 s[46:47], s[46:47]
; %bb.232:
	s_mov_b32 s50, 0x7f800000
	v_mov_b32_e32 v3, 0x7e
	v_mov_b32_e32 v4, 0x7f
	v_cmp_lt_u32_e32 vcc, s50, v2
	v_cndmask_b32_e32 v3, v3, v4, vcc
; %bb.233:
	s_or_b64 exec, exec, s[46:47]
	global_store_byte v[0:1], v3, off
.LBB143_234:
	s_mov_b64 s[46:47], 0
.LBB143_235:
	s_andn2_b64 vcc, exec, s[46:47]
	s_cbranch_vccnz .LBB143_245
; %bb.236:
	v_cndmask_b32_e64 v2, 0, 1.0, s[38:39]
	s_mov_b32 s46, 0x47800000
	v_cmp_gt_u32_e32 vcc, s46, v2
                                        ; implicit-def: $vgpr3
	s_and_saveexec_b64 s[46:47], vcc
	s_xor_b64 s[46:47], exec, s[46:47]
	s_cbranch_execz .LBB143_242
; %bb.237:
	s_mov_b32 s50, 0x387fffff
	v_cmp_lt_u32_e32 vcc, s50, v2
                                        ; implicit-def: $vgpr3
	s_and_saveexec_b64 s[50:51], vcc
	s_xor_b64 s[50:51], exec, s[50:51]
; %bb.238:
	v_bfe_u32 v3, v2, 21, 1
	s_mov_b32 s52, 0x80fffff
	v_add3_u32 v2, v2, v3, s52
	v_lshrrev_b32_e32 v3, 21, v2
                                        ; implicit-def: $vgpr2
; %bb.239:
	s_andn2_saveexec_b64 s[50:51], s[50:51]
; %bb.240:
	v_add_f32_e32 v3, 0x43000000, v2
; %bb.241:
	s_or_b64 exec, exec, s[50:51]
                                        ; implicit-def: $vgpr2
.LBB143_242:
	s_andn2_saveexec_b64 s[46:47], s[46:47]
; %bb.243:
	s_mov_b32 s50, 0x7f800000
	v_mov_b32_e32 v3, 0x7c
	v_mov_b32_e32 v4, 0x7f
	v_cmp_lt_u32_e32 vcc, s50, v2
	v_cndmask_b32_e32 v3, v3, v4, vcc
; %bb.244:
	s_or_b64 exec, exec, s[46:47]
	global_store_byte v[0:1], v3, off
.LBB143_245:
	s_mov_b64 s[50:51], 0
	s_mov_b64 s[46:47], -1
.LBB143_246:
	s_andn2_b64 vcc, exec, s[50:51]
	s_cbranch_vccnz .LBB143_254
; %bb.247:
	s_cmp_gt_i32 s55, 14
	s_mov_b64 s[50:51], -1
	s_cbranch_scc0 .LBB143_251
; %bb.248:
	s_cmp_eq_u32 s55, 15
	s_mov_b64 s[0:1], -1
	s_cbranch_scc0 .LBB143_250
; %bb.249:
	v_cndmask_b32_e64 v2, 0, 1.0, s[38:39]
	v_bfe_u32 v3, v2, 16, 1
	s_movk_i32 s0, 0x7fff
	v_add3_u32 v2, v2, v3, s0
	global_store_short_d16_hi v[0:1], v2, off
	s_mov_b64 s[46:47], -1
	s_mov_b64 s[0:1], 0
.LBB143_250:
	s_mov_b64 s[50:51], 0
.LBB143_251:
	s_and_b64 vcc, exec, s[50:51]
	s_cbranch_vccz .LBB143_254
; %bb.252:
	s_cmp_eq_u32 s55, 11
	s_mov_b64 s[0:1], -1
	s_cbranch_scc0 .LBB143_254
; %bb.253:
	v_cndmask_b32_e64 v2, 0, 1, s[38:39]
	s_mov_b64 s[46:47], -1
	s_mov_b64 s[0:1], 0
	global_store_byte v[0:1], v2, off
.LBB143_254:
	s_mov_b64 s[50:51], 0
.LBB143_255:
	s_and_b64 vcc, exec, s[50:51]
	s_cbranch_vccz .LBB143_294
; %bb.256:
	s_and_b32 s50, 0xffff, s54
	s_cmp_lt_i32 s50, 5
	s_mov_b64 s[46:47], -1
	s_cbranch_scc1 .LBB143_277
; %bb.257:
	s_cmp_lt_i32 s50, 8
	s_cbranch_scc1 .LBB143_267
; %bb.258:
	s_cmp_lt_i32 s50, 9
	s_cbranch_scc1 .LBB143_264
; %bb.259:
	s_cmp_gt_i32 s50, 9
	s_cbranch_scc0 .LBB143_261
; %bb.260:
	v_cndmask_b32_e64 v2, 0, 1, s[38:39]
	v_cvt_f64_u32_e32 v[2:3], v2
	v_mov_b32_e32 v4, 0
	v_mov_b32_e32 v5, v4
	s_mov_b64 s[46:47], 0
	global_store_dwordx4 v[0:1], v[2:5], off
.LBB143_261:
	s_andn2_b64 vcc, exec, s[46:47]
	s_cbranch_vccnz .LBB143_263
; %bb.262:
	v_cndmask_b32_e64 v2, 0, 1.0, s[38:39]
	v_mov_b32_e32 v3, 0
	global_store_dwordx2 v[0:1], v[2:3], off
.LBB143_263:
	s_mov_b64 s[46:47], 0
.LBB143_264:
	s_andn2_b64 vcc, exec, s[46:47]
	s_cbranch_vccnz .LBB143_266
; %bb.265:
	v_cndmask_b32_e64 v2, 0, 1.0, s[38:39]
	v_cvt_f16_f32_e32 v2, v2
	global_store_dword v[0:1], v2, off
.LBB143_266:
	s_mov_b64 s[46:47], 0
.LBB143_267:
	s_andn2_b64 vcc, exec, s[46:47]
	s_cbranch_vccnz .LBB143_276
; %bb.268:
	s_cmp_lt_i32 s50, 6
	s_mov_b64 s[46:47], -1
	s_cbranch_scc1 .LBB143_274
; %bb.269:
	s_cmp_gt_i32 s50, 6
	s_cbranch_scc0 .LBB143_271
; %bb.270:
	v_cndmask_b32_e64 v2, 0, 1, s[38:39]
	v_cvt_f64_u32_e32 v[2:3], v2
	s_mov_b64 s[46:47], 0
	global_store_dwordx2 v[0:1], v[2:3], off
.LBB143_271:
	s_andn2_b64 vcc, exec, s[46:47]
	s_cbranch_vccnz .LBB143_273
; %bb.272:
	v_cndmask_b32_e64 v2, 0, 1.0, s[38:39]
	global_store_dword v[0:1], v2, off
.LBB143_273:
	s_mov_b64 s[46:47], 0
.LBB143_274:
	s_andn2_b64 vcc, exec, s[46:47]
	s_cbranch_vccnz .LBB143_276
; %bb.275:
	v_cndmask_b32_e64 v2, 0, 1.0, s[38:39]
	v_cvt_f16_f32_e32 v2, v2
	global_store_short v[0:1], v2, off
.LBB143_276:
	s_mov_b64 s[46:47], 0
.LBB143_277:
	s_andn2_b64 vcc, exec, s[46:47]
	s_cbranch_vccnz .LBB143_293
; %bb.278:
	s_cmp_lt_i32 s50, 2
	s_mov_b64 s[46:47], -1
	s_cbranch_scc1 .LBB143_288
; %bb.279:
	s_cmp_lt_i32 s50, 3
	s_cbranch_scc1 .LBB143_285
; %bb.280:
	s_cmp_gt_i32 s50, 3
	s_cbranch_scc0 .LBB143_282
; %bb.281:
	s_mov_b32 s46, 0
	v_cndmask_b32_e64 v2, 0, 1, s[38:39]
	v_mov_b32_e32 v3, s46
	global_store_dwordx2 v[0:1], v[2:3], off
	s_mov_b64 s[46:47], 0
.LBB143_282:
	s_andn2_b64 vcc, exec, s[46:47]
	s_cbranch_vccnz .LBB143_284
; %bb.283:
	v_cndmask_b32_e64 v2, 0, 1, s[38:39]
	global_store_dword v[0:1], v2, off
.LBB143_284:
	s_mov_b64 s[46:47], 0
.LBB143_285:
	s_andn2_b64 vcc, exec, s[46:47]
	s_cbranch_vccnz .LBB143_287
; %bb.286:
	v_cndmask_b32_e64 v2, 0, 1, s[38:39]
	global_store_short v[0:1], v2, off
.LBB143_287:
	s_mov_b64 s[46:47], 0
.LBB143_288:
	s_andn2_b64 vcc, exec, s[46:47]
	s_cbranch_vccnz .LBB143_293
; %bb.289:
	s_cmp_gt_i32 s50, 0
	s_mov_b64 s[46:47], -1
	s_cbranch_scc0 .LBB143_291
; %bb.290:
	v_cndmask_b32_e64 v2, 0, 1, s[38:39]
	global_store_byte v[0:1], v2, off
	s_mov_b64 s[46:47], 0
.LBB143_291:
	s_andn2_b64 vcc, exec, s[46:47]
	s_cbranch_vccnz .LBB143_293
; %bb.292:
	v_cndmask_b32_e64 v2, 0, 1, s[38:39]
	global_store_byte v[0:1], v2, off
.LBB143_293:
	s_mov_b64 s[46:47], -1
.LBB143_294:
	s_andn2_b64 vcc, exec, s[46:47]
	s_cbranch_vccnz .LBB143_296
; %bb.295:
	v_add_u32_e32 v8, 0x80, v8
	s_mov_b64 s[46:47], -1
	s_branch .LBB143_409
.LBB143_296:
	s_mov_b64 s[46:47], 0
                                        ; implicit-def: $vgpr8
	s_branch .LBB143_409
.LBB143_297:
	s_mov_b64 s[40:41], -1
                                        ; implicit-def: $vgpr3
.LBB143_298:
	s_mov_b64 s[38:39], 0
.LBB143_299:
	s_and_b64 vcc, exec, s[38:39]
	s_cbranch_vccz .LBB143_303
; %bb.300:
	s_cmp_eq_u32 s51, 29
	s_cbranch_scc0 .LBB143_302
; %bb.301:
	global_load_dwordx2 v[3:4], v[1:2], off
	s_movk_i32 s38, 0x7fff
	s_mov_b64 s[0:1], -1
	s_mov_b64 s[40:41], 0
	s_waitcnt vmcnt(0)
	v_ffbh_u32_e32 v6, v4
	v_min_u32_e32 v6, 32, v6
	v_lshlrev_b64 v[3:4], v6, v[3:4]
	v_min_u32_e32 v3, 1, v3
	v_or_b32_e32 v3, v4, v3
	v_cvt_f32_u32_e32 v3, v3
	v_sub_u32_e32 v4, 32, v6
	v_ldexp_f32 v3, v3, v4
	v_bfe_u32 v4, v3, 16, 1
	v_add3_u32 v3, v3, v4, s38
	v_lshrrev_b32_e32 v3, 16, v3
	s_branch .LBB143_303
.LBB143_302:
	s_mov_b64 s[40:41], -1
                                        ; implicit-def: $vgpr3
.LBB143_303:
	s_mov_b64 s[38:39], 0
.LBB143_304:
	s_and_b64 vcc, exec, s[38:39]
	s_cbranch_vccz .LBB143_322
; %bb.305:
	s_cmp_lt_i32 s51, 27
	s_cbranch_scc1 .LBB143_308
; %bb.306:
	s_cmp_gt_i32 s51, 27
	s_cbranch_scc0 .LBB143_309
; %bb.307:
	global_load_dword v3, v[1:2], off
	s_movk_i32 s0, 0x7fff
	s_waitcnt vmcnt(0)
	v_cvt_f32_u32_e32 v3, v3
	v_bfe_u32 v4, v3, 16, 1
	v_add3_u32 v3, v3, v4, s0
	v_lshrrev_b32_e32 v3, 16, v3
	s_mov_b64 s[0:1], 0
	s_branch .LBB143_310
.LBB143_308:
	s_mov_b64 s[0:1], -1
                                        ; implicit-def: $vgpr3
	s_branch .LBB143_313
.LBB143_309:
	s_mov_b64 s[0:1], -1
                                        ; implicit-def: $vgpr3
.LBB143_310:
	s_andn2_b64 vcc, exec, s[0:1]
	s_cbranch_vccnz .LBB143_312
; %bb.311:
	global_load_ushort v3, v[1:2], off
	s_movk_i32 s0, 0x7fff
	s_waitcnt vmcnt(0)
	v_cvt_f32_u32_e32 v3, v3
	v_bfe_u32 v4, v3, 16, 1
	v_add3_u32 v3, v3, v4, s0
	v_lshrrev_b32_e32 v3, 16, v3
.LBB143_312:
	s_mov_b64 s[0:1], 0
.LBB143_313:
	s_andn2_b64 vcc, exec, s[0:1]
	s_cbranch_vccnz .LBB143_321
; %bb.314:
	global_load_ubyte v3, v[1:2], off
	s_movk_i32 s0, 0x7f
	s_waitcnt vmcnt(0)
	v_cmp_lt_i16_e32 vcc, s0, v3
	s_mov_b64 s[0:1], 0
	s_and_saveexec_b64 s[38:39], vcc
	s_xor_b64 s[38:39], exec, s[38:39]
	s_cbranch_execz .LBB143_335
; %bb.315:
	s_movk_i32 s0, 0x80
	v_cmp_eq_u16_e32 vcc, s0, v3
	s_mov_b64 s[0:1], -1
	s_and_saveexec_b64 s[46:47], vcc
; %bb.316:
	s_xor_b64 s[0:1], exec, -1
; %bb.317:
	s_or_b64 exec, exec, s[46:47]
	s_and_b64 s[0:1], s[0:1], exec
	s_or_saveexec_b64 s[38:39], s[38:39]
	v_mov_b32_e32 v4, 0x7f800001
	s_xor_b64 exec, exec, s[38:39]
	s_cbranch_execnz .LBB143_336
.LBB143_318:
	s_or_b64 exec, exec, s[38:39]
	s_and_saveexec_b64 s[38:39], s[0:1]
	s_cbranch_execz .LBB143_320
.LBB143_319:
	v_lshlrev_b32_e32 v4, 24, v3
	v_and_b32_e32 v3, 0xffff, v3
	v_and_b32_e32 v6, 7, v3
	v_ffbh_u32_e32 v9, v6
	v_min_u32_e32 v9, 32, v9
	v_subrev_u32_e32 v10, 28, v9
	v_bfe_u32 v7, v3, 3, 4
	v_lshlrev_b32_e32 v3, v10, v3
	v_sub_u32_e32 v9, 29, v9
	v_and_b32_e32 v3, 7, v3
	v_cmp_eq_u32_e32 vcc, 0, v7
	v_cndmask_b32_e32 v7, v7, v9, vcc
	v_cndmask_b32_e32 v3, v6, v3, vcc
	v_mov_b32_e32 v6, 0x3b800000
	v_lshlrev_b32_e32 v3, 20, v3
	v_and_b32_e32 v4, 0x80000000, v4
	v_lshl_add_u32 v6, v7, 23, v6
	v_or3_b32 v4, v4, v6, v3
.LBB143_320:
	s_or_b64 exec, exec, s[38:39]
	v_bfe_u32 v3, v4, 16, 1
	s_movk_i32 s0, 0x7fff
	v_add3_u32 v3, v4, v3, s0
	v_cmp_o_f32_e32 vcc, v4, v4
	v_mov_b32_e32 v4, 0x7fc0
	v_cndmask_b32_sdwa v3, v4, v3, vcc dst_sel:DWORD dst_unused:UNUSED_PAD src0_sel:DWORD src1_sel:WORD_1
.LBB143_321:
	s_mov_b64 s[0:1], -1
.LBB143_322:
	s_mov_b64 s[38:39], 0
.LBB143_323:
	s_and_b64 vcc, exec, s[38:39]
	s_cbranch_vccz .LBB143_358
; %bb.324:
	s_cmp_gt_i32 s51, 22
	s_cbranch_scc0 .LBB143_334
; %bb.325:
	s_cmp_lt_i32 s51, 24
	s_cbranch_scc1 .LBB143_337
; %bb.326:
	s_cmp_gt_i32 s51, 24
	s_cbranch_scc0 .LBB143_338
; %bb.327:
	global_load_ubyte v3, v[1:2], off
	s_movk_i32 s0, 0x7f
	s_waitcnt vmcnt(0)
	v_cmp_lt_i16_e32 vcc, s0, v3
	s_mov_b64 s[0:1], 0
	s_and_saveexec_b64 s[38:39], vcc
	s_xor_b64 s[38:39], exec, s[38:39]
	s_cbranch_execz .LBB143_350
; %bb.328:
	s_movk_i32 s0, 0x80
	v_cmp_eq_u16_e32 vcc, s0, v3
	s_mov_b64 s[0:1], -1
	s_and_saveexec_b64 s[46:47], vcc
; %bb.329:
	s_xor_b64 s[0:1], exec, -1
; %bb.330:
	s_or_b64 exec, exec, s[46:47]
	s_and_b64 s[0:1], s[0:1], exec
	s_or_saveexec_b64 s[38:39], s[38:39]
	v_mov_b32_e32 v4, 0x7f800001
	s_xor_b64 exec, exec, s[38:39]
	s_cbranch_execnz .LBB143_351
.LBB143_331:
	s_or_b64 exec, exec, s[38:39]
	s_and_saveexec_b64 s[38:39], s[0:1]
	s_cbranch_execz .LBB143_333
.LBB143_332:
	v_lshlrev_b32_e32 v4, 24, v3
	v_and_b32_e32 v3, 0xffff, v3
	v_and_b32_e32 v6, 3, v3
	v_ffbh_u32_e32 v9, v6
	v_min_u32_e32 v9, 32, v9
	v_subrev_u32_e32 v10, 29, v9
	v_bfe_u32 v7, v3, 2, 5
	v_lshlrev_b32_e32 v3, v10, v3
	v_sub_u32_e32 v9, 30, v9
	v_and_b32_e32 v3, 3, v3
	v_cmp_eq_u32_e32 vcc, 0, v7
	v_cndmask_b32_e32 v7, v7, v9, vcc
	v_cndmask_b32_e32 v3, v6, v3, vcc
	v_mov_b32_e32 v6, 0x37800000
	v_lshlrev_b32_e32 v3, 21, v3
	v_and_b32_e32 v4, 0x80000000, v4
	v_lshl_add_u32 v6, v7, 23, v6
	v_or3_b32 v4, v4, v6, v3
.LBB143_333:
	s_or_b64 exec, exec, s[38:39]
	v_bfe_u32 v3, v4, 16, 1
	s_movk_i32 s0, 0x7fff
	v_add3_u32 v3, v4, v3, s0
	v_cmp_o_f32_e32 vcc, v4, v4
	v_mov_b32_e32 v4, 0x7fc0
	v_cndmask_b32_sdwa v3, v4, v3, vcc dst_sel:DWORD dst_unused:UNUSED_PAD src0_sel:DWORD src1_sel:WORD_1
	s_mov_b64 s[0:1], 0
	s_branch .LBB143_339
.LBB143_334:
	s_mov_b64 s[38:39], -1
                                        ; implicit-def: $vgpr3
	s_branch .LBB143_345
.LBB143_335:
	s_or_saveexec_b64 s[38:39], s[38:39]
	v_mov_b32_e32 v4, 0x7f800001
	s_xor_b64 exec, exec, s[38:39]
	s_cbranch_execz .LBB143_318
.LBB143_336:
	v_cmp_ne_u16_e32 vcc, 0, v3
	s_andn2_b64 s[0:1], s[0:1], exec
	s_and_b64 s[46:47], vcc, exec
	v_mov_b32_e32 v4, 0
	s_or_b64 s[0:1], s[0:1], s[46:47]
	s_or_b64 exec, exec, s[38:39]
	s_and_saveexec_b64 s[38:39], s[0:1]
	s_cbranch_execnz .LBB143_319
	s_branch .LBB143_320
.LBB143_337:
	s_mov_b64 s[0:1], -1
                                        ; implicit-def: $vgpr3
	s_branch .LBB143_342
.LBB143_338:
	s_mov_b64 s[0:1], -1
                                        ; implicit-def: $vgpr3
.LBB143_339:
	s_and_b64 vcc, exec, s[0:1]
	s_cbranch_vccz .LBB143_341
; %bb.340:
	global_load_ubyte v3, v[1:2], off
	s_mov_b32 s0, 0x7f800000
	s_brev_b32 s1, 1
	s_movk_i32 s38, 0x7fff
	s_waitcnt vmcnt(0)
	v_lshlrev_b32_e32 v3, 24, v3
	v_and_b32_e32 v4, 0x7f000000, v3
	v_ffbh_u32_e32 v6, v4
	v_min_u32_e32 v6, 32, v6
	v_sub_u32_e64 v6, v6, 4 clamp
	v_lshlrev_b32_e32 v9, v6, v4
	v_lshlrev_b32_e32 v6, 23, v6
	v_lshrrev_b32_e32 v9, 4, v9
	v_add_u32_e32 v7, 0x1000000, v4
	v_sub_u32_e32 v6, v9, v6
	v_ashrrev_i32_e32 v7, 8, v7
	v_add_u32_e32 v6, 0x3c000000, v6
	v_and_or_b32 v6, v7, s0, v6
	v_cmp_ne_u32_e32 vcc, 0, v4
	v_cndmask_b32_e32 v4, 0, v6, vcc
	v_and_or_b32 v3, v3, s1, v4
	v_bfe_u32 v4, v4, 16, 1
	v_add3_u32 v4, v3, v4, s38
	v_cmp_o_f32_e32 vcc, v3, v3
	v_mov_b32_e32 v3, 0x7fc0
	v_cndmask_b32_sdwa v3, v3, v4, vcc dst_sel:DWORD dst_unused:UNUSED_PAD src0_sel:DWORD src1_sel:WORD_1
.LBB143_341:
	s_mov_b64 s[0:1], 0
.LBB143_342:
	s_andn2_b64 vcc, exec, s[0:1]
	s_cbranch_vccnz .LBB143_344
; %bb.343:
	global_load_ubyte v3, v[1:2], off
	s_movk_i32 s0, 0x7f00
	s_brev_b32 s1, 16
	s_brev_b32 s38, 1
	s_movk_i32 s39, 0x7fff
	s_waitcnt vmcnt(0)
	v_lshlrev_b16_e32 v4, 8, v3
	v_lshlrev_b32_e32 v3, 25, v3
	v_lshrrev_b32_e32 v6, 4, v3
	v_and_or_b32 v7, v4, s0, 0.5
	v_or_b32_e32 v6, 0x70000000, v6
	v_add_f32_e32 v7, -0.5, v7
	v_mul_f32_e32 v6, 0x7800000, v6
	v_cmp_gt_u32_e32 vcc, s1, v3
	v_bfe_i32 v4, v4, 0, 16
	v_cndmask_b32_e32 v3, v6, v7, vcc
	v_and_or_b32 v4, v4, s38, v3
	v_bfe_u32 v3, v3, 16, 1
	v_add3_u32 v3, v4, v3, s39
	v_cmp_o_f32_e32 vcc, v4, v4
	v_mov_b32_e32 v4, 0x7fc0
	v_cndmask_b32_sdwa v3, v4, v3, vcc dst_sel:DWORD dst_unused:UNUSED_PAD src0_sel:DWORD src1_sel:WORD_1
.LBB143_344:
	s_mov_b64 s[38:39], 0
	s_mov_b64 s[0:1], -1
.LBB143_345:
	s_andn2_b64 vcc, exec, s[38:39]
	s_cbranch_vccnz .LBB143_358
; %bb.346:
	s_cmp_gt_i32 s51, 14
	s_cbranch_scc0 .LBB143_349
; %bb.347:
	s_cmp_eq_u32 s51, 15
	s_cbranch_scc0 .LBB143_352
; %bb.348:
	global_load_ushort v3, v[1:2], off
	s_mov_b64 s[0:1], -1
	s_mov_b64 s[40:41], 0
	s_branch .LBB143_353
.LBB143_349:
	s_mov_b64 s[38:39], -1
                                        ; implicit-def: $vgpr3
	s_branch .LBB143_354
.LBB143_350:
	s_or_saveexec_b64 s[38:39], s[38:39]
	v_mov_b32_e32 v4, 0x7f800001
	s_xor_b64 exec, exec, s[38:39]
	s_cbranch_execz .LBB143_331
.LBB143_351:
	v_cmp_ne_u16_e32 vcc, 0, v3
	s_andn2_b64 s[0:1], s[0:1], exec
	s_and_b64 s[46:47], vcc, exec
	v_mov_b32_e32 v4, 0
	s_or_b64 s[0:1], s[0:1], s[46:47]
	s_or_b64 exec, exec, s[38:39]
	s_and_saveexec_b64 s[38:39], s[0:1]
	s_cbranch_execnz .LBB143_332
	s_branch .LBB143_333
.LBB143_352:
	s_mov_b64 s[40:41], -1
                                        ; implicit-def: $vgpr3
.LBB143_353:
	s_mov_b64 s[38:39], 0
.LBB143_354:
	s_and_b64 vcc, exec, s[38:39]
	s_cbranch_vccz .LBB143_358
; %bb.355:
	s_cmp_eq_u32 s51, 11
	s_cbranch_scc0 .LBB143_357
; %bb.356:
	global_load_ubyte v3, v[1:2], off
	s_mov_b64 s[0:1], -1
	s_mov_b64 s[40:41], 0
	s_waitcnt vmcnt(0)
	v_cmp_ne_u16_e32 vcc, 0, v3
	v_cndmask_b32_e64 v3, 0, 1.0, vcc
	v_lshrrev_b32_e32 v3, 16, v3
	s_branch .LBB143_358
.LBB143_357:
	s_mov_b64 s[40:41], -1
                                        ; implicit-def: $vgpr3
.LBB143_358:
	s_branch .LBB143_31
.LBB143_359:
	s_and_b32 s38, 0xffff, s50
	s_cmp_lt_i32 s38, 5
	s_cbranch_scc1 .LBB143_364
; %bb.360:
	s_cmp_lt_i32 s38, 8
	s_cbranch_scc1 .LBB143_365
; %bb.361:
	;; [unrolled: 3-line block ×3, first 2 shown]
	s_cmp_gt_i32 s38, 9
	s_cbranch_scc0 .LBB143_367
; %bb.363:
	global_load_dwordx2 v[3:4], v[1:2], off
	s_movk_i32 s0, 0x7fff
	s_waitcnt vmcnt(0)
	v_cvt_f32_f64_e32 v3, v[3:4]
	v_mov_b32_e32 v4, 0x7fc0
	v_bfe_u32 v6, v3, 16, 1
	v_cmp_o_f32_e32 vcc, v3, v3
	v_add3_u32 v3, v3, v6, s0
	v_cndmask_b32_sdwa v3, v4, v3, vcc dst_sel:DWORD dst_unused:UNUSED_PAD src0_sel:DWORD src1_sel:WORD_1
	s_mov_b64 s[0:1], 0
	s_branch .LBB143_368
.LBB143_364:
	s_mov_b64 s[0:1], -1
                                        ; implicit-def: $vgpr3
	s_branch .LBB143_386
.LBB143_365:
	s_mov_b64 s[0:1], -1
                                        ; implicit-def: $vgpr3
	s_branch .LBB143_374
.LBB143_366:
	s_mov_b64 s[0:1], -1
                                        ; implicit-def: $vgpr3
	s_branch .LBB143_371
.LBB143_367:
	s_mov_b64 s[0:1], -1
                                        ; implicit-def: $vgpr3
.LBB143_368:
	s_andn2_b64 vcc, exec, s[0:1]
	s_cbranch_vccnz .LBB143_370
; %bb.369:
	global_load_dword v3, v[1:2], off
	s_movk_i32 s0, 0x7fff
	v_mov_b32_e32 v4, 0x7fc0
	s_waitcnt vmcnt(0)
	v_bfe_u32 v6, v3, 16, 1
	v_cmp_o_f32_e32 vcc, v3, v3
	v_add3_u32 v3, v3, v6, s0
	v_cndmask_b32_sdwa v3, v4, v3, vcc dst_sel:DWORD dst_unused:UNUSED_PAD src0_sel:DWORD src1_sel:WORD_1
.LBB143_370:
	s_mov_b64 s[0:1], 0
.LBB143_371:
	s_andn2_b64 vcc, exec, s[0:1]
	s_cbranch_vccnz .LBB143_373
; %bb.372:
	global_load_dword v3, v[1:2], off
	s_movk_i32 s0, 0x7fff
	v_mov_b32_e32 v6, 0x7fc0
	s_waitcnt vmcnt(0)
	v_cvt_f32_f16_e32 v4, v3
	v_cmp_o_f16_e32 vcc, v3, v3
	v_bfe_u32 v3, v4, 16, 1
	v_add3_u32 v3, v4, v3, s0
	v_cndmask_b32_sdwa v3, v6, v3, vcc dst_sel:DWORD dst_unused:UNUSED_PAD src0_sel:DWORD src1_sel:WORD_1
.LBB143_373:
	s_mov_b64 s[0:1], 0
.LBB143_374:
	s_andn2_b64 vcc, exec, s[0:1]
	s_cbranch_vccnz .LBB143_385
; %bb.375:
	s_cmp_lt_i32 s38, 6
	s_cbranch_scc1 .LBB143_378
; %bb.376:
	s_cmp_gt_i32 s38, 6
	s_cbranch_scc0 .LBB143_379
; %bb.377:
	global_load_dwordx2 v[3:4], v[1:2], off
	s_movk_i32 s0, 0x7fff
	s_waitcnt vmcnt(0)
	v_cvt_f32_f64_e32 v3, v[3:4]
	v_mov_b32_e32 v4, 0x7fc0
	v_bfe_u32 v6, v3, 16, 1
	v_cmp_o_f32_e32 vcc, v3, v3
	v_add3_u32 v3, v3, v6, s0
	v_cndmask_b32_sdwa v3, v4, v3, vcc dst_sel:DWORD dst_unused:UNUSED_PAD src0_sel:DWORD src1_sel:WORD_1
	s_mov_b64 s[0:1], 0
	s_branch .LBB143_380
.LBB143_378:
	s_mov_b64 s[0:1], -1
                                        ; implicit-def: $vgpr3
	s_branch .LBB143_383
.LBB143_379:
	s_mov_b64 s[0:1], -1
                                        ; implicit-def: $vgpr3
.LBB143_380:
	s_andn2_b64 vcc, exec, s[0:1]
	s_cbranch_vccnz .LBB143_382
; %bb.381:
	global_load_dword v3, v[1:2], off
	s_movk_i32 s0, 0x7fff
	v_mov_b32_e32 v4, 0x7fc0
	s_waitcnt vmcnt(0)
	v_bfe_u32 v6, v3, 16, 1
	v_cmp_o_f32_e32 vcc, v3, v3
	v_add3_u32 v3, v3, v6, s0
	v_cndmask_b32_sdwa v3, v4, v3, vcc dst_sel:DWORD dst_unused:UNUSED_PAD src0_sel:DWORD src1_sel:WORD_1
.LBB143_382:
	s_mov_b64 s[0:1], 0
.LBB143_383:
	s_andn2_b64 vcc, exec, s[0:1]
	s_cbranch_vccnz .LBB143_385
; %bb.384:
	global_load_ushort v3, v[1:2], off
	s_movk_i32 s0, 0x7fff
	v_mov_b32_e32 v6, 0x7fc0
	s_waitcnt vmcnt(0)
	v_cvt_f32_f16_e32 v4, v3
	v_cmp_o_f16_e32 vcc, v3, v3
	v_bfe_u32 v3, v4, 16, 1
	v_add3_u32 v3, v4, v3, s0
	v_cndmask_b32_sdwa v3, v6, v3, vcc dst_sel:DWORD dst_unused:UNUSED_PAD src0_sel:DWORD src1_sel:WORD_1
.LBB143_385:
	s_mov_b64 s[0:1], 0
.LBB143_386:
	s_andn2_b64 vcc, exec, s[0:1]
	s_cbranch_vccnz .LBB143_406
; %bb.387:
	s_cmp_lt_i32 s38, 2
	s_cbranch_scc1 .LBB143_391
; %bb.388:
	s_cmp_lt_i32 s38, 3
	s_cbranch_scc1 .LBB143_392
; %bb.389:
	s_cmp_gt_i32 s38, 3
	s_cbranch_scc0 .LBB143_393
; %bb.390:
	global_load_dwordx2 v[3:4], v[1:2], off
	s_movk_i32 s0, 0x7fff
	s_waitcnt vmcnt(0)
	v_xor_b32_e32 v7, v3, v4
	v_ffbh_i32_e32 v6, v4
	v_ashrrev_i32_e32 v7, 31, v7
	v_add_u32_e32 v6, -1, v6
	v_add_u32_e32 v7, 32, v7
	v_min_u32_e32 v6, v6, v7
	v_lshlrev_b64 v[3:4], v6, v[3:4]
	v_min_u32_e32 v3, 1, v3
	v_or_b32_e32 v3, v4, v3
	v_cvt_f32_i32_e32 v3, v3
	v_sub_u32_e32 v4, 32, v6
	v_ldexp_f32 v3, v3, v4
	v_bfe_u32 v4, v3, 16, 1
	v_add3_u32 v3, v3, v4, s0
	v_lshrrev_b32_e32 v3, 16, v3
	s_mov_b64 s[0:1], 0
	s_branch .LBB143_394
.LBB143_391:
	s_mov_b64 s[0:1], -1
                                        ; implicit-def: $vgpr3
	s_branch .LBB143_400
.LBB143_392:
	s_mov_b64 s[0:1], -1
                                        ; implicit-def: $vgpr3
	s_branch .LBB143_397
.LBB143_393:
	s_mov_b64 s[0:1], -1
                                        ; implicit-def: $vgpr3
.LBB143_394:
	s_andn2_b64 vcc, exec, s[0:1]
	s_cbranch_vccnz .LBB143_396
; %bb.395:
	global_load_dword v3, v[1:2], off
	s_movk_i32 s0, 0x7fff
	s_waitcnt vmcnt(0)
	v_cvt_f32_i32_e32 v3, v3
	v_bfe_u32 v4, v3, 16, 1
	v_add3_u32 v3, v3, v4, s0
	v_lshrrev_b32_e32 v3, 16, v3
.LBB143_396:
	s_mov_b64 s[0:1], 0
.LBB143_397:
	s_andn2_b64 vcc, exec, s[0:1]
	s_cbranch_vccnz .LBB143_399
; %bb.398:
	global_load_sshort v3, v[1:2], off
	s_movk_i32 s0, 0x7fff
	s_waitcnt vmcnt(0)
	v_cvt_f32_i32_e32 v3, v3
	v_bfe_u32 v4, v3, 16, 1
	v_add3_u32 v3, v3, v4, s0
	v_lshrrev_b32_e32 v3, 16, v3
.LBB143_399:
	s_mov_b64 s[0:1], 0
.LBB143_400:
	s_andn2_b64 vcc, exec, s[0:1]
	s_cbranch_vccnz .LBB143_406
; %bb.401:
	s_cmp_gt_i32 s38, 0
	s_cbranch_scc0 .LBB143_403
; %bb.402:
	global_load_sbyte v3, v[1:2], off
	s_movk_i32 s0, 0x7fff
	s_waitcnt vmcnt(0)
	v_cvt_f32_i32_e32 v3, v3
	v_bfe_u32 v4, v3, 16, 1
	v_add3_u32 v3, v3, v4, s0
	v_lshrrev_b32_e32 v3, 16, v3
	s_mov_b64 s[0:1], 0
	s_branch .LBB143_404
.LBB143_403:
	s_mov_b64 s[0:1], -1
                                        ; implicit-def: $vgpr3
.LBB143_404:
	s_andn2_b64 vcc, exec, s[0:1]
	s_cbranch_vccnz .LBB143_406
; %bb.405:
	global_load_ubyte v1, v[1:2], off
	s_movk_i32 s0, 0x7fff
	s_waitcnt vmcnt(0)
	v_cvt_f32_ubyte0_e32 v1, v1
	v_bfe_u32 v2, v1, 16, 1
	v_add3_u32 v1, v1, v2, s0
	v_lshrrev_b32_e32 v3, 16, v1
.LBB143_406:
	s_branch .LBB143_32
.LBB143_407:
	s_mov_b64 s[0:1], 0
.LBB143_408:
                                        ; implicit-def: $vgpr8
	s_mov_b64 s[46:47], 0
.LBB143_409:
	s_and_b64 s[38:39], s[0:1], exec
	s_and_b64 s[40:41], s[40:41], exec
	s_and_b64 s[42:43], s[42:43], exec
	s_orn2_b64 s[0:1], s[46:47], exec
.LBB143_410:
	s_or_b64 exec, exec, s[44:45]
	s_mov_b64 s[52:53], 0
	s_mov_b64 s[50:51], 0
                                        ; implicit-def: $sgpr74
                                        ; implicit-def: $vgpr3_vgpr4
                                        ; implicit-def: $vgpr0
                                        ; implicit-def: $vgpr2
                                        ; implicit-def: $vgpr5
	s_and_saveexec_b64 s[44:45], s[0:1]
	s_cbranch_execz .LBB143_418
; %bb.411:
	v_cmp_gt_i32_e32 vcc, s68, v8
	s_mov_b64 s[0:1], -1
	s_mov_b64 s[46:47], s[42:43]
	s_mov_b64 s[48:49], s[40:41]
	;; [unrolled: 1-line block ×3, first 2 shown]
	s_and_saveexec_b64 s[52:53], vcc
	s_cbranch_execz .LBB143_828
; %bb.412:
	s_andn2_b64 vcc, exec, s[24:25]
	s_cbranch_vccnz .LBB143_421
; %bb.413:
	s_andn2_b64 vcc, exec, s[36:37]
	s_cbranch_vccnz .LBB143_422
; %bb.414:
	s_add_i32 s0, s73, 1
	s_and_b32 s46, s0, 30
	s_add_u32 s0, s2, 0xffffffe8
	s_addc_u32 s1, s3, -1
	v_mov_b32_e32 v2, 0
	v_mov_b32_e32 v4, 0
	;; [unrolled: 1-line block ×4, first 2 shown]
.LBB143_415:                            ; =>This Inner Loop Header: Depth=1
	s_load_dwordx4 s[48:51], s[0:1], 0x1c
	s_load_dwordx2 s[54:55], s[0:1], 0x2c
	s_load_dwordx2 s[60:61], s[0:1], 0xec
	s_load_dwordx4 s[56:59], s[0:1], 0xdc
	s_add_u32 s0, s0, 24
	s_waitcnt vmcnt(0) lgkmcnt(0)
	v_mul_hi_u32 v3, s49, v1
	s_addc_u32 s1, s1, 0
	s_add_i32 s46, s46, -2
	s_cmp_eq_u32 s46, 0
	v_add_u32_e32 v3, v1, v3
	v_lshrrev_b32_e32 v3, s50, v3
	v_mul_lo_u32 v5, v3, s48
	v_mul_hi_u32 v6, s54, v3
	v_sub_u32_e32 v5, v1, v5
	v_add_u32_e32 v1, v3, v6
	v_lshrrev_b32_e32 v1, s55, v1
	v_mul_lo_u32 v9, v1, s51
	v_mul_lo_u32 v6, v5, s56
	;; [unrolled: 1-line block ×4, first 2 shown]
	v_sub_u32_e32 v3, v3, v9
	v_mul_lo_u32 v9, v3, s59
	v_mul_lo_u32 v10, v3, s60
	;; [unrolled: 1-line block ×3, first 2 shown]
	v_add3_u32 v0, v6, v0, v9
	v_add3_u32 v4, v7, v4, v10
	;; [unrolled: 1-line block ×3, first 2 shown]
	s_cbranch_scc0 .LBB143_415
; %bb.416:
	s_bitcmp1_b32 s73, 0
	s_cselect_b64 s[46:47], -1, 0
	s_and_b64 vcc, exec, s[46:47]
	s_cbranch_vccnz .LBB143_423
; %bb.417:
	s_load_dwordx2 s[46:47], s[0:1], 0x1c
	s_load_dword s50, s[0:1], 0x24
	s_load_dwordx2 s[48:49], s[0:1], 0xdc
	s_waitcnt lgkmcnt(0)
	v_mul_hi_u32 v3, s47, v1
	v_add_u32_e32 v3, v1, v3
	v_lshrrev_b32_e32 v3, s50, v3
	v_mul_lo_u32 v3, v3, s46
	s_load_dword s46, s[0:1], 0xe4
	v_sub_u32_e32 v3, v1, v3
	v_mad_u64_u32 v[0:1], s[0:1], v3, s48, v[0:1]
	v_mad_u64_u32 v[4:5], s[0:1], v3, s49, v[4:5]
	s_waitcnt lgkmcnt(0)
	v_mad_u64_u32 v[2:3], s[0:1], v3, s46, v[2:3]
	s_branch .LBB143_423
.LBB143_418:
	s_or_b64 exec, exec, s[44:45]
	s_mov_b64 s[10:11], 0
	s_and_saveexec_b64 s[0:1], s[42:43]
	s_cbranch_execnz .LBB143_1343
.LBB143_419:
	s_or_b64 exec, exec, s[0:1]
	s_and_saveexec_b64 s[0:1], s[48:49]
	s_xor_b64 s[0:1], exec, s[0:1]
	s_cbranch_execz .LBB143_1344
.LBB143_420:
	s_waitcnt vmcnt(0)
	global_load_ubyte v1, v[3:4], off
	s_or_b64 s[50:51], s[50:51], exec
	s_waitcnt vmcnt(0)
	v_cmp_ne_u16_e32 vcc, 0, v1
	v_cndmask_b32_e64 v1, 0, 1.0, vcc
	v_lshrrev_b32_e32 v5, 16, v1
	s_or_b64 exec, exec, s[0:1]
	s_and_saveexec_b64 s[0:1], s[52:53]
	s_cbranch_execz .LBB143_1390
	s_branch .LBB143_1345
.LBB143_421:
                                        ; implicit-def: $vgpr0
                                        ; implicit-def: $vgpr4
                                        ; implicit-def: $vgpr2
	s_andn2_b64 vcc, exec, s[0:1]
	s_cbranch_vccz .LBB143_424
	s_branch .LBB143_426
.LBB143_422:
	v_mov_b32_e32 v0, 0
	v_mov_b32_e32 v4, 0
	;; [unrolled: 1-line block ×3, first 2 shown]
.LBB143_423:
	s_cbranch_execnz .LBB143_426
.LBB143_424:
	v_mul_hi_u32 v0, s17, v8
	s_andn2_b64 vcc, exec, s[34:35]
	v_add_u32_e32 v0, v8, v0
	v_lshrrev_b32_e32 v1, s18, v0
	v_mul_lo_u32 v0, v1, s16
	v_sub_u32_e32 v2, v8, v0
	v_mul_lo_u32 v0, v2, s20
	v_mul_lo_u32 v4, v2, s21
	;; [unrolled: 1-line block ×3, first 2 shown]
	s_cbranch_vccnz .LBB143_426
; %bb.425:
	s_waitcnt vmcnt(0)
	v_mul_hi_u32 v3, s30, v1
	v_add_u32_e32 v3, v1, v3
	v_lshrrev_b32_e32 v3, s31, v3
	v_mul_lo_u32 v3, v3, s19
	v_sub_u32_e32 v3, v1, v3
	v_mad_u64_u32 v[0:1], s[0:1], v3, s23, v[0:1]
	v_mad_u64_u32 v[4:5], s[0:1], v3, s28, v[4:5]
	;; [unrolled: 1-line block ×3, first 2 shown]
.LBB143_426:
	v_mov_b32_e32 v1, s11
	s_and_b32 s54, s72, 0xff
	s_waitcnt vmcnt(0)
	v_add_co_u32_e32 v3, vcc, s10, v4
	s_cmp_lt_i32 s54, 11
	v_addc_co_u32_e32 v4, vcc, 0, v1, vcc
	s_cbranch_scc1 .LBB143_433
; %bb.427:
	s_and_b32 s55, 0xffff, s54
	s_cmp_gt_i32 s55, 25
	s_cbranch_scc0 .LBB143_442
; %bb.428:
	s_cmp_gt_i32 s55, 28
	s_cbranch_scc0 .LBB143_444
; %bb.429:
	;; [unrolled: 3-line block ×4, first 2 shown]
	s_cmp_eq_u32 s55, 46
	s_mov_b64 s[48:49], 0
	s_cbranch_scc0 .LBB143_452
; %bb.432:
	global_load_dword v5, v[3:4], off
	s_mov_b64 s[0:1], -1
	s_mov_b64 s[46:47], 0
	s_branch .LBB143_453
.LBB143_433:
	s_mov_b64 s[0:1], 0
                                        ; implicit-def: $vgpr5
	s_mov_b64 s[46:47], s[42:43]
	s_cbranch_execnz .LBB143_519
.LBB143_434:
	s_andn2_b64 vcc, exec, s[0:1]
	s_cbranch_vccnz .LBB143_567
.LBB143_435:
	v_mov_b32_e32 v3, s13
	s_and_b32 s56, s71, 0xff
	v_add_co_u32_e32 v1, vcc, s12, v2
	s_cmp_lt_i32 s56, 11
	v_addc_co_u32_e32 v2, vcc, 0, v3, vcc
	s_cbranch_scc1 .LBB143_443
; %bb.436:
	s_and_b32 s57, 0xffff, s56
	s_cmp_gt_i32 s57, 25
	s_cbranch_scc0 .LBB143_445
; %bb.437:
	s_cmp_gt_i32 s57, 28
	s_cbranch_scc0 .LBB143_447
; %bb.438:
	;; [unrolled: 3-line block ×4, first 2 shown]
	s_cmp_eq_u32 s57, 46
	s_mov_b64 s[50:51], 0
	s_cbranch_scc0 .LBB143_571
; %bb.441:
	global_load_dword v3, v[1:2], off
	s_mov_b64 s[0:1], -1
	s_mov_b64 s[48:49], 0
	s_branch .LBB143_572
.LBB143_442:
	s_mov_b64 s[48:49], -1
	s_mov_b64 s[0:1], 0
	s_mov_b64 s[46:47], s[42:43]
                                        ; implicit-def: $vgpr5
	s_branch .LBB143_483
.LBB143_443:
	s_mov_b64 s[50:51], -1
	s_mov_b64 s[0:1], 0
                                        ; implicit-def: $vgpr3
	s_mov_b64 s[48:49], s[40:41]
	s_branch .LBB143_637
.LBB143_444:
	s_mov_b64 s[48:49], -1
	s_mov_b64 s[0:1], 0
	s_mov_b64 s[46:47], s[42:43]
                                        ; implicit-def: $vgpr5
	s_branch .LBB143_464
.LBB143_445:
	s_mov_b64 s[50:51], -1
	s_mov_b64 s[0:1], 0
	s_mov_b64 s[48:49], s[40:41]
                                        ; implicit-def: $vgpr3
	s_branch .LBB143_601
.LBB143_446:
	s_mov_b64 s[48:49], -1
	s_mov_b64 s[0:1], 0
	s_mov_b64 s[46:47], s[42:43]
                                        ; implicit-def: $vgpr5
	s_branch .LBB143_459
.LBB143_447:
	s_mov_b64 s[50:51], -1
	s_mov_b64 s[0:1], 0
	s_mov_b64 s[48:49], s[40:41]
                                        ; implicit-def: $vgpr3
	s_branch .LBB143_582
.LBB143_448:
	s_mov_b64 s[48:49], -1
	s_mov_b64 s[0:1], 0
	s_mov_b64 s[46:47], s[42:43]
                                        ; implicit-def: $vgpr5
	s_branch .LBB143_453
.LBB143_449:
	s_mov_b64 s[50:51], -1
	s_mov_b64 s[0:1], 0
	s_mov_b64 s[48:49], s[40:41]
                                        ; implicit-def: $vgpr3
	s_branch .LBB143_577
.LBB143_450:
	s_andn2_saveexec_b64 s[52:53], s[52:53]
	s_cbranch_execz .LBB143_207
.LBB143_451:
	v_add_f32_e32 v2, 0x46000000, v3
	v_and_b32_e32 v2, 0xff, v2
	v_cmp_ne_u32_e32 vcc, 0, v2
	s_andn2_b64 s[50:51], s[50:51], exec
	s_and_b64 s[56:57], vcc, exec
	s_or_b64 s[50:51], s[50:51], s[56:57]
	s_or_b64 exec, exec, s[52:53]
	v_mov_b32_e32 v4, 0
	s_and_saveexec_b64 s[52:53], s[50:51]
	s_cbranch_execnz .LBB143_208
	s_branch .LBB143_209
.LBB143_452:
	s_mov_b64 s[46:47], -1
                                        ; implicit-def: $vgpr5
	s_mov_b64 s[0:1], 0
.LBB143_453:
	s_and_b64 vcc, exec, s[48:49]
	s_cbranch_vccz .LBB143_458
; %bb.454:
	s_cmp_eq_u32 s55, 44
	s_cbranch_scc0 .LBB143_457
; %bb.455:
	global_load_ubyte v1, v[3:4], off
	s_movk_i32 s46, 0xff
	s_waitcnt vmcnt(1)
	v_mov_b32_e32 v5, 0x7f800001
	v_mov_b32_e32 v6, 0x400000
	;; [unrolled: 1-line block ×3, first 2 shown]
	s_mov_b64 s[0:1], -1
	s_waitcnt vmcnt(0)
	v_lshlrev_b32_e32 v9, 23, v1
	v_cmp_ne_u32_e32 vcc, s46, v1
	v_cndmask_b32_e32 v5, v5, v9, vcc
	v_cmp_ne_u32_e32 vcc, 0, v1
	v_cndmask_b32_e32 v1, v6, v5, vcc
	v_add_u32_e32 v5, 0x7fff, v1
	v_cmp_o_f32_e32 vcc, v1, v1
	v_cndmask_b32_sdwa v5, v7, v5, vcc dst_sel:DWORD dst_unused:UNUSED_PAD src0_sel:DWORD src1_sel:WORD_1
	s_mov_b64 s[46:47], 0
	s_branch .LBB143_458
.LBB143_456:
	s_mov_b64 s[50:51], -1
	s_mov_b64 s[0:1], 0
	s_mov_b64 s[48:49], s[40:41]
                                        ; implicit-def: $vgpr3
	s_branch .LBB143_572
.LBB143_457:
	s_mov_b64 s[46:47], -1
                                        ; implicit-def: $vgpr5
.LBB143_458:
	s_mov_b64 s[48:49], 0
.LBB143_459:
	s_and_b64 vcc, exec, s[48:49]
	s_cbranch_vccz .LBB143_463
; %bb.460:
	s_cmp_eq_u32 s55, 29
	s_cbranch_scc0 .LBB143_462
; %bb.461:
	global_load_dwordx2 v[5:6], v[3:4], off
	s_movk_i32 s46, 0x7fff
	s_mov_b64 s[0:1], -1
	s_mov_b64 s[48:49], 0
	s_waitcnt vmcnt(0)
	v_ffbh_u32_e32 v1, v6
	v_min_u32_e32 v1, 32, v1
	v_lshlrev_b64 v[5:6], v1, v[5:6]
	v_sub_u32_e32 v1, 32, v1
	v_min_u32_e32 v5, 1, v5
	v_or_b32_e32 v5, v6, v5
	v_cvt_f32_u32_e32 v5, v5
	v_ldexp_f32 v1, v5, v1
	v_bfe_u32 v5, v1, 16, 1
	v_add3_u32 v1, v1, v5, s46
	v_lshrrev_b32_e32 v5, 16, v1
	s_mov_b64 s[46:47], 0
	s_branch .LBB143_464
.LBB143_462:
	s_mov_b64 s[46:47], -1
                                        ; implicit-def: $vgpr5
.LBB143_463:
	s_mov_b64 s[48:49], 0
.LBB143_464:
	s_and_b64 vcc, exec, s[48:49]
	s_cbranch_vccz .LBB143_482
; %bb.465:
	s_cmp_lt_i32 s55, 27
	s_cbranch_scc1 .LBB143_468
; %bb.466:
	s_cmp_gt_i32 s55, 27
	s_cbranch_scc0 .LBB143_469
; %bb.467:
	global_load_dword v1, v[3:4], off
	s_movk_i32 s0, 0x7fff
	s_waitcnt vmcnt(0)
	v_cvt_f32_u32_e32 v1, v1
	v_bfe_u32 v5, v1, 16, 1
	v_add3_u32 v1, v1, v5, s0
	v_lshrrev_b32_e32 v5, 16, v1
	s_mov_b64 s[0:1], 0
	s_branch .LBB143_470
.LBB143_468:
	s_mov_b64 s[0:1], -1
                                        ; implicit-def: $vgpr5
	s_branch .LBB143_473
.LBB143_469:
	s_mov_b64 s[0:1], -1
                                        ; implicit-def: $vgpr5
.LBB143_470:
	s_andn2_b64 vcc, exec, s[0:1]
	s_cbranch_vccnz .LBB143_472
; %bb.471:
	global_load_ushort v1, v[3:4], off
	s_movk_i32 s0, 0x7fff
	s_waitcnt vmcnt(0)
	v_cvt_f32_u32_e32 v1, v1
	v_bfe_u32 v5, v1, 16, 1
	v_add3_u32 v1, v1, v5, s0
	v_lshrrev_b32_e32 v5, 16, v1
.LBB143_472:
	s_mov_b64 s[0:1], 0
.LBB143_473:
	s_andn2_b64 vcc, exec, s[0:1]
	s_cbranch_vccnz .LBB143_481
; %bb.474:
	global_load_ubyte v1, v[3:4], off
	s_movk_i32 s0, 0x7f
	s_waitcnt vmcnt(0)
	v_cmp_lt_i16_e32 vcc, s0, v1
	s_mov_b64 s[0:1], 0
	s_and_saveexec_b64 s[48:49], vcc
	s_xor_b64 s[48:49], exec, s[48:49]
	s_cbranch_execz .LBB143_495
; %bb.475:
	s_movk_i32 s0, 0x80
	v_cmp_eq_u16_e32 vcc, s0, v1
	s_mov_b64 s[0:1], -1
	s_and_saveexec_b64 s[50:51], vcc
; %bb.476:
	s_xor_b64 s[0:1], exec, -1
; %bb.477:
	s_or_b64 exec, exec, s[50:51]
	s_and_b64 s[0:1], s[0:1], exec
	s_or_saveexec_b64 s[48:49], s[48:49]
	v_mov_b32_e32 v5, 0x7f800001
	s_xor_b64 exec, exec, s[48:49]
	s_cbranch_execnz .LBB143_496
.LBB143_478:
	s_or_b64 exec, exec, s[48:49]
	s_and_saveexec_b64 s[48:49], s[0:1]
	s_cbranch_execz .LBB143_480
.LBB143_479:
	v_lshlrev_b32_e32 v5, 24, v1
	v_and_b32_e32 v1, 0xffff, v1
	v_and_b32_e32 v6, 7, v1
	v_ffbh_u32_e32 v9, v6
	v_min_u32_e32 v9, 32, v9
	v_subrev_u32_e32 v10, 28, v9
	v_bfe_u32 v7, v1, 3, 4
	v_lshlrev_b32_e32 v1, v10, v1
	v_sub_u32_e32 v9, 29, v9
	v_and_b32_e32 v1, 7, v1
	v_cmp_eq_u32_e32 vcc, 0, v7
	v_cndmask_b32_e32 v7, v7, v9, vcc
	v_cndmask_b32_e32 v1, v6, v1, vcc
	v_mov_b32_e32 v6, 0x3b800000
	v_lshlrev_b32_e32 v1, 20, v1
	v_and_b32_e32 v5, 0x80000000, v5
	v_lshl_add_u32 v6, v7, 23, v6
	v_or3_b32 v5, v5, v6, v1
.LBB143_480:
	s_or_b64 exec, exec, s[48:49]
	v_bfe_u32 v1, v5, 16, 1
	s_movk_i32 s0, 0x7fff
	v_add3_u32 v1, v5, v1, s0
	v_cmp_o_f32_e32 vcc, v5, v5
	v_mov_b32_e32 v5, 0x7fc0
	v_cndmask_b32_sdwa v5, v5, v1, vcc dst_sel:DWORD dst_unused:UNUSED_PAD src0_sel:DWORD src1_sel:WORD_1
.LBB143_481:
	s_mov_b64 s[0:1], -1
.LBB143_482:
	s_mov_b64 s[48:49], 0
.LBB143_483:
	s_and_b64 vcc, exec, s[48:49]
	s_cbranch_vccz .LBB143_518
; %bb.484:
	s_cmp_gt_i32 s55, 22
	s_cbranch_scc0 .LBB143_494
; %bb.485:
	s_cmp_lt_i32 s55, 24
	s_cbranch_scc1 .LBB143_497
; %bb.486:
	s_cmp_gt_i32 s55, 24
	s_cbranch_scc0 .LBB143_498
; %bb.487:
	global_load_ubyte v1, v[3:4], off
	s_movk_i32 s0, 0x7f
	s_waitcnt vmcnt(0)
	v_cmp_lt_i16_e32 vcc, s0, v1
	s_mov_b64 s[0:1], 0
	s_and_saveexec_b64 s[48:49], vcc
	s_xor_b64 s[48:49], exec, s[48:49]
	s_cbranch_execz .LBB143_510
; %bb.488:
	s_movk_i32 s0, 0x80
	v_cmp_eq_u16_e32 vcc, s0, v1
	s_mov_b64 s[0:1], -1
	s_and_saveexec_b64 s[50:51], vcc
; %bb.489:
	s_xor_b64 s[0:1], exec, -1
; %bb.490:
	s_or_b64 exec, exec, s[50:51]
	s_and_b64 s[0:1], s[0:1], exec
	s_or_saveexec_b64 s[48:49], s[48:49]
	v_mov_b32_e32 v5, 0x7f800001
	s_xor_b64 exec, exec, s[48:49]
	s_cbranch_execnz .LBB143_511
.LBB143_491:
	s_or_b64 exec, exec, s[48:49]
	s_and_saveexec_b64 s[48:49], s[0:1]
	s_cbranch_execz .LBB143_493
.LBB143_492:
	v_lshlrev_b32_e32 v5, 24, v1
	v_and_b32_e32 v1, 0xffff, v1
	v_and_b32_e32 v6, 3, v1
	v_ffbh_u32_e32 v9, v6
	v_min_u32_e32 v9, 32, v9
	v_subrev_u32_e32 v10, 29, v9
	v_bfe_u32 v7, v1, 2, 5
	v_lshlrev_b32_e32 v1, v10, v1
	v_sub_u32_e32 v9, 30, v9
	v_and_b32_e32 v1, 3, v1
	v_cmp_eq_u32_e32 vcc, 0, v7
	v_cndmask_b32_e32 v7, v7, v9, vcc
	v_cndmask_b32_e32 v1, v6, v1, vcc
	v_mov_b32_e32 v6, 0x37800000
	v_lshlrev_b32_e32 v1, 21, v1
	v_and_b32_e32 v5, 0x80000000, v5
	v_lshl_add_u32 v6, v7, 23, v6
	v_or3_b32 v5, v5, v6, v1
.LBB143_493:
	s_or_b64 exec, exec, s[48:49]
	v_bfe_u32 v1, v5, 16, 1
	s_movk_i32 s0, 0x7fff
	v_add3_u32 v1, v5, v1, s0
	v_cmp_o_f32_e32 vcc, v5, v5
	v_mov_b32_e32 v5, 0x7fc0
	v_cndmask_b32_sdwa v5, v5, v1, vcc dst_sel:DWORD dst_unused:UNUSED_PAD src0_sel:DWORD src1_sel:WORD_1
	s_mov_b64 s[0:1], 0
	s_branch .LBB143_499
.LBB143_494:
	s_mov_b64 s[48:49], -1
                                        ; implicit-def: $vgpr5
	s_branch .LBB143_505
.LBB143_495:
	s_or_saveexec_b64 s[48:49], s[48:49]
	v_mov_b32_e32 v5, 0x7f800001
	s_xor_b64 exec, exec, s[48:49]
	s_cbranch_execz .LBB143_478
.LBB143_496:
	v_cmp_ne_u16_e32 vcc, 0, v1
	s_andn2_b64 s[0:1], s[0:1], exec
	s_and_b64 s[50:51], vcc, exec
	v_mov_b32_e32 v5, 0
	s_or_b64 s[0:1], s[0:1], s[50:51]
	s_or_b64 exec, exec, s[48:49]
	s_and_saveexec_b64 s[48:49], s[0:1]
	s_cbranch_execnz .LBB143_479
	s_branch .LBB143_480
.LBB143_497:
	s_mov_b64 s[0:1], -1
                                        ; implicit-def: $vgpr5
	s_branch .LBB143_502
.LBB143_498:
	s_mov_b64 s[0:1], -1
                                        ; implicit-def: $vgpr5
.LBB143_499:
	s_and_b64 vcc, exec, s[0:1]
	s_cbranch_vccz .LBB143_501
; %bb.500:
	global_load_ubyte v1, v[3:4], off
	s_mov_b32 s0, 0x7f800000
	s_brev_b32 s1, 1
	s_movk_i32 s48, 0x7fff
	s_waitcnt vmcnt(0)
	v_lshlrev_b32_e32 v1, 24, v1
	v_and_b32_e32 v5, 0x7f000000, v1
	v_ffbh_u32_e32 v6, v5
	v_min_u32_e32 v6, 32, v6
	v_sub_u32_e64 v6, v6, 4 clamp
	v_lshlrev_b32_e32 v9, v6, v5
	v_lshlrev_b32_e32 v6, 23, v6
	v_lshrrev_b32_e32 v9, 4, v9
	v_add_u32_e32 v7, 0x1000000, v5
	v_sub_u32_e32 v6, v9, v6
	v_ashrrev_i32_e32 v7, 8, v7
	v_add_u32_e32 v6, 0x3c000000, v6
	v_and_or_b32 v6, v7, s0, v6
	v_cmp_ne_u32_e32 vcc, 0, v5
	v_cndmask_b32_e32 v5, 0, v6, vcc
	v_and_or_b32 v1, v1, s1, v5
	v_bfe_u32 v5, v5, 16, 1
	v_add3_u32 v5, v1, v5, s48
	v_cmp_o_f32_e32 vcc, v1, v1
	v_mov_b32_e32 v1, 0x7fc0
	v_cndmask_b32_sdwa v5, v1, v5, vcc dst_sel:DWORD dst_unused:UNUSED_PAD src0_sel:DWORD src1_sel:WORD_1
.LBB143_501:
	s_mov_b64 s[0:1], 0
.LBB143_502:
	s_andn2_b64 vcc, exec, s[0:1]
	s_cbranch_vccnz .LBB143_504
; %bb.503:
	global_load_ubyte v1, v[3:4], off
	s_movk_i32 s0, 0x7f00
	s_brev_b32 s1, 16
	s_brev_b32 s48, 1
	s_movk_i32 s49, 0x7fff
	s_waitcnt vmcnt(0)
	v_lshlrev_b16_e32 v5, 8, v1
	v_lshlrev_b32_e32 v1, 25, v1
	v_lshrrev_b32_e32 v6, 4, v1
	v_and_or_b32 v7, v5, s0, 0.5
	v_or_b32_e32 v6, 0x70000000, v6
	v_add_f32_e32 v7, -0.5, v7
	v_mul_f32_e32 v6, 0x7800000, v6
	v_cmp_gt_u32_e32 vcc, s1, v1
	v_bfe_i32 v5, v5, 0, 16
	v_cndmask_b32_e32 v1, v6, v7, vcc
	v_and_or_b32 v5, v5, s48, v1
	v_bfe_u32 v1, v1, 16, 1
	v_add3_u32 v1, v5, v1, s49
	v_cmp_o_f32_e32 vcc, v5, v5
	v_mov_b32_e32 v5, 0x7fc0
	v_cndmask_b32_sdwa v5, v5, v1, vcc dst_sel:DWORD dst_unused:UNUSED_PAD src0_sel:DWORD src1_sel:WORD_1
.LBB143_504:
	s_mov_b64 s[48:49], 0
	s_mov_b64 s[0:1], -1
.LBB143_505:
	s_andn2_b64 vcc, exec, s[48:49]
	s_cbranch_vccnz .LBB143_518
; %bb.506:
	s_cmp_gt_i32 s55, 14
	s_cbranch_scc0 .LBB143_509
; %bb.507:
	s_cmp_eq_u32 s55, 15
	s_cbranch_scc0 .LBB143_512
; %bb.508:
	global_load_ushort v5, v[3:4], off
	s_mov_b64 s[0:1], -1
	s_mov_b64 s[46:47], 0
	s_branch .LBB143_513
.LBB143_509:
	s_mov_b64 s[48:49], -1
                                        ; implicit-def: $vgpr5
	s_branch .LBB143_514
.LBB143_510:
	s_or_saveexec_b64 s[48:49], s[48:49]
	v_mov_b32_e32 v5, 0x7f800001
	s_xor_b64 exec, exec, s[48:49]
	s_cbranch_execz .LBB143_491
.LBB143_511:
	v_cmp_ne_u16_e32 vcc, 0, v1
	s_andn2_b64 s[0:1], s[0:1], exec
	s_and_b64 s[50:51], vcc, exec
	v_mov_b32_e32 v5, 0
	s_or_b64 s[0:1], s[0:1], s[50:51]
	s_or_b64 exec, exec, s[48:49]
	s_and_saveexec_b64 s[48:49], s[0:1]
	s_cbranch_execnz .LBB143_492
	s_branch .LBB143_493
.LBB143_512:
	s_mov_b64 s[46:47], -1
                                        ; implicit-def: $vgpr5
.LBB143_513:
	s_mov_b64 s[48:49], 0
.LBB143_514:
	s_and_b64 vcc, exec, s[48:49]
	s_cbranch_vccz .LBB143_518
; %bb.515:
	s_cmp_eq_u32 s55, 11
	s_cbranch_scc0 .LBB143_517
; %bb.516:
	global_load_ubyte v1, v[3:4], off
	s_mov_b64 s[0:1], -1
	s_mov_b64 s[46:47], 0
	s_waitcnt vmcnt(0)
	v_cmp_ne_u16_e32 vcc, 0, v1
	v_cndmask_b32_e64 v1, 0, 1.0, vcc
	v_lshrrev_b32_e32 v5, 16, v1
	s_branch .LBB143_518
.LBB143_517:
	s_mov_b64 s[46:47], -1
                                        ; implicit-def: $vgpr5
.LBB143_518:
	s_branch .LBB143_434
.LBB143_519:
	s_and_b32 s48, 0xffff, s54
	s_cmp_lt_i32 s48, 5
	s_cbranch_scc1 .LBB143_524
; %bb.520:
	s_cmp_lt_i32 s48, 8
	s_cbranch_scc1 .LBB143_525
; %bb.521:
	;; [unrolled: 3-line block ×3, first 2 shown]
	s_cmp_gt_i32 s48, 9
	s_cbranch_scc0 .LBB143_527
; %bb.523:
	global_load_dwordx2 v[5:6], v[3:4], off
	s_movk_i32 s0, 0x7fff
	s_waitcnt vmcnt(0)
	v_cvt_f32_f64_e32 v1, v[5:6]
	v_mov_b32_e32 v5, 0x7fc0
	v_bfe_u32 v6, v1, 16, 1
	v_cmp_o_f32_e32 vcc, v1, v1
	v_add3_u32 v1, v1, v6, s0
	v_cndmask_b32_sdwa v5, v5, v1, vcc dst_sel:DWORD dst_unused:UNUSED_PAD src0_sel:DWORD src1_sel:WORD_1
	s_mov_b64 s[0:1], 0
	s_branch .LBB143_528
.LBB143_524:
	s_mov_b64 s[0:1], -1
                                        ; implicit-def: $vgpr5
	s_branch .LBB143_546
.LBB143_525:
	s_mov_b64 s[0:1], -1
                                        ; implicit-def: $vgpr5
	s_branch .LBB143_534
.LBB143_526:
	s_mov_b64 s[0:1], -1
                                        ; implicit-def: $vgpr5
	s_branch .LBB143_531
.LBB143_527:
	s_mov_b64 s[0:1], -1
                                        ; implicit-def: $vgpr5
.LBB143_528:
	s_andn2_b64 vcc, exec, s[0:1]
	s_cbranch_vccnz .LBB143_530
; %bb.529:
	global_load_dword v1, v[3:4], off
	s_movk_i32 s0, 0x7fff
	s_waitcnt vmcnt(1)
	v_mov_b32_e32 v5, 0x7fc0
	s_waitcnt vmcnt(0)
	v_bfe_u32 v6, v1, 16, 1
	v_cmp_o_f32_e32 vcc, v1, v1
	v_add3_u32 v1, v1, v6, s0
	v_cndmask_b32_sdwa v5, v5, v1, vcc dst_sel:DWORD dst_unused:UNUSED_PAD src0_sel:DWORD src1_sel:WORD_1
.LBB143_530:
	s_mov_b64 s[0:1], 0
.LBB143_531:
	s_andn2_b64 vcc, exec, s[0:1]
	s_cbranch_vccnz .LBB143_533
; %bb.532:
	global_load_dword v1, v[3:4], off
	s_movk_i32 s0, 0x7fff
	v_mov_b32_e32 v6, 0x7fc0
	s_waitcnt vmcnt(0)
	v_cvt_f32_f16_e32 v5, v1
	v_cmp_o_f16_e32 vcc, v1, v1
	v_bfe_u32 v1, v5, 16, 1
	v_add3_u32 v1, v5, v1, s0
	v_cndmask_b32_sdwa v5, v6, v1, vcc dst_sel:DWORD dst_unused:UNUSED_PAD src0_sel:DWORD src1_sel:WORD_1
.LBB143_533:
	s_mov_b64 s[0:1], 0
.LBB143_534:
	s_andn2_b64 vcc, exec, s[0:1]
	s_cbranch_vccnz .LBB143_545
; %bb.535:
	s_cmp_lt_i32 s48, 6
	s_cbranch_scc1 .LBB143_538
; %bb.536:
	s_cmp_gt_i32 s48, 6
	s_cbranch_scc0 .LBB143_539
; %bb.537:
	global_load_dwordx2 v[5:6], v[3:4], off
	s_movk_i32 s0, 0x7fff
	s_waitcnt vmcnt(0)
	v_cvt_f32_f64_e32 v1, v[5:6]
	v_mov_b32_e32 v5, 0x7fc0
	v_bfe_u32 v6, v1, 16, 1
	v_cmp_o_f32_e32 vcc, v1, v1
	v_add3_u32 v1, v1, v6, s0
	v_cndmask_b32_sdwa v5, v5, v1, vcc dst_sel:DWORD dst_unused:UNUSED_PAD src0_sel:DWORD src1_sel:WORD_1
	s_mov_b64 s[0:1], 0
	s_branch .LBB143_540
.LBB143_538:
	s_mov_b64 s[0:1], -1
                                        ; implicit-def: $vgpr5
	s_branch .LBB143_543
.LBB143_539:
	s_mov_b64 s[0:1], -1
                                        ; implicit-def: $vgpr5
.LBB143_540:
	s_andn2_b64 vcc, exec, s[0:1]
	s_cbranch_vccnz .LBB143_542
; %bb.541:
	global_load_dword v1, v[3:4], off
	s_movk_i32 s0, 0x7fff
	s_waitcnt vmcnt(1)
	v_mov_b32_e32 v5, 0x7fc0
	s_waitcnt vmcnt(0)
	v_bfe_u32 v6, v1, 16, 1
	v_cmp_o_f32_e32 vcc, v1, v1
	v_add3_u32 v1, v1, v6, s0
	v_cndmask_b32_sdwa v5, v5, v1, vcc dst_sel:DWORD dst_unused:UNUSED_PAD src0_sel:DWORD src1_sel:WORD_1
.LBB143_542:
	s_mov_b64 s[0:1], 0
.LBB143_543:
	s_andn2_b64 vcc, exec, s[0:1]
	s_cbranch_vccnz .LBB143_545
; %bb.544:
	global_load_ushort v1, v[3:4], off
	s_movk_i32 s0, 0x7fff
	v_mov_b32_e32 v6, 0x7fc0
	s_waitcnt vmcnt(0)
	v_cvt_f32_f16_e32 v5, v1
	v_cmp_o_f16_e32 vcc, v1, v1
	v_bfe_u32 v1, v5, 16, 1
	v_add3_u32 v1, v5, v1, s0
	v_cndmask_b32_sdwa v5, v6, v1, vcc dst_sel:DWORD dst_unused:UNUSED_PAD src0_sel:DWORD src1_sel:WORD_1
.LBB143_545:
	s_mov_b64 s[0:1], 0
.LBB143_546:
	s_andn2_b64 vcc, exec, s[0:1]
	s_cbranch_vccnz .LBB143_566
; %bb.547:
	s_cmp_lt_i32 s48, 2
	s_cbranch_scc1 .LBB143_551
; %bb.548:
	s_cmp_lt_i32 s48, 3
	s_cbranch_scc1 .LBB143_552
; %bb.549:
	s_cmp_gt_i32 s48, 3
	s_cbranch_scc0 .LBB143_553
; %bb.550:
	global_load_dwordx2 v[5:6], v[3:4], off
	s_movk_i32 s0, 0x7fff
	s_waitcnt vmcnt(0)
	v_xor_b32_e32 v7, v5, v6
	v_ffbh_i32_e32 v1, v6
	v_ashrrev_i32_e32 v7, 31, v7
	v_add_u32_e32 v1, -1, v1
	v_add_u32_e32 v7, 32, v7
	v_min_u32_e32 v1, v1, v7
	v_lshlrev_b64 v[5:6], v1, v[5:6]
	v_sub_u32_e32 v1, 32, v1
	v_min_u32_e32 v5, 1, v5
	v_or_b32_e32 v5, v6, v5
	v_cvt_f32_i32_e32 v5, v5
	v_ldexp_f32 v1, v5, v1
	v_bfe_u32 v5, v1, 16, 1
	v_add3_u32 v1, v1, v5, s0
	v_lshrrev_b32_e32 v5, 16, v1
	s_mov_b64 s[0:1], 0
	s_branch .LBB143_554
.LBB143_551:
	s_mov_b64 s[0:1], -1
                                        ; implicit-def: $vgpr5
	s_branch .LBB143_560
.LBB143_552:
	s_mov_b64 s[0:1], -1
                                        ; implicit-def: $vgpr5
	s_branch .LBB143_557
.LBB143_553:
	s_mov_b64 s[0:1], -1
                                        ; implicit-def: $vgpr5
.LBB143_554:
	s_andn2_b64 vcc, exec, s[0:1]
	s_cbranch_vccnz .LBB143_556
; %bb.555:
	global_load_dword v1, v[3:4], off
	s_movk_i32 s0, 0x7fff
	s_waitcnt vmcnt(0)
	v_cvt_f32_i32_e32 v1, v1
	v_bfe_u32 v5, v1, 16, 1
	v_add3_u32 v1, v1, v5, s0
	v_lshrrev_b32_e32 v5, 16, v1
.LBB143_556:
	s_mov_b64 s[0:1], 0
.LBB143_557:
	s_andn2_b64 vcc, exec, s[0:1]
	s_cbranch_vccnz .LBB143_559
; %bb.558:
	global_load_sshort v1, v[3:4], off
	s_movk_i32 s0, 0x7fff
	s_waitcnt vmcnt(0)
	v_cvt_f32_i32_e32 v1, v1
	v_bfe_u32 v5, v1, 16, 1
	v_add3_u32 v1, v1, v5, s0
	v_lshrrev_b32_e32 v5, 16, v1
.LBB143_559:
	s_mov_b64 s[0:1], 0
.LBB143_560:
	s_andn2_b64 vcc, exec, s[0:1]
	s_cbranch_vccnz .LBB143_566
; %bb.561:
	s_cmp_gt_i32 s48, 0
	s_cbranch_scc0 .LBB143_563
; %bb.562:
	global_load_sbyte v1, v[3:4], off
	s_movk_i32 s0, 0x7fff
	s_waitcnt vmcnt(0)
	v_cvt_f32_i32_e32 v1, v1
	v_bfe_u32 v5, v1, 16, 1
	v_add3_u32 v1, v1, v5, s0
	v_lshrrev_b32_e32 v5, 16, v1
	s_mov_b64 s[0:1], 0
	s_branch .LBB143_564
.LBB143_563:
	s_mov_b64 s[0:1], -1
                                        ; implicit-def: $vgpr5
.LBB143_564:
	s_andn2_b64 vcc, exec, s[0:1]
	s_cbranch_vccnz .LBB143_566
; %bb.565:
	global_load_ubyte v1, v[3:4], off
	s_movk_i32 s0, 0x7fff
	s_waitcnt vmcnt(0)
	v_cvt_f32_ubyte0_e32 v1, v1
	v_bfe_u32 v3, v1, 16, 1
	v_add3_u32 v1, v1, v3, s0
	v_lshrrev_b32_e32 v5, 16, v1
.LBB143_566:
	s_branch .LBB143_435
.LBB143_567:
	s_mov_b64 s[54:55], 0
	s_mov_b64 s[0:1], s[38:39]
	s_mov_b64 s[48:49], s[40:41]
.LBB143_568:
                                        ; implicit-def: $vgpr8
	s_branch .LBB143_827
.LBB143_569:
	s_andn2_saveexec_b64 s[52:53], s[52:53]
	s_cbranch_execz .LBB143_220
.LBB143_570:
	v_add_f32_e32 v2, 0x42800000, v3
	v_and_b32_e32 v2, 0xff, v2
	v_cmp_ne_u32_e32 vcc, 0, v2
	s_andn2_b64 s[50:51], s[50:51], exec
	s_and_b64 s[56:57], vcc, exec
	s_or_b64 s[50:51], s[50:51], s[56:57]
	s_or_b64 exec, exec, s[52:53]
	v_mov_b32_e32 v4, 0
	s_and_saveexec_b64 s[52:53], s[50:51]
	s_cbranch_execnz .LBB143_221
	s_branch .LBB143_222
.LBB143_571:
	s_mov_b64 s[48:49], -1
                                        ; implicit-def: $vgpr3
	s_mov_b64 s[0:1], 0
.LBB143_572:
	s_and_b64 vcc, exec, s[50:51]
	s_cbranch_vccz .LBB143_576
; %bb.573:
	s_cmp_eq_u32 s57, 44
	s_cbranch_scc0 .LBB143_575
; %bb.574:
	global_load_ubyte v3, v[1:2], off
	s_movk_i32 s48, 0xff
	v_mov_b32_e32 v4, 0x7f800001
	v_mov_b32_e32 v6, 0x400000
	;; [unrolled: 1-line block ×3, first 2 shown]
	s_mov_b64 s[0:1], -1
	s_waitcnt vmcnt(0)
	v_lshlrev_b32_e32 v9, 23, v3
	v_cmp_ne_u32_e32 vcc, s48, v3
	v_cndmask_b32_e32 v4, v4, v9, vcc
	v_cmp_ne_u32_e32 vcc, 0, v3
	v_cndmask_b32_e32 v3, v6, v4, vcc
	v_add_u32_e32 v4, 0x7fff, v3
	v_cmp_o_f32_e32 vcc, v3, v3
	v_cndmask_b32_sdwa v3, v7, v4, vcc dst_sel:DWORD dst_unused:UNUSED_PAD src0_sel:DWORD src1_sel:WORD_1
	s_mov_b64 s[48:49], 0
	s_branch .LBB143_576
.LBB143_575:
	s_mov_b64 s[48:49], -1
                                        ; implicit-def: $vgpr3
.LBB143_576:
	s_mov_b64 s[50:51], 0
.LBB143_577:
	s_and_b64 vcc, exec, s[50:51]
	s_cbranch_vccz .LBB143_581
; %bb.578:
	s_cmp_eq_u32 s57, 29
	s_cbranch_scc0 .LBB143_580
; %bb.579:
	global_load_dwordx2 v[3:4], v[1:2], off
	s_movk_i32 s48, 0x7fff
	s_mov_b64 s[0:1], -1
	s_mov_b64 s[50:51], 0
	s_waitcnt vmcnt(0)
	v_ffbh_u32_e32 v6, v4
	v_min_u32_e32 v6, 32, v6
	v_lshlrev_b64 v[3:4], v6, v[3:4]
	v_min_u32_e32 v3, 1, v3
	v_or_b32_e32 v3, v4, v3
	v_cvt_f32_u32_e32 v3, v3
	v_sub_u32_e32 v4, 32, v6
	v_ldexp_f32 v3, v3, v4
	v_bfe_u32 v4, v3, 16, 1
	v_add3_u32 v3, v3, v4, s48
	v_lshrrev_b32_e32 v3, 16, v3
	s_mov_b64 s[48:49], 0
	s_branch .LBB143_582
.LBB143_580:
	s_mov_b64 s[48:49], -1
                                        ; implicit-def: $vgpr3
.LBB143_581:
	s_mov_b64 s[50:51], 0
.LBB143_582:
	s_and_b64 vcc, exec, s[50:51]
	s_cbranch_vccz .LBB143_600
; %bb.583:
	s_cmp_lt_i32 s57, 27
	s_cbranch_scc1 .LBB143_586
; %bb.584:
	s_cmp_gt_i32 s57, 27
	s_cbranch_scc0 .LBB143_587
; %bb.585:
	global_load_dword v3, v[1:2], off
	s_movk_i32 s0, 0x7fff
	s_waitcnt vmcnt(0)
	v_cvt_f32_u32_e32 v3, v3
	v_bfe_u32 v4, v3, 16, 1
	v_add3_u32 v3, v3, v4, s0
	v_lshrrev_b32_e32 v3, 16, v3
	s_mov_b64 s[0:1], 0
	s_branch .LBB143_588
.LBB143_586:
	s_mov_b64 s[0:1], -1
                                        ; implicit-def: $vgpr3
	s_branch .LBB143_591
.LBB143_587:
	s_mov_b64 s[0:1], -1
                                        ; implicit-def: $vgpr3
.LBB143_588:
	s_andn2_b64 vcc, exec, s[0:1]
	s_cbranch_vccnz .LBB143_590
; %bb.589:
	global_load_ushort v3, v[1:2], off
	s_movk_i32 s0, 0x7fff
	s_waitcnt vmcnt(0)
	v_cvt_f32_u32_e32 v3, v3
	v_bfe_u32 v4, v3, 16, 1
	v_add3_u32 v3, v3, v4, s0
	v_lshrrev_b32_e32 v3, 16, v3
.LBB143_590:
	s_mov_b64 s[0:1], 0
.LBB143_591:
	s_andn2_b64 vcc, exec, s[0:1]
	s_cbranch_vccnz .LBB143_599
; %bb.592:
	global_load_ubyte v3, v[1:2], off
	s_movk_i32 s0, 0x7f
	s_waitcnt vmcnt(0)
	v_cmp_lt_i16_e32 vcc, s0, v3
	s_mov_b64 s[0:1], 0
	s_and_saveexec_b64 s[50:51], vcc
	s_xor_b64 s[50:51], exec, s[50:51]
	s_cbranch_execz .LBB143_613
; %bb.593:
	s_movk_i32 s0, 0x80
	v_cmp_eq_u16_e32 vcc, s0, v3
	s_mov_b64 s[0:1], -1
	s_and_saveexec_b64 s[54:55], vcc
; %bb.594:
	s_xor_b64 s[0:1], exec, -1
; %bb.595:
	s_or_b64 exec, exec, s[54:55]
	s_and_b64 s[0:1], s[0:1], exec
	s_or_saveexec_b64 s[50:51], s[50:51]
	v_mov_b32_e32 v4, 0x7f800001
	s_xor_b64 exec, exec, s[50:51]
	s_cbranch_execnz .LBB143_614
.LBB143_596:
	s_or_b64 exec, exec, s[50:51]
	s_and_saveexec_b64 s[50:51], s[0:1]
	s_cbranch_execz .LBB143_598
.LBB143_597:
	v_lshlrev_b32_e32 v4, 24, v3
	v_and_b32_e32 v3, 0xffff, v3
	v_and_b32_e32 v6, 7, v3
	v_ffbh_u32_e32 v9, v6
	v_min_u32_e32 v9, 32, v9
	v_subrev_u32_e32 v10, 28, v9
	v_bfe_u32 v7, v3, 3, 4
	v_lshlrev_b32_e32 v3, v10, v3
	v_sub_u32_e32 v9, 29, v9
	v_and_b32_e32 v3, 7, v3
	v_cmp_eq_u32_e32 vcc, 0, v7
	v_cndmask_b32_e32 v7, v7, v9, vcc
	v_cndmask_b32_e32 v3, v6, v3, vcc
	v_mov_b32_e32 v6, 0x3b800000
	v_lshlrev_b32_e32 v3, 20, v3
	v_and_b32_e32 v4, 0x80000000, v4
	v_lshl_add_u32 v6, v7, 23, v6
	v_or3_b32 v4, v4, v6, v3
.LBB143_598:
	s_or_b64 exec, exec, s[50:51]
	v_bfe_u32 v3, v4, 16, 1
	s_movk_i32 s0, 0x7fff
	v_add3_u32 v3, v4, v3, s0
	v_cmp_o_f32_e32 vcc, v4, v4
	v_mov_b32_e32 v4, 0x7fc0
	v_cndmask_b32_sdwa v3, v4, v3, vcc dst_sel:DWORD dst_unused:UNUSED_PAD src0_sel:DWORD src1_sel:WORD_1
.LBB143_599:
	s_mov_b64 s[0:1], -1
.LBB143_600:
	s_mov_b64 s[50:51], 0
.LBB143_601:
	s_and_b64 vcc, exec, s[50:51]
	s_cbranch_vccz .LBB143_636
; %bb.602:
	s_cmp_gt_i32 s57, 22
	s_cbranch_scc0 .LBB143_612
; %bb.603:
	s_cmp_lt_i32 s57, 24
	s_cbranch_scc1 .LBB143_615
; %bb.604:
	s_cmp_gt_i32 s57, 24
	s_cbranch_scc0 .LBB143_616
; %bb.605:
	global_load_ubyte v3, v[1:2], off
	s_movk_i32 s0, 0x7f
	s_waitcnt vmcnt(0)
	v_cmp_lt_i16_e32 vcc, s0, v3
	s_mov_b64 s[0:1], 0
	s_and_saveexec_b64 s[50:51], vcc
	s_xor_b64 s[50:51], exec, s[50:51]
	s_cbranch_execz .LBB143_628
; %bb.606:
	s_movk_i32 s0, 0x80
	v_cmp_eq_u16_e32 vcc, s0, v3
	s_mov_b64 s[0:1], -1
	s_and_saveexec_b64 s[54:55], vcc
; %bb.607:
	s_xor_b64 s[0:1], exec, -1
; %bb.608:
	s_or_b64 exec, exec, s[54:55]
	s_and_b64 s[0:1], s[0:1], exec
	s_or_saveexec_b64 s[50:51], s[50:51]
	v_mov_b32_e32 v4, 0x7f800001
	s_xor_b64 exec, exec, s[50:51]
	s_cbranch_execnz .LBB143_629
.LBB143_609:
	s_or_b64 exec, exec, s[50:51]
	s_and_saveexec_b64 s[50:51], s[0:1]
	s_cbranch_execz .LBB143_611
.LBB143_610:
	v_lshlrev_b32_e32 v4, 24, v3
	v_and_b32_e32 v3, 0xffff, v3
	v_and_b32_e32 v6, 3, v3
	v_ffbh_u32_e32 v9, v6
	v_min_u32_e32 v9, 32, v9
	v_subrev_u32_e32 v10, 29, v9
	v_bfe_u32 v7, v3, 2, 5
	v_lshlrev_b32_e32 v3, v10, v3
	v_sub_u32_e32 v9, 30, v9
	v_and_b32_e32 v3, 3, v3
	v_cmp_eq_u32_e32 vcc, 0, v7
	v_cndmask_b32_e32 v7, v7, v9, vcc
	v_cndmask_b32_e32 v3, v6, v3, vcc
	v_mov_b32_e32 v6, 0x37800000
	v_lshlrev_b32_e32 v3, 21, v3
	v_and_b32_e32 v4, 0x80000000, v4
	v_lshl_add_u32 v6, v7, 23, v6
	v_or3_b32 v4, v4, v6, v3
.LBB143_611:
	s_or_b64 exec, exec, s[50:51]
	v_bfe_u32 v3, v4, 16, 1
	s_movk_i32 s0, 0x7fff
	v_add3_u32 v3, v4, v3, s0
	v_cmp_o_f32_e32 vcc, v4, v4
	v_mov_b32_e32 v4, 0x7fc0
	v_cndmask_b32_sdwa v3, v4, v3, vcc dst_sel:DWORD dst_unused:UNUSED_PAD src0_sel:DWORD src1_sel:WORD_1
	s_mov_b64 s[0:1], 0
	s_branch .LBB143_617
.LBB143_612:
	s_mov_b64 s[50:51], -1
                                        ; implicit-def: $vgpr3
	s_branch .LBB143_623
.LBB143_613:
	s_or_saveexec_b64 s[50:51], s[50:51]
	v_mov_b32_e32 v4, 0x7f800001
	s_xor_b64 exec, exec, s[50:51]
	s_cbranch_execz .LBB143_596
.LBB143_614:
	v_cmp_ne_u16_e32 vcc, 0, v3
	s_andn2_b64 s[0:1], s[0:1], exec
	s_and_b64 s[54:55], vcc, exec
	v_mov_b32_e32 v4, 0
	s_or_b64 s[0:1], s[0:1], s[54:55]
	s_or_b64 exec, exec, s[50:51]
	s_and_saveexec_b64 s[50:51], s[0:1]
	s_cbranch_execnz .LBB143_597
	s_branch .LBB143_598
.LBB143_615:
	s_mov_b64 s[0:1], -1
                                        ; implicit-def: $vgpr3
	s_branch .LBB143_620
.LBB143_616:
	s_mov_b64 s[0:1], -1
                                        ; implicit-def: $vgpr3
.LBB143_617:
	s_and_b64 vcc, exec, s[0:1]
	s_cbranch_vccz .LBB143_619
; %bb.618:
	global_load_ubyte v3, v[1:2], off
	s_mov_b32 s0, 0x7f800000
	s_brev_b32 s1, 1
	s_movk_i32 s50, 0x7fff
	s_waitcnt vmcnt(0)
	v_lshlrev_b32_e32 v3, 24, v3
	v_and_b32_e32 v4, 0x7f000000, v3
	v_ffbh_u32_e32 v6, v4
	v_min_u32_e32 v6, 32, v6
	v_sub_u32_e64 v6, v6, 4 clamp
	v_lshlrev_b32_e32 v9, v6, v4
	v_lshlrev_b32_e32 v6, 23, v6
	v_lshrrev_b32_e32 v9, 4, v9
	v_add_u32_e32 v7, 0x1000000, v4
	v_sub_u32_e32 v6, v9, v6
	v_ashrrev_i32_e32 v7, 8, v7
	v_add_u32_e32 v6, 0x3c000000, v6
	v_and_or_b32 v6, v7, s0, v6
	v_cmp_ne_u32_e32 vcc, 0, v4
	v_cndmask_b32_e32 v4, 0, v6, vcc
	v_and_or_b32 v3, v3, s1, v4
	v_bfe_u32 v4, v4, 16, 1
	v_add3_u32 v4, v3, v4, s50
	v_cmp_o_f32_e32 vcc, v3, v3
	v_mov_b32_e32 v3, 0x7fc0
	v_cndmask_b32_sdwa v3, v3, v4, vcc dst_sel:DWORD dst_unused:UNUSED_PAD src0_sel:DWORD src1_sel:WORD_1
.LBB143_619:
	s_mov_b64 s[0:1], 0
.LBB143_620:
	s_andn2_b64 vcc, exec, s[0:1]
	s_cbranch_vccnz .LBB143_622
; %bb.621:
	global_load_ubyte v3, v[1:2], off
	s_movk_i32 s0, 0x7f00
	s_brev_b32 s1, 16
	s_brev_b32 s50, 1
	s_movk_i32 s51, 0x7fff
	s_waitcnt vmcnt(0)
	v_lshlrev_b16_e32 v4, 8, v3
	v_lshlrev_b32_e32 v3, 25, v3
	v_lshrrev_b32_e32 v6, 4, v3
	v_and_or_b32 v7, v4, s0, 0.5
	v_or_b32_e32 v6, 0x70000000, v6
	v_add_f32_e32 v7, -0.5, v7
	v_mul_f32_e32 v6, 0x7800000, v6
	v_cmp_gt_u32_e32 vcc, s1, v3
	v_bfe_i32 v4, v4, 0, 16
	v_cndmask_b32_e32 v3, v6, v7, vcc
	v_and_or_b32 v4, v4, s50, v3
	v_bfe_u32 v3, v3, 16, 1
	v_add3_u32 v3, v4, v3, s51
	v_cmp_o_f32_e32 vcc, v4, v4
	v_mov_b32_e32 v4, 0x7fc0
	v_cndmask_b32_sdwa v3, v4, v3, vcc dst_sel:DWORD dst_unused:UNUSED_PAD src0_sel:DWORD src1_sel:WORD_1
.LBB143_622:
	s_mov_b64 s[50:51], 0
	s_mov_b64 s[0:1], -1
.LBB143_623:
	s_andn2_b64 vcc, exec, s[50:51]
	s_cbranch_vccnz .LBB143_636
; %bb.624:
	s_cmp_gt_i32 s57, 14
	s_cbranch_scc0 .LBB143_627
; %bb.625:
	s_cmp_eq_u32 s57, 15
	s_cbranch_scc0 .LBB143_630
; %bb.626:
	global_load_ushort v3, v[1:2], off
	s_mov_b64 s[0:1], -1
	s_mov_b64 s[48:49], 0
	s_branch .LBB143_631
.LBB143_627:
	s_mov_b64 s[50:51], -1
                                        ; implicit-def: $vgpr3
	s_branch .LBB143_632
.LBB143_628:
	s_or_saveexec_b64 s[50:51], s[50:51]
	v_mov_b32_e32 v4, 0x7f800001
	s_xor_b64 exec, exec, s[50:51]
	s_cbranch_execz .LBB143_609
.LBB143_629:
	v_cmp_ne_u16_e32 vcc, 0, v3
	s_andn2_b64 s[0:1], s[0:1], exec
	s_and_b64 s[54:55], vcc, exec
	v_mov_b32_e32 v4, 0
	s_or_b64 s[0:1], s[0:1], s[54:55]
	s_or_b64 exec, exec, s[50:51]
	s_and_saveexec_b64 s[50:51], s[0:1]
	s_cbranch_execnz .LBB143_610
	s_branch .LBB143_611
.LBB143_630:
	s_mov_b64 s[48:49], -1
                                        ; implicit-def: $vgpr3
.LBB143_631:
	s_mov_b64 s[50:51], 0
.LBB143_632:
	s_and_b64 vcc, exec, s[50:51]
	s_cbranch_vccz .LBB143_636
; %bb.633:
	s_cmp_eq_u32 s57, 11
	s_cbranch_scc0 .LBB143_635
; %bb.634:
	global_load_ubyte v3, v[1:2], off
	s_mov_b64 s[0:1], -1
	s_mov_b64 s[48:49], 0
	s_waitcnt vmcnt(0)
	v_cmp_ne_u16_e32 vcc, 0, v3
	v_cndmask_b32_e64 v3, 0, 1.0, vcc
	v_lshrrev_b32_e32 v3, 16, v3
	s_branch .LBB143_636
.LBB143_635:
	s_mov_b64 s[48:49], -1
                                        ; implicit-def: $vgpr3
.LBB143_636:
	s_mov_b64 s[50:51], 0
.LBB143_637:
	s_and_b64 vcc, exec, s[50:51]
	s_cbranch_vccz .LBB143_686
; %bb.638:
	s_and_b32 s50, 0xffff, s56
	s_cmp_lt_i32 s50, 5
	s_cbranch_scc1 .LBB143_643
; %bb.639:
	s_cmp_lt_i32 s50, 8
	s_cbranch_scc1 .LBB143_644
; %bb.640:
	;; [unrolled: 3-line block ×3, first 2 shown]
	s_cmp_gt_i32 s50, 9
	s_cbranch_scc0 .LBB143_646
; %bb.642:
	global_load_dwordx2 v[3:4], v[1:2], off
	s_movk_i32 s0, 0x7fff
	s_waitcnt vmcnt(0)
	v_cvt_f32_f64_e32 v3, v[3:4]
	v_mov_b32_e32 v4, 0x7fc0
	v_bfe_u32 v6, v3, 16, 1
	v_cmp_o_f32_e32 vcc, v3, v3
	v_add3_u32 v3, v3, v6, s0
	v_cndmask_b32_sdwa v3, v4, v3, vcc dst_sel:DWORD dst_unused:UNUSED_PAD src0_sel:DWORD src1_sel:WORD_1
	s_mov_b64 s[0:1], 0
	s_branch .LBB143_647
.LBB143_643:
	s_mov_b64 s[0:1], -1
                                        ; implicit-def: $vgpr3
	s_branch .LBB143_665
.LBB143_644:
	s_mov_b64 s[0:1], -1
                                        ; implicit-def: $vgpr3
	s_branch .LBB143_653
.LBB143_645:
	s_mov_b64 s[0:1], -1
                                        ; implicit-def: $vgpr3
	s_branch .LBB143_650
.LBB143_646:
	s_mov_b64 s[0:1], -1
                                        ; implicit-def: $vgpr3
.LBB143_647:
	s_andn2_b64 vcc, exec, s[0:1]
	s_cbranch_vccnz .LBB143_649
; %bb.648:
	global_load_dword v3, v[1:2], off
	s_movk_i32 s0, 0x7fff
	v_mov_b32_e32 v4, 0x7fc0
	s_waitcnt vmcnt(0)
	v_bfe_u32 v6, v3, 16, 1
	v_cmp_o_f32_e32 vcc, v3, v3
	v_add3_u32 v3, v3, v6, s0
	v_cndmask_b32_sdwa v3, v4, v3, vcc dst_sel:DWORD dst_unused:UNUSED_PAD src0_sel:DWORD src1_sel:WORD_1
.LBB143_649:
	s_mov_b64 s[0:1], 0
.LBB143_650:
	s_andn2_b64 vcc, exec, s[0:1]
	s_cbranch_vccnz .LBB143_652
; %bb.651:
	global_load_dword v3, v[1:2], off
	s_movk_i32 s0, 0x7fff
	v_mov_b32_e32 v6, 0x7fc0
	s_waitcnt vmcnt(0)
	v_cvt_f32_f16_e32 v4, v3
	v_cmp_o_f16_e32 vcc, v3, v3
	v_bfe_u32 v3, v4, 16, 1
	v_add3_u32 v3, v4, v3, s0
	v_cndmask_b32_sdwa v3, v6, v3, vcc dst_sel:DWORD dst_unused:UNUSED_PAD src0_sel:DWORD src1_sel:WORD_1
.LBB143_652:
	s_mov_b64 s[0:1], 0
.LBB143_653:
	s_andn2_b64 vcc, exec, s[0:1]
	s_cbranch_vccnz .LBB143_664
; %bb.654:
	s_cmp_lt_i32 s50, 6
	s_cbranch_scc1 .LBB143_657
; %bb.655:
	s_cmp_gt_i32 s50, 6
	s_cbranch_scc0 .LBB143_658
; %bb.656:
	global_load_dwordx2 v[3:4], v[1:2], off
	s_movk_i32 s0, 0x7fff
	s_waitcnt vmcnt(0)
	v_cvt_f32_f64_e32 v3, v[3:4]
	v_mov_b32_e32 v4, 0x7fc0
	v_bfe_u32 v6, v3, 16, 1
	v_cmp_o_f32_e32 vcc, v3, v3
	v_add3_u32 v3, v3, v6, s0
	v_cndmask_b32_sdwa v3, v4, v3, vcc dst_sel:DWORD dst_unused:UNUSED_PAD src0_sel:DWORD src1_sel:WORD_1
	s_mov_b64 s[0:1], 0
	s_branch .LBB143_659
.LBB143_657:
	s_mov_b64 s[0:1], -1
                                        ; implicit-def: $vgpr3
	s_branch .LBB143_662
.LBB143_658:
	s_mov_b64 s[0:1], -1
                                        ; implicit-def: $vgpr3
.LBB143_659:
	s_andn2_b64 vcc, exec, s[0:1]
	s_cbranch_vccnz .LBB143_661
; %bb.660:
	global_load_dword v3, v[1:2], off
	s_movk_i32 s0, 0x7fff
	v_mov_b32_e32 v4, 0x7fc0
	s_waitcnt vmcnt(0)
	v_bfe_u32 v6, v3, 16, 1
	v_cmp_o_f32_e32 vcc, v3, v3
	v_add3_u32 v3, v3, v6, s0
	v_cndmask_b32_sdwa v3, v4, v3, vcc dst_sel:DWORD dst_unused:UNUSED_PAD src0_sel:DWORD src1_sel:WORD_1
.LBB143_661:
	s_mov_b64 s[0:1], 0
.LBB143_662:
	s_andn2_b64 vcc, exec, s[0:1]
	s_cbranch_vccnz .LBB143_664
; %bb.663:
	global_load_ushort v3, v[1:2], off
	s_movk_i32 s0, 0x7fff
	v_mov_b32_e32 v6, 0x7fc0
	s_waitcnt vmcnt(0)
	v_cvt_f32_f16_e32 v4, v3
	v_cmp_o_f16_e32 vcc, v3, v3
	v_bfe_u32 v3, v4, 16, 1
	v_add3_u32 v3, v4, v3, s0
	v_cndmask_b32_sdwa v3, v6, v3, vcc dst_sel:DWORD dst_unused:UNUSED_PAD src0_sel:DWORD src1_sel:WORD_1
.LBB143_664:
	s_mov_b64 s[0:1], 0
.LBB143_665:
	s_andn2_b64 vcc, exec, s[0:1]
	s_cbranch_vccnz .LBB143_685
; %bb.666:
	s_cmp_lt_i32 s50, 2
	s_cbranch_scc1 .LBB143_670
; %bb.667:
	s_cmp_lt_i32 s50, 3
	s_cbranch_scc1 .LBB143_671
; %bb.668:
	s_cmp_gt_i32 s50, 3
	s_cbranch_scc0 .LBB143_672
; %bb.669:
	global_load_dwordx2 v[3:4], v[1:2], off
	s_movk_i32 s0, 0x7fff
	s_waitcnt vmcnt(0)
	v_xor_b32_e32 v7, v3, v4
	v_ffbh_i32_e32 v6, v4
	v_ashrrev_i32_e32 v7, 31, v7
	v_add_u32_e32 v6, -1, v6
	v_add_u32_e32 v7, 32, v7
	v_min_u32_e32 v6, v6, v7
	v_lshlrev_b64 v[3:4], v6, v[3:4]
	v_min_u32_e32 v3, 1, v3
	v_or_b32_e32 v3, v4, v3
	v_cvt_f32_i32_e32 v3, v3
	v_sub_u32_e32 v4, 32, v6
	v_ldexp_f32 v3, v3, v4
	v_bfe_u32 v4, v3, 16, 1
	v_add3_u32 v3, v3, v4, s0
	v_lshrrev_b32_e32 v3, 16, v3
	s_mov_b64 s[0:1], 0
	s_branch .LBB143_673
.LBB143_670:
	s_mov_b64 s[0:1], -1
                                        ; implicit-def: $vgpr3
	s_branch .LBB143_679
.LBB143_671:
	s_mov_b64 s[0:1], -1
                                        ; implicit-def: $vgpr3
	s_branch .LBB143_676
.LBB143_672:
	s_mov_b64 s[0:1], -1
                                        ; implicit-def: $vgpr3
.LBB143_673:
	s_andn2_b64 vcc, exec, s[0:1]
	s_cbranch_vccnz .LBB143_675
; %bb.674:
	global_load_dword v3, v[1:2], off
	s_movk_i32 s0, 0x7fff
	s_waitcnt vmcnt(0)
	v_cvt_f32_i32_e32 v3, v3
	v_bfe_u32 v4, v3, 16, 1
	v_add3_u32 v3, v3, v4, s0
	v_lshrrev_b32_e32 v3, 16, v3
.LBB143_675:
	s_mov_b64 s[0:1], 0
.LBB143_676:
	s_andn2_b64 vcc, exec, s[0:1]
	s_cbranch_vccnz .LBB143_678
; %bb.677:
	global_load_sshort v3, v[1:2], off
	s_movk_i32 s0, 0x7fff
	s_waitcnt vmcnt(0)
	v_cvt_f32_i32_e32 v3, v3
	v_bfe_u32 v4, v3, 16, 1
	v_add3_u32 v3, v3, v4, s0
	v_lshrrev_b32_e32 v3, 16, v3
.LBB143_678:
	s_mov_b64 s[0:1], 0
.LBB143_679:
	s_andn2_b64 vcc, exec, s[0:1]
	s_cbranch_vccnz .LBB143_685
; %bb.680:
	s_cmp_gt_i32 s50, 0
	s_cbranch_scc0 .LBB143_682
; %bb.681:
	global_load_sbyte v3, v[1:2], off
	s_movk_i32 s0, 0x7fff
	s_waitcnt vmcnt(0)
	v_cvt_f32_i32_e32 v3, v3
	v_bfe_u32 v4, v3, 16, 1
	v_add3_u32 v3, v3, v4, s0
	v_lshrrev_b32_e32 v3, 16, v3
	s_mov_b64 s[0:1], 0
	s_branch .LBB143_683
.LBB143_682:
	s_mov_b64 s[0:1], -1
                                        ; implicit-def: $vgpr3
.LBB143_683:
	s_andn2_b64 vcc, exec, s[0:1]
	s_cbranch_vccnz .LBB143_685
; %bb.684:
	global_load_ubyte v1, v[1:2], off
	s_movk_i32 s0, 0x7fff
	s_waitcnt vmcnt(0)
	v_cvt_f32_ubyte0_e32 v1, v1
	v_bfe_u32 v2, v1, 16, 1
	v_add3_u32 v1, v1, v2, s0
	v_lshrrev_b32_e32 v3, 16, v1
.LBB143_685:
	s_mov_b64 s[0:1], -1
.LBB143_686:
	s_andn2_b64 vcc, exec, s[0:1]
	s_cbranch_vccnz .LBB143_691
; %bb.687:
	s_waitcnt vmcnt(0)
	v_lshlrev_b32_e32 v1, 16, v5
	v_lshlrev_b32_e32 v2, 16, v3
	s_cmp_lt_i32 s14, 1
	s_mov_b64 s[0:1], 0
	s_cbranch_scc1 .LBB143_692
; %bb.688:
	s_cmp_gt_i32 s14, 1
	s_cbranch_scc0 .LBB143_693
; %bb.689:
	s_cmp_eq_u32 s14, 2
	s_cbranch_scc0 .LBB143_694
; %bb.690:
	v_cmp_le_f32_e64 s[50:51], v1, v2
	s_mov_b64 s[54:55], 0
	s_branch .LBB143_695
.LBB143_691:
	s_mov_b64 s[54:55], 0
                                        ; implicit-def: $vgpr8
	s_mov_b64 s[0:1], s[38:39]
	s_branch .LBB143_827
.LBB143_692:
	s_mov_b64 s[56:57], -1
                                        ; implicit-def: $sgpr50_sgpr51
	s_mov_b64 s[54:55], 0
	s_branch .LBB143_699
.LBB143_693:
	s_mov_b64 s[56:57], -1
	s_mov_b64 s[54:55], 0
                                        ; implicit-def: $sgpr50_sgpr51
	s_branch .LBB143_696
.LBB143_694:
	s_mov_b64 s[54:55], -1
                                        ; implicit-def: $sgpr50_sgpr51
.LBB143_695:
	s_mov_b64 s[56:57], 0
.LBB143_696:
	s_and_b64 vcc, exec, s[56:57]
	s_cbranch_vccz .LBB143_698
; %bb.697:
	v_cmp_gt_f32_e32 vcc, v1, v2
	s_andn2_b64 s[50:51], s[50:51], exec
	s_and_b64 s[56:57], vcc, exec
	s_or_b64 s[50:51], s[50:51], s[56:57]
.LBB143_698:
	s_mov_b64 s[56:57], 0
.LBB143_699:
	s_and_b64 vcc, exec, s[56:57]
	s_cbranch_vccz .LBB143_710
; %bb.700:
	s_cmp_lg_u32 s14, 0
	s_mov_b64 s[0:1], -1
	s_cselect_b64 s[54:55], -1, 0
	s_andn2_b64 vcc, exec, s[54:55]
	s_cbranch_vccz .LBB143_711
.LBB143_701:
	s_andn2_b64 vcc, exec, s[0:1]
	s_cbranch_vccnz .LBB143_703
.LBB143_702:
	v_cmp_ge_f32_e32 vcc, v1, v2
	s_andn2_b64 s[0:1], s[50:51], exec
	s_and_b64 s[50:51], vcc, exec
	s_or_b64 s[50:51], s[0:1], s[50:51]
.LBB143_703:
	v_mov_b32_e32 v1, s9
	s_and_b32 s60, s15, 0xff
	v_add_co_u32_e32 v0, vcc, s8, v0
	s_cmp_lt_i32 s60, 11
	v_addc_co_u32_e32 v1, vcc, 0, v1, vcc
	s_cbranch_scc1 .LBB143_712
; %bb.704:
	s_and_b32 s61, 0xffff, s60
	s_cmp_gt_i32 s61, 25
	s_cbranch_scc0 .LBB143_713
; %bb.705:
	s_cmp_gt_i32 s61, 28
	s_cbranch_scc0 .LBB143_714
; %bb.706:
	;; [unrolled: 3-line block ×4, first 2 shown]
	s_mov_b64 s[56:57], 0
	s_mov_b64 s[0:1], -1
	s_cmp_eq_u32 s61, 46
	s_mov_b64 s[54:55], 0
	s_cbranch_scc0 .LBB143_717
; %bb.709:
	v_cndmask_b32_e64 v2, 0, 1.0, s[50:51]
	v_bfe_u32 v3, v2, 16, 1
	s_movk_i32 s0, 0x7fff
	v_add3_u32 v2, v2, v3, s0
	v_lshrrev_b32_e32 v2, 16, v2
	global_store_dword v[0:1], v2, off
	s_mov_b64 s[54:55], -1
	s_mov_b64 s[0:1], 0
	s_branch .LBB143_717
.LBB143_710:
	s_andn2_b64 vcc, exec, s[54:55]
	s_cbranch_vccnz .LBB143_701
.LBB143_711:
	v_cmp_lt_f32_e32 vcc, v1, v2
	s_andn2_b64 s[50:51], s[50:51], exec
	s_and_b64 s[54:55], vcc, exec
	s_or_b64 s[50:51], s[50:51], s[54:55]
	s_cbranch_execz .LBB143_702
	s_branch .LBB143_703
.LBB143_712:
	s_mov_b64 s[56:57], -1
	s_mov_b64 s[54:55], 0
	s_mov_b64 s[0:1], s[38:39]
	s_branch .LBB143_786
.LBB143_713:
	s_mov_b64 s[56:57], -1
	s_mov_b64 s[54:55], 0
	s_mov_b64 s[0:1], s[38:39]
	s_branch .LBB143_744
.LBB143_714:
	s_mov_b64 s[56:57], -1
	s_mov_b64 s[54:55], 0
	s_mov_b64 s[0:1], s[38:39]
	s_branch .LBB143_727
.LBB143_715:
	s_mov_b64 s[56:57], -1
	s_mov_b64 s[54:55], 0
	s_mov_b64 s[0:1], s[38:39]
	s_branch .LBB143_723
.LBB143_716:
	s_mov_b64 s[56:57], -1
	s_mov_b64 s[54:55], 0
	s_mov_b64 s[0:1], s[38:39]
.LBB143_717:
	s_and_b64 vcc, exec, s[56:57]
	s_cbranch_vccz .LBB143_722
; %bb.718:
	s_cmp_eq_u32 s61, 44
	s_mov_b64 s[0:1], -1
	s_cbranch_scc0 .LBB143_722
; %bb.719:
	v_cndmask_b32_e64 v3, 0, 1.0, s[50:51]
	v_lshrrev_b32_e32 v2, 23, v3
	s_movk_i32 s0, 0xff
	v_cmp_ne_u32_e32 vcc, s0, v2
	v_mov_b32_e32 v4, 0xff
	s_and_saveexec_b64 s[54:55], vcc
; %bb.720:
	s_mov_b32 s0, 0x3fffff
	v_and_b32_e32 v4, 0x400000, v3
	v_and_or_b32 v3, v3, s0, v2
	v_cmp_ne_u32_e32 vcc, 0, v4
	v_cmp_ne_u32_e64 s[0:1], 0, v3
	s_and_b64 s[0:1], vcc, s[0:1]
	v_cndmask_b32_e64 v3, 0, 1, s[0:1]
	v_add_u32_e32 v4, v2, v3
; %bb.721:
	s_or_b64 exec, exec, s[54:55]
	s_mov_b64 s[54:55], -1
	s_mov_b64 s[0:1], 0
	global_store_byte v[0:1], v4, off
.LBB143_722:
	s_mov_b64 s[56:57], 0
.LBB143_723:
	s_and_b64 vcc, exec, s[56:57]
	s_cbranch_vccz .LBB143_726
; %bb.724:
	s_cmp_eq_u32 s61, 29
	s_mov_b64 s[0:1], -1
	s_cbranch_scc0 .LBB143_726
; %bb.725:
	s_mov_b32 s0, 0
	v_cndmask_b32_e64 v2, 0, 1, s[50:51]
	v_mov_b32_e32 v3, s0
	global_store_dwordx2 v[0:1], v[2:3], off
	s_mov_b64 s[54:55], -1
	s_mov_b64 s[0:1], 0
.LBB143_726:
	s_mov_b64 s[56:57], 0
.LBB143_727:
	s_and_b64 vcc, exec, s[56:57]
	s_cbranch_vccz .LBB143_743
; %bb.728:
	s_cmp_lt_i32 s61, 27
	s_mov_b64 s[54:55], -1
	s_cbranch_scc1 .LBB143_734
; %bb.729:
	s_cmp_gt_i32 s61, 27
	s_cbranch_scc0 .LBB143_731
; %bb.730:
	v_cndmask_b32_e64 v2, 0, 1, s[50:51]
	s_mov_b64 s[54:55], 0
	global_store_dword v[0:1], v2, off
.LBB143_731:
	s_andn2_b64 vcc, exec, s[54:55]
	s_cbranch_vccnz .LBB143_733
; %bb.732:
	v_cndmask_b32_e64 v2, 0, 1, s[50:51]
	global_store_short v[0:1], v2, off
.LBB143_733:
	s_mov_b64 s[54:55], 0
.LBB143_734:
	s_andn2_b64 vcc, exec, s[54:55]
	s_cbranch_vccnz .LBB143_742
; %bb.735:
	v_cndmask_b32_e64 v3, 0, 1.0, s[50:51]
	s_mov_b32 s54, 0x43800000
	v_cmp_gt_u32_e32 vcc, s54, v3
	v_mov_b32_e32 v4, 0x80
	s_and_saveexec_b64 s[54:55], vcc
	s_cbranch_execz .LBB143_741
; %bb.736:
	s_mov_b32 s56, 0x3bffffff
	v_cmp_lt_u32_e32 vcc, s56, v3
	s_mov_b64 s[56:57], 0
                                        ; implicit-def: $vgpr2
	s_and_saveexec_b64 s[58:59], vcc
	s_xor_b64 s[58:59], exec, s[58:59]
	s_cbranch_execz .LBB143_855
; %bb.737:
	v_bfe_u32 v2, v3, 20, 1
	s_mov_b32 s62, 0x487ffff
	v_add3_u32 v2, v3, v2, s62
	s_mov_b64 s[56:57], exec
	v_lshrrev_b32_e32 v2, 20, v2
                                        ; implicit-def: $vgpr3
	s_andn2_saveexec_b64 s[58:59], s[58:59]
	s_cbranch_execnz .LBB143_856
.LBB143_738:
	s_or_b64 exec, exec, s[58:59]
	v_mov_b32_e32 v4, 0
	s_and_saveexec_b64 s[58:59], s[56:57]
.LBB143_739:
	v_mov_b32_e32 v4, v2
.LBB143_740:
	s_or_b64 exec, exec, s[58:59]
.LBB143_741:
	s_or_b64 exec, exec, s[54:55]
	global_store_byte v[0:1], v4, off
.LBB143_742:
	s_mov_b64 s[54:55], -1
.LBB143_743:
	s_mov_b64 s[56:57], 0
.LBB143_744:
	s_and_b64 vcc, exec, s[56:57]
	s_cbranch_vccz .LBB143_785
; %bb.745:
	s_cmp_gt_i32 s61, 22
	s_mov_b64 s[56:57], -1
	s_cbranch_scc0 .LBB143_777
; %bb.746:
	s_cmp_lt_i32 s61, 24
	s_mov_b64 s[54:55], -1
	s_cbranch_scc1 .LBB143_766
; %bb.747:
	s_cmp_gt_i32 s61, 24
	s_cbranch_scc0 .LBB143_755
; %bb.748:
	v_cndmask_b32_e64 v3, 0, 1.0, s[50:51]
	s_mov_b32 s54, 0x47800000
	v_cmp_gt_u32_e32 vcc, s54, v3
	v_mov_b32_e32 v4, 0x80
	s_and_saveexec_b64 s[54:55], vcc
	s_cbranch_execz .LBB143_754
; %bb.749:
	s_mov_b32 s56, 0x37ffffff
	v_cmp_lt_u32_e32 vcc, s56, v3
	s_mov_b64 s[56:57], 0
                                        ; implicit-def: $vgpr2
	s_and_saveexec_b64 s[58:59], vcc
	s_xor_b64 s[58:59], exec, s[58:59]
	s_cbranch_execz .LBB143_987
; %bb.750:
	v_bfe_u32 v2, v3, 21, 1
	s_mov_b32 s62, 0x88fffff
	v_add3_u32 v2, v3, v2, s62
	s_mov_b64 s[56:57], exec
	v_lshrrev_b32_e32 v2, 21, v2
                                        ; implicit-def: $vgpr3
	s_andn2_saveexec_b64 s[58:59], s[58:59]
	s_cbranch_execnz .LBB143_988
.LBB143_751:
	s_or_b64 exec, exec, s[58:59]
	v_mov_b32_e32 v4, 0
	s_and_saveexec_b64 s[58:59], s[56:57]
.LBB143_752:
	v_mov_b32_e32 v4, v2
.LBB143_753:
	s_or_b64 exec, exec, s[58:59]
.LBB143_754:
	s_or_b64 exec, exec, s[54:55]
	s_mov_b64 s[54:55], 0
	global_store_byte v[0:1], v4, off
.LBB143_755:
	s_and_b64 vcc, exec, s[54:55]
	s_cbranch_vccz .LBB143_765
; %bb.756:
	v_cndmask_b32_e64 v2, 0, 1.0, s[50:51]
	s_mov_b32 s54, 0x43f00000
	v_cmp_gt_u32_e32 vcc, s54, v2
                                        ; implicit-def: $vgpr3
	s_and_saveexec_b64 s[54:55], vcc
	s_xor_b64 s[54:55], exec, s[54:55]
	s_cbranch_execz .LBB143_762
; %bb.757:
	s_mov_b32 s56, 0x3c7fffff
	v_cmp_lt_u32_e32 vcc, s56, v2
                                        ; implicit-def: $vgpr3
	s_and_saveexec_b64 s[56:57], vcc
	s_xor_b64 s[56:57], exec, s[56:57]
; %bb.758:
	v_bfe_u32 v3, v2, 20, 1
	s_mov_b32 s58, 0x407ffff
	v_add3_u32 v2, v2, v3, s58
	v_lshrrev_b32_e32 v3, 20, v2
	v_and_b32_e32 v2, 0xff00000, v2
	s_mov_b32 s58, 0x7f00000
	v_mov_b32_e32 v4, 0x7e
	v_cmp_ne_u32_e32 vcc, s58, v2
	v_cndmask_b32_e32 v3, v4, v3, vcc
                                        ; implicit-def: $vgpr2
; %bb.759:
	s_andn2_saveexec_b64 s[56:57], s[56:57]
; %bb.760:
	v_add_f32_e32 v3, 0x46800000, v2
; %bb.761:
	s_or_b64 exec, exec, s[56:57]
                                        ; implicit-def: $vgpr2
.LBB143_762:
	s_andn2_saveexec_b64 s[54:55], s[54:55]
; %bb.763:
	s_mov_b32 s56, 0x7f800000
	v_mov_b32_e32 v3, 0x7e
	v_mov_b32_e32 v4, 0x7f
	v_cmp_lt_u32_e32 vcc, s56, v2
	v_cndmask_b32_e32 v3, v3, v4, vcc
; %bb.764:
	s_or_b64 exec, exec, s[54:55]
	global_store_byte v[0:1], v3, off
.LBB143_765:
	s_mov_b64 s[54:55], 0
.LBB143_766:
	s_andn2_b64 vcc, exec, s[54:55]
	s_cbranch_vccnz .LBB143_776
; %bb.767:
	v_cndmask_b32_e64 v2, 0, 1.0, s[50:51]
	s_mov_b32 s54, 0x47800000
	v_cmp_gt_u32_e32 vcc, s54, v2
                                        ; implicit-def: $vgpr3
	s_and_saveexec_b64 s[54:55], vcc
	s_xor_b64 s[54:55], exec, s[54:55]
	s_cbranch_execz .LBB143_773
; %bb.768:
	s_mov_b32 s56, 0x387fffff
	v_cmp_lt_u32_e32 vcc, s56, v2
                                        ; implicit-def: $vgpr3
	s_and_saveexec_b64 s[56:57], vcc
	s_xor_b64 s[56:57], exec, s[56:57]
; %bb.769:
	v_bfe_u32 v3, v2, 21, 1
	s_mov_b32 s58, 0x80fffff
	v_add3_u32 v2, v2, v3, s58
	v_lshrrev_b32_e32 v3, 21, v2
                                        ; implicit-def: $vgpr2
; %bb.770:
	s_andn2_saveexec_b64 s[56:57], s[56:57]
; %bb.771:
	v_add_f32_e32 v3, 0x43000000, v2
; %bb.772:
	s_or_b64 exec, exec, s[56:57]
                                        ; implicit-def: $vgpr2
.LBB143_773:
	s_andn2_saveexec_b64 s[54:55], s[54:55]
; %bb.774:
	s_mov_b32 s56, 0x7f800000
	v_mov_b32_e32 v3, 0x7c
	v_mov_b32_e32 v4, 0x7f
	v_cmp_lt_u32_e32 vcc, s56, v2
	v_cndmask_b32_e32 v3, v3, v4, vcc
; %bb.775:
	s_or_b64 exec, exec, s[54:55]
	global_store_byte v[0:1], v3, off
.LBB143_776:
	s_mov_b64 s[56:57], 0
	s_mov_b64 s[54:55], -1
.LBB143_777:
	s_andn2_b64 vcc, exec, s[56:57]
	s_cbranch_vccnz .LBB143_785
; %bb.778:
	s_cmp_gt_i32 s61, 14
	s_mov_b64 s[56:57], -1
	s_cbranch_scc0 .LBB143_782
; %bb.779:
	s_cmp_eq_u32 s61, 15
	s_mov_b64 s[0:1], -1
	s_cbranch_scc0 .LBB143_781
; %bb.780:
	v_cndmask_b32_e64 v2, 0, 1.0, s[50:51]
	v_bfe_u32 v3, v2, 16, 1
	s_movk_i32 s0, 0x7fff
	v_add3_u32 v2, v2, v3, s0
	global_store_short_d16_hi v[0:1], v2, off
	s_mov_b64 s[54:55], -1
	s_mov_b64 s[0:1], 0
.LBB143_781:
	s_mov_b64 s[56:57], 0
.LBB143_782:
	s_and_b64 vcc, exec, s[56:57]
	s_cbranch_vccz .LBB143_785
; %bb.783:
	s_cmp_eq_u32 s61, 11
	s_mov_b64 s[0:1], -1
	s_cbranch_scc0 .LBB143_785
; %bb.784:
	v_cndmask_b32_e64 v2, 0, 1, s[50:51]
	s_mov_b64 s[54:55], -1
	s_mov_b64 s[0:1], 0
	global_store_byte v[0:1], v2, off
.LBB143_785:
	s_mov_b64 s[56:57], 0
.LBB143_786:
	s_and_b64 vcc, exec, s[56:57]
	s_cbranch_vccz .LBB143_825
; %bb.787:
	s_and_b32 s56, 0xffff, s60
	s_cmp_lt_i32 s56, 5
	s_mov_b64 s[54:55], -1
	s_cbranch_scc1 .LBB143_808
; %bb.788:
	s_cmp_lt_i32 s56, 8
	s_cbranch_scc1 .LBB143_798
; %bb.789:
	s_cmp_lt_i32 s56, 9
	s_cbranch_scc1 .LBB143_795
; %bb.790:
	s_cmp_gt_i32 s56, 9
	s_cbranch_scc0 .LBB143_792
; %bb.791:
	v_cndmask_b32_e64 v2, 0, 1, s[50:51]
	v_cvt_f64_u32_e32 v[2:3], v2
	v_mov_b32_e32 v4, 0
	v_mov_b32_e32 v5, v4
	s_mov_b64 s[54:55], 0
	global_store_dwordx4 v[0:1], v[2:5], off
.LBB143_792:
	s_andn2_b64 vcc, exec, s[54:55]
	s_cbranch_vccnz .LBB143_794
; %bb.793:
	v_cndmask_b32_e64 v2, 0, 1.0, s[50:51]
	v_mov_b32_e32 v3, 0
	global_store_dwordx2 v[0:1], v[2:3], off
.LBB143_794:
	s_mov_b64 s[54:55], 0
.LBB143_795:
	s_andn2_b64 vcc, exec, s[54:55]
	s_cbranch_vccnz .LBB143_797
; %bb.796:
	v_cndmask_b32_e64 v2, 0, 1.0, s[50:51]
	v_cvt_f16_f32_e32 v2, v2
	global_store_dword v[0:1], v2, off
.LBB143_797:
	s_mov_b64 s[54:55], 0
.LBB143_798:
	s_andn2_b64 vcc, exec, s[54:55]
	s_cbranch_vccnz .LBB143_807
; %bb.799:
	s_cmp_lt_i32 s56, 6
	s_mov_b64 s[54:55], -1
	s_cbranch_scc1 .LBB143_805
; %bb.800:
	s_cmp_gt_i32 s56, 6
	s_cbranch_scc0 .LBB143_802
; %bb.801:
	v_cndmask_b32_e64 v2, 0, 1, s[50:51]
	v_cvt_f64_u32_e32 v[2:3], v2
	s_mov_b64 s[54:55], 0
	global_store_dwordx2 v[0:1], v[2:3], off
.LBB143_802:
	s_andn2_b64 vcc, exec, s[54:55]
	s_cbranch_vccnz .LBB143_804
; %bb.803:
	v_cndmask_b32_e64 v2, 0, 1.0, s[50:51]
	global_store_dword v[0:1], v2, off
.LBB143_804:
	s_mov_b64 s[54:55], 0
.LBB143_805:
	s_andn2_b64 vcc, exec, s[54:55]
	s_cbranch_vccnz .LBB143_807
; %bb.806:
	v_cndmask_b32_e64 v2, 0, 1.0, s[50:51]
	v_cvt_f16_f32_e32 v2, v2
	global_store_short v[0:1], v2, off
.LBB143_807:
	s_mov_b64 s[54:55], 0
.LBB143_808:
	s_andn2_b64 vcc, exec, s[54:55]
	s_cbranch_vccnz .LBB143_824
; %bb.809:
	s_cmp_lt_i32 s56, 2
	s_mov_b64 s[54:55], -1
	s_cbranch_scc1 .LBB143_819
; %bb.810:
	s_cmp_lt_i32 s56, 3
	s_cbranch_scc1 .LBB143_816
; %bb.811:
	s_cmp_gt_i32 s56, 3
	s_cbranch_scc0 .LBB143_813
; %bb.812:
	s_mov_b32 s54, 0
	v_cndmask_b32_e64 v2, 0, 1, s[50:51]
	v_mov_b32_e32 v3, s54
	s_mov_b64 s[54:55], 0
	global_store_dwordx2 v[0:1], v[2:3], off
.LBB143_813:
	s_andn2_b64 vcc, exec, s[54:55]
	s_cbranch_vccnz .LBB143_815
; %bb.814:
	v_cndmask_b32_e64 v2, 0, 1, s[50:51]
	global_store_dword v[0:1], v2, off
.LBB143_815:
	s_mov_b64 s[54:55], 0
.LBB143_816:
	s_andn2_b64 vcc, exec, s[54:55]
	s_cbranch_vccnz .LBB143_818
; %bb.817:
	v_cndmask_b32_e64 v2, 0, 1, s[50:51]
	global_store_short v[0:1], v2, off
.LBB143_818:
	s_mov_b64 s[54:55], 0
.LBB143_819:
	s_andn2_b64 vcc, exec, s[54:55]
	s_cbranch_vccnz .LBB143_824
; %bb.820:
	s_mov_b64 s[54:55], -1
	s_cmp_gt_i32 s56, 0
	v_cndmask_b32_e64 v2, 0, 1, s[50:51]
	s_cbranch_scc0 .LBB143_822
; %bb.821:
	s_mov_b64 s[54:55], 0
	global_store_byte v[0:1], v2, off
.LBB143_822:
	s_andn2_b64 vcc, exec, s[54:55]
	s_cbranch_vccnz .LBB143_824
; %bb.823:
	global_store_byte v[0:1], v2, off
.LBB143_824:
	s_mov_b64 s[54:55], -1
.LBB143_825:
	s_andn2_b64 vcc, exec, s[54:55]
	s_cbranch_vccnz .LBB143_837
; %bb.826:
	v_add_u32_e32 v8, 0x80, v8
	s_mov_b64 s[54:55], -1
.LBB143_827:
	s_andn2_b64 s[50:51], s[38:39], exec
	s_and_b64 s[0:1], s[0:1], exec
	s_or_b64 s[50:51], s[50:51], s[0:1]
	s_andn2_b64 s[0:1], s[40:41], exec
	s_and_b64 s[48:49], s[48:49], exec
	s_or_b64 s[48:49], s[0:1], s[48:49]
	;; [unrolled: 3-line block ×3, first 2 shown]
	s_orn2_b64 s[0:1], s[54:55], exec
.LBB143_828:
	s_or_b64 exec, exec, s[52:53]
	s_mov_b64 s[54:55], 0
	s_mov_b64 s[56:57], 0
	;; [unrolled: 1-line block ×3, first 2 shown]
                                        ; implicit-def: $sgpr74
                                        ; implicit-def: $vgpr3_vgpr4
                                        ; implicit-def: $vgpr0
                                        ; implicit-def: $vgpr2
                                        ; implicit-def: $vgpr5
	s_and_saveexec_b64 s[52:53], s[0:1]
	s_cbranch_execz .LBB143_1342
; %bb.829:
	v_cmp_gt_i32_e32 vcc, s68, v8
	s_mov_b64 s[66:67], -1
	s_mov_b64 s[0:1], s[46:47]
	s_mov_b64 s[58:59], s[48:49]
	;; [unrolled: 1-line block ×3, first 2 shown]
	s_and_saveexec_b64 s[54:55], vcc
	s_cbranch_execz .LBB143_1246
; %bb.830:
	s_andn2_b64 vcc, exec, s[24:25]
	s_cbranch_vccnz .LBB143_836
; %bb.831:
	s_andn2_b64 vcc, exec, s[36:37]
	s_cbranch_vccnz .LBB143_838
; %bb.832:
	s_add_i32 s0, s73, 1
	s_and_b32 s56, s0, 30
	s_add_u32 s0, s2, 0xffffffe8
	s_addc_u32 s1, s3, -1
	v_mov_b32_e32 v2, 0
	v_mov_b32_e32 v4, 0
	;; [unrolled: 1-line block ×4, first 2 shown]
.LBB143_833:                            ; =>This Inner Loop Header: Depth=1
	s_load_dwordx4 s[60:63], s[0:1], 0x1c
	s_load_dwordx2 s[58:59], s[0:1], 0x2c
	s_load_dwordx2 s[74:75], s[0:1], 0xec
	s_load_dwordx4 s[64:67], s[0:1], 0xdc
	s_add_u32 s0, s0, 24
	s_waitcnt vmcnt(0) lgkmcnt(0)
	v_mul_hi_u32 v3, s61, v1
	s_addc_u32 s1, s1, 0
	s_add_i32 s56, s56, -2
	s_cmp_eq_u32 s56, 0
	v_add_u32_e32 v3, v1, v3
	v_lshrrev_b32_e32 v3, s62, v3
	v_mul_lo_u32 v5, v3, s60
	v_mul_hi_u32 v6, s58, v3
	v_sub_u32_e32 v5, v1, v5
	v_add_u32_e32 v1, v3, v6
	v_lshrrev_b32_e32 v1, s59, v1
	v_mul_lo_u32 v9, v1, s63
	v_mul_lo_u32 v6, v5, s64
	;; [unrolled: 1-line block ×4, first 2 shown]
	v_sub_u32_e32 v3, v3, v9
	v_mul_lo_u32 v9, v3, s67
	v_mul_lo_u32 v10, v3, s74
	;; [unrolled: 1-line block ×3, first 2 shown]
	v_add3_u32 v0, v6, v0, v9
	v_add3_u32 v4, v7, v4, v10
	;; [unrolled: 1-line block ×3, first 2 shown]
	s_cbranch_scc0 .LBB143_833
; %bb.834:
	s_bitcmp1_b32 s73, 0
	s_cselect_b64 s[56:57], -1, 0
	s_and_b64 vcc, exec, s[56:57]
	s_cbranch_vccnz .LBB143_839
; %bb.835:
	s_load_dwordx2 s[56:57], s[0:1], 0x1c
	s_load_dword s60, s[0:1], 0x24
	s_load_dwordx2 s[58:59], s[0:1], 0xdc
	s_waitcnt lgkmcnt(0)
	v_mul_hi_u32 v3, s57, v1
	v_add_u32_e32 v3, v1, v3
	v_lshrrev_b32_e32 v3, s60, v3
	v_mul_lo_u32 v3, v3, s56
	s_load_dword s56, s[0:1], 0xe4
	v_sub_u32_e32 v3, v1, v3
	v_mad_u64_u32 v[0:1], s[0:1], v3, s58, v[0:1]
	v_mad_u64_u32 v[4:5], s[0:1], v3, s59, v[4:5]
	s_waitcnt lgkmcnt(0)
	v_mad_u64_u32 v[2:3], s[0:1], v3, s56, v[2:3]
	s_branch .LBB143_839
.LBB143_836:
	s_mov_b64 s[0:1], -1
                                        ; implicit-def: $vgpr0
                                        ; implicit-def: $vgpr4
                                        ; implicit-def: $vgpr2
	s_branch .LBB143_840
.LBB143_837:
	s_mov_b64 s[54:55], 0
	s_branch .LBB143_568
.LBB143_838:
	v_mov_b32_e32 v0, 0
	v_mov_b32_e32 v4, 0
	;; [unrolled: 1-line block ×3, first 2 shown]
.LBB143_839:
	s_mov_b64 s[0:1], 0
.LBB143_840:
	s_andn2_b64 vcc, exec, s[0:1]
	s_cbranch_vccnz .LBB143_843
; %bb.841:
	v_mul_hi_u32 v0, s17, v8
	s_andn2_b64 vcc, exec, s[34:35]
	v_add_u32_e32 v0, v8, v0
	v_lshrrev_b32_e32 v1, s18, v0
	v_mul_lo_u32 v0, v1, s16
	v_sub_u32_e32 v2, v8, v0
	v_mul_lo_u32 v0, v2, s20
	v_mul_lo_u32 v4, v2, s21
	v_mul_lo_u32 v2, v2, s22
	s_cbranch_vccnz .LBB143_843
; %bb.842:
	s_waitcnt vmcnt(0)
	v_mul_hi_u32 v3, s30, v1
	v_add_u32_e32 v3, v1, v3
	v_lshrrev_b32_e32 v3, s31, v3
	v_mul_lo_u32 v3, v3, s19
	v_sub_u32_e32 v3, v1, v3
	v_mad_u64_u32 v[0:1], s[0:1], v3, s23, v[0:1]
	v_mad_u64_u32 v[4:5], s[0:1], v3, s28, v[4:5]
	;; [unrolled: 1-line block ×3, first 2 shown]
.LBB143_843:
	v_mov_b32_e32 v1, s11
	s_and_b32 s62, s72, 0xff
	s_waitcnt vmcnt(0)
	v_add_co_u32_e32 v3, vcc, s10, v4
	s_cmp_lt_i32 s62, 11
	v_addc_co_u32_e32 v4, vcc, 0, v1, vcc
	s_cbranch_scc1 .LBB143_850
; %bb.844:
	s_and_b32 s63, 0xffff, s62
	s_cmp_gt_i32 s63, 25
	s_cbranch_scc0 .LBB143_851
; %bb.845:
	s_cmp_gt_i32 s63, 28
	s_cbranch_scc0 .LBB143_852
; %bb.846:
	;; [unrolled: 3-line block ×4, first 2 shown]
	s_cmp_eq_u32 s63, 46
	s_mov_b64 s[58:59], 0
	s_cbranch_scc0 .LBB143_857
; %bb.849:
	global_load_dword v5, v[3:4], off
	s_mov_b64 s[0:1], -1
	s_mov_b64 s[56:57], 0
	s_branch .LBB143_858
.LBB143_850:
	s_mov_b64 s[58:59], -1
	s_mov_b64 s[0:1], 0
                                        ; implicit-def: $vgpr5
	s_mov_b64 s[56:57], s[46:47]
	s_branch .LBB143_923
.LBB143_851:
	s_mov_b64 s[58:59], -1
	s_mov_b64 s[0:1], 0
	s_mov_b64 s[56:57], s[46:47]
                                        ; implicit-def: $vgpr5
	s_branch .LBB143_887
.LBB143_852:
	s_mov_b64 s[58:59], -1
	s_mov_b64 s[0:1], 0
	s_mov_b64 s[56:57], s[46:47]
                                        ; implicit-def: $vgpr5
	s_branch .LBB143_868
.LBB143_853:
	s_mov_b64 s[58:59], -1
	s_mov_b64 s[0:1], 0
	s_mov_b64 s[56:57], s[46:47]
                                        ; implicit-def: $vgpr5
	s_branch .LBB143_863
.LBB143_854:
	s_mov_b64 s[58:59], -1
	s_mov_b64 s[0:1], 0
	s_mov_b64 s[56:57], s[46:47]
                                        ; implicit-def: $vgpr5
	s_branch .LBB143_858
.LBB143_855:
	s_andn2_saveexec_b64 s[58:59], s[58:59]
	s_cbranch_execz .LBB143_738
.LBB143_856:
	v_add_f32_e32 v2, 0x46000000, v3
	v_and_b32_e32 v2, 0xff, v2
	v_cmp_ne_u32_e32 vcc, 0, v2
	s_andn2_b64 s[56:57], s[56:57], exec
	s_and_b64 s[62:63], vcc, exec
	s_or_b64 s[56:57], s[56:57], s[62:63]
	s_or_b64 exec, exec, s[58:59]
	v_mov_b32_e32 v4, 0
	s_and_saveexec_b64 s[58:59], s[56:57]
	s_cbranch_execnz .LBB143_739
	s_branch .LBB143_740
.LBB143_857:
	s_mov_b64 s[56:57], -1
                                        ; implicit-def: $vgpr5
	s_mov_b64 s[0:1], 0
.LBB143_858:
	s_and_b64 vcc, exec, s[58:59]
	s_cbranch_vccz .LBB143_862
; %bb.859:
	s_cmp_eq_u32 s63, 44
	s_cbranch_scc0 .LBB143_861
; %bb.860:
	global_load_ubyte v1, v[3:4], off
	s_movk_i32 s56, 0xff
	s_waitcnt vmcnt(1)
	v_mov_b32_e32 v5, 0x7f800001
	v_mov_b32_e32 v6, 0x400000
	;; [unrolled: 1-line block ×3, first 2 shown]
	s_mov_b64 s[0:1], -1
	s_waitcnt vmcnt(0)
	v_lshlrev_b32_e32 v9, 23, v1
	v_cmp_ne_u32_e32 vcc, s56, v1
	v_cndmask_b32_e32 v5, v5, v9, vcc
	v_cmp_ne_u32_e32 vcc, 0, v1
	v_cndmask_b32_e32 v1, v6, v5, vcc
	v_add_u32_e32 v5, 0x7fff, v1
	v_cmp_o_f32_e32 vcc, v1, v1
	v_cndmask_b32_sdwa v5, v7, v5, vcc dst_sel:DWORD dst_unused:UNUSED_PAD src0_sel:DWORD src1_sel:WORD_1
	s_mov_b64 s[56:57], 0
	s_branch .LBB143_862
.LBB143_861:
	s_mov_b64 s[56:57], -1
                                        ; implicit-def: $vgpr5
.LBB143_862:
	s_mov_b64 s[58:59], 0
.LBB143_863:
	s_and_b64 vcc, exec, s[58:59]
	s_cbranch_vccz .LBB143_867
; %bb.864:
	s_cmp_eq_u32 s63, 29
	s_cbranch_scc0 .LBB143_866
; %bb.865:
	global_load_dwordx2 v[5:6], v[3:4], off
	s_movk_i32 s56, 0x7fff
	s_mov_b64 s[0:1], -1
	s_mov_b64 s[58:59], 0
	s_waitcnt vmcnt(0)
	v_ffbh_u32_e32 v1, v6
	v_min_u32_e32 v1, 32, v1
	v_lshlrev_b64 v[5:6], v1, v[5:6]
	v_sub_u32_e32 v1, 32, v1
	v_min_u32_e32 v5, 1, v5
	v_or_b32_e32 v5, v6, v5
	v_cvt_f32_u32_e32 v5, v5
	v_ldexp_f32 v1, v5, v1
	v_bfe_u32 v5, v1, 16, 1
	v_add3_u32 v1, v1, v5, s56
	v_lshrrev_b32_e32 v5, 16, v1
	s_mov_b64 s[56:57], 0
	s_branch .LBB143_868
.LBB143_866:
	s_mov_b64 s[56:57], -1
                                        ; implicit-def: $vgpr5
.LBB143_867:
	s_mov_b64 s[58:59], 0
.LBB143_868:
	s_and_b64 vcc, exec, s[58:59]
	s_cbranch_vccz .LBB143_886
; %bb.869:
	s_cmp_lt_i32 s63, 27
	s_cbranch_scc1 .LBB143_872
; %bb.870:
	s_cmp_gt_i32 s63, 27
	s_cbranch_scc0 .LBB143_873
; %bb.871:
	global_load_dword v1, v[3:4], off
	s_movk_i32 s0, 0x7fff
	s_waitcnt vmcnt(0)
	v_cvt_f32_u32_e32 v1, v1
	v_bfe_u32 v5, v1, 16, 1
	v_add3_u32 v1, v1, v5, s0
	v_lshrrev_b32_e32 v5, 16, v1
	s_mov_b64 s[0:1], 0
	s_branch .LBB143_874
.LBB143_872:
	s_mov_b64 s[0:1], -1
                                        ; implicit-def: $vgpr5
	s_branch .LBB143_877
.LBB143_873:
	s_mov_b64 s[0:1], -1
                                        ; implicit-def: $vgpr5
.LBB143_874:
	s_andn2_b64 vcc, exec, s[0:1]
	s_cbranch_vccnz .LBB143_876
; %bb.875:
	global_load_ushort v1, v[3:4], off
	s_movk_i32 s0, 0x7fff
	s_waitcnt vmcnt(0)
	v_cvt_f32_u32_e32 v1, v1
	v_bfe_u32 v5, v1, 16, 1
	v_add3_u32 v1, v1, v5, s0
	v_lshrrev_b32_e32 v5, 16, v1
.LBB143_876:
	s_mov_b64 s[0:1], 0
.LBB143_877:
	s_andn2_b64 vcc, exec, s[0:1]
	s_cbranch_vccnz .LBB143_885
; %bb.878:
	global_load_ubyte v1, v[3:4], off
	s_movk_i32 s0, 0x7f
	s_waitcnt vmcnt(0)
	v_cmp_lt_i16_e32 vcc, s0, v1
	s_mov_b64 s[0:1], 0
	s_and_saveexec_b64 s[58:59], vcc
	s_xor_b64 s[58:59], exec, s[58:59]
	s_cbranch_execz .LBB143_899
; %bb.879:
	s_movk_i32 s0, 0x80
	v_cmp_eq_u16_e32 vcc, s0, v1
	s_mov_b64 s[0:1], -1
	s_and_saveexec_b64 s[60:61], vcc
; %bb.880:
	s_xor_b64 s[0:1], exec, -1
; %bb.881:
	s_or_b64 exec, exec, s[60:61]
	s_and_b64 s[0:1], s[0:1], exec
	s_or_saveexec_b64 s[58:59], s[58:59]
	v_mov_b32_e32 v5, 0x7f800001
	s_xor_b64 exec, exec, s[58:59]
	s_cbranch_execnz .LBB143_900
.LBB143_882:
	s_or_b64 exec, exec, s[58:59]
	s_and_saveexec_b64 s[58:59], s[0:1]
	s_cbranch_execz .LBB143_884
.LBB143_883:
	v_lshlrev_b32_e32 v5, 24, v1
	v_and_b32_e32 v1, 0xffff, v1
	v_and_b32_e32 v6, 7, v1
	v_ffbh_u32_e32 v9, v6
	v_min_u32_e32 v9, 32, v9
	v_subrev_u32_e32 v10, 28, v9
	v_bfe_u32 v7, v1, 3, 4
	v_lshlrev_b32_e32 v1, v10, v1
	v_sub_u32_e32 v9, 29, v9
	v_and_b32_e32 v1, 7, v1
	v_cmp_eq_u32_e32 vcc, 0, v7
	v_cndmask_b32_e32 v7, v7, v9, vcc
	v_cndmask_b32_e32 v1, v6, v1, vcc
	v_mov_b32_e32 v6, 0x3b800000
	v_lshlrev_b32_e32 v1, 20, v1
	v_and_b32_e32 v5, 0x80000000, v5
	v_lshl_add_u32 v6, v7, 23, v6
	v_or3_b32 v5, v5, v6, v1
.LBB143_884:
	s_or_b64 exec, exec, s[58:59]
	v_bfe_u32 v1, v5, 16, 1
	s_movk_i32 s0, 0x7fff
	v_add3_u32 v1, v5, v1, s0
	v_cmp_o_f32_e32 vcc, v5, v5
	v_mov_b32_e32 v5, 0x7fc0
	v_cndmask_b32_sdwa v5, v5, v1, vcc dst_sel:DWORD dst_unused:UNUSED_PAD src0_sel:DWORD src1_sel:WORD_1
.LBB143_885:
	s_mov_b64 s[0:1], -1
.LBB143_886:
	s_mov_b64 s[58:59], 0
.LBB143_887:
	s_and_b64 vcc, exec, s[58:59]
	s_cbranch_vccz .LBB143_922
; %bb.888:
	s_cmp_gt_i32 s63, 22
	s_cbranch_scc0 .LBB143_898
; %bb.889:
	s_cmp_lt_i32 s63, 24
	s_cbranch_scc1 .LBB143_901
; %bb.890:
	s_cmp_gt_i32 s63, 24
	s_cbranch_scc0 .LBB143_902
; %bb.891:
	global_load_ubyte v1, v[3:4], off
	s_movk_i32 s0, 0x7f
	s_waitcnt vmcnt(0)
	v_cmp_lt_i16_e32 vcc, s0, v1
	s_mov_b64 s[0:1], 0
	s_and_saveexec_b64 s[58:59], vcc
	s_xor_b64 s[58:59], exec, s[58:59]
	s_cbranch_execz .LBB143_914
; %bb.892:
	s_movk_i32 s0, 0x80
	v_cmp_eq_u16_e32 vcc, s0, v1
	s_mov_b64 s[0:1], -1
	s_and_saveexec_b64 s[60:61], vcc
; %bb.893:
	s_xor_b64 s[0:1], exec, -1
; %bb.894:
	s_or_b64 exec, exec, s[60:61]
	s_and_b64 s[0:1], s[0:1], exec
	s_or_saveexec_b64 s[58:59], s[58:59]
	v_mov_b32_e32 v5, 0x7f800001
	s_xor_b64 exec, exec, s[58:59]
	s_cbranch_execnz .LBB143_915
.LBB143_895:
	s_or_b64 exec, exec, s[58:59]
	s_and_saveexec_b64 s[58:59], s[0:1]
	s_cbranch_execz .LBB143_897
.LBB143_896:
	v_lshlrev_b32_e32 v5, 24, v1
	v_and_b32_e32 v1, 0xffff, v1
	v_and_b32_e32 v6, 3, v1
	v_ffbh_u32_e32 v9, v6
	v_min_u32_e32 v9, 32, v9
	v_subrev_u32_e32 v10, 29, v9
	v_bfe_u32 v7, v1, 2, 5
	v_lshlrev_b32_e32 v1, v10, v1
	v_sub_u32_e32 v9, 30, v9
	v_and_b32_e32 v1, 3, v1
	v_cmp_eq_u32_e32 vcc, 0, v7
	v_cndmask_b32_e32 v7, v7, v9, vcc
	v_cndmask_b32_e32 v1, v6, v1, vcc
	v_mov_b32_e32 v6, 0x37800000
	v_lshlrev_b32_e32 v1, 21, v1
	v_and_b32_e32 v5, 0x80000000, v5
	v_lshl_add_u32 v6, v7, 23, v6
	v_or3_b32 v5, v5, v6, v1
.LBB143_897:
	s_or_b64 exec, exec, s[58:59]
	v_bfe_u32 v1, v5, 16, 1
	s_movk_i32 s0, 0x7fff
	v_add3_u32 v1, v5, v1, s0
	v_cmp_o_f32_e32 vcc, v5, v5
	v_mov_b32_e32 v5, 0x7fc0
	v_cndmask_b32_sdwa v5, v5, v1, vcc dst_sel:DWORD dst_unused:UNUSED_PAD src0_sel:DWORD src1_sel:WORD_1
	s_mov_b64 s[0:1], 0
	s_branch .LBB143_903
.LBB143_898:
	s_mov_b64 s[58:59], -1
                                        ; implicit-def: $vgpr5
	s_branch .LBB143_909
.LBB143_899:
	s_or_saveexec_b64 s[58:59], s[58:59]
	v_mov_b32_e32 v5, 0x7f800001
	s_xor_b64 exec, exec, s[58:59]
	s_cbranch_execz .LBB143_882
.LBB143_900:
	v_cmp_ne_u16_e32 vcc, 0, v1
	s_andn2_b64 s[0:1], s[0:1], exec
	s_and_b64 s[60:61], vcc, exec
	v_mov_b32_e32 v5, 0
	s_or_b64 s[0:1], s[0:1], s[60:61]
	s_or_b64 exec, exec, s[58:59]
	s_and_saveexec_b64 s[58:59], s[0:1]
	s_cbranch_execnz .LBB143_883
	s_branch .LBB143_884
.LBB143_901:
	s_mov_b64 s[0:1], -1
                                        ; implicit-def: $vgpr5
	s_branch .LBB143_906
.LBB143_902:
	s_mov_b64 s[0:1], -1
                                        ; implicit-def: $vgpr5
.LBB143_903:
	s_and_b64 vcc, exec, s[0:1]
	s_cbranch_vccz .LBB143_905
; %bb.904:
	global_load_ubyte v1, v[3:4], off
	s_mov_b32 s0, 0x7f800000
	s_brev_b32 s1, 1
	s_movk_i32 s58, 0x7fff
	s_waitcnt vmcnt(0)
	v_lshlrev_b32_e32 v1, 24, v1
	v_and_b32_e32 v5, 0x7f000000, v1
	v_ffbh_u32_e32 v6, v5
	v_min_u32_e32 v6, 32, v6
	v_sub_u32_e64 v6, v6, 4 clamp
	v_lshlrev_b32_e32 v9, v6, v5
	v_lshlrev_b32_e32 v6, 23, v6
	v_lshrrev_b32_e32 v9, 4, v9
	v_add_u32_e32 v7, 0x1000000, v5
	v_sub_u32_e32 v6, v9, v6
	v_ashrrev_i32_e32 v7, 8, v7
	v_add_u32_e32 v6, 0x3c000000, v6
	v_and_or_b32 v6, v7, s0, v6
	v_cmp_ne_u32_e32 vcc, 0, v5
	v_cndmask_b32_e32 v5, 0, v6, vcc
	v_and_or_b32 v1, v1, s1, v5
	v_bfe_u32 v5, v5, 16, 1
	v_add3_u32 v5, v1, v5, s58
	v_cmp_o_f32_e32 vcc, v1, v1
	v_mov_b32_e32 v1, 0x7fc0
	v_cndmask_b32_sdwa v5, v1, v5, vcc dst_sel:DWORD dst_unused:UNUSED_PAD src0_sel:DWORD src1_sel:WORD_1
.LBB143_905:
	s_mov_b64 s[0:1], 0
.LBB143_906:
	s_andn2_b64 vcc, exec, s[0:1]
	s_cbranch_vccnz .LBB143_908
; %bb.907:
	global_load_ubyte v1, v[3:4], off
	s_movk_i32 s0, 0x7f00
	s_brev_b32 s1, 16
	s_brev_b32 s58, 1
	s_movk_i32 s59, 0x7fff
	s_waitcnt vmcnt(0)
	v_lshlrev_b16_e32 v5, 8, v1
	v_lshlrev_b32_e32 v1, 25, v1
	v_lshrrev_b32_e32 v6, 4, v1
	v_and_or_b32 v7, v5, s0, 0.5
	v_or_b32_e32 v6, 0x70000000, v6
	v_add_f32_e32 v7, -0.5, v7
	v_mul_f32_e32 v6, 0x7800000, v6
	v_cmp_gt_u32_e32 vcc, s1, v1
	v_bfe_i32 v5, v5, 0, 16
	v_cndmask_b32_e32 v1, v6, v7, vcc
	v_and_or_b32 v5, v5, s58, v1
	v_bfe_u32 v1, v1, 16, 1
	v_add3_u32 v1, v5, v1, s59
	v_cmp_o_f32_e32 vcc, v5, v5
	v_mov_b32_e32 v5, 0x7fc0
	v_cndmask_b32_sdwa v5, v5, v1, vcc dst_sel:DWORD dst_unused:UNUSED_PAD src0_sel:DWORD src1_sel:WORD_1
.LBB143_908:
	s_mov_b64 s[58:59], 0
	s_mov_b64 s[0:1], -1
.LBB143_909:
	s_andn2_b64 vcc, exec, s[58:59]
	s_cbranch_vccnz .LBB143_922
; %bb.910:
	s_cmp_gt_i32 s63, 14
	s_cbranch_scc0 .LBB143_913
; %bb.911:
	s_cmp_eq_u32 s63, 15
	s_cbranch_scc0 .LBB143_916
; %bb.912:
	global_load_ushort v5, v[3:4], off
	s_mov_b64 s[0:1], -1
	s_mov_b64 s[56:57], 0
	s_branch .LBB143_917
.LBB143_913:
	s_mov_b64 s[58:59], -1
                                        ; implicit-def: $vgpr5
	s_branch .LBB143_918
.LBB143_914:
	s_or_saveexec_b64 s[58:59], s[58:59]
	v_mov_b32_e32 v5, 0x7f800001
	s_xor_b64 exec, exec, s[58:59]
	s_cbranch_execz .LBB143_895
.LBB143_915:
	v_cmp_ne_u16_e32 vcc, 0, v1
	s_andn2_b64 s[0:1], s[0:1], exec
	s_and_b64 s[60:61], vcc, exec
	v_mov_b32_e32 v5, 0
	s_or_b64 s[0:1], s[0:1], s[60:61]
	s_or_b64 exec, exec, s[58:59]
	s_and_saveexec_b64 s[58:59], s[0:1]
	s_cbranch_execnz .LBB143_896
	s_branch .LBB143_897
.LBB143_916:
	s_mov_b64 s[56:57], -1
                                        ; implicit-def: $vgpr5
.LBB143_917:
	s_mov_b64 s[58:59], 0
.LBB143_918:
	s_and_b64 vcc, exec, s[58:59]
	s_cbranch_vccz .LBB143_922
; %bb.919:
	s_cmp_eq_u32 s63, 11
	s_cbranch_scc0 .LBB143_921
; %bb.920:
	global_load_ubyte v1, v[3:4], off
	s_mov_b64 s[0:1], -1
	s_mov_b64 s[56:57], 0
	s_waitcnt vmcnt(0)
	v_cmp_ne_u16_e32 vcc, 0, v1
	v_cndmask_b32_e64 v1, 0, 1.0, vcc
	v_lshrrev_b32_e32 v5, 16, v1
	s_branch .LBB143_922
.LBB143_921:
	s_mov_b64 s[56:57], -1
                                        ; implicit-def: $vgpr5
.LBB143_922:
	s_mov_b64 s[58:59], 0
.LBB143_923:
	s_and_b64 vcc, exec, s[58:59]
	s_cbranch_vccz .LBB143_972
; %bb.924:
	s_and_b32 s58, 0xffff, s62
	s_cmp_lt_i32 s58, 5
	s_cbranch_scc1 .LBB143_929
; %bb.925:
	s_cmp_lt_i32 s58, 8
	s_cbranch_scc1 .LBB143_930
; %bb.926:
	;; [unrolled: 3-line block ×3, first 2 shown]
	s_cmp_gt_i32 s58, 9
	s_cbranch_scc0 .LBB143_932
; %bb.928:
	global_load_dwordx2 v[5:6], v[3:4], off
	s_movk_i32 s0, 0x7fff
	s_waitcnt vmcnt(0)
	v_cvt_f32_f64_e32 v1, v[5:6]
	v_mov_b32_e32 v5, 0x7fc0
	v_bfe_u32 v6, v1, 16, 1
	v_cmp_o_f32_e32 vcc, v1, v1
	v_add3_u32 v1, v1, v6, s0
	v_cndmask_b32_sdwa v5, v5, v1, vcc dst_sel:DWORD dst_unused:UNUSED_PAD src0_sel:DWORD src1_sel:WORD_1
	s_mov_b64 s[0:1], 0
	s_branch .LBB143_933
.LBB143_929:
	s_mov_b64 s[0:1], -1
                                        ; implicit-def: $vgpr5
	s_branch .LBB143_951
.LBB143_930:
	s_mov_b64 s[0:1], -1
                                        ; implicit-def: $vgpr5
	s_branch .LBB143_939
.LBB143_931:
	s_mov_b64 s[0:1], -1
                                        ; implicit-def: $vgpr5
	s_branch .LBB143_936
.LBB143_932:
	s_mov_b64 s[0:1], -1
                                        ; implicit-def: $vgpr5
.LBB143_933:
	s_andn2_b64 vcc, exec, s[0:1]
	s_cbranch_vccnz .LBB143_935
; %bb.934:
	global_load_dword v1, v[3:4], off
	s_movk_i32 s0, 0x7fff
	s_waitcnt vmcnt(1)
	v_mov_b32_e32 v5, 0x7fc0
	s_waitcnt vmcnt(0)
	v_bfe_u32 v6, v1, 16, 1
	v_cmp_o_f32_e32 vcc, v1, v1
	v_add3_u32 v1, v1, v6, s0
	v_cndmask_b32_sdwa v5, v5, v1, vcc dst_sel:DWORD dst_unused:UNUSED_PAD src0_sel:DWORD src1_sel:WORD_1
.LBB143_935:
	s_mov_b64 s[0:1], 0
.LBB143_936:
	s_andn2_b64 vcc, exec, s[0:1]
	s_cbranch_vccnz .LBB143_938
; %bb.937:
	global_load_dword v1, v[3:4], off
	s_movk_i32 s0, 0x7fff
	v_mov_b32_e32 v6, 0x7fc0
	s_waitcnt vmcnt(0)
	v_cvt_f32_f16_e32 v5, v1
	v_cmp_o_f16_e32 vcc, v1, v1
	v_bfe_u32 v1, v5, 16, 1
	v_add3_u32 v1, v5, v1, s0
	v_cndmask_b32_sdwa v5, v6, v1, vcc dst_sel:DWORD dst_unused:UNUSED_PAD src0_sel:DWORD src1_sel:WORD_1
.LBB143_938:
	s_mov_b64 s[0:1], 0
.LBB143_939:
	s_andn2_b64 vcc, exec, s[0:1]
	s_cbranch_vccnz .LBB143_950
; %bb.940:
	s_cmp_lt_i32 s58, 6
	s_cbranch_scc1 .LBB143_943
; %bb.941:
	s_cmp_gt_i32 s58, 6
	s_cbranch_scc0 .LBB143_944
; %bb.942:
	global_load_dwordx2 v[5:6], v[3:4], off
	s_movk_i32 s0, 0x7fff
	s_waitcnt vmcnt(0)
	v_cvt_f32_f64_e32 v1, v[5:6]
	v_mov_b32_e32 v5, 0x7fc0
	v_bfe_u32 v6, v1, 16, 1
	v_cmp_o_f32_e32 vcc, v1, v1
	v_add3_u32 v1, v1, v6, s0
	v_cndmask_b32_sdwa v5, v5, v1, vcc dst_sel:DWORD dst_unused:UNUSED_PAD src0_sel:DWORD src1_sel:WORD_1
	s_mov_b64 s[0:1], 0
	s_branch .LBB143_945
.LBB143_943:
	s_mov_b64 s[0:1], -1
                                        ; implicit-def: $vgpr5
	s_branch .LBB143_948
.LBB143_944:
	s_mov_b64 s[0:1], -1
                                        ; implicit-def: $vgpr5
.LBB143_945:
	s_andn2_b64 vcc, exec, s[0:1]
	s_cbranch_vccnz .LBB143_947
; %bb.946:
	global_load_dword v1, v[3:4], off
	s_movk_i32 s0, 0x7fff
	s_waitcnt vmcnt(1)
	v_mov_b32_e32 v5, 0x7fc0
	s_waitcnt vmcnt(0)
	v_bfe_u32 v6, v1, 16, 1
	v_cmp_o_f32_e32 vcc, v1, v1
	v_add3_u32 v1, v1, v6, s0
	v_cndmask_b32_sdwa v5, v5, v1, vcc dst_sel:DWORD dst_unused:UNUSED_PAD src0_sel:DWORD src1_sel:WORD_1
.LBB143_947:
	s_mov_b64 s[0:1], 0
.LBB143_948:
	s_andn2_b64 vcc, exec, s[0:1]
	s_cbranch_vccnz .LBB143_950
; %bb.949:
	global_load_ushort v1, v[3:4], off
	s_movk_i32 s0, 0x7fff
	v_mov_b32_e32 v6, 0x7fc0
	s_waitcnt vmcnt(0)
	v_cvt_f32_f16_e32 v5, v1
	v_cmp_o_f16_e32 vcc, v1, v1
	v_bfe_u32 v1, v5, 16, 1
	v_add3_u32 v1, v5, v1, s0
	v_cndmask_b32_sdwa v5, v6, v1, vcc dst_sel:DWORD dst_unused:UNUSED_PAD src0_sel:DWORD src1_sel:WORD_1
.LBB143_950:
	s_mov_b64 s[0:1], 0
.LBB143_951:
	s_andn2_b64 vcc, exec, s[0:1]
	s_cbranch_vccnz .LBB143_971
; %bb.952:
	s_cmp_lt_i32 s58, 2
	s_cbranch_scc1 .LBB143_956
; %bb.953:
	s_cmp_lt_i32 s58, 3
	s_cbranch_scc1 .LBB143_957
; %bb.954:
	s_cmp_gt_i32 s58, 3
	s_cbranch_scc0 .LBB143_958
; %bb.955:
	global_load_dwordx2 v[5:6], v[3:4], off
	s_movk_i32 s0, 0x7fff
	s_waitcnt vmcnt(0)
	v_xor_b32_e32 v7, v5, v6
	v_ffbh_i32_e32 v1, v6
	v_ashrrev_i32_e32 v7, 31, v7
	v_add_u32_e32 v1, -1, v1
	v_add_u32_e32 v7, 32, v7
	v_min_u32_e32 v1, v1, v7
	v_lshlrev_b64 v[5:6], v1, v[5:6]
	v_sub_u32_e32 v1, 32, v1
	v_min_u32_e32 v5, 1, v5
	v_or_b32_e32 v5, v6, v5
	v_cvt_f32_i32_e32 v5, v5
	v_ldexp_f32 v1, v5, v1
	v_bfe_u32 v5, v1, 16, 1
	v_add3_u32 v1, v1, v5, s0
	v_lshrrev_b32_e32 v5, 16, v1
	s_mov_b64 s[0:1], 0
	s_branch .LBB143_959
.LBB143_956:
	s_mov_b64 s[0:1], -1
                                        ; implicit-def: $vgpr5
	s_branch .LBB143_965
.LBB143_957:
	s_mov_b64 s[0:1], -1
                                        ; implicit-def: $vgpr5
	s_branch .LBB143_962
.LBB143_958:
	s_mov_b64 s[0:1], -1
                                        ; implicit-def: $vgpr5
.LBB143_959:
	s_andn2_b64 vcc, exec, s[0:1]
	s_cbranch_vccnz .LBB143_961
; %bb.960:
	global_load_dword v1, v[3:4], off
	s_movk_i32 s0, 0x7fff
	s_waitcnt vmcnt(0)
	v_cvt_f32_i32_e32 v1, v1
	v_bfe_u32 v5, v1, 16, 1
	v_add3_u32 v1, v1, v5, s0
	v_lshrrev_b32_e32 v5, 16, v1
.LBB143_961:
	s_mov_b64 s[0:1], 0
.LBB143_962:
	s_andn2_b64 vcc, exec, s[0:1]
	s_cbranch_vccnz .LBB143_964
; %bb.963:
	global_load_sshort v1, v[3:4], off
	s_movk_i32 s0, 0x7fff
	s_waitcnt vmcnt(0)
	v_cvt_f32_i32_e32 v1, v1
	v_bfe_u32 v5, v1, 16, 1
	v_add3_u32 v1, v1, v5, s0
	v_lshrrev_b32_e32 v5, 16, v1
.LBB143_964:
	s_mov_b64 s[0:1], 0
.LBB143_965:
	s_andn2_b64 vcc, exec, s[0:1]
	s_cbranch_vccnz .LBB143_971
; %bb.966:
	s_cmp_gt_i32 s58, 0
	s_cbranch_scc0 .LBB143_968
; %bb.967:
	global_load_sbyte v1, v[3:4], off
	s_movk_i32 s0, 0x7fff
	s_waitcnt vmcnt(0)
	v_cvt_f32_i32_e32 v1, v1
	v_bfe_u32 v5, v1, 16, 1
	v_add3_u32 v1, v1, v5, s0
	v_lshrrev_b32_e32 v5, 16, v1
	s_mov_b64 s[0:1], 0
	s_branch .LBB143_969
.LBB143_968:
	s_mov_b64 s[0:1], -1
                                        ; implicit-def: $vgpr5
.LBB143_969:
	s_andn2_b64 vcc, exec, s[0:1]
	s_cbranch_vccnz .LBB143_971
; %bb.970:
	global_load_ubyte v1, v[3:4], off
	s_movk_i32 s0, 0x7fff
	s_waitcnt vmcnt(0)
	v_cvt_f32_ubyte0_e32 v1, v1
	v_bfe_u32 v3, v1, 16, 1
	v_add3_u32 v1, v1, v3, s0
	v_lshrrev_b32_e32 v5, 16, v1
.LBB143_971:
	s_mov_b64 s[0:1], -1
.LBB143_972:
	s_andn2_b64 vcc, exec, s[0:1]
	s_cbranch_vccnz .LBB143_980
; %bb.973:
	v_mov_b32_e32 v3, s13
	s_and_b32 s64, s71, 0xff
	v_add_co_u32_e32 v1, vcc, s12, v2
	s_cmp_lt_i32 s64, 11
	v_addc_co_u32_e32 v2, vcc, 0, v3, vcc
	s_cbranch_scc1 .LBB143_982
; %bb.974:
	s_and_b32 s65, 0xffff, s64
	s_cmp_gt_i32 s65, 25
	s_cbranch_scc0 .LBB143_983
; %bb.975:
	s_cmp_gt_i32 s65, 28
	s_cbranch_scc0 .LBB143_984
; %bb.976:
	;; [unrolled: 3-line block ×4, first 2 shown]
	s_cmp_eq_u32 s65, 46
	s_mov_b64 s[60:61], 0
	s_cbranch_scc0 .LBB143_989
; %bb.979:
	global_load_dword v3, v[1:2], off
	s_mov_b64 s[0:1], -1
	s_mov_b64 s[58:59], 0
	s_branch .LBB143_990
.LBB143_980:
	s_mov_b64 s[62:63], 0
	s_mov_b64 s[0:1], s[50:51]
	;; [unrolled: 1-line block ×3, first 2 shown]
.LBB143_981:
                                        ; implicit-def: $vgpr8
	s_branch .LBB143_1245
.LBB143_982:
	s_mov_b64 s[60:61], -1
	s_mov_b64 s[0:1], 0
                                        ; implicit-def: $vgpr3
	s_mov_b64 s[58:59], s[48:49]
	s_branch .LBB143_1055
.LBB143_983:
	s_mov_b64 s[60:61], -1
	s_mov_b64 s[0:1], 0
	s_mov_b64 s[58:59], s[48:49]
                                        ; implicit-def: $vgpr3
	s_branch .LBB143_1019
.LBB143_984:
	s_mov_b64 s[60:61], -1
	s_mov_b64 s[0:1], 0
	s_mov_b64 s[58:59], s[48:49]
                                        ; implicit-def: $vgpr3
	s_branch .LBB143_1000
.LBB143_985:
	s_mov_b64 s[60:61], -1
	s_mov_b64 s[0:1], 0
	s_mov_b64 s[58:59], s[48:49]
                                        ; implicit-def: $vgpr3
	s_branch .LBB143_995
.LBB143_986:
	s_mov_b64 s[60:61], -1
	s_mov_b64 s[0:1], 0
	s_mov_b64 s[58:59], s[48:49]
                                        ; implicit-def: $vgpr3
	s_branch .LBB143_990
.LBB143_987:
	s_andn2_saveexec_b64 s[58:59], s[58:59]
	s_cbranch_execz .LBB143_751
.LBB143_988:
	v_add_f32_e32 v2, 0x42800000, v3
	v_and_b32_e32 v2, 0xff, v2
	v_cmp_ne_u32_e32 vcc, 0, v2
	s_andn2_b64 s[56:57], s[56:57], exec
	s_and_b64 s[62:63], vcc, exec
	s_or_b64 s[56:57], s[56:57], s[62:63]
	s_or_b64 exec, exec, s[58:59]
	v_mov_b32_e32 v4, 0
	s_and_saveexec_b64 s[58:59], s[56:57]
	s_cbranch_execnz .LBB143_752
	s_branch .LBB143_753
.LBB143_989:
	s_mov_b64 s[58:59], -1
                                        ; implicit-def: $vgpr3
	s_mov_b64 s[0:1], 0
.LBB143_990:
	s_and_b64 vcc, exec, s[60:61]
	s_cbranch_vccz .LBB143_994
; %bb.991:
	s_cmp_eq_u32 s65, 44
	s_cbranch_scc0 .LBB143_993
; %bb.992:
	global_load_ubyte v3, v[1:2], off
	s_movk_i32 s58, 0xff
	v_mov_b32_e32 v4, 0x7f800001
	v_mov_b32_e32 v6, 0x400000
	;; [unrolled: 1-line block ×3, first 2 shown]
	s_mov_b64 s[0:1], -1
	s_waitcnt vmcnt(0)
	v_lshlrev_b32_e32 v9, 23, v3
	v_cmp_ne_u32_e32 vcc, s58, v3
	v_cndmask_b32_e32 v4, v4, v9, vcc
	v_cmp_ne_u32_e32 vcc, 0, v3
	v_cndmask_b32_e32 v3, v6, v4, vcc
	v_add_u32_e32 v4, 0x7fff, v3
	v_cmp_o_f32_e32 vcc, v3, v3
	v_cndmask_b32_sdwa v3, v7, v4, vcc dst_sel:DWORD dst_unused:UNUSED_PAD src0_sel:DWORD src1_sel:WORD_1
	s_mov_b64 s[58:59], 0
	s_branch .LBB143_994
.LBB143_993:
	s_mov_b64 s[58:59], -1
                                        ; implicit-def: $vgpr3
.LBB143_994:
	s_mov_b64 s[60:61], 0
.LBB143_995:
	s_and_b64 vcc, exec, s[60:61]
	s_cbranch_vccz .LBB143_999
; %bb.996:
	s_cmp_eq_u32 s65, 29
	s_cbranch_scc0 .LBB143_998
; %bb.997:
	global_load_dwordx2 v[3:4], v[1:2], off
	s_movk_i32 s58, 0x7fff
	s_mov_b64 s[0:1], -1
	s_mov_b64 s[60:61], 0
	s_waitcnt vmcnt(0)
	v_ffbh_u32_e32 v6, v4
	v_min_u32_e32 v6, 32, v6
	v_lshlrev_b64 v[3:4], v6, v[3:4]
	v_min_u32_e32 v3, 1, v3
	v_or_b32_e32 v3, v4, v3
	v_cvt_f32_u32_e32 v3, v3
	v_sub_u32_e32 v4, 32, v6
	v_ldexp_f32 v3, v3, v4
	v_bfe_u32 v4, v3, 16, 1
	v_add3_u32 v3, v3, v4, s58
	v_lshrrev_b32_e32 v3, 16, v3
	s_mov_b64 s[58:59], 0
	s_branch .LBB143_1000
.LBB143_998:
	s_mov_b64 s[58:59], -1
                                        ; implicit-def: $vgpr3
.LBB143_999:
	s_mov_b64 s[60:61], 0
.LBB143_1000:
	s_and_b64 vcc, exec, s[60:61]
	s_cbranch_vccz .LBB143_1018
; %bb.1001:
	s_cmp_lt_i32 s65, 27
	s_cbranch_scc1 .LBB143_1004
; %bb.1002:
	s_cmp_gt_i32 s65, 27
	s_cbranch_scc0 .LBB143_1005
; %bb.1003:
	global_load_dword v3, v[1:2], off
	s_movk_i32 s0, 0x7fff
	s_waitcnt vmcnt(0)
	v_cvt_f32_u32_e32 v3, v3
	v_bfe_u32 v4, v3, 16, 1
	v_add3_u32 v3, v3, v4, s0
	v_lshrrev_b32_e32 v3, 16, v3
	s_mov_b64 s[0:1], 0
	s_branch .LBB143_1006
.LBB143_1004:
	s_mov_b64 s[0:1], -1
                                        ; implicit-def: $vgpr3
	s_branch .LBB143_1009
.LBB143_1005:
	s_mov_b64 s[0:1], -1
                                        ; implicit-def: $vgpr3
.LBB143_1006:
	s_andn2_b64 vcc, exec, s[0:1]
	s_cbranch_vccnz .LBB143_1008
; %bb.1007:
	global_load_ushort v3, v[1:2], off
	s_movk_i32 s0, 0x7fff
	s_waitcnt vmcnt(0)
	v_cvt_f32_u32_e32 v3, v3
	v_bfe_u32 v4, v3, 16, 1
	v_add3_u32 v3, v3, v4, s0
	v_lshrrev_b32_e32 v3, 16, v3
.LBB143_1008:
	s_mov_b64 s[0:1], 0
.LBB143_1009:
	s_andn2_b64 vcc, exec, s[0:1]
	s_cbranch_vccnz .LBB143_1017
; %bb.1010:
	global_load_ubyte v3, v[1:2], off
	s_movk_i32 s0, 0x7f
	s_waitcnt vmcnt(0)
	v_cmp_lt_i16_e32 vcc, s0, v3
	s_mov_b64 s[0:1], 0
	s_and_saveexec_b64 s[60:61], vcc
	s_xor_b64 s[60:61], exec, s[60:61]
	s_cbranch_execz .LBB143_1031
; %bb.1011:
	s_movk_i32 s0, 0x80
	v_cmp_eq_u16_e32 vcc, s0, v3
	s_mov_b64 s[0:1], -1
	s_and_saveexec_b64 s[62:63], vcc
; %bb.1012:
	s_xor_b64 s[0:1], exec, -1
; %bb.1013:
	s_or_b64 exec, exec, s[62:63]
	s_and_b64 s[0:1], s[0:1], exec
	s_or_saveexec_b64 s[60:61], s[60:61]
	v_mov_b32_e32 v4, 0x7f800001
	s_xor_b64 exec, exec, s[60:61]
	s_cbranch_execnz .LBB143_1032
.LBB143_1014:
	s_or_b64 exec, exec, s[60:61]
	s_and_saveexec_b64 s[60:61], s[0:1]
	s_cbranch_execz .LBB143_1016
.LBB143_1015:
	v_lshlrev_b32_e32 v4, 24, v3
	v_and_b32_e32 v3, 0xffff, v3
	v_and_b32_e32 v6, 7, v3
	v_ffbh_u32_e32 v9, v6
	v_min_u32_e32 v9, 32, v9
	v_subrev_u32_e32 v10, 28, v9
	v_bfe_u32 v7, v3, 3, 4
	v_lshlrev_b32_e32 v3, v10, v3
	v_sub_u32_e32 v9, 29, v9
	v_and_b32_e32 v3, 7, v3
	v_cmp_eq_u32_e32 vcc, 0, v7
	v_cndmask_b32_e32 v7, v7, v9, vcc
	v_cndmask_b32_e32 v3, v6, v3, vcc
	v_mov_b32_e32 v6, 0x3b800000
	v_lshlrev_b32_e32 v3, 20, v3
	v_and_b32_e32 v4, 0x80000000, v4
	v_lshl_add_u32 v6, v7, 23, v6
	v_or3_b32 v4, v4, v6, v3
.LBB143_1016:
	s_or_b64 exec, exec, s[60:61]
	v_bfe_u32 v3, v4, 16, 1
	s_movk_i32 s0, 0x7fff
	v_add3_u32 v3, v4, v3, s0
	v_cmp_o_f32_e32 vcc, v4, v4
	v_mov_b32_e32 v4, 0x7fc0
	v_cndmask_b32_sdwa v3, v4, v3, vcc dst_sel:DWORD dst_unused:UNUSED_PAD src0_sel:DWORD src1_sel:WORD_1
.LBB143_1017:
	s_mov_b64 s[0:1], -1
.LBB143_1018:
	s_mov_b64 s[60:61], 0
.LBB143_1019:
	s_and_b64 vcc, exec, s[60:61]
	s_cbranch_vccz .LBB143_1054
; %bb.1020:
	s_cmp_gt_i32 s65, 22
	s_cbranch_scc0 .LBB143_1030
; %bb.1021:
	s_cmp_lt_i32 s65, 24
	s_cbranch_scc1 .LBB143_1033
; %bb.1022:
	s_cmp_gt_i32 s65, 24
	s_cbranch_scc0 .LBB143_1034
; %bb.1023:
	global_load_ubyte v3, v[1:2], off
	s_movk_i32 s0, 0x7f
	s_waitcnt vmcnt(0)
	v_cmp_lt_i16_e32 vcc, s0, v3
	s_mov_b64 s[0:1], 0
	s_and_saveexec_b64 s[60:61], vcc
	s_xor_b64 s[60:61], exec, s[60:61]
	s_cbranch_execz .LBB143_1046
; %bb.1024:
	s_movk_i32 s0, 0x80
	v_cmp_eq_u16_e32 vcc, s0, v3
	s_mov_b64 s[0:1], -1
	s_and_saveexec_b64 s[62:63], vcc
; %bb.1025:
	s_xor_b64 s[0:1], exec, -1
; %bb.1026:
	s_or_b64 exec, exec, s[62:63]
	s_and_b64 s[0:1], s[0:1], exec
	s_or_saveexec_b64 s[60:61], s[60:61]
	v_mov_b32_e32 v4, 0x7f800001
	s_xor_b64 exec, exec, s[60:61]
	s_cbranch_execnz .LBB143_1047
.LBB143_1027:
	s_or_b64 exec, exec, s[60:61]
	s_and_saveexec_b64 s[60:61], s[0:1]
	s_cbranch_execz .LBB143_1029
.LBB143_1028:
	v_lshlrev_b32_e32 v4, 24, v3
	v_and_b32_e32 v3, 0xffff, v3
	v_and_b32_e32 v6, 3, v3
	v_ffbh_u32_e32 v9, v6
	v_min_u32_e32 v9, 32, v9
	v_subrev_u32_e32 v10, 29, v9
	v_bfe_u32 v7, v3, 2, 5
	v_lshlrev_b32_e32 v3, v10, v3
	v_sub_u32_e32 v9, 30, v9
	v_and_b32_e32 v3, 3, v3
	v_cmp_eq_u32_e32 vcc, 0, v7
	v_cndmask_b32_e32 v7, v7, v9, vcc
	v_cndmask_b32_e32 v3, v6, v3, vcc
	v_mov_b32_e32 v6, 0x37800000
	v_lshlrev_b32_e32 v3, 21, v3
	v_and_b32_e32 v4, 0x80000000, v4
	v_lshl_add_u32 v6, v7, 23, v6
	v_or3_b32 v4, v4, v6, v3
.LBB143_1029:
	s_or_b64 exec, exec, s[60:61]
	v_bfe_u32 v3, v4, 16, 1
	s_movk_i32 s0, 0x7fff
	v_add3_u32 v3, v4, v3, s0
	v_cmp_o_f32_e32 vcc, v4, v4
	v_mov_b32_e32 v4, 0x7fc0
	v_cndmask_b32_sdwa v3, v4, v3, vcc dst_sel:DWORD dst_unused:UNUSED_PAD src0_sel:DWORD src1_sel:WORD_1
	s_mov_b64 s[0:1], 0
	s_branch .LBB143_1035
.LBB143_1030:
	s_mov_b64 s[60:61], -1
                                        ; implicit-def: $vgpr3
	s_branch .LBB143_1041
.LBB143_1031:
	s_or_saveexec_b64 s[60:61], s[60:61]
	v_mov_b32_e32 v4, 0x7f800001
	s_xor_b64 exec, exec, s[60:61]
	s_cbranch_execz .LBB143_1014
.LBB143_1032:
	v_cmp_ne_u16_e32 vcc, 0, v3
	s_andn2_b64 s[0:1], s[0:1], exec
	s_and_b64 s[62:63], vcc, exec
	v_mov_b32_e32 v4, 0
	s_or_b64 s[0:1], s[0:1], s[62:63]
	s_or_b64 exec, exec, s[60:61]
	s_and_saveexec_b64 s[60:61], s[0:1]
	s_cbranch_execnz .LBB143_1015
	s_branch .LBB143_1016
.LBB143_1033:
	s_mov_b64 s[0:1], -1
                                        ; implicit-def: $vgpr3
	s_branch .LBB143_1038
.LBB143_1034:
	s_mov_b64 s[0:1], -1
                                        ; implicit-def: $vgpr3
.LBB143_1035:
	s_and_b64 vcc, exec, s[0:1]
	s_cbranch_vccz .LBB143_1037
; %bb.1036:
	global_load_ubyte v3, v[1:2], off
	s_mov_b32 s0, 0x7f800000
	s_brev_b32 s1, 1
	s_movk_i32 s60, 0x7fff
	s_waitcnt vmcnt(0)
	v_lshlrev_b32_e32 v3, 24, v3
	v_and_b32_e32 v4, 0x7f000000, v3
	v_ffbh_u32_e32 v6, v4
	v_min_u32_e32 v6, 32, v6
	v_sub_u32_e64 v6, v6, 4 clamp
	v_lshlrev_b32_e32 v9, v6, v4
	v_lshlrev_b32_e32 v6, 23, v6
	v_lshrrev_b32_e32 v9, 4, v9
	v_add_u32_e32 v7, 0x1000000, v4
	v_sub_u32_e32 v6, v9, v6
	v_ashrrev_i32_e32 v7, 8, v7
	v_add_u32_e32 v6, 0x3c000000, v6
	v_and_or_b32 v6, v7, s0, v6
	v_cmp_ne_u32_e32 vcc, 0, v4
	v_cndmask_b32_e32 v4, 0, v6, vcc
	v_and_or_b32 v3, v3, s1, v4
	v_bfe_u32 v4, v4, 16, 1
	v_add3_u32 v4, v3, v4, s60
	v_cmp_o_f32_e32 vcc, v3, v3
	v_mov_b32_e32 v3, 0x7fc0
	v_cndmask_b32_sdwa v3, v3, v4, vcc dst_sel:DWORD dst_unused:UNUSED_PAD src0_sel:DWORD src1_sel:WORD_1
.LBB143_1037:
	s_mov_b64 s[0:1], 0
.LBB143_1038:
	s_andn2_b64 vcc, exec, s[0:1]
	s_cbranch_vccnz .LBB143_1040
; %bb.1039:
	global_load_ubyte v3, v[1:2], off
	s_movk_i32 s0, 0x7f00
	s_brev_b32 s1, 16
	s_brev_b32 s60, 1
	s_movk_i32 s61, 0x7fff
	s_waitcnt vmcnt(0)
	v_lshlrev_b16_e32 v4, 8, v3
	v_lshlrev_b32_e32 v3, 25, v3
	v_lshrrev_b32_e32 v6, 4, v3
	v_and_or_b32 v7, v4, s0, 0.5
	v_or_b32_e32 v6, 0x70000000, v6
	v_add_f32_e32 v7, -0.5, v7
	v_mul_f32_e32 v6, 0x7800000, v6
	v_cmp_gt_u32_e32 vcc, s1, v3
	v_bfe_i32 v4, v4, 0, 16
	v_cndmask_b32_e32 v3, v6, v7, vcc
	v_and_or_b32 v4, v4, s60, v3
	v_bfe_u32 v3, v3, 16, 1
	v_add3_u32 v3, v4, v3, s61
	v_cmp_o_f32_e32 vcc, v4, v4
	v_mov_b32_e32 v4, 0x7fc0
	v_cndmask_b32_sdwa v3, v4, v3, vcc dst_sel:DWORD dst_unused:UNUSED_PAD src0_sel:DWORD src1_sel:WORD_1
.LBB143_1040:
	s_mov_b64 s[60:61], 0
	s_mov_b64 s[0:1], -1
.LBB143_1041:
	s_andn2_b64 vcc, exec, s[60:61]
	s_cbranch_vccnz .LBB143_1054
; %bb.1042:
	s_cmp_gt_i32 s65, 14
	s_cbranch_scc0 .LBB143_1045
; %bb.1043:
	s_cmp_eq_u32 s65, 15
	s_cbranch_scc0 .LBB143_1048
; %bb.1044:
	global_load_ushort v3, v[1:2], off
	s_mov_b64 s[0:1], -1
	s_mov_b64 s[58:59], 0
	s_branch .LBB143_1049
.LBB143_1045:
	s_mov_b64 s[60:61], -1
                                        ; implicit-def: $vgpr3
	s_branch .LBB143_1050
.LBB143_1046:
	s_or_saveexec_b64 s[60:61], s[60:61]
	v_mov_b32_e32 v4, 0x7f800001
	s_xor_b64 exec, exec, s[60:61]
	s_cbranch_execz .LBB143_1027
.LBB143_1047:
	v_cmp_ne_u16_e32 vcc, 0, v3
	s_andn2_b64 s[0:1], s[0:1], exec
	s_and_b64 s[62:63], vcc, exec
	v_mov_b32_e32 v4, 0
	s_or_b64 s[0:1], s[0:1], s[62:63]
	s_or_b64 exec, exec, s[60:61]
	s_and_saveexec_b64 s[60:61], s[0:1]
	s_cbranch_execnz .LBB143_1028
	s_branch .LBB143_1029
.LBB143_1048:
	s_mov_b64 s[58:59], -1
                                        ; implicit-def: $vgpr3
.LBB143_1049:
	s_mov_b64 s[60:61], 0
.LBB143_1050:
	s_and_b64 vcc, exec, s[60:61]
	s_cbranch_vccz .LBB143_1054
; %bb.1051:
	s_cmp_eq_u32 s65, 11
	s_cbranch_scc0 .LBB143_1053
; %bb.1052:
	global_load_ubyte v3, v[1:2], off
	s_mov_b64 s[0:1], -1
	s_mov_b64 s[58:59], 0
	s_waitcnt vmcnt(0)
	v_cmp_ne_u16_e32 vcc, 0, v3
	v_cndmask_b32_e64 v3, 0, 1.0, vcc
	v_lshrrev_b32_e32 v3, 16, v3
	s_branch .LBB143_1054
.LBB143_1053:
	s_mov_b64 s[58:59], -1
                                        ; implicit-def: $vgpr3
.LBB143_1054:
	s_mov_b64 s[60:61], 0
.LBB143_1055:
	s_and_b64 vcc, exec, s[60:61]
	s_cbranch_vccz .LBB143_1104
; %bb.1056:
	s_and_b32 s60, 0xffff, s64
	s_cmp_lt_i32 s60, 5
	s_cbranch_scc1 .LBB143_1061
; %bb.1057:
	s_cmp_lt_i32 s60, 8
	s_cbranch_scc1 .LBB143_1062
; %bb.1058:
	;; [unrolled: 3-line block ×3, first 2 shown]
	s_cmp_gt_i32 s60, 9
	s_cbranch_scc0 .LBB143_1064
; %bb.1060:
	global_load_dwordx2 v[3:4], v[1:2], off
	s_movk_i32 s0, 0x7fff
	s_waitcnt vmcnt(0)
	v_cvt_f32_f64_e32 v3, v[3:4]
	v_mov_b32_e32 v4, 0x7fc0
	v_bfe_u32 v6, v3, 16, 1
	v_cmp_o_f32_e32 vcc, v3, v3
	v_add3_u32 v3, v3, v6, s0
	v_cndmask_b32_sdwa v3, v4, v3, vcc dst_sel:DWORD dst_unused:UNUSED_PAD src0_sel:DWORD src1_sel:WORD_1
	s_mov_b64 s[0:1], 0
	s_branch .LBB143_1065
.LBB143_1061:
	s_mov_b64 s[0:1], -1
                                        ; implicit-def: $vgpr3
	s_branch .LBB143_1083
.LBB143_1062:
	s_mov_b64 s[0:1], -1
                                        ; implicit-def: $vgpr3
	s_branch .LBB143_1071
.LBB143_1063:
	s_mov_b64 s[0:1], -1
                                        ; implicit-def: $vgpr3
	s_branch .LBB143_1068
.LBB143_1064:
	s_mov_b64 s[0:1], -1
                                        ; implicit-def: $vgpr3
.LBB143_1065:
	s_andn2_b64 vcc, exec, s[0:1]
	s_cbranch_vccnz .LBB143_1067
; %bb.1066:
	global_load_dword v3, v[1:2], off
	s_movk_i32 s0, 0x7fff
	v_mov_b32_e32 v4, 0x7fc0
	s_waitcnt vmcnt(0)
	v_bfe_u32 v6, v3, 16, 1
	v_cmp_o_f32_e32 vcc, v3, v3
	v_add3_u32 v3, v3, v6, s0
	v_cndmask_b32_sdwa v3, v4, v3, vcc dst_sel:DWORD dst_unused:UNUSED_PAD src0_sel:DWORD src1_sel:WORD_1
.LBB143_1067:
	s_mov_b64 s[0:1], 0
.LBB143_1068:
	s_andn2_b64 vcc, exec, s[0:1]
	s_cbranch_vccnz .LBB143_1070
; %bb.1069:
	global_load_dword v3, v[1:2], off
	s_movk_i32 s0, 0x7fff
	v_mov_b32_e32 v6, 0x7fc0
	s_waitcnt vmcnt(0)
	v_cvt_f32_f16_e32 v4, v3
	v_cmp_o_f16_e32 vcc, v3, v3
	v_bfe_u32 v3, v4, 16, 1
	v_add3_u32 v3, v4, v3, s0
	v_cndmask_b32_sdwa v3, v6, v3, vcc dst_sel:DWORD dst_unused:UNUSED_PAD src0_sel:DWORD src1_sel:WORD_1
.LBB143_1070:
	s_mov_b64 s[0:1], 0
.LBB143_1071:
	s_andn2_b64 vcc, exec, s[0:1]
	s_cbranch_vccnz .LBB143_1082
; %bb.1072:
	s_cmp_lt_i32 s60, 6
	s_cbranch_scc1 .LBB143_1075
; %bb.1073:
	s_cmp_gt_i32 s60, 6
	s_cbranch_scc0 .LBB143_1076
; %bb.1074:
	global_load_dwordx2 v[3:4], v[1:2], off
	s_movk_i32 s0, 0x7fff
	s_waitcnt vmcnt(0)
	v_cvt_f32_f64_e32 v3, v[3:4]
	v_mov_b32_e32 v4, 0x7fc0
	v_bfe_u32 v6, v3, 16, 1
	v_cmp_o_f32_e32 vcc, v3, v3
	v_add3_u32 v3, v3, v6, s0
	v_cndmask_b32_sdwa v3, v4, v3, vcc dst_sel:DWORD dst_unused:UNUSED_PAD src0_sel:DWORD src1_sel:WORD_1
	s_mov_b64 s[0:1], 0
	s_branch .LBB143_1077
.LBB143_1075:
	s_mov_b64 s[0:1], -1
                                        ; implicit-def: $vgpr3
	s_branch .LBB143_1080
.LBB143_1076:
	s_mov_b64 s[0:1], -1
                                        ; implicit-def: $vgpr3
.LBB143_1077:
	s_andn2_b64 vcc, exec, s[0:1]
	s_cbranch_vccnz .LBB143_1079
; %bb.1078:
	global_load_dword v3, v[1:2], off
	s_movk_i32 s0, 0x7fff
	v_mov_b32_e32 v4, 0x7fc0
	s_waitcnt vmcnt(0)
	v_bfe_u32 v6, v3, 16, 1
	v_cmp_o_f32_e32 vcc, v3, v3
	v_add3_u32 v3, v3, v6, s0
	v_cndmask_b32_sdwa v3, v4, v3, vcc dst_sel:DWORD dst_unused:UNUSED_PAD src0_sel:DWORD src1_sel:WORD_1
.LBB143_1079:
	s_mov_b64 s[0:1], 0
.LBB143_1080:
	s_andn2_b64 vcc, exec, s[0:1]
	s_cbranch_vccnz .LBB143_1082
; %bb.1081:
	global_load_ushort v3, v[1:2], off
	s_movk_i32 s0, 0x7fff
	v_mov_b32_e32 v6, 0x7fc0
	s_waitcnt vmcnt(0)
	v_cvt_f32_f16_e32 v4, v3
	v_cmp_o_f16_e32 vcc, v3, v3
	v_bfe_u32 v3, v4, 16, 1
	v_add3_u32 v3, v4, v3, s0
	v_cndmask_b32_sdwa v3, v6, v3, vcc dst_sel:DWORD dst_unused:UNUSED_PAD src0_sel:DWORD src1_sel:WORD_1
.LBB143_1082:
	s_mov_b64 s[0:1], 0
.LBB143_1083:
	s_andn2_b64 vcc, exec, s[0:1]
	s_cbranch_vccnz .LBB143_1103
; %bb.1084:
	s_cmp_lt_i32 s60, 2
	s_cbranch_scc1 .LBB143_1088
; %bb.1085:
	s_cmp_lt_i32 s60, 3
	s_cbranch_scc1 .LBB143_1089
; %bb.1086:
	s_cmp_gt_i32 s60, 3
	s_cbranch_scc0 .LBB143_1090
; %bb.1087:
	global_load_dwordx2 v[3:4], v[1:2], off
	s_movk_i32 s0, 0x7fff
	s_waitcnt vmcnt(0)
	v_xor_b32_e32 v7, v3, v4
	v_ffbh_i32_e32 v6, v4
	v_ashrrev_i32_e32 v7, 31, v7
	v_add_u32_e32 v6, -1, v6
	v_add_u32_e32 v7, 32, v7
	v_min_u32_e32 v6, v6, v7
	v_lshlrev_b64 v[3:4], v6, v[3:4]
	v_min_u32_e32 v3, 1, v3
	v_or_b32_e32 v3, v4, v3
	v_cvt_f32_i32_e32 v3, v3
	v_sub_u32_e32 v4, 32, v6
	v_ldexp_f32 v3, v3, v4
	v_bfe_u32 v4, v3, 16, 1
	v_add3_u32 v3, v3, v4, s0
	v_lshrrev_b32_e32 v3, 16, v3
	s_mov_b64 s[0:1], 0
	s_branch .LBB143_1091
.LBB143_1088:
	s_mov_b64 s[0:1], -1
                                        ; implicit-def: $vgpr3
	s_branch .LBB143_1097
.LBB143_1089:
	s_mov_b64 s[0:1], -1
                                        ; implicit-def: $vgpr3
	s_branch .LBB143_1094
.LBB143_1090:
	s_mov_b64 s[0:1], -1
                                        ; implicit-def: $vgpr3
.LBB143_1091:
	s_andn2_b64 vcc, exec, s[0:1]
	s_cbranch_vccnz .LBB143_1093
; %bb.1092:
	global_load_dword v3, v[1:2], off
	s_movk_i32 s0, 0x7fff
	s_waitcnt vmcnt(0)
	v_cvt_f32_i32_e32 v3, v3
	v_bfe_u32 v4, v3, 16, 1
	v_add3_u32 v3, v3, v4, s0
	v_lshrrev_b32_e32 v3, 16, v3
.LBB143_1093:
	s_mov_b64 s[0:1], 0
.LBB143_1094:
	s_andn2_b64 vcc, exec, s[0:1]
	s_cbranch_vccnz .LBB143_1096
; %bb.1095:
	global_load_sshort v3, v[1:2], off
	s_movk_i32 s0, 0x7fff
	s_waitcnt vmcnt(0)
	v_cvt_f32_i32_e32 v3, v3
	v_bfe_u32 v4, v3, 16, 1
	v_add3_u32 v3, v3, v4, s0
	v_lshrrev_b32_e32 v3, 16, v3
.LBB143_1096:
	s_mov_b64 s[0:1], 0
.LBB143_1097:
	s_andn2_b64 vcc, exec, s[0:1]
	s_cbranch_vccnz .LBB143_1103
; %bb.1098:
	s_cmp_gt_i32 s60, 0
	s_cbranch_scc0 .LBB143_1100
; %bb.1099:
	global_load_sbyte v3, v[1:2], off
	s_movk_i32 s0, 0x7fff
	s_waitcnt vmcnt(0)
	v_cvt_f32_i32_e32 v3, v3
	v_bfe_u32 v4, v3, 16, 1
	v_add3_u32 v3, v3, v4, s0
	v_lshrrev_b32_e32 v3, 16, v3
	s_mov_b64 s[0:1], 0
	s_branch .LBB143_1101
.LBB143_1100:
	s_mov_b64 s[0:1], -1
                                        ; implicit-def: $vgpr3
.LBB143_1101:
	s_andn2_b64 vcc, exec, s[0:1]
	s_cbranch_vccnz .LBB143_1103
; %bb.1102:
	global_load_ubyte v1, v[1:2], off
	s_movk_i32 s0, 0x7fff
	s_waitcnt vmcnt(0)
	v_cvt_f32_ubyte0_e32 v1, v1
	v_bfe_u32 v2, v1, 16, 1
	v_add3_u32 v1, v1, v2, s0
	v_lshrrev_b32_e32 v3, 16, v1
.LBB143_1103:
	s_mov_b64 s[0:1], -1
.LBB143_1104:
	s_andn2_b64 vcc, exec, s[0:1]
	s_cbranch_vccnz .LBB143_1109
; %bb.1105:
	s_waitcnt vmcnt(0)
	v_lshlrev_b32_e32 v1, 16, v5
	v_lshlrev_b32_e32 v2, 16, v3
	s_cmp_lt_i32 s14, 1
	s_mov_b64 s[0:1], 0
	s_cbranch_scc1 .LBB143_1110
; %bb.1106:
	s_cmp_gt_i32 s14, 1
	s_cbranch_scc0 .LBB143_1111
; %bb.1107:
	s_cmp_eq_u32 s14, 2
	s_cbranch_scc0 .LBB143_1112
; %bb.1108:
	v_cmp_le_f32_e64 s[60:61], v1, v2
	s_mov_b64 s[62:63], 0
	s_branch .LBB143_1113
.LBB143_1109:
	s_mov_b64 s[62:63], 0
                                        ; implicit-def: $vgpr8
	s_mov_b64 s[0:1], s[50:51]
	s_branch .LBB143_1245
.LBB143_1110:
	s_mov_b64 s[64:65], -1
                                        ; implicit-def: $sgpr60_sgpr61
	s_mov_b64 s[62:63], 0
	s_branch .LBB143_1117
.LBB143_1111:
	s_mov_b64 s[64:65], -1
	s_mov_b64 s[62:63], 0
                                        ; implicit-def: $sgpr60_sgpr61
	s_branch .LBB143_1114
.LBB143_1112:
	s_mov_b64 s[62:63], -1
                                        ; implicit-def: $sgpr60_sgpr61
.LBB143_1113:
	s_mov_b64 s[64:65], 0
.LBB143_1114:
	s_and_b64 vcc, exec, s[64:65]
	s_cbranch_vccz .LBB143_1116
; %bb.1115:
	v_cmp_gt_f32_e32 vcc, v1, v2
	s_andn2_b64 s[60:61], s[60:61], exec
	s_and_b64 s[64:65], vcc, exec
	s_or_b64 s[60:61], s[60:61], s[64:65]
.LBB143_1116:
	s_mov_b64 s[64:65], 0
.LBB143_1117:
	s_and_b64 vcc, exec, s[64:65]
	s_cbranch_vccz .LBB143_1128
; %bb.1118:
	s_cmp_lg_u32 s14, 0
	s_mov_b64 s[0:1], -1
	s_cselect_b64 s[62:63], -1, 0
	s_andn2_b64 vcc, exec, s[62:63]
	s_cbranch_vccz .LBB143_1129
.LBB143_1119:
	s_andn2_b64 vcc, exec, s[0:1]
	s_cbranch_vccnz .LBB143_1121
.LBB143_1120:
	v_cmp_ge_f32_e32 vcc, v1, v2
	s_andn2_b64 s[0:1], s[60:61], exec
	s_and_b64 s[60:61], vcc, exec
	s_or_b64 s[60:61], s[0:1], s[60:61]
.LBB143_1121:
	v_mov_b32_e32 v1, s9
	s_and_b32 s69, s15, 0xff
	v_add_co_u32_e32 v0, vcc, s8, v0
	s_cmp_lt_i32 s69, 11
	v_addc_co_u32_e32 v1, vcc, 0, v1, vcc
	s_cbranch_scc1 .LBB143_1130
; %bb.1122:
	s_and_b32 s74, 0xffff, s69
	s_cmp_gt_i32 s74, 25
	s_cbranch_scc0 .LBB143_1131
; %bb.1123:
	s_cmp_gt_i32 s74, 28
	s_cbranch_scc0 .LBB143_1132
; %bb.1124:
	;; [unrolled: 3-line block ×4, first 2 shown]
	s_mov_b64 s[64:65], 0
	s_mov_b64 s[0:1], -1
	s_cmp_eq_u32 s74, 46
	s_mov_b64 s[62:63], 0
	s_cbranch_scc0 .LBB143_1135
; %bb.1127:
	v_cndmask_b32_e64 v2, 0, 1.0, s[60:61]
	v_bfe_u32 v3, v2, 16, 1
	s_movk_i32 s0, 0x7fff
	v_add3_u32 v2, v2, v3, s0
	v_lshrrev_b32_e32 v2, 16, v2
	global_store_dword v[0:1], v2, off
	s_mov_b64 s[62:63], -1
	s_mov_b64 s[0:1], 0
	s_branch .LBB143_1135
.LBB143_1128:
	s_andn2_b64 vcc, exec, s[62:63]
	s_cbranch_vccnz .LBB143_1119
.LBB143_1129:
	v_cmp_lt_f32_e32 vcc, v1, v2
	s_andn2_b64 s[60:61], s[60:61], exec
	s_and_b64 s[62:63], vcc, exec
	s_or_b64 s[60:61], s[60:61], s[62:63]
	s_cbranch_execz .LBB143_1120
	s_branch .LBB143_1121
.LBB143_1130:
	s_mov_b64 s[64:65], -1
	s_mov_b64 s[62:63], 0
	s_mov_b64 s[0:1], s[50:51]
	s_branch .LBB143_1204
.LBB143_1131:
	s_mov_b64 s[64:65], -1
	s_mov_b64 s[62:63], 0
	s_mov_b64 s[0:1], s[50:51]
	s_branch .LBB143_1162
.LBB143_1132:
	s_mov_b64 s[64:65], -1
	s_mov_b64 s[62:63], 0
	s_mov_b64 s[0:1], s[50:51]
	s_branch .LBB143_1145
.LBB143_1133:
	s_mov_b64 s[64:65], -1
	s_mov_b64 s[62:63], 0
	s_mov_b64 s[0:1], s[50:51]
	s_branch .LBB143_1141
.LBB143_1134:
	s_mov_b64 s[64:65], -1
	s_mov_b64 s[62:63], 0
	s_mov_b64 s[0:1], s[50:51]
.LBB143_1135:
	s_and_b64 vcc, exec, s[64:65]
	s_cbranch_vccz .LBB143_1140
; %bb.1136:
	s_cmp_eq_u32 s74, 44
	s_mov_b64 s[0:1], -1
	s_cbranch_scc0 .LBB143_1140
; %bb.1137:
	v_cndmask_b32_e64 v3, 0, 1.0, s[60:61]
	v_lshrrev_b32_e32 v2, 23, v3
	s_movk_i32 s0, 0xff
	v_cmp_ne_u32_e32 vcc, s0, v2
	v_mov_b32_e32 v4, 0xff
	s_and_saveexec_b64 s[62:63], vcc
; %bb.1138:
	s_mov_b32 s0, 0x3fffff
	v_and_b32_e32 v4, 0x400000, v3
	v_and_or_b32 v3, v3, s0, v2
	v_cmp_ne_u32_e32 vcc, 0, v4
	v_cmp_ne_u32_e64 s[0:1], 0, v3
	s_and_b64 s[0:1], vcc, s[0:1]
	v_cndmask_b32_e64 v3, 0, 1, s[0:1]
	v_add_u32_e32 v4, v2, v3
; %bb.1139:
	s_or_b64 exec, exec, s[62:63]
	s_mov_b64 s[62:63], -1
	s_mov_b64 s[0:1], 0
	global_store_byte v[0:1], v4, off
.LBB143_1140:
	s_mov_b64 s[64:65], 0
.LBB143_1141:
	s_and_b64 vcc, exec, s[64:65]
	s_cbranch_vccz .LBB143_1144
; %bb.1142:
	s_cmp_eq_u32 s74, 29
	s_mov_b64 s[0:1], -1
	s_cbranch_scc0 .LBB143_1144
; %bb.1143:
	s_mov_b32 s0, 0
	v_cndmask_b32_e64 v2, 0, 1, s[60:61]
	v_mov_b32_e32 v3, s0
	global_store_dwordx2 v[0:1], v[2:3], off
	s_mov_b64 s[62:63], -1
	s_mov_b64 s[0:1], 0
.LBB143_1144:
	s_mov_b64 s[64:65], 0
.LBB143_1145:
	s_and_b64 vcc, exec, s[64:65]
	s_cbranch_vccz .LBB143_1161
; %bb.1146:
	s_cmp_lt_i32 s74, 27
	s_mov_b64 s[62:63], -1
	s_cbranch_scc1 .LBB143_1152
; %bb.1147:
	s_cmp_gt_i32 s74, 27
	s_cbranch_scc0 .LBB143_1149
; %bb.1148:
	v_cndmask_b32_e64 v2, 0, 1, s[60:61]
	s_mov_b64 s[62:63], 0
	global_store_dword v[0:1], v2, off
.LBB143_1149:
	s_andn2_b64 vcc, exec, s[62:63]
	s_cbranch_vccnz .LBB143_1151
; %bb.1150:
	v_cndmask_b32_e64 v2, 0, 1, s[60:61]
	global_store_short v[0:1], v2, off
.LBB143_1151:
	s_mov_b64 s[62:63], 0
.LBB143_1152:
	s_andn2_b64 vcc, exec, s[62:63]
	s_cbranch_vccnz .LBB143_1160
; %bb.1153:
	v_cndmask_b32_e64 v3, 0, 1.0, s[60:61]
	s_mov_b32 s62, 0x43800000
	v_cmp_gt_u32_e32 vcc, s62, v3
	v_mov_b32_e32 v4, 0x80
	s_and_saveexec_b64 s[62:63], vcc
	s_cbranch_execz .LBB143_1159
; %bb.1154:
	s_mov_b32 s64, 0x3bffffff
	v_cmp_lt_u32_e32 vcc, s64, v3
	s_mov_b64 s[64:65], 0
                                        ; implicit-def: $vgpr2
	s_and_saveexec_b64 s[66:67], vcc
	s_xor_b64 s[66:67], exec, s[66:67]
	s_cbranch_execz .LBB143_1273
; %bb.1155:
	v_bfe_u32 v2, v3, 20, 1
	s_mov_b32 s75, 0x487ffff
	v_add3_u32 v2, v3, v2, s75
	s_mov_b64 s[64:65], exec
	v_lshrrev_b32_e32 v2, 20, v2
                                        ; implicit-def: $vgpr3
	s_andn2_saveexec_b64 s[66:67], s[66:67]
	s_cbranch_execnz .LBB143_1274
.LBB143_1156:
	s_or_b64 exec, exec, s[66:67]
	v_mov_b32_e32 v4, 0
	s_and_saveexec_b64 s[66:67], s[64:65]
.LBB143_1157:
	v_mov_b32_e32 v4, v2
.LBB143_1158:
	s_or_b64 exec, exec, s[66:67]
.LBB143_1159:
	s_or_b64 exec, exec, s[62:63]
	global_store_byte v[0:1], v4, off
.LBB143_1160:
	s_mov_b64 s[62:63], -1
.LBB143_1161:
	s_mov_b64 s[64:65], 0
.LBB143_1162:
	s_and_b64 vcc, exec, s[64:65]
	s_cbranch_vccz .LBB143_1203
; %bb.1163:
	s_cmp_gt_i32 s74, 22
	s_mov_b64 s[64:65], -1
	s_cbranch_scc0 .LBB143_1195
; %bb.1164:
	s_cmp_lt_i32 s74, 24
	s_mov_b64 s[62:63], -1
	s_cbranch_scc1 .LBB143_1184
; %bb.1165:
	s_cmp_gt_i32 s74, 24
	s_cbranch_scc0 .LBB143_1173
; %bb.1166:
	v_cndmask_b32_e64 v3, 0, 1.0, s[60:61]
	s_mov_b32 s62, 0x47800000
	v_cmp_gt_u32_e32 vcc, s62, v3
	v_mov_b32_e32 v4, 0x80
	s_and_saveexec_b64 s[62:63], vcc
	s_cbranch_execz .LBB143_1172
; %bb.1167:
	s_mov_b32 s64, 0x37ffffff
	v_cmp_lt_u32_e32 vcc, s64, v3
	s_mov_b64 s[64:65], 0
                                        ; implicit-def: $vgpr2
	s_and_saveexec_b64 s[66:67], vcc
	s_xor_b64 s[66:67], exec, s[66:67]
	s_cbranch_execz .LBB143_2387
; %bb.1168:
	v_bfe_u32 v2, v3, 21, 1
	s_mov_b32 s75, 0x88fffff
	v_add3_u32 v2, v3, v2, s75
	s_mov_b64 s[64:65], exec
	v_lshrrev_b32_e32 v2, 21, v2
                                        ; implicit-def: $vgpr3
	s_andn2_saveexec_b64 s[66:67], s[66:67]
	s_cbranch_execnz .LBB143_2388
.LBB143_1169:
	s_or_b64 exec, exec, s[66:67]
	v_mov_b32_e32 v4, 0
	s_and_saveexec_b64 s[66:67], s[64:65]
.LBB143_1170:
	v_mov_b32_e32 v4, v2
.LBB143_1171:
	s_or_b64 exec, exec, s[66:67]
.LBB143_1172:
	s_or_b64 exec, exec, s[62:63]
	s_mov_b64 s[62:63], 0
	global_store_byte v[0:1], v4, off
.LBB143_1173:
	s_and_b64 vcc, exec, s[62:63]
	s_cbranch_vccz .LBB143_1183
; %bb.1174:
	v_cndmask_b32_e64 v2, 0, 1.0, s[60:61]
	s_mov_b32 s62, 0x43f00000
	v_cmp_gt_u32_e32 vcc, s62, v2
                                        ; implicit-def: $vgpr3
	s_and_saveexec_b64 s[62:63], vcc
	s_xor_b64 s[62:63], exec, s[62:63]
	s_cbranch_execz .LBB143_1180
; %bb.1175:
	s_mov_b32 s64, 0x3c7fffff
	v_cmp_lt_u32_e32 vcc, s64, v2
                                        ; implicit-def: $vgpr3
	s_and_saveexec_b64 s[64:65], vcc
	s_xor_b64 s[64:65], exec, s[64:65]
; %bb.1176:
	v_bfe_u32 v3, v2, 20, 1
	s_mov_b32 s66, 0x407ffff
	v_add3_u32 v2, v2, v3, s66
	v_lshrrev_b32_e32 v3, 20, v2
	v_and_b32_e32 v2, 0xff00000, v2
	s_mov_b32 s66, 0x7f00000
	v_mov_b32_e32 v4, 0x7e
	v_cmp_ne_u32_e32 vcc, s66, v2
	v_cndmask_b32_e32 v3, v4, v3, vcc
                                        ; implicit-def: $vgpr2
; %bb.1177:
	s_andn2_saveexec_b64 s[64:65], s[64:65]
; %bb.1178:
	v_add_f32_e32 v3, 0x46800000, v2
; %bb.1179:
	s_or_b64 exec, exec, s[64:65]
                                        ; implicit-def: $vgpr2
.LBB143_1180:
	s_andn2_saveexec_b64 s[62:63], s[62:63]
; %bb.1181:
	s_mov_b32 s64, 0x7f800000
	v_mov_b32_e32 v3, 0x7e
	v_mov_b32_e32 v4, 0x7f
	v_cmp_lt_u32_e32 vcc, s64, v2
	v_cndmask_b32_e32 v3, v3, v4, vcc
; %bb.1182:
	s_or_b64 exec, exec, s[62:63]
	global_store_byte v[0:1], v3, off
.LBB143_1183:
	s_mov_b64 s[62:63], 0
.LBB143_1184:
	s_andn2_b64 vcc, exec, s[62:63]
	s_cbranch_vccnz .LBB143_1194
; %bb.1185:
	v_cndmask_b32_e64 v2, 0, 1.0, s[60:61]
	s_mov_b32 s62, 0x47800000
	v_cmp_gt_u32_e32 vcc, s62, v2
                                        ; implicit-def: $vgpr3
	s_and_saveexec_b64 s[62:63], vcc
	s_xor_b64 s[62:63], exec, s[62:63]
	s_cbranch_execz .LBB143_1191
; %bb.1186:
	s_mov_b32 s64, 0x387fffff
	v_cmp_lt_u32_e32 vcc, s64, v2
                                        ; implicit-def: $vgpr3
	s_and_saveexec_b64 s[64:65], vcc
	s_xor_b64 s[64:65], exec, s[64:65]
; %bb.1187:
	v_bfe_u32 v3, v2, 21, 1
	s_mov_b32 s66, 0x80fffff
	v_add3_u32 v2, v2, v3, s66
	v_lshrrev_b32_e32 v3, 21, v2
                                        ; implicit-def: $vgpr2
; %bb.1188:
	s_andn2_saveexec_b64 s[64:65], s[64:65]
; %bb.1189:
	v_add_f32_e32 v3, 0x43000000, v2
; %bb.1190:
	s_or_b64 exec, exec, s[64:65]
                                        ; implicit-def: $vgpr2
.LBB143_1191:
	s_andn2_saveexec_b64 s[62:63], s[62:63]
; %bb.1192:
	s_mov_b32 s64, 0x7f800000
	v_mov_b32_e32 v3, 0x7c
	v_mov_b32_e32 v4, 0x7f
	v_cmp_lt_u32_e32 vcc, s64, v2
	v_cndmask_b32_e32 v3, v3, v4, vcc
; %bb.1193:
	s_or_b64 exec, exec, s[62:63]
	global_store_byte v[0:1], v3, off
.LBB143_1194:
	s_mov_b64 s[64:65], 0
	s_mov_b64 s[62:63], -1
.LBB143_1195:
	s_andn2_b64 vcc, exec, s[64:65]
	s_cbranch_vccnz .LBB143_1203
; %bb.1196:
	s_cmp_gt_i32 s74, 14
	s_mov_b64 s[64:65], -1
	s_cbranch_scc0 .LBB143_1200
; %bb.1197:
	s_cmp_eq_u32 s74, 15
	s_mov_b64 s[0:1], -1
	s_cbranch_scc0 .LBB143_1199
; %bb.1198:
	v_cndmask_b32_e64 v2, 0, 1.0, s[60:61]
	v_bfe_u32 v3, v2, 16, 1
	s_movk_i32 s0, 0x7fff
	v_add3_u32 v2, v2, v3, s0
	global_store_short_d16_hi v[0:1], v2, off
	s_mov_b64 s[62:63], -1
	s_mov_b64 s[0:1], 0
.LBB143_1199:
	s_mov_b64 s[64:65], 0
.LBB143_1200:
	s_and_b64 vcc, exec, s[64:65]
	s_cbranch_vccz .LBB143_1203
; %bb.1201:
	s_cmp_eq_u32 s74, 11
	s_mov_b64 s[0:1], -1
	s_cbranch_scc0 .LBB143_1203
; %bb.1202:
	v_cndmask_b32_e64 v2, 0, 1, s[60:61]
	s_mov_b64 s[62:63], -1
	s_mov_b64 s[0:1], 0
	global_store_byte v[0:1], v2, off
.LBB143_1203:
	s_mov_b64 s[64:65], 0
.LBB143_1204:
	s_and_b64 vcc, exec, s[64:65]
	s_cbranch_vccz .LBB143_1243
; %bb.1205:
	s_and_b32 s64, 0xffff, s69
	s_cmp_lt_i32 s64, 5
	s_mov_b64 s[62:63], -1
	s_cbranch_scc1 .LBB143_1226
; %bb.1206:
	s_cmp_lt_i32 s64, 8
	s_cbranch_scc1 .LBB143_1216
; %bb.1207:
	s_cmp_lt_i32 s64, 9
	s_cbranch_scc1 .LBB143_1213
; %bb.1208:
	s_cmp_gt_i32 s64, 9
	s_cbranch_scc0 .LBB143_1210
; %bb.1209:
	v_cndmask_b32_e64 v2, 0, 1, s[60:61]
	v_cvt_f64_u32_e32 v[2:3], v2
	v_mov_b32_e32 v4, 0
	v_mov_b32_e32 v5, v4
	s_mov_b64 s[62:63], 0
	global_store_dwordx4 v[0:1], v[2:5], off
.LBB143_1210:
	s_andn2_b64 vcc, exec, s[62:63]
	s_cbranch_vccnz .LBB143_1212
; %bb.1211:
	v_cndmask_b32_e64 v2, 0, 1.0, s[60:61]
	v_mov_b32_e32 v3, 0
	global_store_dwordx2 v[0:1], v[2:3], off
.LBB143_1212:
	s_mov_b64 s[62:63], 0
.LBB143_1213:
	s_andn2_b64 vcc, exec, s[62:63]
	s_cbranch_vccnz .LBB143_1215
; %bb.1214:
	v_cndmask_b32_e64 v2, 0, 1.0, s[60:61]
	v_cvt_f16_f32_e32 v2, v2
	global_store_dword v[0:1], v2, off
.LBB143_1215:
	s_mov_b64 s[62:63], 0
.LBB143_1216:
	s_andn2_b64 vcc, exec, s[62:63]
	s_cbranch_vccnz .LBB143_1225
; %bb.1217:
	s_cmp_lt_i32 s64, 6
	s_mov_b64 s[62:63], -1
	s_cbranch_scc1 .LBB143_1223
; %bb.1218:
	s_cmp_gt_i32 s64, 6
	s_cbranch_scc0 .LBB143_1220
; %bb.1219:
	v_cndmask_b32_e64 v2, 0, 1, s[60:61]
	v_cvt_f64_u32_e32 v[2:3], v2
	s_mov_b64 s[62:63], 0
	global_store_dwordx2 v[0:1], v[2:3], off
.LBB143_1220:
	s_andn2_b64 vcc, exec, s[62:63]
	s_cbranch_vccnz .LBB143_1222
; %bb.1221:
	v_cndmask_b32_e64 v2, 0, 1.0, s[60:61]
	global_store_dword v[0:1], v2, off
.LBB143_1222:
	s_mov_b64 s[62:63], 0
.LBB143_1223:
	s_andn2_b64 vcc, exec, s[62:63]
	s_cbranch_vccnz .LBB143_1225
; %bb.1224:
	v_cndmask_b32_e64 v2, 0, 1.0, s[60:61]
	v_cvt_f16_f32_e32 v2, v2
	global_store_short v[0:1], v2, off
.LBB143_1225:
	s_mov_b64 s[62:63], 0
.LBB143_1226:
	s_andn2_b64 vcc, exec, s[62:63]
	s_cbranch_vccnz .LBB143_1242
; %bb.1227:
	s_cmp_lt_i32 s64, 2
	s_mov_b64 s[62:63], -1
	s_cbranch_scc1 .LBB143_1237
; %bb.1228:
	s_cmp_lt_i32 s64, 3
	s_cbranch_scc1 .LBB143_1234
; %bb.1229:
	s_cmp_gt_i32 s64, 3
	s_cbranch_scc0 .LBB143_1231
; %bb.1230:
	s_mov_b32 s62, 0
	v_cndmask_b32_e64 v2, 0, 1, s[60:61]
	v_mov_b32_e32 v3, s62
	s_mov_b64 s[62:63], 0
	global_store_dwordx2 v[0:1], v[2:3], off
.LBB143_1231:
	s_andn2_b64 vcc, exec, s[62:63]
	s_cbranch_vccnz .LBB143_1233
; %bb.1232:
	v_cndmask_b32_e64 v2, 0, 1, s[60:61]
	global_store_dword v[0:1], v2, off
.LBB143_1233:
	s_mov_b64 s[62:63], 0
.LBB143_1234:
	s_andn2_b64 vcc, exec, s[62:63]
	s_cbranch_vccnz .LBB143_1236
; %bb.1235:
	v_cndmask_b32_e64 v2, 0, 1, s[60:61]
	global_store_short v[0:1], v2, off
.LBB143_1236:
	s_mov_b64 s[62:63], 0
.LBB143_1237:
	s_andn2_b64 vcc, exec, s[62:63]
	s_cbranch_vccnz .LBB143_1242
; %bb.1238:
	s_mov_b64 s[62:63], -1
	s_cmp_gt_i32 s64, 0
	v_cndmask_b32_e64 v2, 0, 1, s[60:61]
	s_cbranch_scc0 .LBB143_1240
; %bb.1239:
	s_mov_b64 s[62:63], 0
	global_store_byte v[0:1], v2, off
.LBB143_1240:
	s_andn2_b64 vcc, exec, s[62:63]
	s_cbranch_vccnz .LBB143_1242
; %bb.1241:
	global_store_byte v[0:1], v2, off
.LBB143_1242:
	s_mov_b64 s[62:63], -1
.LBB143_1243:
	s_andn2_b64 vcc, exec, s[62:63]
	s_cbranch_vccnz .LBB143_1255
; %bb.1244:
	v_add_u32_e32 v8, 0x80, v8
	s_mov_b64 s[62:63], -1
.LBB143_1245:
	s_andn2_b64 s[60:61], s[50:51], exec
	s_and_b64 s[0:1], s[0:1], exec
	s_or_b64 s[60:61], s[60:61], s[0:1]
	s_andn2_b64 s[0:1], s[48:49], exec
	s_and_b64 s[58:59], s[58:59], exec
	s_or_b64 s[58:59], s[0:1], s[58:59]
	s_andn2_b64 s[0:1], s[46:47], exec
	s_and_b64 s[56:57], s[56:57], exec
	s_or_b64 s[0:1], s[0:1], s[56:57]
	s_orn2_b64 s[66:67], s[62:63], exec
.LBB143_1246:
	s_or_b64 exec, exec, s[54:55]
	s_mov_b64 s[62:63], 0
	s_mov_b64 s[56:57], 0
	s_mov_b64 s[64:65], 0
                                        ; implicit-def: $sgpr74
                                        ; implicit-def: $vgpr3_vgpr4
                                        ; implicit-def: $vgpr0
                                        ; implicit-def: $vgpr2
                                        ; implicit-def: $vgpr5
	s_and_saveexec_b64 s[54:55], s[66:67]
	s_cbranch_execz .LBB143_1341
; %bb.1247:
	v_cmp_gt_i32_e32 vcc, s68, v8
	s_mov_b64 s[66:67], s[0:1]
	s_mov_b64 s[68:69], 0
                                        ; implicit-def: $sgpr74
                                        ; implicit-def: $vgpr3_vgpr4
                                        ; implicit-def: $vgpr0
                                        ; implicit-def: $vgpr2
                                        ; implicit-def: $vgpr5
	s_and_saveexec_b64 s[56:57], vcc
	s_cbranch_execz .LBB143_1340
; %bb.1248:
	s_andn2_b64 vcc, exec, s[24:25]
	s_cbranch_vccnz .LBB143_1254
; %bb.1249:
	s_andn2_b64 vcc, exec, s[36:37]
	s_cbranch_vccnz .LBB143_1256
; %bb.1250:
	s_add_i32 s36, s73, 1
	s_and_b32 s62, s36, 30
	s_add_u32 s36, s2, 0xffffffe8
	s_addc_u32 s37, s3, -1
	v_mov_b32_e32 v2, 0
	v_mov_b32_e32 v4, 0
	;; [unrolled: 1-line block ×4, first 2 shown]
.LBB143_1251:                           ; =>This Inner Loop Header: Depth=1
	s_load_dwordx4 s[64:67], s[36:37], 0x1c
	s_load_dwordx2 s[68:69], s[36:37], 0x2c
	s_load_dwordx2 s[74:75], s[36:37], 0xec
	s_load_dwordx4 s[76:79], s[36:37], 0xdc
	s_add_u32 s36, s36, 24
	s_waitcnt vmcnt(0) lgkmcnt(0)
	v_mul_hi_u32 v3, s65, v1
	s_addc_u32 s37, s37, 0
	s_add_i32 s62, s62, -2
	s_cmp_eq_u32 s62, 0
	v_add_u32_e32 v3, v1, v3
	v_lshrrev_b32_e32 v3, s66, v3
	v_mul_lo_u32 v5, v3, s64
	v_mul_hi_u32 v6, s68, v3
	v_sub_u32_e32 v5, v1, v5
	v_add_u32_e32 v1, v3, v6
	v_lshrrev_b32_e32 v1, s69, v1
	v_mul_lo_u32 v9, v1, s67
	v_mul_lo_u32 v6, v5, s76
	;; [unrolled: 1-line block ×4, first 2 shown]
	v_sub_u32_e32 v3, v3, v9
	v_mul_lo_u32 v9, v3, s79
	v_mul_lo_u32 v10, v3, s74
	;; [unrolled: 1-line block ×3, first 2 shown]
	v_add3_u32 v0, v6, v0, v9
	v_add3_u32 v4, v7, v4, v10
	;; [unrolled: 1-line block ×3, first 2 shown]
	s_cbranch_scc0 .LBB143_1251
; %bb.1252:
	s_bitcmp1_b32 s73, 0
	s_cselect_b64 s[62:63], -1, 0
	s_and_b64 vcc, exec, s[62:63]
	s_cbranch_vccnz .LBB143_1257
; %bb.1253:
	s_load_dwordx2 s[62:63], s[36:37], 0x1c
	s_load_dword s66, s[36:37], 0x24
	s_load_dwordx2 s[64:65], s[36:37], 0xdc
	s_waitcnt lgkmcnt(0)
	v_mul_hi_u32 v3, s63, v1
	v_add_u32_e32 v3, v1, v3
	v_lshrrev_b32_e32 v3, s66, v3
	v_mul_lo_u32 v3, v3, s62
	s_load_dword s62, s[36:37], 0xe4
	v_sub_u32_e32 v3, v1, v3
	v_mad_u64_u32 v[0:1], s[36:37], v3, s64, v[0:1]
	v_mad_u64_u32 v[4:5], s[36:37], v3, s65, v[4:5]
	s_waitcnt lgkmcnt(0)
	v_mad_u64_u32 v[2:3], s[36:37], v3, s62, v[2:3]
	s_branch .LBB143_1257
.LBB143_1254:
	s_mov_b64 s[36:37], -1
                                        ; implicit-def: $vgpr0
                                        ; implicit-def: $vgpr4
                                        ; implicit-def: $vgpr2
	s_branch .LBB143_1258
.LBB143_1255:
	s_mov_b64 s[62:63], 0
	s_branch .LBB143_981
.LBB143_1256:
	v_mov_b32_e32 v0, 0
	v_mov_b32_e32 v4, 0
	;; [unrolled: 1-line block ×3, first 2 shown]
.LBB143_1257:
	s_mov_b64 s[36:37], 0
.LBB143_1258:
	s_andn2_b64 vcc, exec, s[36:37]
	s_cbranch_vccnz .LBB143_1261
; %bb.1259:
	v_mul_hi_u32 v0, s17, v8
	s_andn2_b64 vcc, exec, s[34:35]
	v_add_u32_e32 v0, v8, v0
	v_lshrrev_b32_e32 v1, s18, v0
	v_mul_lo_u32 v0, v1, s16
	v_sub_u32_e32 v2, v8, v0
	v_mul_lo_u32 v0, v2, s20
	v_mul_lo_u32 v4, v2, s21
	;; [unrolled: 1-line block ×3, first 2 shown]
	s_cbranch_vccnz .LBB143_1261
; %bb.1260:
	s_waitcnt vmcnt(0)
	v_mul_hi_u32 v3, s30, v1
	v_add_u32_e32 v3, v1, v3
	v_lshrrev_b32_e32 v3, s31, v3
	v_mul_lo_u32 v3, v3, s19
	v_sub_u32_e32 v3, v1, v3
	v_mad_u64_u32 v[0:1], s[16:17], v3, s23, v[0:1]
	v_mad_u64_u32 v[4:5], s[16:17], v3, s28, v[4:5]
	;; [unrolled: 1-line block ×3, first 2 shown]
.LBB143_1261:
	v_mov_b32_e32 v1, s11
	s_and_b32 s74, s72, 0xff
	s_waitcnt vmcnt(0)
	v_add_co_u32_e32 v3, vcc, s10, v4
	s_cmp_lt_i32 s74, 11
	v_addc_co_u32_e32 v4, vcc, 0, v1, vcc
	s_cbranch_scc1 .LBB143_1268
; %bb.1262:
	s_and_b32 s28, 0xffff, s74
	s_cmp_gt_i32 s28, 25
	s_mov_b64 s[16:17], 0
	s_cbranch_scc0 .LBB143_1269
; %bb.1263:
	s_cmp_gt_i32 s28, 28
	s_cbranch_scc0 .LBB143_1270
; %bb.1264:
	s_cmp_gt_i32 s28, 43
	s_cbranch_scc0 .LBB143_1271
; %bb.1265:
	s_cmp_gt_i32 s28, 45
	s_cbranch_scc0 .LBB143_1272
; %bb.1266:
	s_cmp_eq_u32 s28, 46
	s_mov_b64 s[20:21], 0
	s_cbranch_scc0 .LBB143_1275
; %bb.1267:
	global_load_dword v5, v[3:4], off
	s_mov_b64 s[10:11], 0
	s_mov_b64 s[18:19], -1
	s_branch .LBB143_1276
.LBB143_1268:
	s_mov_b64 s[20:21], -1
	s_mov_b64 s[18:19], 0
	s_mov_b64 s[16:17], 0
	;; [unrolled: 1-line block ×3, first 2 shown]
                                        ; implicit-def: $vgpr5
	s_branch .LBB143_1339
.LBB143_1269:
	s_mov_b64 s[20:21], -1
	s_mov_b64 s[18:19], 0
	s_mov_b64 s[10:11], s[0:1]
                                        ; implicit-def: $vgpr5
	s_branch .LBB143_1305
.LBB143_1270:
	s_mov_b64 s[20:21], -1
	s_mov_b64 s[18:19], 0
	s_mov_b64 s[10:11], s[0:1]
                                        ; implicit-def: $vgpr5
	s_branch .LBB143_1286
.LBB143_1271:
	s_mov_b64 s[20:21], -1
	s_mov_b64 s[18:19], 0
	s_mov_b64 s[10:11], s[0:1]
                                        ; implicit-def: $vgpr5
	s_branch .LBB143_1281
.LBB143_1272:
	s_mov_b64 s[20:21], -1
	s_mov_b64 s[18:19], 0
	s_mov_b64 s[10:11], s[0:1]
                                        ; implicit-def: $vgpr5
	s_branch .LBB143_1276
.LBB143_1273:
	s_andn2_saveexec_b64 s[66:67], s[66:67]
	s_cbranch_execz .LBB143_1156
.LBB143_1274:
	v_add_f32_e32 v2, 0x46000000, v3
	v_and_b32_e32 v2, 0xff, v2
	v_cmp_ne_u32_e32 vcc, 0, v2
	s_andn2_b64 s[64:65], s[64:65], exec
	s_and_b64 s[76:77], vcc, exec
	s_or_b64 s[64:65], s[64:65], s[76:77]
	s_or_b64 exec, exec, s[66:67]
	v_mov_b32_e32 v4, 0
	s_and_saveexec_b64 s[66:67], s[64:65]
	s_cbranch_execnz .LBB143_1157
	s_branch .LBB143_1158
.LBB143_1275:
	s_mov_b64 s[10:11], -1
                                        ; implicit-def: $vgpr5
	s_mov_b64 s[18:19], 0
.LBB143_1276:
	s_and_b64 vcc, exec, s[20:21]
	s_cbranch_vccz .LBB143_1280
; %bb.1277:
	s_cmp_eq_u32 s28, 44
	s_cbranch_scc0 .LBB143_1279
; %bb.1278:
	global_load_ubyte v1, v[3:4], off
	s_movk_i32 s18, 0xff
	s_waitcnt vmcnt(1)
	v_mov_b32_e32 v5, 0x7f800001
	v_mov_b32_e32 v6, 0x400000
	;; [unrolled: 1-line block ×3, first 2 shown]
	s_mov_b64 s[10:11], 0
	s_waitcnt vmcnt(0)
	v_lshlrev_b32_e32 v8, 23, v1
	v_cmp_ne_u32_e32 vcc, s18, v1
	v_cndmask_b32_e32 v5, v5, v8, vcc
	v_cmp_ne_u32_e32 vcc, 0, v1
	v_cndmask_b32_e32 v1, v6, v5, vcc
	v_add_u32_e32 v5, 0x7fff, v1
	v_cmp_o_f32_e32 vcc, v1, v1
	v_cndmask_b32_sdwa v5, v7, v5, vcc dst_sel:DWORD dst_unused:UNUSED_PAD src0_sel:DWORD src1_sel:WORD_1
	s_mov_b64 s[18:19], -1
	s_branch .LBB143_1280
.LBB143_1279:
	s_mov_b64 s[10:11], -1
                                        ; implicit-def: $vgpr5
.LBB143_1280:
	s_mov_b64 s[20:21], 0
.LBB143_1281:
	s_and_b64 vcc, exec, s[20:21]
	s_cbranch_vccz .LBB143_1285
; %bb.1282:
	s_cmp_eq_u32 s28, 29
	s_cbranch_scc0 .LBB143_1284
; %bb.1283:
	global_load_dwordx2 v[5:6], v[3:4], off
	s_movk_i32 s18, 0x7fff
	s_mov_b64 s[10:11], 0
	s_mov_b64 s[20:21], 0
	s_waitcnt vmcnt(0)
	v_ffbh_u32_e32 v1, v6
	v_min_u32_e32 v1, 32, v1
	v_lshlrev_b64 v[5:6], v1, v[5:6]
	v_sub_u32_e32 v1, 32, v1
	v_min_u32_e32 v5, 1, v5
	v_or_b32_e32 v5, v6, v5
	v_cvt_f32_u32_e32 v5, v5
	v_ldexp_f32 v1, v5, v1
	v_bfe_u32 v5, v1, 16, 1
	v_add3_u32 v1, v1, v5, s18
	v_lshrrev_b32_e32 v5, 16, v1
	s_mov_b64 s[18:19], -1
	s_branch .LBB143_1286
.LBB143_1284:
	s_mov_b64 s[10:11], -1
                                        ; implicit-def: $vgpr5
.LBB143_1285:
	s_mov_b64 s[20:21], 0
.LBB143_1286:
	s_and_b64 vcc, exec, s[20:21]
	s_cbranch_vccz .LBB143_1304
; %bb.1287:
	s_cmp_lt_i32 s28, 27
	s_cbranch_scc1 .LBB143_1290
; %bb.1288:
	s_cmp_gt_i32 s28, 27
	s_cbranch_scc0 .LBB143_1291
; %bb.1289:
	global_load_dword v1, v[3:4], off
	s_movk_i32 s18, 0x7fff
	s_waitcnt vmcnt(0)
	v_cvt_f32_u32_e32 v1, v1
	v_bfe_u32 v5, v1, 16, 1
	v_add3_u32 v1, v1, v5, s18
	v_lshrrev_b32_e32 v5, 16, v1
	s_mov_b64 s[18:19], 0
	s_branch .LBB143_1292
.LBB143_1290:
	s_mov_b64 s[18:19], -1
                                        ; implicit-def: $vgpr5
	s_branch .LBB143_1295
.LBB143_1291:
	s_mov_b64 s[18:19], -1
                                        ; implicit-def: $vgpr5
.LBB143_1292:
	s_andn2_b64 vcc, exec, s[18:19]
	s_cbranch_vccnz .LBB143_1294
; %bb.1293:
	global_load_ushort v1, v[3:4], off
	s_movk_i32 s18, 0x7fff
	s_waitcnt vmcnt(0)
	v_cvt_f32_u32_e32 v1, v1
	v_bfe_u32 v5, v1, 16, 1
	v_add3_u32 v1, v1, v5, s18
	v_lshrrev_b32_e32 v5, 16, v1
.LBB143_1294:
	s_mov_b64 s[18:19], 0
.LBB143_1295:
	s_andn2_b64 vcc, exec, s[18:19]
	s_cbranch_vccnz .LBB143_1303
; %bb.1296:
	global_load_ubyte v1, v[3:4], off
	s_movk_i32 s18, 0x7f
	s_waitcnt vmcnt(0)
	v_cmp_lt_i16_e32 vcc, s18, v1
	s_mov_b64 s[18:19], 0
	s_and_saveexec_b64 s[20:21], vcc
	s_xor_b64 s[20:21], exec, s[20:21]
	s_cbranch_execz .LBB143_1317
; %bb.1297:
	s_movk_i32 s18, 0x80
	v_cmp_eq_u16_e32 vcc, s18, v1
	s_mov_b64 s[18:19], -1
	s_and_saveexec_b64 s[22:23], vcc
; %bb.1298:
	s_xor_b64 s[18:19], exec, -1
; %bb.1299:
	s_or_b64 exec, exec, s[22:23]
	s_and_b64 s[18:19], s[18:19], exec
	s_or_saveexec_b64 s[20:21], s[20:21]
	v_mov_b32_e32 v5, 0x7f800001
	s_xor_b64 exec, exec, s[20:21]
	s_cbranch_execnz .LBB143_1318
.LBB143_1300:
	s_or_b64 exec, exec, s[20:21]
	s_and_saveexec_b64 s[20:21], s[18:19]
	s_cbranch_execz .LBB143_1302
.LBB143_1301:
	v_lshlrev_b32_e32 v5, 24, v1
	v_and_b32_e32 v1, 0xffff, v1
	v_and_b32_e32 v6, 7, v1
	v_ffbh_u32_e32 v8, v6
	v_min_u32_e32 v8, 32, v8
	v_subrev_u32_e32 v9, 28, v8
	v_bfe_u32 v7, v1, 3, 4
	v_lshlrev_b32_e32 v1, v9, v1
	v_sub_u32_e32 v8, 29, v8
	v_and_b32_e32 v1, 7, v1
	v_cmp_eq_u32_e32 vcc, 0, v7
	v_cndmask_b32_e32 v7, v7, v8, vcc
	v_cndmask_b32_e32 v1, v6, v1, vcc
	v_mov_b32_e32 v6, 0x3b800000
	v_lshlrev_b32_e32 v1, 20, v1
	v_and_b32_e32 v5, 0x80000000, v5
	v_lshl_add_u32 v6, v7, 23, v6
	v_or3_b32 v5, v5, v6, v1
.LBB143_1302:
	s_or_b64 exec, exec, s[20:21]
	v_bfe_u32 v1, v5, 16, 1
	s_movk_i32 s18, 0x7fff
	v_add3_u32 v1, v5, v1, s18
	v_cmp_o_f32_e32 vcc, v5, v5
	v_mov_b32_e32 v5, 0x7fc0
	v_cndmask_b32_sdwa v5, v5, v1, vcc dst_sel:DWORD dst_unused:UNUSED_PAD src0_sel:DWORD src1_sel:WORD_1
.LBB143_1303:
	s_mov_b64 s[18:19], -1
.LBB143_1304:
	s_mov_b64 s[20:21], 0
.LBB143_1305:
	s_and_b64 vcc, exec, s[20:21]
	s_cbranch_vccz .LBB143_1338
; %bb.1306:
	s_cmp_gt_i32 s28, 22
	s_cbranch_scc0 .LBB143_1316
; %bb.1307:
	s_cmp_lt_i32 s28, 24
	s_cbranch_scc1 .LBB143_1319
; %bb.1308:
	s_cmp_gt_i32 s28, 24
	s_cbranch_scc0 .LBB143_1320
; %bb.1309:
	global_load_ubyte v1, v[3:4], off
	s_movk_i32 s16, 0x7f
	s_waitcnt vmcnt(0)
	v_cmp_lt_i16_e32 vcc, s16, v1
	s_mov_b64 s[16:17], 0
	s_and_saveexec_b64 s[18:19], vcc
	s_xor_b64 s[18:19], exec, s[18:19]
	s_cbranch_execz .LBB143_1332
; %bb.1310:
	s_movk_i32 s16, 0x80
	v_cmp_eq_u16_e32 vcc, s16, v1
	s_mov_b64 s[16:17], -1
	s_and_saveexec_b64 s[20:21], vcc
; %bb.1311:
	s_xor_b64 s[16:17], exec, -1
; %bb.1312:
	s_or_b64 exec, exec, s[20:21]
	s_and_b64 s[16:17], s[16:17], exec
	s_or_saveexec_b64 s[18:19], s[18:19]
	v_mov_b32_e32 v5, 0x7f800001
	s_xor_b64 exec, exec, s[18:19]
	s_cbranch_execnz .LBB143_1333
.LBB143_1313:
	s_or_b64 exec, exec, s[18:19]
	s_and_saveexec_b64 s[18:19], s[16:17]
	s_cbranch_execz .LBB143_1315
.LBB143_1314:
	v_lshlrev_b32_e32 v5, 24, v1
	v_and_b32_e32 v1, 0xffff, v1
	v_and_b32_e32 v6, 3, v1
	v_ffbh_u32_e32 v8, v6
	v_min_u32_e32 v8, 32, v8
	v_subrev_u32_e32 v9, 29, v8
	v_bfe_u32 v7, v1, 2, 5
	v_lshlrev_b32_e32 v1, v9, v1
	v_sub_u32_e32 v8, 30, v8
	v_and_b32_e32 v1, 3, v1
	v_cmp_eq_u32_e32 vcc, 0, v7
	v_cndmask_b32_e32 v7, v7, v8, vcc
	v_cndmask_b32_e32 v1, v6, v1, vcc
	v_mov_b32_e32 v6, 0x37800000
	v_lshlrev_b32_e32 v1, 21, v1
	v_and_b32_e32 v5, 0x80000000, v5
	v_lshl_add_u32 v6, v7, 23, v6
	v_or3_b32 v5, v5, v6, v1
.LBB143_1315:
	s_or_b64 exec, exec, s[18:19]
	v_bfe_u32 v1, v5, 16, 1
	s_movk_i32 s16, 0x7fff
	v_add3_u32 v1, v5, v1, s16
	v_cmp_o_f32_e32 vcc, v5, v5
	v_mov_b32_e32 v5, 0x7fc0
	v_cndmask_b32_sdwa v5, v5, v1, vcc dst_sel:DWORD dst_unused:UNUSED_PAD src0_sel:DWORD src1_sel:WORD_1
	s_mov_b64 s[16:17], 0
	s_branch .LBB143_1321
.LBB143_1316:
	s_mov_b64 s[16:17], -1
                                        ; implicit-def: $vgpr5
	s_branch .LBB143_1327
.LBB143_1317:
	s_or_saveexec_b64 s[20:21], s[20:21]
	v_mov_b32_e32 v5, 0x7f800001
	s_xor_b64 exec, exec, s[20:21]
	s_cbranch_execz .LBB143_1300
.LBB143_1318:
	v_cmp_ne_u16_e32 vcc, 0, v1
	s_andn2_b64 s[18:19], s[18:19], exec
	s_and_b64 s[22:23], vcc, exec
	v_mov_b32_e32 v5, 0
	s_or_b64 s[18:19], s[18:19], s[22:23]
	s_or_b64 exec, exec, s[20:21]
	s_and_saveexec_b64 s[20:21], s[18:19]
	s_cbranch_execnz .LBB143_1301
	s_branch .LBB143_1302
.LBB143_1319:
	s_mov_b64 s[16:17], -1
                                        ; implicit-def: $vgpr5
	s_branch .LBB143_1324
.LBB143_1320:
	s_mov_b64 s[16:17], -1
                                        ; implicit-def: $vgpr5
.LBB143_1321:
	s_and_b64 vcc, exec, s[16:17]
	s_cbranch_vccz .LBB143_1323
; %bb.1322:
	global_load_ubyte v1, v[3:4], off
	s_mov_b32 s16, 0x7f800000
	s_brev_b32 s17, 1
	s_movk_i32 s18, 0x7fff
	s_waitcnt vmcnt(0)
	v_lshlrev_b32_e32 v1, 24, v1
	v_and_b32_e32 v5, 0x7f000000, v1
	v_ffbh_u32_e32 v6, v5
	v_min_u32_e32 v6, 32, v6
	v_sub_u32_e64 v6, v6, 4 clamp
	v_lshlrev_b32_e32 v8, v6, v5
	v_lshlrev_b32_e32 v6, 23, v6
	v_lshrrev_b32_e32 v8, 4, v8
	v_add_u32_e32 v7, 0x1000000, v5
	v_sub_u32_e32 v6, v8, v6
	v_ashrrev_i32_e32 v7, 8, v7
	v_add_u32_e32 v6, 0x3c000000, v6
	v_and_or_b32 v6, v7, s16, v6
	v_cmp_ne_u32_e32 vcc, 0, v5
	v_cndmask_b32_e32 v5, 0, v6, vcc
	v_and_or_b32 v1, v1, s17, v5
	v_bfe_u32 v5, v5, 16, 1
	v_add3_u32 v5, v1, v5, s18
	v_cmp_o_f32_e32 vcc, v1, v1
	v_mov_b32_e32 v1, 0x7fc0
	v_cndmask_b32_sdwa v5, v1, v5, vcc dst_sel:DWORD dst_unused:UNUSED_PAD src0_sel:DWORD src1_sel:WORD_1
.LBB143_1323:
	s_mov_b64 s[16:17], 0
.LBB143_1324:
	s_andn2_b64 vcc, exec, s[16:17]
	s_cbranch_vccnz .LBB143_1326
; %bb.1325:
	global_load_ubyte v1, v[3:4], off
	s_movk_i32 s16, 0x7f00
	s_brev_b32 s17, 16
	s_brev_b32 s18, 1
	s_movk_i32 s19, 0x7fff
	s_waitcnt vmcnt(0)
	v_lshlrev_b16_e32 v5, 8, v1
	v_lshlrev_b32_e32 v1, 25, v1
	v_lshrrev_b32_e32 v6, 4, v1
	v_and_or_b32 v7, v5, s16, 0.5
	v_or_b32_e32 v6, 0x70000000, v6
	v_add_f32_e32 v7, -0.5, v7
	v_mul_f32_e32 v6, 0x7800000, v6
	v_cmp_gt_u32_e32 vcc, s17, v1
	v_bfe_i32 v5, v5, 0, 16
	v_cndmask_b32_e32 v1, v6, v7, vcc
	v_and_or_b32 v5, v5, s18, v1
	v_bfe_u32 v1, v1, 16, 1
	v_add3_u32 v1, v5, v1, s19
	v_cmp_o_f32_e32 vcc, v5, v5
	v_mov_b32_e32 v5, 0x7fc0
	v_cndmask_b32_sdwa v5, v5, v1, vcc dst_sel:DWORD dst_unused:UNUSED_PAD src0_sel:DWORD src1_sel:WORD_1
.LBB143_1326:
	s_mov_b64 s[16:17], 0
	s_mov_b64 s[18:19], -1
.LBB143_1327:
	s_andn2_b64 vcc, exec, s[16:17]
	s_mov_b64 s[16:17], 0
	s_cbranch_vccnz .LBB143_1338
; %bb.1328:
	s_cmp_gt_i32 s28, 14
	s_cbranch_scc0 .LBB143_1331
; %bb.1329:
	s_cmp_eq_u32 s28, 15
	s_cbranch_scc0 .LBB143_1334
; %bb.1330:
	global_load_ushort v5, v[3:4], off
	s_mov_b64 s[10:11], 0
	s_mov_b64 s[18:19], -1
	s_branch .LBB143_1335
.LBB143_1331:
	s_mov_b64 s[20:21], -1
                                        ; implicit-def: $vgpr5
	s_branch .LBB143_1336
.LBB143_1332:
	s_or_saveexec_b64 s[18:19], s[18:19]
	v_mov_b32_e32 v5, 0x7f800001
	s_xor_b64 exec, exec, s[18:19]
	s_cbranch_execz .LBB143_1313
.LBB143_1333:
	v_cmp_ne_u16_e32 vcc, 0, v1
	s_andn2_b64 s[16:17], s[16:17], exec
	s_and_b64 s[20:21], vcc, exec
	v_mov_b32_e32 v5, 0
	s_or_b64 s[16:17], s[16:17], s[20:21]
	s_or_b64 exec, exec, s[18:19]
	s_and_saveexec_b64 s[18:19], s[16:17]
	s_cbranch_execnz .LBB143_1314
	s_branch .LBB143_1315
.LBB143_1334:
	s_mov_b64 s[10:11], -1
                                        ; implicit-def: $vgpr5
.LBB143_1335:
	s_mov_b64 s[20:21], 0
.LBB143_1336:
	s_and_b64 vcc, exec, s[20:21]
	s_cbranch_vccz .LBB143_1338
; %bb.1337:
	s_cmp_lg_u32 s28, 11
	s_cselect_b64 s[20:21], -1, 0
	s_andn2_b64 s[10:11], s[10:11], exec
	s_and_b64 s[20:21], s[20:21], exec
	s_mov_b64 s[16:17], -1
	s_or_b64 s[10:11], s[10:11], s[20:21]
.LBB143_1338:
	s_mov_b64 s[20:21], 0
.LBB143_1339:
	s_and_b64 s[62:63], s[16:17], exec
	s_andn2_b64 s[16:17], s[0:1], exec
	s_and_b64 s[10:11], s[10:11], exec
	s_and_b64 s[64:65], s[18:19], exec
	;; [unrolled: 1-line block ×3, first 2 shown]
	s_or_b64 s[66:67], s[16:17], s[10:11]
.LBB143_1340:
	s_or_b64 exec, exec, s[56:57]
	s_andn2_b64 s[0:1], s[0:1], exec
	s_and_b64 s[10:11], s[66:67], exec
	s_and_b64 s[64:65], s[64:65], exec
	;; [unrolled: 1-line block ×4, first 2 shown]
	s_or_b64 s[0:1], s[0:1], s[10:11]
.LBB143_1341:
	s_or_b64 exec, exec, s[54:55]
	s_andn2_b64 s[10:11], s[50:51], exec
	s_and_b64 s[16:17], s[60:61], exec
	s_or_b64 s[50:51], s[10:11], s[16:17]
	s_andn2_b64 s[10:11], s[48:49], exec
	s_and_b64 s[16:17], s[58:59], exec
	s_or_b64 s[48:49], s[10:11], s[16:17]
	s_andn2_b64 s[10:11], s[46:47], exec
	s_and_b64 s[0:1], s[0:1], exec
	s_and_b64 s[58:59], s[64:65], exec
	;; [unrolled: 1-line block ×4, first 2 shown]
	s_or_b64 s[46:47], s[10:11], s[0:1]
.LBB143_1342:
	s_or_b64 exec, exec, s[52:53]
	s_andn2_b64 s[0:1], s[38:39], exec
	s_and_b64 s[10:11], s[50:51], exec
	s_or_b64 s[38:39], s[0:1], s[10:11]
	s_andn2_b64 s[0:1], s[40:41], exec
	s_and_b64 s[10:11], s[48:49], exec
	s_or_b64 s[40:41], s[0:1], s[10:11]
	s_andn2_b64 s[0:1], s[42:43], exec
	s_and_b64 s[10:11], s[46:47], exec
	s_and_b64 s[50:51], s[58:59], exec
	;; [unrolled: 1-line block ×4, first 2 shown]
	s_or_b64 s[42:43], s[0:1], s[10:11]
	s_or_b64 exec, exec, s[44:45]
	s_mov_b64 s[10:11], 0
	s_and_saveexec_b64 s[0:1], s[42:43]
	s_cbranch_execz .LBB143_419
.LBB143_1343:
	s_mov_b64 s[10:11], exec
	s_andn2_b64 s[48:49], s[48:49], exec
	s_trap 2
	s_or_b64 exec, exec, s[0:1]
	s_and_saveexec_b64 s[0:1], s[48:49]
	s_xor_b64 s[0:1], exec, s[0:1]
	s_cbranch_execnz .LBB143_420
.LBB143_1344:
	s_or_b64 exec, exec, s[0:1]
	s_and_saveexec_b64 s[0:1], s[52:53]
	s_cbranch_execz .LBB143_1390
.LBB143_1345:
	s_sext_i32_i16 s16, s74
	s_cmp_lt_i32 s16, 5
	s_cbranch_scc1 .LBB143_1350
; %bb.1346:
	s_cmp_lt_i32 s16, 8
	s_cbranch_scc1 .LBB143_1351
; %bb.1347:
	;; [unrolled: 3-line block ×3, first 2 shown]
	s_cmp_gt_i32 s16, 9
	s_cbranch_scc0 .LBB143_1353
; %bb.1349:
	s_waitcnt vmcnt(0)
	global_load_dwordx2 v[5:6], v[3:4], off
	s_movk_i32 s16, 0x7fff
	s_waitcnt vmcnt(0)
	v_cvt_f32_f64_e32 v1, v[5:6]
	v_mov_b32_e32 v5, 0x7fc0
	v_bfe_u32 v6, v1, 16, 1
	v_cmp_o_f32_e32 vcc, v1, v1
	v_add3_u32 v1, v1, v6, s16
	v_cndmask_b32_sdwa v5, v5, v1, vcc dst_sel:DWORD dst_unused:UNUSED_PAD src0_sel:DWORD src1_sel:WORD_1
	s_mov_b64 s[16:17], 0
	s_branch .LBB143_1354
.LBB143_1350:
                                        ; implicit-def: $vgpr5
	s_branch .LBB143_1371
.LBB143_1351:
                                        ; implicit-def: $vgpr5
	s_branch .LBB143_1360
.LBB143_1352:
	s_mov_b64 s[16:17], -1
                                        ; implicit-def: $vgpr5
	s_branch .LBB143_1357
.LBB143_1353:
	s_mov_b64 s[16:17], -1
                                        ; implicit-def: $vgpr5
.LBB143_1354:
	s_andn2_b64 vcc, exec, s[16:17]
	s_cbranch_vccnz .LBB143_1356
; %bb.1355:
	s_waitcnt vmcnt(0)
	global_load_dword v1, v[3:4], off
	s_movk_i32 s16, 0x7fff
	v_mov_b32_e32 v5, 0x7fc0
	s_waitcnt vmcnt(0)
	v_bfe_u32 v6, v1, 16, 1
	v_cmp_o_f32_e32 vcc, v1, v1
	v_add3_u32 v1, v1, v6, s16
	v_cndmask_b32_sdwa v5, v5, v1, vcc dst_sel:DWORD dst_unused:UNUSED_PAD src0_sel:DWORD src1_sel:WORD_1
.LBB143_1356:
	s_mov_b64 s[16:17], 0
.LBB143_1357:
	s_andn2_b64 vcc, exec, s[16:17]
	s_cbranch_vccnz .LBB143_1359
; %bb.1358:
	s_waitcnt vmcnt(0)
	global_load_dword v1, v[3:4], off
	s_movk_i32 s16, 0x7fff
	v_mov_b32_e32 v6, 0x7fc0
	s_waitcnt vmcnt(0)
	v_cvt_f32_f16_e32 v5, v1
	v_cmp_o_f16_e32 vcc, v1, v1
	v_bfe_u32 v1, v5, 16, 1
	v_add3_u32 v1, v5, v1, s16
	v_cndmask_b32_sdwa v5, v6, v1, vcc dst_sel:DWORD dst_unused:UNUSED_PAD src0_sel:DWORD src1_sel:WORD_1
.LBB143_1359:
	s_cbranch_execnz .LBB143_1370
.LBB143_1360:
	s_sext_i32_i16 s16, s74
	s_cmp_lt_i32 s16, 6
	s_cbranch_scc1 .LBB143_1363
; %bb.1361:
	s_cmp_gt_i32 s16, 6
	s_cbranch_scc0 .LBB143_1364
; %bb.1362:
	s_waitcnt vmcnt(0)
	global_load_dwordx2 v[5:6], v[3:4], off
	s_movk_i32 s16, 0x7fff
	s_waitcnt vmcnt(0)
	v_cvt_f32_f64_e32 v1, v[5:6]
	v_mov_b32_e32 v5, 0x7fc0
	v_bfe_u32 v6, v1, 16, 1
	v_cmp_o_f32_e32 vcc, v1, v1
	v_add3_u32 v1, v1, v6, s16
	v_cndmask_b32_sdwa v5, v5, v1, vcc dst_sel:DWORD dst_unused:UNUSED_PAD src0_sel:DWORD src1_sel:WORD_1
	s_mov_b64 s[16:17], 0
	s_branch .LBB143_1365
.LBB143_1363:
	s_mov_b64 s[16:17], -1
                                        ; implicit-def: $vgpr5
	s_branch .LBB143_1368
.LBB143_1364:
	s_mov_b64 s[16:17], -1
                                        ; implicit-def: $vgpr5
.LBB143_1365:
	s_andn2_b64 vcc, exec, s[16:17]
	s_cbranch_vccnz .LBB143_1367
; %bb.1366:
	s_waitcnt vmcnt(0)
	global_load_dword v1, v[3:4], off
	s_movk_i32 s16, 0x7fff
	v_mov_b32_e32 v5, 0x7fc0
	s_waitcnt vmcnt(0)
	v_bfe_u32 v6, v1, 16, 1
	v_cmp_o_f32_e32 vcc, v1, v1
	v_add3_u32 v1, v1, v6, s16
	v_cndmask_b32_sdwa v5, v5, v1, vcc dst_sel:DWORD dst_unused:UNUSED_PAD src0_sel:DWORD src1_sel:WORD_1
.LBB143_1367:
	s_mov_b64 s[16:17], 0
.LBB143_1368:
	s_andn2_b64 vcc, exec, s[16:17]
	s_cbranch_vccnz .LBB143_1370
; %bb.1369:
	s_waitcnt vmcnt(0)
	global_load_ushort v1, v[3:4], off
	s_movk_i32 s16, 0x7fff
	v_mov_b32_e32 v6, 0x7fc0
	s_waitcnt vmcnt(0)
	v_cvt_f32_f16_e32 v5, v1
	v_cmp_o_f16_e32 vcc, v1, v1
	v_bfe_u32 v1, v5, 16, 1
	v_add3_u32 v1, v5, v1, s16
	v_cndmask_b32_sdwa v5, v6, v1, vcc dst_sel:DWORD dst_unused:UNUSED_PAD src0_sel:DWORD src1_sel:WORD_1
.LBB143_1370:
	s_cbranch_execnz .LBB143_1389
.LBB143_1371:
	s_sext_i32_i16 s16, s74
	s_cmp_lt_i32 s16, 2
	s_cbranch_scc1 .LBB143_1375
; %bb.1372:
	s_cmp_lt_i32 s16, 3
	s_cbranch_scc1 .LBB143_1376
; %bb.1373:
	s_cmp_gt_i32 s16, 3
	s_cbranch_scc0 .LBB143_1377
; %bb.1374:
	s_waitcnt vmcnt(0)
	global_load_dwordx2 v[5:6], v[3:4], off
	s_movk_i32 s16, 0x7fff
	s_waitcnt vmcnt(0)
	v_xor_b32_e32 v7, v5, v6
	v_ffbh_i32_e32 v1, v6
	v_ashrrev_i32_e32 v7, 31, v7
	v_add_u32_e32 v1, -1, v1
	v_add_u32_e32 v7, 32, v7
	v_min_u32_e32 v1, v1, v7
	v_lshlrev_b64 v[5:6], v1, v[5:6]
	v_sub_u32_e32 v1, 32, v1
	v_min_u32_e32 v5, 1, v5
	v_or_b32_e32 v5, v6, v5
	v_cvt_f32_i32_e32 v5, v5
	v_ldexp_f32 v1, v5, v1
	v_bfe_u32 v5, v1, 16, 1
	v_add3_u32 v1, v1, v5, s16
	v_lshrrev_b32_e32 v5, 16, v1
	s_mov_b64 s[16:17], 0
	s_branch .LBB143_1378
.LBB143_1375:
                                        ; implicit-def: $vgpr5
	s_branch .LBB143_1384
.LBB143_1376:
	s_mov_b64 s[16:17], -1
                                        ; implicit-def: $vgpr5
	s_branch .LBB143_1381
.LBB143_1377:
	s_mov_b64 s[16:17], -1
                                        ; implicit-def: $vgpr5
.LBB143_1378:
	s_andn2_b64 vcc, exec, s[16:17]
	s_cbranch_vccnz .LBB143_1380
; %bb.1379:
	s_waitcnt vmcnt(0)
	global_load_dword v1, v[3:4], off
	s_movk_i32 s16, 0x7fff
	s_waitcnt vmcnt(0)
	v_cvt_f32_i32_e32 v1, v1
	v_bfe_u32 v5, v1, 16, 1
	v_add3_u32 v1, v1, v5, s16
	v_lshrrev_b32_e32 v5, 16, v1
.LBB143_1380:
	s_mov_b64 s[16:17], 0
.LBB143_1381:
	s_andn2_b64 vcc, exec, s[16:17]
	s_cbranch_vccnz .LBB143_1383
; %bb.1382:
	s_waitcnt vmcnt(0)
	global_load_sshort v1, v[3:4], off
	s_movk_i32 s16, 0x7fff
	s_waitcnt vmcnt(0)
	v_cvt_f32_i32_e32 v1, v1
	v_bfe_u32 v5, v1, 16, 1
	v_add3_u32 v1, v1, v5, s16
	v_lshrrev_b32_e32 v5, 16, v1
.LBB143_1383:
	s_cbranch_execnz .LBB143_1389
.LBB143_1384:
	s_sext_i32_i16 s16, s74
	s_cmp_gt_i32 s16, 0
	s_cbranch_scc0 .LBB143_1386
; %bb.1385:
	s_waitcnt vmcnt(0)
	global_load_sbyte v1, v[3:4], off
	s_movk_i32 s16, 0x7fff
	s_waitcnt vmcnt(0)
	v_cvt_f32_i32_e32 v1, v1
	v_bfe_u32 v5, v1, 16, 1
	v_add3_u32 v1, v1, v5, s16
	v_lshrrev_b32_e32 v5, 16, v1
	s_mov_b64 s[16:17], 0
	s_branch .LBB143_1387
.LBB143_1386:
	s_mov_b64 s[16:17], -1
                                        ; implicit-def: $vgpr5
.LBB143_1387:
	s_andn2_b64 vcc, exec, s[16:17]
	s_cbranch_vccnz .LBB143_1389
; %bb.1388:
	s_waitcnt vmcnt(0)
	global_load_ubyte v1, v[3:4], off
	s_movk_i32 s16, 0x7fff
	s_waitcnt vmcnt(0)
	v_cvt_f32_ubyte0_e32 v1, v1
	v_bfe_u32 v3, v1, 16, 1
	v_add3_u32 v1, v1, v3, s16
	v_lshrrev_b32_e32 v5, 16, v1
.LBB143_1389:
	s_or_b64 s[50:51], s[50:51], exec
.LBB143_1390:
	s_or_b64 exec, exec, s[0:1]
	s_mov_b64 s[16:17], 0
	s_mov_b64 s[20:21], 0
	;; [unrolled: 1-line block ×3, first 2 shown]
                                        ; implicit-def: $sgpr28
                                        ; implicit-def: $vgpr3_vgpr4
                                        ; implicit-def: $vgpr6
	s_and_saveexec_b64 s[0:1], s[50:51]
	s_cbranch_execz .LBB143_1398
; %bb.1391:
	v_mov_b32_e32 v1, s13
	s_and_b32 s28, s71, 0xff
	s_waitcnt vmcnt(0)
	v_add_co_u32_e32 v3, vcc, s12, v2
	s_cmp_lt_i32 s28, 11
	v_addc_co_u32_e32 v4, vcc, 0, v1, vcc
	s_cbranch_scc1 .LBB143_1401
; %bb.1392:
	s_and_b32 s29, 0xffff, s28
	s_cmp_gt_i32 s29, 25
	s_cbranch_scc0 .LBB143_1402
; %bb.1393:
	s_cmp_gt_i32 s29, 28
	s_cbranch_scc0 .LBB143_1403
; %bb.1394:
	;; [unrolled: 3-line block ×4, first 2 shown]
	s_cmp_eq_u32 s29, 46
	s_cbranch_scc0 .LBB143_1406
; %bb.1397:
	global_load_dword v6, v[3:4], off
	s_mov_b64 s[12:13], 0
	s_mov_b64 s[18:19], -1
	s_branch .LBB143_1408
.LBB143_1398:
	s_or_b64 exec, exec, s[0:1]
	s_and_saveexec_b64 s[0:1], s[40:41]
	s_cbranch_execnz .LBB143_1471
.LBB143_1399:
	s_or_b64 exec, exec, s[0:1]
	s_and_saveexec_b64 s[0:1], s[16:17]
	s_xor_b64 s[0:1], exec, s[0:1]
	s_cbranch_execz .LBB143_1472
.LBB143_1400:
	s_waitcnt vmcnt(0)
	global_load_ubyte v1, v[3:4], off
	s_or_b64 s[18:19], s[18:19], exec
	s_waitcnt vmcnt(0)
	v_cmp_ne_u16_e32 vcc, 0, v1
	v_cndmask_b32_e64 v1, 0, 1.0, vcc
	v_lshrrev_b32_e32 v6, 16, v1
	s_or_b64 exec, exec, s[0:1]
	s_and_saveexec_b64 s[0:1], s[20:21]
	s_cbranch_execz .LBB143_1518
	s_branch .LBB143_1473
.LBB143_1401:
	s_mov_b64 s[20:21], -1
                                        ; implicit-def: $vgpr6
	s_mov_b64 s[12:13], s[40:41]
	s_branch .LBB143_1470
.LBB143_1402:
	s_mov_b64 s[12:13], s[40:41]
                                        ; implicit-def: $vgpr6
	s_cbranch_execnz .LBB143_1437
	s_branch .LBB143_1469
.LBB143_1403:
	s_mov_b64 s[20:21], -1
	s_mov_b64 s[12:13], s[40:41]
                                        ; implicit-def: $vgpr6
	s_branch .LBB143_1418
.LBB143_1404:
	s_mov_b64 s[20:21], -1
	s_mov_b64 s[12:13], s[40:41]
                                        ; implicit-def: $vgpr6
	s_branch .LBB143_1413
.LBB143_1405:
	s_mov_b64 s[20:21], -1
	s_mov_b64 s[12:13], s[40:41]
	s_branch .LBB143_1407
.LBB143_1406:
	s_mov_b64 s[12:13], -1
.LBB143_1407:
                                        ; implicit-def: $vgpr6
.LBB143_1408:
	s_and_b64 vcc, exec, s[20:21]
	s_cbranch_vccz .LBB143_1412
; %bb.1409:
	s_cmp_eq_u32 s29, 44
	s_cbranch_scc0 .LBB143_1411
; %bb.1410:
	global_load_ubyte v1, v[3:4], off
	s_movk_i32 s18, 0xff
	v_mov_b32_e32 v2, 0x7f800001
	s_waitcnt vmcnt(1)
	v_mov_b32_e32 v6, 0x400000
	v_mov_b32_e32 v7, 0x7fc0
	s_mov_b64 s[12:13], 0
	s_waitcnt vmcnt(0)
	v_lshlrev_b32_e32 v8, 23, v1
	v_cmp_ne_u32_e32 vcc, s18, v1
	v_cndmask_b32_e32 v2, v2, v8, vcc
	v_cmp_ne_u32_e32 vcc, 0, v1
	v_cndmask_b32_e32 v1, v6, v2, vcc
	v_add_u32_e32 v2, 0x7fff, v1
	v_cmp_o_f32_e32 vcc, v1, v1
	v_cndmask_b32_sdwa v6, v7, v2, vcc dst_sel:DWORD dst_unused:UNUSED_PAD src0_sel:DWORD src1_sel:WORD_1
	s_mov_b64 s[18:19], -1
	s_branch .LBB143_1412
.LBB143_1411:
	s_mov_b64 s[12:13], -1
                                        ; implicit-def: $vgpr6
.LBB143_1412:
	s_mov_b64 s[20:21], 0
.LBB143_1413:
	s_and_b64 vcc, exec, s[20:21]
	s_cbranch_vccz .LBB143_1417
; %bb.1414:
	s_cmp_eq_u32 s29, 29
	s_cbranch_scc0 .LBB143_1416
; %bb.1415:
	global_load_dwordx2 v[1:2], v[3:4], off
	s_movk_i32 s18, 0x7fff
	s_mov_b64 s[12:13], 0
	s_mov_b64 s[20:21], 0
	s_waitcnt vmcnt(0)
	v_ffbh_u32_e32 v6, v2
	v_min_u32_e32 v6, 32, v6
	v_lshlrev_b64 v[1:2], v6, v[1:2]
	v_min_u32_e32 v1, 1, v1
	v_or_b32_e32 v1, v2, v1
	v_cvt_f32_u32_e32 v1, v1
	v_sub_u32_e32 v2, 32, v6
	v_ldexp_f32 v1, v1, v2
	v_bfe_u32 v2, v1, 16, 1
	v_add3_u32 v1, v1, v2, s18
	v_lshrrev_b32_e32 v6, 16, v1
	s_mov_b64 s[18:19], -1
	s_branch .LBB143_1418
.LBB143_1416:
	s_mov_b64 s[12:13], -1
                                        ; implicit-def: $vgpr6
.LBB143_1417:
	s_mov_b64 s[20:21], 0
.LBB143_1418:
	s_and_b64 vcc, exec, s[20:21]
	s_cbranch_vccz .LBB143_1436
; %bb.1419:
	s_cmp_lt_i32 s29, 27
	s_cbranch_scc1 .LBB143_1422
; %bb.1420:
	s_cmp_gt_i32 s29, 27
	s_cbranch_scc0 .LBB143_1423
; %bb.1421:
	global_load_dword v1, v[3:4], off
	s_movk_i32 s18, 0x7fff
	s_waitcnt vmcnt(0)
	v_cvt_f32_u32_e32 v1, v1
	v_bfe_u32 v2, v1, 16, 1
	v_add3_u32 v1, v1, v2, s18
	v_lshrrev_b32_e32 v6, 16, v1
	s_mov_b64 s[18:19], 0
	s_branch .LBB143_1424
.LBB143_1422:
	s_mov_b64 s[18:19], -1
                                        ; implicit-def: $vgpr6
	s_branch .LBB143_1427
.LBB143_1423:
	s_mov_b64 s[18:19], -1
                                        ; implicit-def: $vgpr6
.LBB143_1424:
	s_andn2_b64 vcc, exec, s[18:19]
	s_cbranch_vccnz .LBB143_1426
; %bb.1425:
	global_load_ushort v1, v[3:4], off
	s_movk_i32 s18, 0x7fff
	s_waitcnt vmcnt(0)
	v_cvt_f32_u32_e32 v1, v1
	v_bfe_u32 v2, v1, 16, 1
	v_add3_u32 v1, v1, v2, s18
	v_lshrrev_b32_e32 v6, 16, v1
.LBB143_1426:
	s_mov_b64 s[18:19], 0
.LBB143_1427:
	s_andn2_b64 vcc, exec, s[18:19]
	s_cbranch_vccnz .LBB143_1435
; %bb.1428:
	global_load_ubyte v1, v[3:4], off
	s_movk_i32 s18, 0x7f
	s_waitcnt vmcnt(0)
	v_cmp_lt_i16_e32 vcc, s18, v1
	s_mov_b64 s[18:19], 0
	s_and_saveexec_b64 s[20:21], vcc
	s_xor_b64 s[20:21], exec, s[20:21]
	s_cbranch_execz .LBB143_1448
; %bb.1429:
	s_movk_i32 s18, 0x80
	v_cmp_eq_u16_e32 vcc, s18, v1
	s_mov_b64 s[18:19], -1
	s_and_saveexec_b64 s[22:23], vcc
; %bb.1430:
	s_xor_b64 s[18:19], exec, -1
; %bb.1431:
	s_or_b64 exec, exec, s[22:23]
	s_and_b64 s[18:19], s[18:19], exec
	s_or_saveexec_b64 s[20:21], s[20:21]
	v_mov_b32_e32 v2, 0x7f800001
	s_xor_b64 exec, exec, s[20:21]
	s_cbranch_execnz .LBB143_1449
.LBB143_1432:
	s_or_b64 exec, exec, s[20:21]
	s_and_saveexec_b64 s[20:21], s[18:19]
	s_cbranch_execz .LBB143_1434
.LBB143_1433:
	v_lshlrev_b32_e32 v2, 24, v1
	v_and_b32_e32 v1, 0xffff, v1
	v_and_b32_e32 v6, 7, v1
	v_ffbh_u32_e32 v8, v6
	v_min_u32_e32 v8, 32, v8
	v_subrev_u32_e32 v9, 28, v8
	v_bfe_u32 v7, v1, 3, 4
	v_lshlrev_b32_e32 v1, v9, v1
	v_sub_u32_e32 v8, 29, v8
	v_and_b32_e32 v1, 7, v1
	v_cmp_eq_u32_e32 vcc, 0, v7
	v_cndmask_b32_e32 v7, v7, v8, vcc
	v_cndmask_b32_e32 v1, v6, v1, vcc
	v_mov_b32_e32 v6, 0x3b800000
	v_lshlrev_b32_e32 v1, 20, v1
	v_and_b32_e32 v2, 0x80000000, v2
	v_lshl_add_u32 v6, v7, 23, v6
	v_or3_b32 v2, v2, v6, v1
.LBB143_1434:
	s_or_b64 exec, exec, s[20:21]
	v_bfe_u32 v1, v2, 16, 1
	s_movk_i32 s18, 0x7fff
	v_add3_u32 v1, v2, v1, s18
	v_cmp_o_f32_e32 vcc, v2, v2
	v_mov_b32_e32 v2, 0x7fc0
	v_cndmask_b32_sdwa v6, v2, v1, vcc dst_sel:DWORD dst_unused:UNUSED_PAD src0_sel:DWORD src1_sel:WORD_1
.LBB143_1435:
	s_mov_b64 s[18:19], -1
.LBB143_1436:
	s_branch .LBB143_1469
.LBB143_1437:
	s_cmp_gt_i32 s29, 22
	s_cbranch_scc0 .LBB143_1447
; %bb.1438:
	s_cmp_lt_i32 s29, 24
	s_cbranch_scc1 .LBB143_1450
; %bb.1439:
	s_cmp_gt_i32 s29, 24
	s_cbranch_scc0 .LBB143_1451
; %bb.1440:
	global_load_ubyte v1, v[3:4], off
	s_movk_i32 s16, 0x7f
	s_waitcnt vmcnt(0)
	v_cmp_lt_i16_e32 vcc, s16, v1
	s_mov_b64 s[16:17], 0
	s_and_saveexec_b64 s[18:19], vcc
	s_xor_b64 s[18:19], exec, s[18:19]
	s_cbranch_execz .LBB143_1463
; %bb.1441:
	s_movk_i32 s16, 0x80
	v_cmp_eq_u16_e32 vcc, s16, v1
	s_mov_b64 s[16:17], -1
	s_and_saveexec_b64 s[20:21], vcc
; %bb.1442:
	s_xor_b64 s[16:17], exec, -1
; %bb.1443:
	s_or_b64 exec, exec, s[20:21]
	s_and_b64 s[16:17], s[16:17], exec
	s_or_saveexec_b64 s[18:19], s[18:19]
	v_mov_b32_e32 v2, 0x7f800001
	s_xor_b64 exec, exec, s[18:19]
	s_cbranch_execnz .LBB143_1464
.LBB143_1444:
	s_or_b64 exec, exec, s[18:19]
	s_and_saveexec_b64 s[18:19], s[16:17]
	s_cbranch_execz .LBB143_1446
.LBB143_1445:
	v_lshlrev_b32_e32 v2, 24, v1
	v_and_b32_e32 v1, 0xffff, v1
	v_and_b32_e32 v6, 3, v1
	v_ffbh_u32_e32 v8, v6
	v_min_u32_e32 v8, 32, v8
	v_subrev_u32_e32 v9, 29, v8
	v_bfe_u32 v7, v1, 2, 5
	v_lshlrev_b32_e32 v1, v9, v1
	v_sub_u32_e32 v8, 30, v8
	v_and_b32_e32 v1, 3, v1
	v_cmp_eq_u32_e32 vcc, 0, v7
	v_cndmask_b32_e32 v7, v7, v8, vcc
	v_cndmask_b32_e32 v1, v6, v1, vcc
	v_mov_b32_e32 v6, 0x37800000
	v_lshlrev_b32_e32 v1, 21, v1
	v_and_b32_e32 v2, 0x80000000, v2
	v_lshl_add_u32 v6, v7, 23, v6
	v_or3_b32 v2, v2, v6, v1
.LBB143_1446:
	s_or_b64 exec, exec, s[18:19]
	v_bfe_u32 v1, v2, 16, 1
	s_movk_i32 s16, 0x7fff
	v_add3_u32 v1, v2, v1, s16
	v_cmp_o_f32_e32 vcc, v2, v2
	v_mov_b32_e32 v2, 0x7fc0
	v_cndmask_b32_sdwa v6, v2, v1, vcc dst_sel:DWORD dst_unused:UNUSED_PAD src0_sel:DWORD src1_sel:WORD_1
	s_mov_b64 s[16:17], 0
	s_branch .LBB143_1452
.LBB143_1447:
	s_mov_b64 s[16:17], -1
                                        ; implicit-def: $vgpr6
	s_branch .LBB143_1458
.LBB143_1448:
	s_or_saveexec_b64 s[20:21], s[20:21]
	v_mov_b32_e32 v2, 0x7f800001
	s_xor_b64 exec, exec, s[20:21]
	s_cbranch_execz .LBB143_1432
.LBB143_1449:
	v_cmp_ne_u16_e32 vcc, 0, v1
	s_andn2_b64 s[18:19], s[18:19], exec
	s_and_b64 s[22:23], vcc, exec
	v_mov_b32_e32 v2, 0
	s_or_b64 s[18:19], s[18:19], s[22:23]
	s_or_b64 exec, exec, s[20:21]
	s_and_saveexec_b64 s[20:21], s[18:19]
	s_cbranch_execnz .LBB143_1433
	s_branch .LBB143_1434
.LBB143_1450:
	s_mov_b64 s[16:17], -1
                                        ; implicit-def: $vgpr6
	s_branch .LBB143_1455
.LBB143_1451:
	s_mov_b64 s[16:17], -1
                                        ; implicit-def: $vgpr6
.LBB143_1452:
	s_and_b64 vcc, exec, s[16:17]
	s_cbranch_vccz .LBB143_1454
; %bb.1453:
	global_load_ubyte v1, v[3:4], off
	s_mov_b32 s16, 0x7f800000
	s_brev_b32 s17, 1
	s_movk_i32 s18, 0x7fff
	s_waitcnt vmcnt(0)
	v_lshlrev_b32_e32 v1, 24, v1
	v_and_b32_e32 v2, 0x7f000000, v1
	v_ffbh_u32_e32 v6, v2
	v_min_u32_e32 v6, 32, v6
	v_sub_u32_e64 v6, v6, 4 clamp
	v_lshlrev_b32_e32 v8, v6, v2
	v_lshlrev_b32_e32 v6, 23, v6
	v_lshrrev_b32_e32 v8, 4, v8
	v_add_u32_e32 v7, 0x1000000, v2
	v_sub_u32_e32 v6, v8, v6
	v_ashrrev_i32_e32 v7, 8, v7
	v_add_u32_e32 v6, 0x3c000000, v6
	v_and_or_b32 v6, v7, s16, v6
	v_cmp_ne_u32_e32 vcc, 0, v2
	v_cndmask_b32_e32 v2, 0, v6, vcc
	v_and_or_b32 v1, v1, s17, v2
	v_bfe_u32 v2, v2, 16, 1
	v_add3_u32 v2, v1, v2, s18
	v_cmp_o_f32_e32 vcc, v1, v1
	v_mov_b32_e32 v1, 0x7fc0
	v_cndmask_b32_sdwa v6, v1, v2, vcc dst_sel:DWORD dst_unused:UNUSED_PAD src0_sel:DWORD src1_sel:WORD_1
.LBB143_1454:
	s_mov_b64 s[16:17], 0
.LBB143_1455:
	s_andn2_b64 vcc, exec, s[16:17]
	s_cbranch_vccnz .LBB143_1457
; %bb.1456:
	global_load_ubyte v1, v[3:4], off
	s_movk_i32 s16, 0x7f00
	s_brev_b32 s17, 16
	s_brev_b32 s18, 1
	s_movk_i32 s19, 0x7fff
	s_waitcnt vmcnt(0)
	v_lshlrev_b16_e32 v2, 8, v1
	v_lshlrev_b32_e32 v1, 25, v1
	v_lshrrev_b32_e32 v6, 4, v1
	v_and_or_b32 v7, v2, s16, 0.5
	v_or_b32_e32 v6, 0x70000000, v6
	v_add_f32_e32 v7, -0.5, v7
	v_mul_f32_e32 v6, 0x7800000, v6
	v_cmp_gt_u32_e32 vcc, s17, v1
	v_bfe_i32 v2, v2, 0, 16
	v_cndmask_b32_e32 v1, v6, v7, vcc
	v_and_or_b32 v2, v2, s18, v1
	v_bfe_u32 v1, v1, 16, 1
	v_add3_u32 v1, v2, v1, s19
	v_cmp_o_f32_e32 vcc, v2, v2
	v_mov_b32_e32 v2, 0x7fc0
	v_cndmask_b32_sdwa v6, v2, v1, vcc dst_sel:DWORD dst_unused:UNUSED_PAD src0_sel:DWORD src1_sel:WORD_1
.LBB143_1457:
	s_mov_b64 s[16:17], 0
	s_mov_b64 s[18:19], -1
.LBB143_1458:
	s_andn2_b64 vcc, exec, s[16:17]
	s_mov_b64 s[16:17], 0
	s_cbranch_vccnz .LBB143_1469
; %bb.1459:
	s_cmp_gt_i32 s29, 14
	s_cbranch_scc0 .LBB143_1462
; %bb.1460:
	s_cmp_eq_u32 s29, 15
	s_cbranch_scc0 .LBB143_1465
; %bb.1461:
	global_load_ushort v6, v[3:4], off
	s_mov_b64 s[12:13], 0
	s_mov_b64 s[18:19], -1
	s_branch .LBB143_1466
.LBB143_1462:
	s_mov_b64 s[20:21], -1
                                        ; implicit-def: $vgpr6
	s_branch .LBB143_1467
.LBB143_1463:
	s_or_saveexec_b64 s[18:19], s[18:19]
	v_mov_b32_e32 v2, 0x7f800001
	s_xor_b64 exec, exec, s[18:19]
	s_cbranch_execz .LBB143_1444
.LBB143_1464:
	v_cmp_ne_u16_e32 vcc, 0, v1
	s_andn2_b64 s[16:17], s[16:17], exec
	s_and_b64 s[20:21], vcc, exec
	v_mov_b32_e32 v2, 0
	s_or_b64 s[16:17], s[16:17], s[20:21]
	s_or_b64 exec, exec, s[18:19]
	s_and_saveexec_b64 s[18:19], s[16:17]
	s_cbranch_execnz .LBB143_1445
	s_branch .LBB143_1446
.LBB143_1465:
	s_mov_b64 s[12:13], -1
                                        ; implicit-def: $vgpr6
.LBB143_1466:
	s_mov_b64 s[20:21], 0
.LBB143_1467:
	s_and_b64 vcc, exec, s[20:21]
	s_cbranch_vccz .LBB143_1469
; %bb.1468:
	s_cmp_lg_u32 s29, 11
	s_cselect_b64 s[20:21], -1, 0
	s_andn2_b64 s[12:13], s[12:13], exec
	s_and_b64 s[20:21], s[20:21], exec
	s_mov_b64 s[16:17], -1
	s_or_b64 s[12:13], s[12:13], s[20:21]
.LBB143_1469:
	s_mov_b64 s[20:21], 0
.LBB143_1470:
	s_andn2_b64 s[22:23], s[40:41], exec
	s_and_b64 s[12:13], s[12:13], exec
	s_and_b64 s[18:19], s[18:19], exec
	;; [unrolled: 1-line block ×4, first 2 shown]
	s_or_b64 s[40:41], s[22:23], s[12:13]
	s_or_b64 exec, exec, s[0:1]
	s_and_saveexec_b64 s[0:1], s[40:41]
	s_cbranch_execz .LBB143_1399
.LBB143_1471:
	s_or_b64 s[10:11], s[10:11], exec
	s_andn2_b64 s[16:17], s[16:17], exec
	s_trap 2
	s_or_b64 exec, exec, s[0:1]
	s_and_saveexec_b64 s[0:1], s[16:17]
	s_xor_b64 s[0:1], exec, s[0:1]
	s_cbranch_execnz .LBB143_1400
.LBB143_1472:
	s_or_b64 exec, exec, s[0:1]
	s_and_saveexec_b64 s[0:1], s[20:21]
	s_cbranch_execz .LBB143_1518
.LBB143_1473:
	s_sext_i32_i16 s12, s28
	s_cmp_lt_i32 s12, 5
	s_cbranch_scc1 .LBB143_1478
; %bb.1474:
	s_cmp_lt_i32 s12, 8
	s_cbranch_scc1 .LBB143_1479
; %bb.1475:
	;; [unrolled: 3-line block ×3, first 2 shown]
	s_cmp_gt_i32 s12, 9
	s_cbranch_scc0 .LBB143_1481
; %bb.1477:
	s_waitcnt vmcnt(0)
	global_load_dwordx2 v[1:2], v[3:4], off
	s_movk_i32 s12, 0x7fff
	s_waitcnt vmcnt(0)
	v_cvt_f32_f64_e32 v1, v[1:2]
	v_mov_b32_e32 v2, 0x7fc0
	v_bfe_u32 v6, v1, 16, 1
	v_cmp_o_f32_e32 vcc, v1, v1
	v_add3_u32 v1, v1, v6, s12
	v_cndmask_b32_sdwa v6, v2, v1, vcc dst_sel:DWORD dst_unused:UNUSED_PAD src0_sel:DWORD src1_sel:WORD_1
	s_mov_b64 s[12:13], 0
	s_branch .LBB143_1482
.LBB143_1478:
                                        ; implicit-def: $vgpr6
	s_branch .LBB143_1499
.LBB143_1479:
                                        ; implicit-def: $vgpr6
	s_branch .LBB143_1488
.LBB143_1480:
	s_mov_b64 s[12:13], -1
                                        ; implicit-def: $vgpr6
	s_branch .LBB143_1485
.LBB143_1481:
	s_mov_b64 s[12:13], -1
                                        ; implicit-def: $vgpr6
.LBB143_1482:
	s_andn2_b64 vcc, exec, s[12:13]
	s_cbranch_vccnz .LBB143_1484
; %bb.1483:
	s_waitcnt vmcnt(0)
	global_load_dword v1, v[3:4], off
	s_movk_i32 s12, 0x7fff
	v_mov_b32_e32 v2, 0x7fc0
	s_waitcnt vmcnt(0)
	v_bfe_u32 v6, v1, 16, 1
	v_cmp_o_f32_e32 vcc, v1, v1
	v_add3_u32 v1, v1, v6, s12
	v_cndmask_b32_sdwa v6, v2, v1, vcc dst_sel:DWORD dst_unused:UNUSED_PAD src0_sel:DWORD src1_sel:WORD_1
.LBB143_1484:
	s_mov_b64 s[12:13], 0
.LBB143_1485:
	s_andn2_b64 vcc, exec, s[12:13]
	s_cbranch_vccnz .LBB143_1487
; %bb.1486:
	s_waitcnt vmcnt(0)
	global_load_dword v1, v[3:4], off
	s_movk_i32 s12, 0x7fff
	v_mov_b32_e32 v6, 0x7fc0
	s_waitcnt vmcnt(0)
	v_cvt_f32_f16_e32 v2, v1
	v_cmp_o_f16_e32 vcc, v1, v1
	v_bfe_u32 v1, v2, 16, 1
	v_add3_u32 v1, v2, v1, s12
	v_cndmask_b32_sdwa v6, v6, v1, vcc dst_sel:DWORD dst_unused:UNUSED_PAD src0_sel:DWORD src1_sel:WORD_1
.LBB143_1487:
	s_cbranch_execnz .LBB143_1498
.LBB143_1488:
	s_sext_i32_i16 s12, s28
	s_cmp_lt_i32 s12, 6
	s_cbranch_scc1 .LBB143_1491
; %bb.1489:
	s_cmp_gt_i32 s12, 6
	s_cbranch_scc0 .LBB143_1492
; %bb.1490:
	s_waitcnt vmcnt(0)
	global_load_dwordx2 v[1:2], v[3:4], off
	s_movk_i32 s12, 0x7fff
	s_waitcnt vmcnt(0)
	v_cvt_f32_f64_e32 v1, v[1:2]
	v_mov_b32_e32 v2, 0x7fc0
	v_bfe_u32 v6, v1, 16, 1
	v_cmp_o_f32_e32 vcc, v1, v1
	v_add3_u32 v1, v1, v6, s12
	v_cndmask_b32_sdwa v6, v2, v1, vcc dst_sel:DWORD dst_unused:UNUSED_PAD src0_sel:DWORD src1_sel:WORD_1
	s_mov_b64 s[12:13], 0
	s_branch .LBB143_1493
.LBB143_1491:
	s_mov_b64 s[12:13], -1
                                        ; implicit-def: $vgpr6
	s_branch .LBB143_1496
.LBB143_1492:
	s_mov_b64 s[12:13], -1
                                        ; implicit-def: $vgpr6
.LBB143_1493:
	s_andn2_b64 vcc, exec, s[12:13]
	s_cbranch_vccnz .LBB143_1495
; %bb.1494:
	s_waitcnt vmcnt(0)
	global_load_dword v1, v[3:4], off
	s_movk_i32 s12, 0x7fff
	v_mov_b32_e32 v2, 0x7fc0
	s_waitcnt vmcnt(0)
	v_bfe_u32 v6, v1, 16, 1
	v_cmp_o_f32_e32 vcc, v1, v1
	v_add3_u32 v1, v1, v6, s12
	v_cndmask_b32_sdwa v6, v2, v1, vcc dst_sel:DWORD dst_unused:UNUSED_PAD src0_sel:DWORD src1_sel:WORD_1
.LBB143_1495:
	s_mov_b64 s[12:13], 0
.LBB143_1496:
	s_andn2_b64 vcc, exec, s[12:13]
	s_cbranch_vccnz .LBB143_1498
; %bb.1497:
	s_waitcnt vmcnt(0)
	global_load_ushort v1, v[3:4], off
	s_movk_i32 s12, 0x7fff
	v_mov_b32_e32 v6, 0x7fc0
	s_waitcnt vmcnt(0)
	v_cvt_f32_f16_e32 v2, v1
	v_cmp_o_f16_e32 vcc, v1, v1
	v_bfe_u32 v1, v2, 16, 1
	v_add3_u32 v1, v2, v1, s12
	v_cndmask_b32_sdwa v6, v6, v1, vcc dst_sel:DWORD dst_unused:UNUSED_PAD src0_sel:DWORD src1_sel:WORD_1
.LBB143_1498:
	s_cbranch_execnz .LBB143_1517
.LBB143_1499:
	s_sext_i32_i16 s12, s28
	s_cmp_lt_i32 s12, 2
	s_cbranch_scc1 .LBB143_1503
; %bb.1500:
	s_cmp_lt_i32 s12, 3
	s_cbranch_scc1 .LBB143_1504
; %bb.1501:
	s_cmp_gt_i32 s12, 3
	s_cbranch_scc0 .LBB143_1505
; %bb.1502:
	s_waitcnt vmcnt(0)
	global_load_dwordx2 v[1:2], v[3:4], off
	s_movk_i32 s12, 0x7fff
	s_waitcnt vmcnt(0)
	v_xor_b32_e32 v7, v1, v2
	v_ffbh_i32_e32 v6, v2
	v_ashrrev_i32_e32 v7, 31, v7
	v_add_u32_e32 v6, -1, v6
	v_add_u32_e32 v7, 32, v7
	v_min_u32_e32 v6, v6, v7
	v_lshlrev_b64 v[1:2], v6, v[1:2]
	v_min_u32_e32 v1, 1, v1
	v_or_b32_e32 v1, v2, v1
	v_cvt_f32_i32_e32 v1, v1
	v_sub_u32_e32 v2, 32, v6
	v_ldexp_f32 v1, v1, v2
	v_bfe_u32 v2, v1, 16, 1
	v_add3_u32 v1, v1, v2, s12
	v_lshrrev_b32_e32 v6, 16, v1
	s_mov_b64 s[12:13], 0
	s_branch .LBB143_1506
.LBB143_1503:
                                        ; implicit-def: $vgpr6
	s_branch .LBB143_1512
.LBB143_1504:
	s_mov_b64 s[12:13], -1
                                        ; implicit-def: $vgpr6
	s_branch .LBB143_1509
.LBB143_1505:
	s_mov_b64 s[12:13], -1
                                        ; implicit-def: $vgpr6
.LBB143_1506:
	s_andn2_b64 vcc, exec, s[12:13]
	s_cbranch_vccnz .LBB143_1508
; %bb.1507:
	s_waitcnt vmcnt(0)
	global_load_dword v1, v[3:4], off
	s_movk_i32 s12, 0x7fff
	s_waitcnt vmcnt(0)
	v_cvt_f32_i32_e32 v1, v1
	v_bfe_u32 v2, v1, 16, 1
	v_add3_u32 v1, v1, v2, s12
	v_lshrrev_b32_e32 v6, 16, v1
.LBB143_1508:
	s_mov_b64 s[12:13], 0
.LBB143_1509:
	s_andn2_b64 vcc, exec, s[12:13]
	s_cbranch_vccnz .LBB143_1511
; %bb.1510:
	s_waitcnt vmcnt(0)
	global_load_sshort v1, v[3:4], off
	s_movk_i32 s12, 0x7fff
	s_waitcnt vmcnt(0)
	v_cvt_f32_i32_e32 v1, v1
	v_bfe_u32 v2, v1, 16, 1
	v_add3_u32 v1, v1, v2, s12
	v_lshrrev_b32_e32 v6, 16, v1
.LBB143_1511:
	s_cbranch_execnz .LBB143_1517
.LBB143_1512:
	s_sext_i32_i16 s12, s28
	s_cmp_gt_i32 s12, 0
	s_cbranch_scc0 .LBB143_1514
; %bb.1513:
	s_waitcnt vmcnt(0)
	global_load_sbyte v1, v[3:4], off
	s_movk_i32 s12, 0x7fff
	s_waitcnt vmcnt(0)
	v_cvt_f32_i32_e32 v1, v1
	v_bfe_u32 v2, v1, 16, 1
	v_add3_u32 v1, v1, v2, s12
	v_lshrrev_b32_e32 v6, 16, v1
	s_mov_b64 s[12:13], 0
	s_branch .LBB143_1515
.LBB143_1514:
	s_mov_b64 s[12:13], -1
                                        ; implicit-def: $vgpr6
.LBB143_1515:
	s_andn2_b64 vcc, exec, s[12:13]
	s_cbranch_vccnz .LBB143_1517
; %bb.1516:
	s_waitcnt vmcnt(0)
	global_load_ubyte v1, v[3:4], off
	s_movk_i32 s12, 0x7fff
	s_waitcnt vmcnt(0)
	v_cvt_f32_ubyte0_e32 v1, v1
	v_bfe_u32 v2, v1, 16, 1
	v_add3_u32 v1, v1, v2, s12
	v_lshrrev_b32_e32 v6, 16, v1
.LBB143_1517:
	s_or_b64 s[18:19], s[18:19], exec
.LBB143_1518:
	s_or_b64 exec, exec, s[0:1]
	s_mov_b64 s[22:23], 0
	s_mov_b64 s[20:21], 0
                                        ; implicit-def: $sgpr12_sgpr13
                                        ; implicit-def: $sgpr28
                                        ; implicit-def: $vgpr1_vgpr2
	s_and_saveexec_b64 s[16:17], s[18:19]
	s_cbranch_execz .LBB143_1523
; %bb.1519:
	s_waitcnt vmcnt(0)
	v_lshlrev_b32_e32 v1, 16, v5
	v_lshlrev_b32_e32 v2, 16, v6
	s_cmp_lt_i32 s14, 1
	s_mov_b64 s[0:1], 0
	s_cbranch_scc1 .LBB143_1526
; %bb.1520:
	s_cmp_gt_i32 s14, 1
	s_cbranch_scc0 .LBB143_1527
; %bb.1521:
	s_cmp_eq_u32 s14, 2
	s_cbranch_scc0 .LBB143_1528
; %bb.1522:
	v_cmp_le_f32_e64 s[12:13], v1, v2
	s_mov_b64 s[18:19], 0
	s_branch .LBB143_1530
.LBB143_1523:
	s_or_b64 exec, exec, s[16:17]
	s_and_saveexec_b64 s[0:1], s[38:39]
	s_cbranch_execnz .LBB143_1615
.LBB143_1524:
	s_or_b64 exec, exec, s[0:1]
	s_and_saveexec_b64 s[0:1], s[22:23]
	s_xor_b64 s[0:1], exec, s[0:1]
	s_cbranch_execz .LBB143_1616
.LBB143_1525:
	v_cndmask_b32_e64 v0, 0, 1, s[12:13]
	global_store_byte v[1:2], v0, off
	s_or_b64 exec, exec, s[0:1]
	s_and_saveexec_b64 s[0:1], s[20:21]
	s_xor_b64 s[0:1], exec, s[0:1]
	s_cbranch_execz .LBB143_1654
	s_branch .LBB143_1617
.LBB143_1526:
                                        ; implicit-def: $sgpr12_sgpr13
	s_mov_b64 s[18:19], 0
	s_cbranch_execnz .LBB143_1533
	s_branch .LBB143_1534
.LBB143_1527:
	s_mov_b64 s[20:21], -1
	s_mov_b64 s[18:19], 0
	s_branch .LBB143_1529
.LBB143_1528:
	s_mov_b64 s[18:19], -1
.LBB143_1529:
                                        ; implicit-def: $sgpr12_sgpr13
.LBB143_1530:
	s_and_b64 vcc, exec, s[20:21]
	s_cbranch_vccz .LBB143_1532
; %bb.1531:
	v_cmp_gt_f32_e32 vcc, v1, v2
	s_andn2_b64 s[12:13], s[12:13], exec
	s_and_b64 s[20:21], vcc, exec
	s_or_b64 s[12:13], s[12:13], s[20:21]
.LBB143_1532:
	s_branch .LBB143_1534
.LBB143_1533:
	s_cmp_lg_u32 s14, 0
	s_mov_b64 s[0:1], -1
	s_cselect_b64 s[18:19], -1, 0
.LBB143_1534:
	s_andn2_b64 vcc, exec, s[18:19]
	s_cbranch_vccnz .LBB143_1536
; %bb.1535:
	v_cmp_lt_f32_e32 vcc, v1, v2
	s_andn2_b64 s[12:13], s[12:13], exec
	s_and_b64 s[18:19], vcc, exec
	s_or_b64 s[12:13], s[12:13], s[18:19]
	s_cbranch_execz .LBB143_1537
	s_branch .LBB143_1538
.LBB143_1536:
	s_andn2_b64 vcc, exec, s[0:1]
	s_cbranch_vccnz .LBB143_1538
.LBB143_1537:
	v_cmp_ge_f32_e32 vcc, v1, v2
	s_andn2_b64 s[0:1], s[12:13], exec
	s_and_b64 s[12:13], vcc, exec
	s_or_b64 s[12:13], s[0:1], s[12:13]
.LBB143_1538:
	v_mov_b32_e32 v2, s9
	s_and_b32 s28, s15, 0xff
	v_add_co_u32_e32 v1, vcc, s8, v0
	s_cmp_lt_i32 s28, 11
	v_addc_co_u32_e32 v2, vcc, 0, v2, vcc
	s_cbranch_scc1 .LBB143_1612
; %bb.1539:
	s_and_b32 s22, 0xffff, s28
	s_mov_b64 s[14:15], -1
	s_cmp_gt_i32 s22, 25
	s_mov_b64 s[0:1], s[38:39]
	s_cbranch_scc0 .LBB143_1572
; %bb.1540:
	s_mov_b64 s[8:9], -1
	s_cmp_gt_i32 s22, 28
	s_mov_b64 s[0:1], s[38:39]
	s_cbranch_scc0 .LBB143_1556
; %bb.1541:
	s_cmp_gt_i32 s22, 43
	s_mov_b64 s[0:1], s[38:39]
	s_cbranch_scc0 .LBB143_1552
; %bb.1542:
	;; [unrolled: 4-line block ×3, first 2 shown]
	s_cmp_eq_u32 s22, 46
	s_mov_b64 s[0:1], -1
	s_cbranch_scc0 .LBB143_1545
; %bb.1544:
	v_cndmask_b32_e64 v0, 0, 1.0, s[12:13]
	v_bfe_u32 v3, v0, 16, 1
	s_movk_i32 s0, 0x7fff
	v_add3_u32 v0, v0, v3, s0
	v_lshrrev_b32_e32 v0, 16, v0
	global_store_dword v[1:2], v0, off
	s_mov_b64 s[0:1], 0
.LBB143_1545:
	s_mov_b64 s[8:9], 0
.LBB143_1546:
	s_and_b64 vcc, exec, s[8:9]
	s_cbranch_vccz .LBB143_1551
; %bb.1547:
	s_cmp_eq_u32 s22, 44
	s_mov_b64 s[0:1], -1
	s_cbranch_scc0 .LBB143_1551
; %bb.1548:
	v_cndmask_b32_e64 v3, 0, 1.0, s[12:13]
	v_lshrrev_b32_e32 v0, 23, v3
	s_movk_i32 s0, 0xff
	v_cmp_ne_u32_e32 vcc, s0, v0
	v_mov_b32_e32 v4, 0xff
	s_and_saveexec_b64 s[8:9], vcc
; %bb.1549:
	s_mov_b32 s0, 0x3fffff
	v_and_b32_e32 v4, 0x400000, v3
	v_and_or_b32 v3, v3, s0, v0
	v_cmp_ne_u32_e32 vcc, 0, v4
	v_cmp_ne_u32_e64 s[0:1], 0, v3
	s_and_b64 s[0:1], vcc, s[0:1]
	v_cndmask_b32_e64 v3, 0, 1, s[0:1]
	v_add_u32_e32 v4, v0, v3
; %bb.1550:
	s_or_b64 exec, exec, s[8:9]
	s_mov_b64 s[0:1], 0
	global_store_byte v[1:2], v4, off
.LBB143_1551:
	s_mov_b64 s[8:9], 0
.LBB143_1552:
	s_and_b64 vcc, exec, s[8:9]
	s_cbranch_vccz .LBB143_1555
; %bb.1553:
	s_cmp_eq_u32 s22, 29
	s_mov_b64 s[0:1], -1
	s_cbranch_scc0 .LBB143_1555
; %bb.1554:
	s_mov_b32 s0, 0
	v_cndmask_b32_e64 v3, 0, 1, s[12:13]
	v_mov_b32_e32 v4, s0
	global_store_dwordx2 v[1:2], v[3:4], off
	s_mov_b64 s[0:1], 0
.LBB143_1555:
	s_mov_b64 s[8:9], 0
.LBB143_1556:
	s_and_b64 vcc, exec, s[8:9]
	s_cbranch_vccz .LBB143_1571
; %bb.1557:
	s_cmp_lt_i32 s22, 27
	s_mov_b64 s[8:9], -1
	s_cbranch_scc1 .LBB143_1563
; %bb.1558:
	s_cmp_gt_i32 s22, 27
	s_cbranch_scc0 .LBB143_1560
; %bb.1559:
	v_cndmask_b32_e64 v0, 0, 1, s[12:13]
	s_mov_b64 s[8:9], 0
	global_store_dword v[1:2], v0, off
.LBB143_1560:
	s_andn2_b64 vcc, exec, s[8:9]
	s_cbranch_vccnz .LBB143_1562
; %bb.1561:
	v_cndmask_b32_e64 v0, 0, 1, s[12:13]
	global_store_short v[1:2], v0, off
.LBB143_1562:
	s_mov_b64 s[8:9], 0
.LBB143_1563:
	s_andn2_b64 vcc, exec, s[8:9]
	s_cbranch_vccnz .LBB143_1571
; %bb.1564:
	v_cndmask_b32_e64 v3, 0, 1.0, s[12:13]
	s_mov_b32 s8, 0x43800000
	v_cmp_gt_u32_e32 vcc, s8, v3
	v_mov_b32_e32 v4, 0x80
	s_and_saveexec_b64 s[8:9], vcc
	s_cbranch_execz .LBB143_1570
; %bb.1565:
	s_mov_b32 s14, 0x3bffffff
	v_cmp_lt_u32_e32 vcc, s14, v3
	s_mov_b64 s[14:15], 0
                                        ; implicit-def: $vgpr0
	s_and_saveexec_b64 s[18:19], vcc
	s_xor_b64 s[18:19], exec, s[18:19]
	s_cbranch_execz .LBB143_1713
; %bb.1566:
	v_bfe_u32 v0, v3, 20, 1
	s_mov_b32 s20, 0x487ffff
	v_add3_u32 v0, v3, v0, s20
	s_mov_b64 s[14:15], exec
	v_lshrrev_b32_e32 v0, 20, v0
                                        ; implicit-def: $vgpr3
	s_andn2_saveexec_b64 s[18:19], s[18:19]
	s_cbranch_execnz .LBB143_1714
.LBB143_1567:
	s_or_b64 exec, exec, s[18:19]
	v_mov_b32_e32 v4, 0
	s_and_saveexec_b64 s[18:19], s[14:15]
.LBB143_1568:
	v_mov_b32_e32 v4, v0
.LBB143_1569:
	s_or_b64 exec, exec, s[18:19]
.LBB143_1570:
	s_or_b64 exec, exec, s[8:9]
	global_store_byte v[1:2], v4, off
.LBB143_1571:
	s_mov_b64 s[14:15], 0
.LBB143_1572:
	s_mov_b64 s[8:9], 0
	s_and_b64 vcc, exec, s[14:15]
	s_cbranch_vccz .LBB143_1613
; %bb.1573:
	s_cmp_gt_i32 s22, 22
	s_mov_b64 s[14:15], -1
	s_cbranch_scc0 .LBB143_1605
; %bb.1574:
	s_cmp_lt_i32 s22, 24
	s_cbranch_scc1 .LBB143_1594
; %bb.1575:
	s_cmp_gt_i32 s22, 24
	s_cbranch_scc0 .LBB143_1583
; %bb.1576:
	v_cndmask_b32_e64 v3, 0, 1.0, s[12:13]
	s_mov_b32 s14, 0x47800000
	v_cmp_gt_u32_e32 vcc, s14, v3
	v_mov_b32_e32 v4, 0x80
	s_and_saveexec_b64 s[14:15], vcc
	s_cbranch_execz .LBB143_1582
; %bb.1577:
	s_mov_b32 s18, 0x37ffffff
	v_cmp_lt_u32_e32 vcc, s18, v3
	s_mov_b64 s[18:19], 0
                                        ; implicit-def: $vgpr0
	s_and_saveexec_b64 s[20:21], vcc
	s_xor_b64 s[20:21], exec, s[20:21]
	s_cbranch_execz .LBB143_1837
; %bb.1578:
	v_bfe_u32 v0, v3, 21, 1
	s_mov_b32 s23, 0x88fffff
	v_add3_u32 v0, v3, v0, s23
	s_mov_b64 s[18:19], exec
	v_lshrrev_b32_e32 v0, 21, v0
                                        ; implicit-def: $vgpr3
	s_andn2_saveexec_b64 s[20:21], s[20:21]
	s_cbranch_execnz .LBB143_1838
.LBB143_1579:
	s_or_b64 exec, exec, s[20:21]
	v_mov_b32_e32 v4, 0
	s_and_saveexec_b64 s[20:21], s[18:19]
.LBB143_1580:
	v_mov_b32_e32 v4, v0
.LBB143_1581:
	s_or_b64 exec, exec, s[20:21]
.LBB143_1582:
	s_or_b64 exec, exec, s[14:15]
	s_mov_b64 s[14:15], 0
	global_store_byte v[1:2], v4, off
.LBB143_1583:
	s_and_b64 vcc, exec, s[14:15]
	s_cbranch_vccz .LBB143_1593
; %bb.1584:
	v_cndmask_b32_e64 v0, 0, 1.0, s[12:13]
	s_mov_b32 s14, 0x43f00000
	v_cmp_gt_u32_e32 vcc, s14, v0
                                        ; implicit-def: $vgpr3
	s_and_saveexec_b64 s[14:15], vcc
	s_xor_b64 s[14:15], exec, s[14:15]
	s_cbranch_execz .LBB143_1590
; %bb.1585:
	s_mov_b32 s18, 0x3c7fffff
	v_cmp_lt_u32_e32 vcc, s18, v0
                                        ; implicit-def: $vgpr3
	s_and_saveexec_b64 s[18:19], vcc
	s_xor_b64 s[18:19], exec, s[18:19]
; %bb.1586:
	v_bfe_u32 v3, v0, 20, 1
	s_mov_b32 s20, 0x407ffff
	v_add3_u32 v0, v0, v3, s20
	v_lshrrev_b32_e32 v3, 20, v0
	v_and_b32_e32 v0, 0xff00000, v0
	s_mov_b32 s20, 0x7f00000
	v_mov_b32_e32 v4, 0x7e
	v_cmp_ne_u32_e32 vcc, s20, v0
	v_cndmask_b32_e32 v3, v4, v3, vcc
                                        ; implicit-def: $vgpr0
; %bb.1587:
	s_andn2_saveexec_b64 s[18:19], s[18:19]
; %bb.1588:
	v_add_f32_e32 v3, 0x46800000, v0
; %bb.1589:
	s_or_b64 exec, exec, s[18:19]
                                        ; implicit-def: $vgpr0
.LBB143_1590:
	s_andn2_saveexec_b64 s[14:15], s[14:15]
; %bb.1591:
	s_mov_b32 s18, 0x7f800000
	v_mov_b32_e32 v3, 0x7e
	v_mov_b32_e32 v4, 0x7f
	v_cmp_lt_u32_e32 vcc, s18, v0
	v_cndmask_b32_e32 v3, v3, v4, vcc
; %bb.1592:
	s_or_b64 exec, exec, s[14:15]
	global_store_byte v[1:2], v3, off
.LBB143_1593:
	s_mov_b64 s[14:15], 0
.LBB143_1594:
	s_andn2_b64 vcc, exec, s[14:15]
	s_cbranch_vccnz .LBB143_1604
; %bb.1595:
	v_cndmask_b32_e64 v0, 0, 1.0, s[12:13]
	s_mov_b32 s14, 0x47800000
	v_cmp_gt_u32_e32 vcc, s14, v0
                                        ; implicit-def: $vgpr3
	s_and_saveexec_b64 s[14:15], vcc
	s_xor_b64 s[14:15], exec, s[14:15]
	s_cbranch_execz .LBB143_1601
; %bb.1596:
	s_mov_b32 s18, 0x387fffff
	v_cmp_lt_u32_e32 vcc, s18, v0
                                        ; implicit-def: $vgpr3
	s_and_saveexec_b64 s[18:19], vcc
	s_xor_b64 s[18:19], exec, s[18:19]
; %bb.1597:
	v_bfe_u32 v3, v0, 21, 1
	s_mov_b32 s20, 0x80fffff
	v_add3_u32 v0, v0, v3, s20
	v_lshrrev_b32_e32 v3, 21, v0
                                        ; implicit-def: $vgpr0
; %bb.1598:
	s_andn2_saveexec_b64 s[18:19], s[18:19]
; %bb.1599:
	v_add_f32_e32 v3, 0x43000000, v0
; %bb.1600:
	s_or_b64 exec, exec, s[18:19]
                                        ; implicit-def: $vgpr0
.LBB143_1601:
	s_andn2_saveexec_b64 s[14:15], s[14:15]
; %bb.1602:
	s_mov_b32 s18, 0x7f800000
	v_mov_b32_e32 v3, 0x7c
	v_mov_b32_e32 v4, 0x7f
	v_cmp_lt_u32_e32 vcc, s18, v0
	v_cndmask_b32_e32 v3, v3, v4, vcc
; %bb.1603:
	s_or_b64 exec, exec, s[14:15]
	global_store_byte v[1:2], v3, off
.LBB143_1604:
	s_mov_b64 s[14:15], 0
.LBB143_1605:
	s_andn2_b64 vcc, exec, s[14:15]
	s_mov_b64 s[14:15], 0
	s_cbranch_vccnz .LBB143_1614
; %bb.1606:
	s_cmp_gt_i32 s22, 14
	s_mov_b64 s[18:19], -1
	s_cbranch_scc0 .LBB143_1610
; %bb.1607:
	s_cmp_eq_u32 s22, 15
	s_mov_b64 s[0:1], -1
	s_cbranch_scc0 .LBB143_1609
; %bb.1608:
	v_cndmask_b32_e64 v0, 0, 1.0, s[12:13]
	v_bfe_u32 v3, v0, 16, 1
	s_movk_i32 s0, 0x7fff
	v_add3_u32 v0, v0, v3, s0
	global_store_short_d16_hi v[1:2], v0, off
	s_mov_b64 s[0:1], 0
.LBB143_1609:
	s_mov_b64 s[18:19], 0
.LBB143_1610:
	s_and_b64 vcc, exec, s[18:19]
	s_cbranch_vccz .LBB143_1614
; %bb.1611:
	s_cmp_lg_u32 s22, 11
	s_cselect_b64 s[18:19], -1, 0
	s_andn2_b64 s[0:1], s[0:1], exec
	s_and_b64 s[18:19], s[18:19], exec
	s_mov_b64 s[14:15], -1
	s_or_b64 s[0:1], s[0:1], s[18:19]
	s_branch .LBB143_1614
.LBB143_1612:
	s_mov_b64 s[14:15], 0
	s_mov_b64 s[8:9], -1
	s_mov_b64 s[0:1], s[38:39]
	s_branch .LBB143_1614
.LBB143_1613:
	s_mov_b64 s[14:15], 0
.LBB143_1614:
	s_and_b64 s[20:21], s[8:9], exec
	s_andn2_b64 s[8:9], s[38:39], exec
	s_and_b64 s[0:1], s[0:1], exec
	s_and_b64 s[22:23], s[14:15], exec
	s_or_b64 s[38:39], s[8:9], s[0:1]
	s_or_b64 exec, exec, s[16:17]
	s_and_saveexec_b64 s[0:1], s[38:39]
	s_cbranch_execz .LBB143_1524
.LBB143_1615:
	s_or_b64 s[10:11], s[10:11], exec
	s_andn2_b64 s[22:23], s[22:23], exec
	s_trap 2
	s_or_b64 exec, exec, s[0:1]
	s_and_saveexec_b64 s[0:1], s[22:23]
	s_xor_b64 s[0:1], exec, s[0:1]
	s_cbranch_execnz .LBB143_1525
.LBB143_1616:
	s_or_b64 exec, exec, s[0:1]
	s_and_saveexec_b64 s[0:1], s[20:21]
	s_xor_b64 s[0:1], exec, s[0:1]
	s_cbranch_execz .LBB143_1654
.LBB143_1617:
	s_sext_i32_i16 s14, s28
	s_cmp_lt_i32 s14, 5
	s_mov_b64 s[8:9], -1
	s_cbranch_scc1 .LBB143_1638
; %bb.1618:
	s_cmp_lt_i32 s14, 8
	s_cbranch_scc1 .LBB143_1628
; %bb.1619:
	s_cmp_lt_i32 s14, 9
	s_cbranch_scc1 .LBB143_1625
; %bb.1620:
	s_cmp_gt_i32 s14, 9
	s_cbranch_scc0 .LBB143_1622
; %bb.1621:
	v_cndmask_b32_e64 v0, 0, 1, s[12:13]
	s_waitcnt vmcnt(0)
	v_cvt_f64_u32_e32 v[3:4], v0
	v_mov_b32_e32 v5, 0
	v_mov_b32_e32 v6, v5
	s_mov_b64 s[8:9], 0
	global_store_dwordx4 v[1:2], v[3:6], off
.LBB143_1622:
	s_andn2_b64 vcc, exec, s[8:9]
	s_cbranch_vccnz .LBB143_1624
; %bb.1623:
	s_waitcnt vmcnt(0)
	v_cndmask_b32_e64 v3, 0, 1.0, s[12:13]
	v_mov_b32_e32 v4, 0
	global_store_dwordx2 v[1:2], v[3:4], off
.LBB143_1624:
	s_mov_b64 s[8:9], 0
.LBB143_1625:
	s_andn2_b64 vcc, exec, s[8:9]
	s_cbranch_vccnz .LBB143_1627
; %bb.1626:
	v_cndmask_b32_e64 v0, 0, 1.0, s[12:13]
	v_cvt_f16_f32_e32 v0, v0
	global_store_dword v[1:2], v0, off
.LBB143_1627:
	s_mov_b64 s[8:9], 0
.LBB143_1628:
	s_andn2_b64 vcc, exec, s[8:9]
	s_cbranch_vccnz .LBB143_1637
; %bb.1629:
	s_sext_i32_i16 s14, s28
	s_cmp_lt_i32 s14, 6
	s_mov_b64 s[8:9], -1
	s_cbranch_scc1 .LBB143_1635
; %bb.1630:
	s_cmp_gt_i32 s14, 6
	s_cbranch_scc0 .LBB143_1632
; %bb.1631:
	v_cndmask_b32_e64 v0, 0, 1, s[12:13]
	s_waitcnt vmcnt(0)
	v_cvt_f64_u32_e32 v[3:4], v0
	s_mov_b64 s[8:9], 0
	global_store_dwordx2 v[1:2], v[3:4], off
.LBB143_1632:
	s_andn2_b64 vcc, exec, s[8:9]
	s_cbranch_vccnz .LBB143_1634
; %bb.1633:
	v_cndmask_b32_e64 v0, 0, 1.0, s[12:13]
	global_store_dword v[1:2], v0, off
.LBB143_1634:
	s_mov_b64 s[8:9], 0
.LBB143_1635:
	s_andn2_b64 vcc, exec, s[8:9]
	s_cbranch_vccnz .LBB143_1637
; %bb.1636:
	v_cndmask_b32_e64 v0, 0, 1.0, s[12:13]
	v_cvt_f16_f32_e32 v0, v0
	global_store_short v[1:2], v0, off
.LBB143_1637:
	s_mov_b64 s[8:9], 0
.LBB143_1638:
	s_andn2_b64 vcc, exec, s[8:9]
	s_cbranch_vccnz .LBB143_1654
; %bb.1639:
	s_sext_i32_i16 s14, s28
	s_cmp_lt_i32 s14, 2
	s_mov_b64 s[8:9], -1
	s_cbranch_scc1 .LBB143_1649
; %bb.1640:
	s_cmp_lt_i32 s14, 3
	s_cbranch_scc1 .LBB143_1646
; %bb.1641:
	s_cmp_gt_i32 s14, 3
	s_cbranch_scc0 .LBB143_1643
; %bb.1642:
	s_mov_b32 s8, 0
	s_waitcnt vmcnt(0)
	v_cndmask_b32_e64 v3, 0, 1, s[12:13]
	v_mov_b32_e32 v4, s8
	s_mov_b64 s[8:9], 0
	global_store_dwordx2 v[1:2], v[3:4], off
.LBB143_1643:
	s_andn2_b64 vcc, exec, s[8:9]
	s_cbranch_vccnz .LBB143_1645
; %bb.1644:
	v_cndmask_b32_e64 v0, 0, 1, s[12:13]
	global_store_dword v[1:2], v0, off
.LBB143_1645:
	s_mov_b64 s[8:9], 0
.LBB143_1646:
	s_andn2_b64 vcc, exec, s[8:9]
	s_cbranch_vccnz .LBB143_1648
; %bb.1647:
	v_cndmask_b32_e64 v0, 0, 1, s[12:13]
	global_store_short v[1:2], v0, off
.LBB143_1648:
	s_mov_b64 s[8:9], 0
.LBB143_1649:
	s_andn2_b64 vcc, exec, s[8:9]
	s_cbranch_vccnz .LBB143_1654
; %bb.1650:
	s_sext_i32_i16 s14, s28
	s_mov_b64 s[8:9], -1
	s_cmp_gt_i32 s14, 0
	v_cndmask_b32_e64 v0, 0, 1, s[12:13]
	s_cbranch_scc0 .LBB143_1652
; %bb.1651:
	s_mov_b64 s[8:9], 0
	global_store_byte v[1:2], v0, off
.LBB143_1652:
	s_andn2_b64 vcc, exec, s[8:9]
	s_cbranch_vccnz .LBB143_1654
; %bb.1653:
	global_store_byte v[1:2], v0, off
.LBB143_1654:
	s_or_b64 exec, exec, s[0:1]
	s_and_b64 s[12:13], s[10:11], exec
                                        ; implicit-def: $vgpr23
                                        ; implicit-def: $vgpr8
.LBB143_1655:
	s_or_saveexec_b64 s[14:15], s[26:27]
	s_mov_b64 s[0:1], 0
                                        ; implicit-def: $sgpr10_sgpr11
                                        ; implicit-def: $vgpr0_vgpr1
                                        ; implicit-def: $sgpr26
	s_xor_b64 exec, exec, s[14:15]
	s_cbranch_execz .LBB143_2790
; %bb.1656:
	v_cndmask_b32_e64 v0, 0, 1, s[24:25]
	v_cmp_ne_u32_e64 s[0:1], 1, v0
	s_andn2_b64 vcc, exec, s[24:25]
	s_cbranch_vccnz .LBB143_1662
; %bb.1657:
	s_cmp_lg_u32 s33, 0
	s_cbranch_scc0 .LBB143_1663
; %bb.1658:
	s_min_u32 s8, s70, 15
	s_add_i32 s6, s8, 1
	s_and_b32 s9, s6, 30
	s_add_u32 s6, s2, 0xffffffe8
	s_addc_u32 s7, s3, -1
	v_mov_b32_e32 v19, 0
	v_mov_b32_e32 v21, 0
	s_waitcnt vmcnt(0)
	v_mov_b32_e32 v6, 0
	v_mov_b32_e32 v0, v8
.LBB143_1659:                           ; =>This Inner Loop Header: Depth=1
	s_load_dwordx4 s[16:19], s[6:7], 0x1c
	s_load_dwordx2 s[10:11], s[6:7], 0x2c
	s_load_dwordx2 s[24:25], s[6:7], 0xec
	s_load_dwordx4 s[20:23], s[6:7], 0xdc
	s_add_u32 s6, s6, 24
	s_waitcnt lgkmcnt(0)
	v_mul_hi_u32 v1, s17, v0
	s_addc_u32 s7, s7, 0
	s_add_i32 s9, s9, -2
	s_cmp_lg_u32 s9, 0
	v_add_u32_e32 v1, v0, v1
	v_lshrrev_b32_e32 v1, s18, v1
	v_mul_lo_u32 v2, v1, s16
	v_mul_hi_u32 v3, s10, v1
	v_sub_u32_e32 v2, v0, v2
	v_add_u32_e32 v0, v1, v3
	v_lshrrev_b32_e32 v0, s11, v0
	v_mul_lo_u32 v5, v0, s19
	v_mul_lo_u32 v3, v2, s20
	;; [unrolled: 1-line block ×4, first 2 shown]
	v_sub_u32_e32 v1, v1, v5
	v_mul_lo_u32 v5, v1, s23
	v_mul_lo_u32 v7, v1, s24
	;; [unrolled: 1-line block ×3, first 2 shown]
	v_add3_u32 v6, v3, v6, v5
	v_add3_u32 v21, v4, v21, v7
	;; [unrolled: 1-line block ×3, first 2 shown]
	s_cbranch_scc1 .LBB143_1659
; %bb.1660:
	s_bitcmp1_b32 s8, 0
	s_cselect_b64 s[8:9], -1, 0
	s_and_b64 vcc, exec, s[8:9]
	s_cbranch_vccnz .LBB143_1664
; %bb.1661:
	s_load_dwordx2 s[8:9], s[6:7], 0x1c
	s_load_dword s16, s[6:7], 0x24
	s_load_dwordx2 s[10:11], s[6:7], 0xdc
	s_waitcnt lgkmcnt(0)
	v_mul_hi_u32 v1, s9, v0
	v_add_u32_e32 v1, v0, v1
	v_lshrrev_b32_e32 v1, s16, v1
	v_mul_lo_u32 v1, v1, s8
	s_load_dword s8, s[6:7], 0xe4
	v_sub_u32_e32 v0, v0, v1
	v_mad_u64_u32 v[6:7], s[6:7], v0, s10, v[6:7]
	v_mad_u64_u32 v[21:22], s[6:7], v0, s11, v[21:22]
	s_waitcnt lgkmcnt(0)
	v_mad_u64_u32 v[19:20], s[6:7], v0, s8, v[19:20]
	s_cbranch_execz .LBB143_1665
	s_branch .LBB143_1667
.LBB143_1662:
                                        ; implicit-def: $vgpr6
                                        ; implicit-def: $vgpr21
                                        ; implicit-def: $vgpr19
	s_branch .LBB143_1665
.LBB143_1663:
	s_waitcnt vmcnt(0)
	v_mov_b32_e32 v6, 0
	v_mov_b32_e32 v21, 0
	;; [unrolled: 1-line block ×3, first 2 shown]
.LBB143_1664:
	s_cbranch_execnz .LBB143_1667
.LBB143_1665:
	s_load_dwordx4 s[8:11], s[2:3], 0x4
	s_load_dwordx4 s[16:19], s[2:3], 0xc4
	s_cmp_lt_u32 s33, 2
	s_waitcnt lgkmcnt(0)
	v_mul_hi_u32 v0, s9, v8
	v_add_u32_e32 v0, v8, v0
	v_lshrrev_b32_e32 v0, s10, v0
	v_mul_lo_u32 v1, v0, s8
	v_sub_u32_e32 v1, v8, v1
	s_waitcnt vmcnt(0)
	v_mul_lo_u32 v6, v1, s16
	v_mul_lo_u32 v21, v1, s17
	;; [unrolled: 1-line block ×3, first 2 shown]
	s_cbranch_scc1 .LBB143_1667
; %bb.1666:
	s_load_dwordx4 s[8:11], s[2:3], 0x10
	s_load_dwordx4 s[16:19], s[2:3], 0xd0
	s_waitcnt lgkmcnt(0)
	v_mul_hi_u32 v1, s9, v0
	v_add_u32_e32 v1, v0, v1
	v_lshrrev_b32_e32 v1, s10, v1
	v_mul_lo_u32 v1, v1, s8
	v_sub_u32_e32 v0, v0, v1
	v_mad_u64_u32 v[6:7], s[6:7], v0, s16, v[6:7]
	v_mad_u64_u32 v[21:22], s[6:7], v0, s17, v[21:22]
	;; [unrolled: 1-line block ×3, first 2 shown]
.LBB143_1667:
	s_and_b64 vcc, exec, s[0:1]
	v_add_u32_e32 v0, 0x80, v8
	s_cbranch_vccnz .LBB143_1673
; %bb.1668:
	s_cmp_lg_u32 s33, 0
	s_cbranch_scc0 .LBB143_1674
; %bb.1669:
	s_min_u32 s8, s70, 15
	s_add_i32 s6, s8, 1
	s_and_b32 s9, s6, 30
	s_add_u32 s6, s2, 0xffffffe8
	s_addc_u32 s7, s3, -1
	v_mov_b32_e32 v15, 0
	v_mov_b32_e32 v17, 0
	;; [unrolled: 1-line block ×4, first 2 shown]
.LBB143_1670:                           ; =>This Inner Loop Header: Depth=1
	s_load_dwordx4 s[16:19], s[6:7], 0x1c
	s_load_dwordx2 s[10:11], s[6:7], 0x2c
	s_load_dwordx2 s[24:25], s[6:7], 0xec
	s_load_dwordx4 s[20:23], s[6:7], 0xdc
	s_add_u32 s6, s6, 24
	s_waitcnt lgkmcnt(0)
	v_mul_hi_u32 v2, s17, v1
	s_addc_u32 s7, s7, 0
	s_add_i32 s9, s9, -2
	s_cmp_lg_u32 s9, 0
	v_add_u32_e32 v2, v1, v2
	v_lshrrev_b32_e32 v2, s18, v2
	s_waitcnt vmcnt(0)
	v_mul_lo_u32 v3, v2, s16
	v_mul_hi_u32 v5, s10, v2
	v_sub_u32_e32 v3, v1, v3
	v_add_u32_e32 v1, v2, v5
	v_lshrrev_b32_e32 v1, s11, v1
	v_mul_lo_u32 v9, v1, s19
	v_mul_lo_u32 v5, v3, s20
	;; [unrolled: 1-line block ×4, first 2 shown]
	v_sub_u32_e32 v2, v2, v9
	v_mul_lo_u32 v9, v2, s23
	v_mul_lo_u32 v10, v2, s24
	;; [unrolled: 1-line block ×3, first 2 shown]
	v_add3_u32 v4, v5, v4, v9
	v_add3_u32 v17, v7, v17, v10
	;; [unrolled: 1-line block ×3, first 2 shown]
	s_cbranch_scc1 .LBB143_1670
; %bb.1671:
	s_bitcmp1_b32 s8, 0
	s_cselect_b64 s[8:9], -1, 0
	s_and_b64 vcc, exec, s[8:9]
	s_cbranch_vccnz .LBB143_1675
; %bb.1672:
	s_load_dwordx2 s[8:9], s[6:7], 0x1c
	s_load_dword s16, s[6:7], 0x24
	s_load_dwordx2 s[10:11], s[6:7], 0xdc
	s_waitcnt lgkmcnt(0)
	v_mul_hi_u32 v2, s9, v1
	v_add_u32_e32 v2, v1, v2
	v_lshrrev_b32_e32 v2, s16, v2
	v_mul_lo_u32 v2, v2, s8
	s_load_dword s8, s[6:7], 0xe4
	v_sub_u32_e32 v1, v1, v2
	v_mad_u64_u32 v[4:5], s[6:7], v1, s10, v[4:5]
	v_mad_u64_u32 v[17:18], s[6:7], v1, s11, v[17:18]
	s_waitcnt lgkmcnt(0)
	v_mad_u64_u32 v[15:16], s[6:7], v1, s8, v[15:16]
	s_cbranch_execz .LBB143_1676
	s_branch .LBB143_1678
.LBB143_1673:
                                        ; implicit-def: $vgpr4
                                        ; implicit-def: $vgpr17
                                        ; implicit-def: $vgpr15
	s_branch .LBB143_1676
.LBB143_1674:
	v_mov_b32_e32 v4, 0
	v_mov_b32_e32 v17, 0
	;; [unrolled: 1-line block ×3, first 2 shown]
.LBB143_1675:
	s_cbranch_execnz .LBB143_1678
.LBB143_1676:
	s_load_dwordx4 s[8:11], s[2:3], 0x4
	s_load_dwordx4 s[16:19], s[2:3], 0xc4
	s_cmp_lt_u32 s33, 2
	s_waitcnt lgkmcnt(0)
	v_mul_hi_u32 v1, s9, v0
	v_add_u32_e32 v1, v0, v1
	v_lshrrev_b32_e32 v1, s10, v1
	v_mul_lo_u32 v2, v1, s8
	v_sub_u32_e32 v0, v0, v2
	v_mul_lo_u32 v4, v0, s16
	v_mul_lo_u32 v17, v0, s17
	;; [unrolled: 1-line block ×3, first 2 shown]
	s_cbranch_scc1 .LBB143_1678
; %bb.1677:
	s_load_dwordx4 s[8:11], s[2:3], 0x10
	s_load_dwordx4 s[16:19], s[2:3], 0xd0
	s_waitcnt lgkmcnt(0)
	v_mul_hi_u32 v0, s9, v1
	v_add_u32_e32 v0, v1, v0
	v_lshrrev_b32_e32 v0, s10, v0
	v_mul_lo_u32 v0, v0, s8
	v_sub_u32_e32 v0, v1, v0
	s_waitcnt vmcnt(0)
	v_mad_u64_u32 v[4:5], s[6:7], v0, s16, v[4:5]
	v_mad_u64_u32 v[17:18], s[6:7], v0, s17, v[17:18]
	v_mad_u64_u32 v[15:16], s[6:7], v0, s18, v[15:16]
.LBB143_1678:
	s_and_b64 vcc, exec, s[0:1]
	v_add_u32_e32 v0, 0x100, v8
	s_cbranch_vccnz .LBB143_1684
; %bb.1679:
	s_cmp_lg_u32 s33, 0
	s_cbranch_scc0 .LBB143_1685
; %bb.1680:
	s_min_u32 s8, s70, 15
	s_add_i32 s6, s8, 1
	s_and_b32 s9, s6, 30
	s_add_u32 s6, s2, 0xffffffe8
	s_addc_u32 s7, s3, -1
	v_mov_b32_e32 v11, 0
	v_mov_b32_e32 v13, 0
	;; [unrolled: 1-line block ×4, first 2 shown]
.LBB143_1681:                           ; =>This Inner Loop Header: Depth=1
	s_load_dwordx4 s[16:19], s[6:7], 0x1c
	s_load_dwordx2 s[10:11], s[6:7], 0x2c
	s_load_dwordx2 s[24:25], s[6:7], 0xec
	s_load_dwordx4 s[20:23], s[6:7], 0xdc
	s_add_u32 s6, s6, 24
	s_waitcnt vmcnt(0) lgkmcnt(0)
	v_mul_hi_u32 v3, s17, v1
	s_addc_u32 s7, s7, 0
	s_add_i32 s9, s9, -2
	s_cmp_lg_u32 s9, 0
	v_add_u32_e32 v3, v1, v3
	v_lshrrev_b32_e32 v3, s18, v3
	v_mul_lo_u32 v5, v3, s16
	v_mul_hi_u32 v7, s10, v3
	v_sub_u32_e32 v5, v1, v5
	v_add_u32_e32 v1, v3, v7
	v_lshrrev_b32_e32 v1, s11, v1
	v_mul_lo_u32 v9, v1, s19
	v_mul_lo_u32 v7, v5, s20
	;; [unrolled: 1-line block ×4, first 2 shown]
	v_sub_u32_e32 v3, v3, v9
	v_mul_lo_u32 v9, v3, s23
	v_mul_lo_u32 v10, v3, s24
	;; [unrolled: 1-line block ×3, first 2 shown]
	v_add3_u32 v2, v7, v2, v9
	v_add3_u32 v13, v8, v13, v10
	v_add3_u32 v11, v5, v11, v3
	s_cbranch_scc1 .LBB143_1681
; %bb.1682:
	s_bitcmp1_b32 s8, 0
	s_cselect_b64 s[8:9], -1, 0
	s_and_b64 vcc, exec, s[8:9]
	s_cbranch_vccnz .LBB143_1686
; %bb.1683:
	s_load_dwordx2 s[8:9], s[6:7], 0x1c
	s_load_dword s16, s[6:7], 0x24
	s_load_dwordx2 s[10:11], s[6:7], 0xdc
	s_waitcnt lgkmcnt(0)
	v_mul_hi_u32 v3, s9, v1
	v_add_u32_e32 v3, v1, v3
	v_lshrrev_b32_e32 v3, s16, v3
	v_mul_lo_u32 v3, v3, s8
	s_load_dword s8, s[6:7], 0xe4
	v_sub_u32_e32 v1, v1, v3
	v_mad_u64_u32 v[2:3], s[6:7], v1, s10, v[2:3]
	v_mad_u64_u32 v[13:14], s[6:7], v1, s11, v[13:14]
	s_waitcnt lgkmcnt(0)
	v_mad_u64_u32 v[11:12], s[6:7], v1, s8, v[11:12]
	s_cbranch_execz .LBB143_1687
	s_branch .LBB143_1689
.LBB143_1684:
                                        ; implicit-def: $vgpr2
                                        ; implicit-def: $vgpr13
                                        ; implicit-def: $vgpr11
	s_branch .LBB143_1687
.LBB143_1685:
	v_mov_b32_e32 v2, 0
	v_mov_b32_e32 v13, 0
	;; [unrolled: 1-line block ×3, first 2 shown]
.LBB143_1686:
	s_cbranch_execnz .LBB143_1689
.LBB143_1687:
	s_load_dwordx4 s[8:11], s[2:3], 0x4
	s_load_dwordx4 s[16:19], s[2:3], 0xc4
	s_cmp_lt_u32 s33, 2
	s_waitcnt lgkmcnt(0)
	v_mul_hi_u32 v1, s9, v0
	v_add_u32_e32 v1, v0, v1
	v_lshrrev_b32_e32 v1, s10, v1
	v_mul_lo_u32 v2, v1, s8
	v_sub_u32_e32 v0, v0, v2
	v_mul_lo_u32 v2, v0, s16
	v_mul_lo_u32 v13, v0, s17
	;; [unrolled: 1-line block ×3, first 2 shown]
	s_cbranch_scc1 .LBB143_1689
; %bb.1688:
	s_load_dwordx4 s[8:11], s[2:3], 0x10
	s_load_dwordx4 s[16:19], s[2:3], 0xd0
	s_waitcnt lgkmcnt(0)
	v_mul_hi_u32 v0, s9, v1
	v_add_u32_e32 v0, v1, v0
	v_lshrrev_b32_e32 v0, s10, v0
	v_mul_lo_u32 v0, v0, s8
	v_sub_u32_e32 v0, v1, v0
	s_waitcnt vmcnt(0)
	v_mad_u64_u32 v[2:3], s[6:7], v0, s16, v[2:3]
	v_mad_u64_u32 v[13:14], s[6:7], v0, s17, v[13:14]
	v_mad_u64_u32 v[11:12], s[6:7], v0, s18, v[11:12]
.LBB143_1689:
	s_and_b64 vcc, exec, s[0:1]
	s_cbranch_vccnz .LBB143_1695
; %bb.1690:
	s_cmp_lg_u32 s33, 0
	s_cbranch_scc0 .LBB143_1696
; %bb.1691:
	s_min_u32 s6, s70, 15
	s_add_i32 s0, s6, 1
	s_and_b32 s7, s0, 30
	s_add_u32 s0, s2, 0xffffffe8
	s_addc_u32 s1, s3, -1
	v_mov_b32_e32 v7, 0
	v_mov_b32_e32 v9, 0
	;; [unrolled: 1-line block ×4, first 2 shown]
.LBB143_1692:                           ; =>This Inner Loop Header: Depth=1
	s_load_dwordx4 s[8:11], s[0:1], 0x1c
	s_load_dwordx2 s[20:21], s[0:1], 0x2c
	s_load_dwordx2 s[22:23], s[0:1], 0xec
	s_load_dwordx4 s[16:19], s[0:1], 0xdc
	s_add_u32 s0, s0, 24
	s_waitcnt vmcnt(0) lgkmcnt(0)
	v_mul_hi_u32 v3, s9, v1
	s_addc_u32 s1, s1, 0
	s_add_i32 s7, s7, -2
	s_cmp_lg_u32 s7, 0
	v_add_u32_e32 v3, v1, v3
	v_lshrrev_b32_e32 v3, s10, v3
	v_mul_lo_u32 v5, v3, s8
	v_mul_hi_u32 v8, s20, v3
	v_sub_u32_e32 v5, v1, v5
	v_add_u32_e32 v1, v3, v8
	v_lshrrev_b32_e32 v1, s21, v1
	v_mul_lo_u32 v12, v1, s11
	v_mul_lo_u32 v8, v5, s16
	;; [unrolled: 1-line block ×4, first 2 shown]
	v_sub_u32_e32 v3, v3, v12
	v_mul_lo_u32 v12, v3, s19
	v_mul_lo_u32 v14, v3, s22
	v_mul_lo_u32 v3, v3, s23
	v_add3_u32 v0, v8, v0, v12
	v_add3_u32 v9, v10, v9, v14
	;; [unrolled: 1-line block ×3, first 2 shown]
	s_cbranch_scc1 .LBB143_1692
; %bb.1693:
	s_bitcmp1_b32 s6, 0
	s_cselect_b64 s[6:7], -1, 0
	s_and_b64 vcc, exec, s[6:7]
	s_cbranch_vccnz .LBB143_1697
; %bb.1694:
	s_load_dwordx2 s[6:7], s[0:1], 0x1c
	s_load_dword s10, s[0:1], 0x24
	s_load_dwordx2 s[8:9], s[0:1], 0xdc
	s_waitcnt lgkmcnt(0)
	v_mul_hi_u32 v3, s7, v1
	v_add_u32_e32 v3, v1, v3
	v_lshrrev_b32_e32 v3, s10, v3
	v_mul_lo_u32 v3, v3, s6
	s_load_dword s6, s[0:1], 0xe4
	v_sub_u32_e32 v3, v1, v3
	v_mad_u64_u32 v[0:1], s[0:1], v3, s8, v[0:1]
	v_mad_u64_u32 v[9:10], s[0:1], v3, s9, v[9:10]
	s_waitcnt lgkmcnt(0)
	v_mad_u64_u32 v[7:8], s[0:1], v3, s6, v[7:8]
	s_cbranch_execz .LBB143_1698
	s_branch .LBB143_1700
.LBB143_1695:
                                        ; implicit-def: $vgpr0
                                        ; implicit-def: $vgpr9
                                        ; implicit-def: $vgpr7
	s_branch .LBB143_1698
.LBB143_1696:
	v_mov_b32_e32 v0, 0
	v_mov_b32_e32 v9, 0
	;; [unrolled: 1-line block ×3, first 2 shown]
.LBB143_1697:
	s_cbranch_execnz .LBB143_1700
.LBB143_1698:
	s_load_dwordx4 s[8:11], s[2:3], 0x4
	s_load_dwordx4 s[16:19], s[2:3], 0xc4
	s_cmp_lt_u32 s33, 2
	s_waitcnt lgkmcnt(0)
	v_mul_hi_u32 v0, s9, v23
	v_add_u32_e32 v0, v23, v0
	v_lshrrev_b32_e32 v1, s10, v0
	v_mul_lo_u32 v0, v1, s8
	s_waitcnt vmcnt(0)
	v_sub_u32_e32 v3, v23, v0
	v_mul_lo_u32 v0, v3, s16
	v_mul_lo_u32 v9, v3, s17
	;; [unrolled: 1-line block ×3, first 2 shown]
	s_cbranch_scc1 .LBB143_1700
; %bb.1699:
	s_load_dwordx4 s[8:11], s[2:3], 0x10
	s_load_dwordx4 s[16:19], s[2:3], 0xd0
	s_waitcnt lgkmcnt(0)
	v_mul_hi_u32 v3, s9, v1
	v_add_u32_e32 v3, v1, v3
	v_lshrrev_b32_e32 v3, s10, v3
	v_mul_lo_u32 v3, v3, s8
	v_sub_u32_e32 v3, v1, v3
	v_mad_u64_u32 v[0:1], s[0:1], v3, s16, v[0:1]
	v_mad_u64_u32 v[9:10], s[0:1], v3, s17, v[9:10]
	;; [unrolled: 1-line block ×3, first 2 shown]
.LBB143_1700:
	s_load_dwordx4 s[8:11], s[2:3], 0x188
	s_load_dword s24, s[4:5], 0x1ac
	s_waitcnt lgkmcnt(0)
	v_mov_b32_e32 v1, s11
	s_bfe_u32 s20, s24, 0x80008
	v_add_co_u32_e32 v20, vcc, s10, v21
	s_cmp_lt_i32 s20, 11
	v_addc_co_u32_e32 v21, vcc, 0, v1, vcc
	s_cbranch_scc1 .LBB143_1707
; %bb.1701:
	s_and_b32 s21, 0xffff, s20
	s_cmp_gt_i32 s21, 25
	s_mov_b64 s[6:7], 0
	s_cbranch_scc0 .LBB143_1709
; %bb.1702:
	s_cmp_gt_i32 s21, 28
	s_cbranch_scc0 .LBB143_1710
; %bb.1703:
	s_cmp_gt_i32 s21, 43
	;; [unrolled: 3-line block ×3, first 2 shown]
	s_cbranch_scc0 .LBB143_1712
; %bb.1705:
	s_cmp_eq_u32 s21, 46
	s_mov_b64 s[4:5], 0
	s_cbranch_scc0 .LBB143_1715
; %bb.1706:
	global_load_dword v1, v[20:21], off
	s_mov_b64 s[0:1], 0
	s_mov_b64 s[16:17], -1
	s_branch .LBB143_1716
.LBB143_1707:
	s_mov_b64 s[16:17], 0
                                        ; implicit-def: $vgpr1
	s_mov_b64 s[4:5], s[12:13]
	s_cbranch_execnz .LBB143_1778
.LBB143_1708:
	s_andn2_b64 vcc, exec, s[16:17]
	s_cbranch_vccz .LBB143_1823
	s_branch .LBB143_2787
.LBB143_1709:
	s_mov_b64 s[16:17], 0
	s_mov_b64 s[0:1], 0
                                        ; implicit-def: $vgpr1
	s_cbranch_execnz .LBB143_1743
	s_branch .LBB143_1774
.LBB143_1710:
	s_mov_b64 s[16:17], 0
	s_mov_b64 s[0:1], 0
                                        ; implicit-def: $vgpr1
	s_cbranch_execz .LBB143_1742
	s_branch .LBB143_1725
.LBB143_1711:
	s_mov_b64 s[16:17], 0
	s_mov_b64 s[0:1], 0
                                        ; implicit-def: $vgpr1
	s_cbranch_execnz .LBB143_1721
	s_branch .LBB143_1724
.LBB143_1712:
	s_mov_b64 s[4:5], -1
	s_mov_b64 s[16:17], 0
	s_mov_b64 s[0:1], 0
                                        ; implicit-def: $vgpr1
	s_branch .LBB143_1716
.LBB143_1713:
	s_andn2_saveexec_b64 s[18:19], s[18:19]
	s_cbranch_execz .LBB143_1567
.LBB143_1714:
	v_add_f32_e32 v0, 0x46000000, v3
	v_and_b32_e32 v0, 0xff, v0
	v_cmp_ne_u32_e32 vcc, 0, v0
	s_andn2_b64 s[14:15], s[14:15], exec
	s_and_b64 s[20:21], vcc, exec
	s_or_b64 s[14:15], s[14:15], s[20:21]
	s_or_b64 exec, exec, s[18:19]
	v_mov_b32_e32 v4, 0
	s_and_saveexec_b64 s[18:19], s[14:15]
	s_cbranch_execnz .LBB143_1568
	s_branch .LBB143_1569
.LBB143_1715:
	s_mov_b64 s[0:1], -1
                                        ; implicit-def: $vgpr1
	s_mov_b64 s[16:17], 0
.LBB143_1716:
	s_and_b64 vcc, exec, s[4:5]
	s_cbranch_vccz .LBB143_1719
; %bb.1717:
	s_cmp_eq_u32 s21, 44
	s_cbranch_scc0 .LBB143_1720
; %bb.1718:
	global_load_ubyte v1, v[20:21], off
	s_movk_i32 s4, 0xff
	s_waitcnt vmcnt(1)
	v_mov_b32_e32 v3, 0x7f800001
	v_mov_b32_e32 v5, 0x400000
	;; [unrolled: 1-line block ×3, first 2 shown]
	s_mov_b64 s[0:1], 0
	s_mov_b64 s[16:17], -1
	s_waitcnt vmcnt(0)
	v_lshlrev_b32_e32 v10, 23, v1
	v_cmp_ne_u32_e32 vcc, s4, v1
	v_cndmask_b32_e32 v3, v3, v10, vcc
	v_cmp_ne_u32_e32 vcc, 0, v1
	v_cndmask_b32_e32 v1, v5, v3, vcc
	v_add_u32_e32 v3, 0x7fff, v1
	v_cmp_o_f32_e32 vcc, v1, v1
	v_cndmask_b32_sdwa v1, v8, v3, vcc dst_sel:DWORD dst_unused:UNUSED_PAD src0_sel:DWORD src1_sel:WORD_1
.LBB143_1719:
	s_branch .LBB143_1724
.LBB143_1720:
	s_mov_b64 s[0:1], -1
                                        ; implicit-def: $vgpr1
	s_branch .LBB143_1724
.LBB143_1721:
	s_cmp_eq_u32 s21, 29
	s_cbranch_scc0 .LBB143_1723
; %bb.1722:
	global_load_dwordx2 v[22:23], v[20:21], off
	s_movk_i32 s4, 0x7fff
	s_mov_b64 s[0:1], 0
	s_mov_b64 s[16:17], -1
	s_waitcnt vmcnt(0)
	v_ffbh_u32_e32 v1, v23
	v_min_u32_e32 v1, 32, v1
	v_lshlrev_b64 v[22:23], v1, v[22:23]
	v_sub_u32_e32 v1, 32, v1
	v_min_u32_e32 v3, 1, v22
	v_or_b32_e32 v3, v23, v3
	v_cvt_f32_u32_e32 v3, v3
	v_ldexp_f32 v1, v3, v1
	v_bfe_u32 v3, v1, 16, 1
	v_add3_u32 v1, v1, v3, s4
	v_lshrrev_b32_e32 v1, 16, v1
	s_branch .LBB143_1724
.LBB143_1723:
	s_mov_b64 s[0:1], -1
                                        ; implicit-def: $vgpr1
.LBB143_1724:
	s_branch .LBB143_1742
.LBB143_1725:
	s_cmp_lt_i32 s21, 27
	s_cbranch_scc1 .LBB143_1728
; %bb.1726:
	s_cmp_gt_i32 s21, 27
	s_cbranch_scc0 .LBB143_1729
; %bb.1727:
	global_load_dword v1, v[20:21], off
	s_movk_i32 s4, 0x7fff
	s_waitcnt vmcnt(0)
	v_cvt_f32_u32_e32 v1, v1
	v_bfe_u32 v3, v1, 16, 1
	v_add3_u32 v1, v1, v3, s4
	v_lshrrev_b32_e32 v1, 16, v1
	s_mov_b64 s[4:5], 0
	s_branch .LBB143_1730
.LBB143_1728:
	s_mov_b64 s[4:5], -1
                                        ; implicit-def: $vgpr1
	s_branch .LBB143_1733
.LBB143_1729:
	s_mov_b64 s[4:5], -1
                                        ; implicit-def: $vgpr1
.LBB143_1730:
	s_andn2_b64 vcc, exec, s[4:5]
	s_cbranch_vccnz .LBB143_1732
; %bb.1731:
	global_load_ushort v1, v[20:21], off
	s_movk_i32 s4, 0x7fff
	s_waitcnt vmcnt(0)
	v_cvt_f32_u32_e32 v1, v1
	v_bfe_u32 v3, v1, 16, 1
	v_add3_u32 v1, v1, v3, s4
	v_lshrrev_b32_e32 v1, 16, v1
.LBB143_1732:
	s_mov_b64 s[4:5], 0
.LBB143_1733:
	s_andn2_b64 vcc, exec, s[4:5]
	s_cbranch_vccnz .LBB143_1741
; %bb.1734:
	global_load_ubyte v1, v[20:21], off
	s_movk_i32 s4, 0x7f
	s_waitcnt vmcnt(0)
	v_cmp_lt_i16_e32 vcc, s4, v1
	s_mov_b64 s[4:5], 0
	s_and_saveexec_b64 s[16:17], vcc
	s_xor_b64 s[16:17], exec, s[16:17]
	s_cbranch_execz .LBB143_1754
; %bb.1735:
	s_movk_i32 s4, 0x80
	v_cmp_eq_u16_e32 vcc, s4, v1
	s_mov_b64 s[4:5], -1
	s_and_saveexec_b64 s[18:19], vcc
; %bb.1736:
	s_xor_b64 s[4:5], exec, -1
; %bb.1737:
	s_or_b64 exec, exec, s[18:19]
	s_and_b64 s[4:5], s[4:5], exec
	s_or_saveexec_b64 s[16:17], s[16:17]
	v_mov_b32_e32 v3, 0x7f800001
	s_xor_b64 exec, exec, s[16:17]
	s_cbranch_execnz .LBB143_1755
.LBB143_1738:
	s_or_b64 exec, exec, s[16:17]
	s_and_saveexec_b64 s[16:17], s[4:5]
	s_cbranch_execz .LBB143_1740
.LBB143_1739:
	v_lshlrev_b32_e32 v3, 24, v1
	v_and_b32_e32 v1, 0xffff, v1
	v_and_b32_e32 v5, 7, v1
	v_ffbh_u32_e32 v10, v5
	v_min_u32_e32 v10, 32, v10
	v_subrev_u32_e32 v12, 28, v10
	v_bfe_u32 v8, v1, 3, 4
	v_lshlrev_b32_e32 v1, v12, v1
	v_sub_u32_e32 v10, 29, v10
	v_and_b32_e32 v1, 7, v1
	v_cmp_eq_u32_e32 vcc, 0, v8
	v_cndmask_b32_e32 v8, v8, v10, vcc
	v_cndmask_b32_e32 v1, v5, v1, vcc
	v_mov_b32_e32 v5, 0x3b800000
	v_lshlrev_b32_e32 v1, 20, v1
	v_and_b32_e32 v3, 0x80000000, v3
	v_lshl_add_u32 v5, v8, 23, v5
	v_or3_b32 v3, v3, v5, v1
.LBB143_1740:
	s_or_b64 exec, exec, s[16:17]
	v_bfe_u32 v1, v3, 16, 1
	s_movk_i32 s4, 0x7fff
	v_add3_u32 v1, v3, v1, s4
	v_cmp_o_f32_e32 vcc, v3, v3
	v_mov_b32_e32 v3, 0x7fc0
	v_cndmask_b32_sdwa v1, v3, v1, vcc dst_sel:DWORD dst_unused:UNUSED_PAD src0_sel:DWORD src1_sel:WORD_1
.LBB143_1741:
	s_mov_b64 s[16:17], -1
.LBB143_1742:
	s_branch .LBB143_1774
.LBB143_1743:
	s_cmp_gt_i32 s21, 22
	s_cbranch_scc0 .LBB143_1753
; %bb.1744:
	s_cmp_lt_i32 s21, 24
	s_cbranch_scc1 .LBB143_1756
; %bb.1745:
	s_cmp_gt_i32 s21, 24
	s_cbranch_scc0 .LBB143_1757
; %bb.1746:
	global_load_ubyte v1, v[20:21], off
	s_movk_i32 s4, 0x7f
	s_waitcnt vmcnt(0)
	v_cmp_lt_i16_e32 vcc, s4, v1
	s_mov_b64 s[4:5], 0
	s_and_saveexec_b64 s[6:7], vcc
	s_xor_b64 s[6:7], exec, s[6:7]
	s_cbranch_execz .LBB143_1768
; %bb.1747:
	s_movk_i32 s4, 0x80
	v_cmp_eq_u16_e32 vcc, s4, v1
	s_mov_b64 s[4:5], -1
	s_and_saveexec_b64 s[16:17], vcc
; %bb.1748:
	s_xor_b64 s[4:5], exec, -1
; %bb.1749:
	s_or_b64 exec, exec, s[16:17]
	s_and_b64 s[4:5], s[4:5], exec
	s_or_saveexec_b64 s[6:7], s[6:7]
	v_mov_b32_e32 v3, 0x7f800001
	s_xor_b64 exec, exec, s[6:7]
	s_cbranch_execnz .LBB143_1769
.LBB143_1750:
	s_or_b64 exec, exec, s[6:7]
	s_and_saveexec_b64 s[6:7], s[4:5]
	s_cbranch_execz .LBB143_1752
.LBB143_1751:
	v_lshlrev_b32_e32 v3, 24, v1
	v_and_b32_e32 v1, 0xffff, v1
	v_and_b32_e32 v5, 3, v1
	v_ffbh_u32_e32 v10, v5
	v_min_u32_e32 v10, 32, v10
	v_subrev_u32_e32 v12, 29, v10
	v_bfe_u32 v8, v1, 2, 5
	v_lshlrev_b32_e32 v1, v12, v1
	v_sub_u32_e32 v10, 30, v10
	v_and_b32_e32 v1, 3, v1
	v_cmp_eq_u32_e32 vcc, 0, v8
	v_cndmask_b32_e32 v8, v8, v10, vcc
	v_cndmask_b32_e32 v1, v5, v1, vcc
	v_mov_b32_e32 v5, 0x37800000
	v_lshlrev_b32_e32 v1, 21, v1
	v_and_b32_e32 v3, 0x80000000, v3
	v_lshl_add_u32 v5, v8, 23, v5
	v_or3_b32 v3, v3, v5, v1
.LBB143_1752:
	s_or_b64 exec, exec, s[6:7]
	v_bfe_u32 v1, v3, 16, 1
	s_movk_i32 s4, 0x7fff
	v_add3_u32 v1, v3, v1, s4
	v_cmp_o_f32_e32 vcc, v3, v3
	v_mov_b32_e32 v3, 0x7fc0
	v_cndmask_b32_sdwa v1, v3, v1, vcc dst_sel:DWORD dst_unused:UNUSED_PAD src0_sel:DWORD src1_sel:WORD_1
	s_mov_b64 s[4:5], 0
	s_branch .LBB143_1758
.LBB143_1753:
                                        ; implicit-def: $vgpr1
	s_mov_b64 s[6:7], 0
	s_branch .LBB143_1764
.LBB143_1754:
	s_or_saveexec_b64 s[16:17], s[16:17]
	v_mov_b32_e32 v3, 0x7f800001
	s_xor_b64 exec, exec, s[16:17]
	s_cbranch_execz .LBB143_1738
.LBB143_1755:
	v_cmp_ne_u16_e32 vcc, 0, v1
	s_andn2_b64 s[4:5], s[4:5], exec
	s_and_b64 s[18:19], vcc, exec
	v_mov_b32_e32 v3, 0
	s_or_b64 s[4:5], s[4:5], s[18:19]
	s_or_b64 exec, exec, s[16:17]
	s_and_saveexec_b64 s[16:17], s[4:5]
	s_cbranch_execnz .LBB143_1739
	s_branch .LBB143_1740
.LBB143_1756:
	s_mov_b64 s[4:5], -1
                                        ; implicit-def: $vgpr1
	s_branch .LBB143_1761
.LBB143_1757:
	s_mov_b64 s[4:5], -1
                                        ; implicit-def: $vgpr1
.LBB143_1758:
	s_and_b64 vcc, exec, s[4:5]
	s_cbranch_vccz .LBB143_1760
; %bb.1759:
	global_load_ubyte v1, v[20:21], off
	s_mov_b32 s4, 0x7f800000
	s_brev_b32 s5, 1
	s_movk_i32 s6, 0x7fff
	s_waitcnt vmcnt(0)
	v_lshlrev_b32_e32 v1, 24, v1
	v_and_b32_e32 v3, 0x7f000000, v1
	v_ffbh_u32_e32 v5, v3
	v_min_u32_e32 v5, 32, v5
	v_sub_u32_e64 v5, v5, 4 clamp
	v_lshlrev_b32_e32 v10, v5, v3
	v_lshlrev_b32_e32 v5, 23, v5
	v_lshrrev_b32_e32 v10, 4, v10
	v_add_u32_e32 v8, 0x1000000, v3
	v_sub_u32_e32 v5, v10, v5
	v_ashrrev_i32_e32 v8, 8, v8
	v_add_u32_e32 v5, 0x3c000000, v5
	v_and_or_b32 v5, v8, s4, v5
	v_cmp_ne_u32_e32 vcc, 0, v3
	v_cndmask_b32_e32 v3, 0, v5, vcc
	v_and_or_b32 v1, v1, s5, v3
	v_bfe_u32 v3, v3, 16, 1
	v_add3_u32 v3, v1, v3, s6
	v_cmp_o_f32_e32 vcc, v1, v1
	v_mov_b32_e32 v1, 0x7fc0
	v_cndmask_b32_sdwa v1, v1, v3, vcc dst_sel:DWORD dst_unused:UNUSED_PAD src0_sel:DWORD src1_sel:WORD_1
.LBB143_1760:
	s_mov_b64 s[4:5], 0
.LBB143_1761:
	s_andn2_b64 vcc, exec, s[4:5]
	s_cbranch_vccnz .LBB143_1763
; %bb.1762:
	global_load_ubyte v1, v[20:21], off
	s_movk_i32 s4, 0x7f00
	s_brev_b32 s5, 16
	s_brev_b32 s6, 1
	s_movk_i32 s7, 0x7fff
	s_waitcnt vmcnt(0)
	v_lshlrev_b16_e32 v3, 8, v1
	v_lshlrev_b32_e32 v1, 25, v1
	v_lshrrev_b32_e32 v5, 4, v1
	v_and_or_b32 v8, v3, s4, 0.5
	v_or_b32_e32 v5, 0x70000000, v5
	v_add_f32_e32 v8, -0.5, v8
	v_mul_f32_e32 v5, 0x7800000, v5
	v_cmp_gt_u32_e32 vcc, s5, v1
	v_bfe_i32 v3, v3, 0, 16
	v_cndmask_b32_e32 v1, v5, v8, vcc
	v_and_or_b32 v3, v3, s6, v1
	v_bfe_u32 v1, v1, 16, 1
	v_add3_u32 v1, v3, v1, s7
	v_cmp_o_f32_e32 vcc, v3, v3
	v_mov_b32_e32 v3, 0x7fc0
	v_cndmask_b32_sdwa v1, v3, v1, vcc dst_sel:DWORD dst_unused:UNUSED_PAD src0_sel:DWORD src1_sel:WORD_1
.LBB143_1763:
	s_mov_b64 s[16:17], -1
	s_mov_b64 s[6:7], 0
	s_cbranch_execnz .LBB143_1774
.LBB143_1764:
	s_cmp_gt_i32 s21, 14
	s_cbranch_scc0 .LBB143_1767
; %bb.1765:
	s_cmp_eq_u32 s21, 15
	s_cbranch_scc0 .LBB143_1770
; %bb.1766:
	global_load_ushort v1, v[20:21], off
	s_mov_b64 s[0:1], 0
	s_mov_b64 s[16:17], -1
	s_branch .LBB143_1771
.LBB143_1767:
	s_mov_b64 s[4:5], -1
                                        ; implicit-def: $vgpr1
	s_branch .LBB143_1772
.LBB143_1768:
	s_or_saveexec_b64 s[6:7], s[6:7]
	v_mov_b32_e32 v3, 0x7f800001
	s_xor_b64 exec, exec, s[6:7]
	s_cbranch_execz .LBB143_1750
.LBB143_1769:
	v_cmp_ne_u16_e32 vcc, 0, v1
	s_andn2_b64 s[4:5], s[4:5], exec
	s_and_b64 s[16:17], vcc, exec
	v_mov_b32_e32 v3, 0
	s_or_b64 s[4:5], s[4:5], s[16:17]
	s_or_b64 exec, exec, s[6:7]
	s_and_saveexec_b64 s[6:7], s[4:5]
	s_cbranch_execnz .LBB143_1751
	s_branch .LBB143_1752
.LBB143_1770:
	s_mov_b64 s[0:1], -1
                                        ; implicit-def: $vgpr1
.LBB143_1771:
	s_mov_b64 s[4:5], 0
.LBB143_1772:
	s_and_b64 vcc, exec, s[4:5]
	s_cbranch_vccz .LBB143_1774
; %bb.1773:
	s_cmp_lg_u32 s21, 11
	s_mov_b64 s[6:7], -1
	s_cselect_b64 s[0:1], -1, 0
.LBB143_1774:
	s_and_b64 vcc, exec, s[0:1]
	s_mov_b64 s[4:5], s[12:13]
	s_cbranch_vccnz .LBB143_1835
; %bb.1775:
	s_andn2_b64 vcc, exec, s[6:7]
	s_cbranch_vccnz .LBB143_1777
.LBB143_1776:
	global_load_ubyte v1, v[20:21], off
	s_mov_b64 s[16:17], -1
	s_waitcnt vmcnt(0)
	v_cmp_ne_u16_e32 vcc, 0, v1
	v_cndmask_b32_e64 v1, 0, 1.0, vcc
	v_lshrrev_b32_e32 v1, 16, v1
.LBB143_1777:
	s_branch .LBB143_1708
.LBB143_1778:
	s_and_b32 s6, 0xffff, s20
	s_cmp_lt_i32 s6, 5
	s_cbranch_scc1 .LBB143_1783
; %bb.1779:
	s_cmp_lt_i32 s6, 8
	s_cbranch_scc1 .LBB143_1784
; %bb.1780:
	s_cmp_lt_i32 s6, 9
	s_cbranch_scc1 .LBB143_1785
; %bb.1781:
	s_cmp_gt_i32 s6, 9
	s_cbranch_scc0 .LBB143_1786
; %bb.1782:
	global_load_dwordx2 v[22:23], v[20:21], off
	s_movk_i32 s0, 0x7fff
	s_waitcnt vmcnt(1)
	v_mov_b32_e32 v3, 0x7fc0
	s_waitcnt vmcnt(0)
	v_cvt_f32_f64_e32 v1, v[22:23]
	v_bfe_u32 v5, v1, 16, 1
	v_cmp_o_f32_e32 vcc, v1, v1
	v_add3_u32 v1, v1, v5, s0
	v_cndmask_b32_sdwa v1, v3, v1, vcc dst_sel:DWORD dst_unused:UNUSED_PAD src0_sel:DWORD src1_sel:WORD_1
	s_mov_b64 s[0:1], 0
	s_branch .LBB143_1787
.LBB143_1783:
                                        ; implicit-def: $vgpr1
	s_branch .LBB143_1804
.LBB143_1784:
                                        ; implicit-def: $vgpr1
	s_branch .LBB143_1793
.LBB143_1785:
	s_mov_b64 s[0:1], -1
                                        ; implicit-def: $vgpr1
	s_branch .LBB143_1790
.LBB143_1786:
	s_mov_b64 s[0:1], -1
                                        ; implicit-def: $vgpr1
.LBB143_1787:
	s_andn2_b64 vcc, exec, s[0:1]
	s_cbranch_vccnz .LBB143_1789
; %bb.1788:
	global_load_dword v1, v[20:21], off
	s_movk_i32 s0, 0x7fff
	s_waitcnt vmcnt(1)
	v_mov_b32_e32 v3, 0x7fc0
	s_waitcnt vmcnt(0)
	v_bfe_u32 v5, v1, 16, 1
	v_cmp_o_f32_e32 vcc, v1, v1
	v_add3_u32 v1, v1, v5, s0
	v_cndmask_b32_sdwa v1, v3, v1, vcc dst_sel:DWORD dst_unused:UNUSED_PAD src0_sel:DWORD src1_sel:WORD_1
.LBB143_1789:
	s_mov_b64 s[0:1], 0
.LBB143_1790:
	s_andn2_b64 vcc, exec, s[0:1]
	s_cbranch_vccnz .LBB143_1792
; %bb.1791:
	global_load_dword v1, v[20:21], off
	s_movk_i32 s0, 0x7fff
	s_waitcnt vmcnt(1)
	v_mov_b32_e32 v5, 0x7fc0
	s_waitcnt vmcnt(0)
	v_cvt_f32_f16_e32 v3, v1
	v_cmp_o_f16_e32 vcc, v1, v1
	v_bfe_u32 v1, v3, 16, 1
	v_add3_u32 v1, v3, v1, s0
	v_cndmask_b32_sdwa v1, v5, v1, vcc dst_sel:DWORD dst_unused:UNUSED_PAD src0_sel:DWORD src1_sel:WORD_1
.LBB143_1792:
	s_cbranch_execnz .LBB143_1803
.LBB143_1793:
	s_cmp_lt_i32 s6, 6
	s_cbranch_scc1 .LBB143_1796
; %bb.1794:
	s_cmp_gt_i32 s6, 6
	s_cbranch_scc0 .LBB143_1797
; %bb.1795:
	global_load_dwordx2 v[22:23], v[20:21], off
	s_movk_i32 s0, 0x7fff
	s_waitcnt vmcnt(1)
	v_mov_b32_e32 v3, 0x7fc0
	s_waitcnt vmcnt(0)
	v_cvt_f32_f64_e32 v1, v[22:23]
	v_bfe_u32 v5, v1, 16, 1
	v_cmp_o_f32_e32 vcc, v1, v1
	v_add3_u32 v1, v1, v5, s0
	v_cndmask_b32_sdwa v1, v3, v1, vcc dst_sel:DWORD dst_unused:UNUSED_PAD src0_sel:DWORD src1_sel:WORD_1
	s_mov_b64 s[0:1], 0
	s_branch .LBB143_1798
.LBB143_1796:
	s_mov_b64 s[0:1], -1
                                        ; implicit-def: $vgpr1
	s_branch .LBB143_1801
.LBB143_1797:
	s_mov_b64 s[0:1], -1
                                        ; implicit-def: $vgpr1
.LBB143_1798:
	s_andn2_b64 vcc, exec, s[0:1]
	s_cbranch_vccnz .LBB143_1800
; %bb.1799:
	global_load_dword v1, v[20:21], off
	s_movk_i32 s0, 0x7fff
	s_waitcnt vmcnt(1)
	v_mov_b32_e32 v3, 0x7fc0
	s_waitcnt vmcnt(0)
	v_bfe_u32 v5, v1, 16, 1
	v_cmp_o_f32_e32 vcc, v1, v1
	v_add3_u32 v1, v1, v5, s0
	v_cndmask_b32_sdwa v1, v3, v1, vcc dst_sel:DWORD dst_unused:UNUSED_PAD src0_sel:DWORD src1_sel:WORD_1
.LBB143_1800:
	s_mov_b64 s[0:1], 0
.LBB143_1801:
	s_andn2_b64 vcc, exec, s[0:1]
	s_cbranch_vccnz .LBB143_1803
; %bb.1802:
	global_load_ushort v1, v[20:21], off
	s_movk_i32 s0, 0x7fff
	s_waitcnt vmcnt(1)
	v_mov_b32_e32 v5, 0x7fc0
	s_waitcnt vmcnt(0)
	v_cvt_f32_f16_e32 v3, v1
	v_cmp_o_f16_e32 vcc, v1, v1
	v_bfe_u32 v1, v3, 16, 1
	v_add3_u32 v1, v3, v1, s0
	v_cndmask_b32_sdwa v1, v5, v1, vcc dst_sel:DWORD dst_unused:UNUSED_PAD src0_sel:DWORD src1_sel:WORD_1
.LBB143_1803:
	s_cbranch_execnz .LBB143_1822
.LBB143_1804:
	s_cmp_lt_i32 s6, 2
	s_cbranch_scc1 .LBB143_1808
; %bb.1805:
	s_cmp_lt_i32 s6, 3
	s_cbranch_scc1 .LBB143_1809
; %bb.1806:
	s_cmp_gt_i32 s6, 3
	s_cbranch_scc0 .LBB143_1810
; %bb.1807:
	global_load_dwordx2 v[22:23], v[20:21], off
	s_movk_i32 s0, 0x7fff
	s_waitcnt vmcnt(0)
	v_xor_b32_e32 v3, v22, v23
	v_ffbh_i32_e32 v1, v23
	v_ashrrev_i32_e32 v3, 31, v3
	v_add_u32_e32 v1, -1, v1
	v_add_u32_e32 v3, 32, v3
	v_min_u32_e32 v1, v1, v3
	v_lshlrev_b64 v[22:23], v1, v[22:23]
	v_sub_u32_e32 v1, 32, v1
	v_min_u32_e32 v3, 1, v22
	v_or_b32_e32 v3, v23, v3
	v_cvt_f32_i32_e32 v3, v3
	v_ldexp_f32 v1, v3, v1
	v_bfe_u32 v3, v1, 16, 1
	v_add3_u32 v1, v1, v3, s0
	v_lshrrev_b32_e32 v1, 16, v1
	s_mov_b64 s[0:1], 0
	s_branch .LBB143_1811
.LBB143_1808:
                                        ; implicit-def: $vgpr1
	s_branch .LBB143_1817
.LBB143_1809:
	s_mov_b64 s[0:1], -1
                                        ; implicit-def: $vgpr1
	s_branch .LBB143_1814
.LBB143_1810:
	s_mov_b64 s[0:1], -1
                                        ; implicit-def: $vgpr1
.LBB143_1811:
	s_andn2_b64 vcc, exec, s[0:1]
	s_cbranch_vccnz .LBB143_1813
; %bb.1812:
	global_load_dword v1, v[20:21], off
	s_movk_i32 s0, 0x7fff
	s_waitcnt vmcnt(0)
	v_cvt_f32_i32_e32 v1, v1
	v_bfe_u32 v3, v1, 16, 1
	v_add3_u32 v1, v1, v3, s0
	v_lshrrev_b32_e32 v1, 16, v1
.LBB143_1813:
	s_mov_b64 s[0:1], 0
.LBB143_1814:
	s_andn2_b64 vcc, exec, s[0:1]
	s_cbranch_vccnz .LBB143_1816
; %bb.1815:
	global_load_sshort v1, v[20:21], off
	s_movk_i32 s0, 0x7fff
	s_waitcnt vmcnt(0)
	v_cvt_f32_i32_e32 v1, v1
	v_bfe_u32 v3, v1, 16, 1
	v_add3_u32 v1, v1, v3, s0
	v_lshrrev_b32_e32 v1, 16, v1
.LBB143_1816:
	s_cbranch_execnz .LBB143_1822
.LBB143_1817:
	s_cmp_gt_i32 s6, 0
	s_cbranch_scc0 .LBB143_1819
; %bb.1818:
	global_load_sbyte v1, v[20:21], off
	s_movk_i32 s0, 0x7fff
	s_waitcnt vmcnt(0)
	v_cvt_f32_i32_e32 v1, v1
	v_bfe_u32 v3, v1, 16, 1
	v_add3_u32 v1, v1, v3, s0
	v_lshrrev_b32_e32 v1, 16, v1
	s_mov_b64 s[0:1], 0
	s_branch .LBB143_1820
.LBB143_1819:
	s_mov_b64 s[0:1], -1
                                        ; implicit-def: $vgpr1
.LBB143_1820:
	s_andn2_b64 vcc, exec, s[0:1]
	s_cbranch_vccnz .LBB143_1822
; %bb.1821:
	global_load_ubyte v1, v[20:21], off
	s_movk_i32 s0, 0x7fff
	s_waitcnt vmcnt(0)
	v_cvt_f32_ubyte0_e32 v1, v1
	v_bfe_u32 v3, v1, 16, 1
	v_add3_u32 v1, v1, v3, s0
	v_lshrrev_b32_e32 v1, 16, v1
.LBB143_1822:
.LBB143_1823:
	s_load_dwordx2 s[0:1], s[2:3], 0x198
	s_bfe_u32 s25, s24, 0x80010
	s_cmp_lt_i32 s25, 11
	s_waitcnt vmcnt(0) lgkmcnt(0)
	v_mov_b32_e32 v3, s1
	v_add_co_u32_e32 v18, vcc, s0, v19
	v_addc_co_u32_e32 v19, vcc, 0, v3, vcc
	s_cbranch_scc1 .LBB143_1830
; %bb.1824:
	s_and_b32 s26, 0xffff, s25
	s_cmp_gt_i32 s26, 25
	s_mov_b64 s[16:17], 0
	s_cbranch_scc0 .LBB143_1832
; %bb.1825:
	s_cmp_gt_i32 s26, 28
	s_cbranch_scc0 .LBB143_1833
; %bb.1826:
	s_cmp_gt_i32 s26, 43
	s_cbranch_scc0 .LBB143_1834
; %bb.1827:
	s_cmp_gt_i32 s26, 45
	s_cbranch_scc0 .LBB143_1836
; %bb.1828:
	s_cmp_eq_u32 s26, 46
	s_mov_b64 s[20:21], 0
	s_cbranch_scc0 .LBB143_1839
; %bb.1829:
	global_load_dword v3, v[18:19], off
	s_mov_b64 s[6:7], 0
	s_mov_b64 s[18:19], -1
	s_branch .LBB143_1840
.LBB143_1830:
	s_mov_b64 s[18:19], 0
                                        ; implicit-def: $vgpr3
	s_cbranch_execnz .LBB143_1905
.LBB143_1831:
	s_andn2_b64 vcc, exec, s[18:19]
	s_cbranch_vccnz .LBB143_2787
	s_branch .LBB143_1952
.LBB143_1832:
	s_mov_b64 s[18:19], 0
	s_mov_b64 s[6:7], 0
                                        ; implicit-def: $vgpr3
	s_cbranch_execnz .LBB143_1869
	s_branch .LBB143_1901
.LBB143_1833:
	s_mov_b64 s[20:21], -1
	s_mov_b64 s[18:19], 0
	s_mov_b64 s[6:7], 0
                                        ; implicit-def: $vgpr3
	s_branch .LBB143_1850
.LBB143_1834:
	s_mov_b64 s[20:21], -1
	s_mov_b64 s[18:19], 0
	s_mov_b64 s[6:7], 0
                                        ; implicit-def: $vgpr3
	s_branch .LBB143_1845
.LBB143_1835:
	s_or_b64 s[4:5], s[12:13], exec
	s_trap 2
	s_cbranch_execz .LBB143_1776
	s_branch .LBB143_1777
.LBB143_1836:
	s_mov_b64 s[20:21], -1
	s_mov_b64 s[18:19], 0
	s_mov_b64 s[6:7], 0
                                        ; implicit-def: $vgpr3
	s_branch .LBB143_1840
.LBB143_1837:
	s_andn2_saveexec_b64 s[20:21], s[20:21]
	s_cbranch_execz .LBB143_1579
.LBB143_1838:
	v_add_f32_e32 v0, 0x42800000, v3
	v_and_b32_e32 v0, 0xff, v0
	v_cmp_ne_u32_e32 vcc, 0, v0
	s_andn2_b64 s[18:19], s[18:19], exec
	s_and_b64 s[30:31], vcc, exec
	s_or_b64 s[18:19], s[18:19], s[30:31]
	s_or_b64 exec, exec, s[20:21]
	v_mov_b32_e32 v4, 0
	s_and_saveexec_b64 s[20:21], s[18:19]
	s_cbranch_execnz .LBB143_1580
	s_branch .LBB143_1581
.LBB143_1839:
	s_mov_b64 s[6:7], -1
                                        ; implicit-def: $vgpr3
	s_mov_b64 s[18:19], 0
.LBB143_1840:
	s_and_b64 vcc, exec, s[20:21]
	s_cbranch_vccz .LBB143_1844
; %bb.1841:
	s_cmp_eq_u32 s26, 44
	s_cbranch_scc0 .LBB143_1843
; %bb.1842:
	global_load_ubyte v3, v[18:19], off
	s_movk_i32 s18, 0xff
	v_mov_b32_e32 v5, 0x7f800001
	v_mov_b32_e32 v8, 0x400000
	;; [unrolled: 1-line block ×3, first 2 shown]
	s_mov_b64 s[6:7], 0
	s_waitcnt vmcnt(0)
	v_lshlrev_b32_e32 v12, 23, v3
	v_cmp_ne_u32_e32 vcc, s18, v3
	v_cndmask_b32_e32 v5, v5, v12, vcc
	v_cmp_ne_u32_e32 vcc, 0, v3
	v_cndmask_b32_e32 v3, v8, v5, vcc
	v_add_u32_e32 v5, 0x7fff, v3
	v_cmp_o_f32_e32 vcc, v3, v3
	v_cndmask_b32_sdwa v3, v10, v5, vcc dst_sel:DWORD dst_unused:UNUSED_PAD src0_sel:DWORD src1_sel:WORD_1
	s_mov_b64 s[18:19], -1
	s_branch .LBB143_1844
.LBB143_1843:
	s_mov_b64 s[6:7], -1
                                        ; implicit-def: $vgpr3
.LBB143_1844:
	s_mov_b64 s[20:21], 0
.LBB143_1845:
	s_and_b64 vcc, exec, s[20:21]
	s_cbranch_vccz .LBB143_1849
; %bb.1846:
	s_cmp_eq_u32 s26, 29
	s_cbranch_scc0 .LBB143_1848
; %bb.1847:
	global_load_dwordx2 v[20:21], v[18:19], off
	s_movk_i32 s18, 0x7fff
	s_mov_b64 s[6:7], 0
	s_mov_b64 s[20:21], 0
	s_waitcnt vmcnt(0)
	v_ffbh_u32_e32 v3, v21
	v_min_u32_e32 v3, 32, v3
	v_lshlrev_b64 v[20:21], v3, v[20:21]
	v_sub_u32_e32 v3, 32, v3
	v_min_u32_e32 v5, 1, v20
	v_or_b32_e32 v5, v21, v5
	v_cvt_f32_u32_e32 v5, v5
	v_ldexp_f32 v3, v5, v3
	v_bfe_u32 v5, v3, 16, 1
	v_add3_u32 v3, v3, v5, s18
	v_lshrrev_b32_e32 v3, 16, v3
	s_mov_b64 s[18:19], -1
	s_branch .LBB143_1850
.LBB143_1848:
	s_mov_b64 s[6:7], -1
                                        ; implicit-def: $vgpr3
.LBB143_1849:
	s_mov_b64 s[20:21], 0
.LBB143_1850:
	s_and_b64 vcc, exec, s[20:21]
	s_cbranch_vccz .LBB143_1868
; %bb.1851:
	s_cmp_lt_i32 s26, 27
	s_cbranch_scc1 .LBB143_1854
; %bb.1852:
	s_cmp_gt_i32 s26, 27
	s_cbranch_scc0 .LBB143_1855
; %bb.1853:
	global_load_dword v3, v[18:19], off
	s_movk_i32 s18, 0x7fff
	s_waitcnt vmcnt(0)
	v_cvt_f32_u32_e32 v3, v3
	v_bfe_u32 v5, v3, 16, 1
	v_add3_u32 v3, v3, v5, s18
	v_lshrrev_b32_e32 v3, 16, v3
	s_mov_b64 s[18:19], 0
	s_branch .LBB143_1856
.LBB143_1854:
	s_mov_b64 s[18:19], -1
                                        ; implicit-def: $vgpr3
	s_branch .LBB143_1859
.LBB143_1855:
	s_mov_b64 s[18:19], -1
                                        ; implicit-def: $vgpr3
.LBB143_1856:
	s_andn2_b64 vcc, exec, s[18:19]
	s_cbranch_vccnz .LBB143_1858
; %bb.1857:
	global_load_ushort v3, v[18:19], off
	s_movk_i32 s18, 0x7fff
	s_waitcnt vmcnt(0)
	v_cvt_f32_u32_e32 v3, v3
	v_bfe_u32 v5, v3, 16, 1
	v_add3_u32 v3, v3, v5, s18
	v_lshrrev_b32_e32 v3, 16, v3
.LBB143_1858:
	s_mov_b64 s[18:19], 0
.LBB143_1859:
	s_andn2_b64 vcc, exec, s[18:19]
	s_cbranch_vccnz .LBB143_1867
; %bb.1860:
	global_load_ubyte v3, v[18:19], off
	s_movk_i32 s18, 0x7f
	s_waitcnt vmcnt(0)
	v_cmp_lt_i16_e32 vcc, s18, v3
	s_mov_b64 s[18:19], 0
	s_and_saveexec_b64 s[20:21], vcc
	s_xor_b64 s[20:21], exec, s[20:21]
	s_cbranch_execz .LBB143_1880
; %bb.1861:
	s_movk_i32 s18, 0x80
	v_cmp_eq_u16_e32 vcc, s18, v3
	s_mov_b64 s[18:19], -1
	s_and_saveexec_b64 s[22:23], vcc
; %bb.1862:
	s_xor_b64 s[18:19], exec, -1
; %bb.1863:
	s_or_b64 exec, exec, s[22:23]
	s_and_b64 s[18:19], s[18:19], exec
	s_or_saveexec_b64 s[20:21], s[20:21]
	v_mov_b32_e32 v5, 0x7f800001
	s_xor_b64 exec, exec, s[20:21]
	s_cbranch_execnz .LBB143_1881
.LBB143_1864:
	s_or_b64 exec, exec, s[20:21]
	s_and_saveexec_b64 s[20:21], s[18:19]
	s_cbranch_execz .LBB143_1866
.LBB143_1865:
	v_lshlrev_b32_e32 v5, 24, v3
	v_and_b32_e32 v3, 0xffff, v3
	v_and_b32_e32 v8, 7, v3
	v_ffbh_u32_e32 v12, v8
	v_min_u32_e32 v12, 32, v12
	v_subrev_u32_e32 v14, 28, v12
	v_bfe_u32 v10, v3, 3, 4
	v_lshlrev_b32_e32 v3, v14, v3
	v_sub_u32_e32 v12, 29, v12
	v_and_b32_e32 v3, 7, v3
	v_cmp_eq_u32_e32 vcc, 0, v10
	v_cndmask_b32_e32 v10, v10, v12, vcc
	v_cndmask_b32_e32 v3, v8, v3, vcc
	v_mov_b32_e32 v8, 0x3b800000
	v_lshlrev_b32_e32 v3, 20, v3
	v_and_b32_e32 v5, 0x80000000, v5
	v_lshl_add_u32 v8, v10, 23, v8
	v_or3_b32 v5, v5, v8, v3
.LBB143_1866:
	s_or_b64 exec, exec, s[20:21]
	v_bfe_u32 v3, v5, 16, 1
	s_movk_i32 s18, 0x7fff
	v_add3_u32 v3, v5, v3, s18
	v_cmp_o_f32_e32 vcc, v5, v5
	v_mov_b32_e32 v5, 0x7fc0
	v_cndmask_b32_sdwa v3, v5, v3, vcc dst_sel:DWORD dst_unused:UNUSED_PAD src0_sel:DWORD src1_sel:WORD_1
.LBB143_1867:
	s_mov_b64 s[18:19], -1
.LBB143_1868:
	s_branch .LBB143_1901
.LBB143_1869:
	s_cmp_gt_i32 s26, 22
	s_cbranch_scc0 .LBB143_1879
; %bb.1870:
	s_cmp_lt_i32 s26, 24
	s_cbranch_scc1 .LBB143_1882
; %bb.1871:
	s_cmp_gt_i32 s26, 24
	s_cbranch_scc0 .LBB143_1883
; %bb.1872:
	global_load_ubyte v3, v[18:19], off
	s_movk_i32 s16, 0x7f
	s_waitcnt vmcnt(0)
	v_cmp_lt_i16_e32 vcc, s16, v3
	s_mov_b64 s[16:17], 0
	s_and_saveexec_b64 s[18:19], vcc
	s_xor_b64 s[18:19], exec, s[18:19]
	s_cbranch_execz .LBB143_1895
; %bb.1873:
	s_movk_i32 s16, 0x80
	v_cmp_eq_u16_e32 vcc, s16, v3
	s_mov_b64 s[16:17], -1
	s_and_saveexec_b64 s[20:21], vcc
; %bb.1874:
	s_xor_b64 s[16:17], exec, -1
; %bb.1875:
	s_or_b64 exec, exec, s[20:21]
	s_and_b64 s[16:17], s[16:17], exec
	s_or_saveexec_b64 s[18:19], s[18:19]
	v_mov_b32_e32 v5, 0x7f800001
	s_xor_b64 exec, exec, s[18:19]
	s_cbranch_execnz .LBB143_1896
.LBB143_1876:
	s_or_b64 exec, exec, s[18:19]
	s_and_saveexec_b64 s[18:19], s[16:17]
	s_cbranch_execz .LBB143_1878
.LBB143_1877:
	v_lshlrev_b32_e32 v5, 24, v3
	v_and_b32_e32 v3, 0xffff, v3
	v_and_b32_e32 v8, 3, v3
	v_ffbh_u32_e32 v12, v8
	v_min_u32_e32 v12, 32, v12
	v_subrev_u32_e32 v14, 29, v12
	v_bfe_u32 v10, v3, 2, 5
	v_lshlrev_b32_e32 v3, v14, v3
	v_sub_u32_e32 v12, 30, v12
	v_and_b32_e32 v3, 3, v3
	v_cmp_eq_u32_e32 vcc, 0, v10
	v_cndmask_b32_e32 v10, v10, v12, vcc
	v_cndmask_b32_e32 v3, v8, v3, vcc
	v_mov_b32_e32 v8, 0x37800000
	v_lshlrev_b32_e32 v3, 21, v3
	v_and_b32_e32 v5, 0x80000000, v5
	v_lshl_add_u32 v8, v10, 23, v8
	v_or3_b32 v5, v5, v8, v3
.LBB143_1878:
	s_or_b64 exec, exec, s[18:19]
	v_bfe_u32 v3, v5, 16, 1
	s_movk_i32 s16, 0x7fff
	v_add3_u32 v3, v5, v3, s16
	v_cmp_o_f32_e32 vcc, v5, v5
	v_mov_b32_e32 v5, 0x7fc0
	v_cndmask_b32_sdwa v3, v5, v3, vcc dst_sel:DWORD dst_unused:UNUSED_PAD src0_sel:DWORD src1_sel:WORD_1
	s_mov_b64 s[16:17], 0
	s_branch .LBB143_1884
.LBB143_1879:
	s_mov_b64 s[16:17], -1
                                        ; implicit-def: $vgpr3
	s_branch .LBB143_1890
.LBB143_1880:
	s_or_saveexec_b64 s[20:21], s[20:21]
	v_mov_b32_e32 v5, 0x7f800001
	s_xor_b64 exec, exec, s[20:21]
	s_cbranch_execz .LBB143_1864
.LBB143_1881:
	v_cmp_ne_u16_e32 vcc, 0, v3
	s_andn2_b64 s[18:19], s[18:19], exec
	s_and_b64 s[22:23], vcc, exec
	v_mov_b32_e32 v5, 0
	s_or_b64 s[18:19], s[18:19], s[22:23]
	s_or_b64 exec, exec, s[20:21]
	s_and_saveexec_b64 s[20:21], s[18:19]
	s_cbranch_execnz .LBB143_1865
	s_branch .LBB143_1866
.LBB143_1882:
	s_mov_b64 s[16:17], -1
                                        ; implicit-def: $vgpr3
	s_branch .LBB143_1887
.LBB143_1883:
	s_mov_b64 s[16:17], -1
                                        ; implicit-def: $vgpr3
.LBB143_1884:
	s_and_b64 vcc, exec, s[16:17]
	s_cbranch_vccz .LBB143_1886
; %bb.1885:
	global_load_ubyte v3, v[18:19], off
	s_mov_b32 s16, 0x7f800000
	s_brev_b32 s17, 1
	s_movk_i32 s18, 0x7fff
	s_waitcnt vmcnt(0)
	v_lshlrev_b32_e32 v3, 24, v3
	v_and_b32_e32 v5, 0x7f000000, v3
	v_ffbh_u32_e32 v8, v5
	v_min_u32_e32 v8, 32, v8
	v_sub_u32_e64 v8, v8, 4 clamp
	v_lshlrev_b32_e32 v12, v8, v5
	v_lshlrev_b32_e32 v8, 23, v8
	v_lshrrev_b32_e32 v12, 4, v12
	v_add_u32_e32 v10, 0x1000000, v5
	v_sub_u32_e32 v8, v12, v8
	v_ashrrev_i32_e32 v10, 8, v10
	v_add_u32_e32 v8, 0x3c000000, v8
	v_and_or_b32 v8, v10, s16, v8
	v_cmp_ne_u32_e32 vcc, 0, v5
	v_cndmask_b32_e32 v5, 0, v8, vcc
	v_and_or_b32 v3, v3, s17, v5
	v_bfe_u32 v5, v5, 16, 1
	v_add3_u32 v5, v3, v5, s18
	v_cmp_o_f32_e32 vcc, v3, v3
	v_mov_b32_e32 v3, 0x7fc0
	v_cndmask_b32_sdwa v3, v3, v5, vcc dst_sel:DWORD dst_unused:UNUSED_PAD src0_sel:DWORD src1_sel:WORD_1
.LBB143_1886:
	s_mov_b64 s[16:17], 0
.LBB143_1887:
	s_andn2_b64 vcc, exec, s[16:17]
	s_cbranch_vccnz .LBB143_1889
; %bb.1888:
	global_load_ubyte v3, v[18:19], off
	s_movk_i32 s16, 0x7f00
	s_brev_b32 s17, 16
	s_brev_b32 s18, 1
	s_movk_i32 s19, 0x7fff
	s_waitcnt vmcnt(0)
	v_lshlrev_b16_e32 v5, 8, v3
	v_lshlrev_b32_e32 v3, 25, v3
	v_lshrrev_b32_e32 v8, 4, v3
	v_and_or_b32 v10, v5, s16, 0.5
	v_or_b32_e32 v8, 0x70000000, v8
	v_add_f32_e32 v10, -0.5, v10
	v_mul_f32_e32 v8, 0x7800000, v8
	v_cmp_gt_u32_e32 vcc, s17, v3
	v_bfe_i32 v5, v5, 0, 16
	v_cndmask_b32_e32 v3, v8, v10, vcc
	v_and_or_b32 v5, v5, s18, v3
	v_bfe_u32 v3, v3, 16, 1
	v_add3_u32 v3, v5, v3, s19
	v_cmp_o_f32_e32 vcc, v5, v5
	v_mov_b32_e32 v5, 0x7fc0
	v_cndmask_b32_sdwa v3, v5, v3, vcc dst_sel:DWORD dst_unused:UNUSED_PAD src0_sel:DWORD src1_sel:WORD_1
.LBB143_1889:
	s_mov_b64 s[16:17], 0
	s_mov_b64 s[18:19], -1
.LBB143_1890:
	s_andn2_b64 vcc, exec, s[16:17]
	s_mov_b64 s[16:17], 0
	s_cbranch_vccnz .LBB143_1901
; %bb.1891:
	s_cmp_gt_i32 s26, 14
	s_cbranch_scc0 .LBB143_1894
; %bb.1892:
	s_cmp_eq_u32 s26, 15
	s_cbranch_scc0 .LBB143_1897
; %bb.1893:
	global_load_ushort v3, v[18:19], off
	s_mov_b64 s[6:7], 0
	s_mov_b64 s[18:19], -1
	s_branch .LBB143_1898
.LBB143_1894:
	s_mov_b64 s[20:21], -1
                                        ; implicit-def: $vgpr3
	s_branch .LBB143_1899
.LBB143_1895:
	s_or_saveexec_b64 s[18:19], s[18:19]
	v_mov_b32_e32 v5, 0x7f800001
	s_xor_b64 exec, exec, s[18:19]
	s_cbranch_execz .LBB143_1876
.LBB143_1896:
	v_cmp_ne_u16_e32 vcc, 0, v3
	s_andn2_b64 s[16:17], s[16:17], exec
	s_and_b64 s[20:21], vcc, exec
	v_mov_b32_e32 v5, 0
	s_or_b64 s[16:17], s[16:17], s[20:21]
	s_or_b64 exec, exec, s[18:19]
	s_and_saveexec_b64 s[18:19], s[16:17]
	s_cbranch_execnz .LBB143_1877
	s_branch .LBB143_1878
.LBB143_1897:
	s_mov_b64 s[6:7], -1
                                        ; implicit-def: $vgpr3
.LBB143_1898:
	s_mov_b64 s[20:21], 0
.LBB143_1899:
	s_and_b64 vcc, exec, s[20:21]
	s_cbranch_vccz .LBB143_1901
; %bb.1900:
	s_cmp_lg_u32 s26, 11
	s_mov_b64 s[16:17], -1
	s_cselect_b64 s[6:7], -1, 0
.LBB143_1901:
	s_and_b64 vcc, exec, s[6:7]
	s_cbranch_vccnz .LBB143_1980
; %bb.1902:
	s_andn2_b64 vcc, exec, s[16:17]
	s_cbranch_vccnz .LBB143_1904
.LBB143_1903:
	global_load_ubyte v3, v[18:19], off
	s_mov_b64 s[18:19], -1
	s_waitcnt vmcnt(0)
	v_cmp_ne_u16_e32 vcc, 0, v3
	v_cndmask_b32_e64 v3, 0, 1.0, vcc
	v_lshrrev_b32_e32 v3, 16, v3
.LBB143_1904:
	s_branch .LBB143_1831
.LBB143_1905:
	s_and_b32 s16, 0xffff, s25
	s_cmp_lt_i32 s16, 5
	s_cbranch_scc1 .LBB143_1910
; %bb.1906:
	s_cmp_lt_i32 s16, 8
	s_cbranch_scc1 .LBB143_1911
; %bb.1907:
	;; [unrolled: 3-line block ×3, first 2 shown]
	s_cmp_gt_i32 s16, 9
	s_cbranch_scc0 .LBB143_1913
; %bb.1909:
	global_load_dwordx2 v[20:21], v[18:19], off
	s_movk_i32 s6, 0x7fff
	v_mov_b32_e32 v5, 0x7fc0
	s_waitcnt vmcnt(0)
	v_cvt_f32_f64_e32 v3, v[20:21]
	v_bfe_u32 v8, v3, 16, 1
	v_cmp_o_f32_e32 vcc, v3, v3
	v_add3_u32 v3, v3, v8, s6
	v_cndmask_b32_sdwa v3, v5, v3, vcc dst_sel:DWORD dst_unused:UNUSED_PAD src0_sel:DWORD src1_sel:WORD_1
	s_mov_b64 s[6:7], 0
	s_branch .LBB143_1914
.LBB143_1910:
                                        ; implicit-def: $vgpr3
	s_branch .LBB143_1932
.LBB143_1911:
	s_mov_b64 s[6:7], -1
                                        ; implicit-def: $vgpr3
	s_branch .LBB143_1920
.LBB143_1912:
	s_mov_b64 s[6:7], -1
                                        ; implicit-def: $vgpr3
	s_branch .LBB143_1917
.LBB143_1913:
	s_mov_b64 s[6:7], -1
                                        ; implicit-def: $vgpr3
.LBB143_1914:
	s_andn2_b64 vcc, exec, s[6:7]
	s_cbranch_vccnz .LBB143_1916
; %bb.1915:
	global_load_dword v3, v[18:19], off
	s_movk_i32 s6, 0x7fff
	v_mov_b32_e32 v5, 0x7fc0
	s_waitcnt vmcnt(0)
	v_bfe_u32 v8, v3, 16, 1
	v_cmp_o_f32_e32 vcc, v3, v3
	v_add3_u32 v3, v3, v8, s6
	v_cndmask_b32_sdwa v3, v5, v3, vcc dst_sel:DWORD dst_unused:UNUSED_PAD src0_sel:DWORD src1_sel:WORD_1
.LBB143_1916:
	s_mov_b64 s[6:7], 0
.LBB143_1917:
	s_andn2_b64 vcc, exec, s[6:7]
	s_cbranch_vccnz .LBB143_1919
; %bb.1918:
	global_load_dword v3, v[18:19], off
	s_movk_i32 s6, 0x7fff
	v_mov_b32_e32 v8, 0x7fc0
	s_waitcnt vmcnt(0)
	v_cvt_f32_f16_e32 v5, v3
	v_cmp_o_f16_e32 vcc, v3, v3
	v_bfe_u32 v3, v5, 16, 1
	v_add3_u32 v3, v5, v3, s6
	v_cndmask_b32_sdwa v3, v8, v3, vcc dst_sel:DWORD dst_unused:UNUSED_PAD src0_sel:DWORD src1_sel:WORD_1
.LBB143_1919:
	s_mov_b64 s[6:7], 0
.LBB143_1920:
	s_andn2_b64 vcc, exec, s[6:7]
	s_cbranch_vccnz .LBB143_1931
; %bb.1921:
	s_cmp_lt_i32 s16, 6
	s_cbranch_scc1 .LBB143_1924
; %bb.1922:
	s_cmp_gt_i32 s16, 6
	s_cbranch_scc0 .LBB143_1925
; %bb.1923:
	global_load_dwordx2 v[20:21], v[18:19], off
	s_movk_i32 s6, 0x7fff
	v_mov_b32_e32 v5, 0x7fc0
	s_waitcnt vmcnt(0)
	v_cvt_f32_f64_e32 v3, v[20:21]
	v_bfe_u32 v8, v3, 16, 1
	v_cmp_o_f32_e32 vcc, v3, v3
	v_add3_u32 v3, v3, v8, s6
	v_cndmask_b32_sdwa v3, v5, v3, vcc dst_sel:DWORD dst_unused:UNUSED_PAD src0_sel:DWORD src1_sel:WORD_1
	s_mov_b64 s[6:7], 0
	s_branch .LBB143_1926
.LBB143_1924:
	s_mov_b64 s[6:7], -1
                                        ; implicit-def: $vgpr3
	s_branch .LBB143_1929
.LBB143_1925:
	s_mov_b64 s[6:7], -1
                                        ; implicit-def: $vgpr3
.LBB143_1926:
	s_andn2_b64 vcc, exec, s[6:7]
	s_cbranch_vccnz .LBB143_1928
; %bb.1927:
	global_load_dword v3, v[18:19], off
	s_movk_i32 s6, 0x7fff
	v_mov_b32_e32 v5, 0x7fc0
	s_waitcnt vmcnt(0)
	v_bfe_u32 v8, v3, 16, 1
	v_cmp_o_f32_e32 vcc, v3, v3
	v_add3_u32 v3, v3, v8, s6
	v_cndmask_b32_sdwa v3, v5, v3, vcc dst_sel:DWORD dst_unused:UNUSED_PAD src0_sel:DWORD src1_sel:WORD_1
.LBB143_1928:
	s_mov_b64 s[6:7], 0
.LBB143_1929:
	s_andn2_b64 vcc, exec, s[6:7]
	s_cbranch_vccnz .LBB143_1931
; %bb.1930:
	global_load_ushort v3, v[18:19], off
	s_movk_i32 s6, 0x7fff
	v_mov_b32_e32 v8, 0x7fc0
	s_waitcnt vmcnt(0)
	v_cvt_f32_f16_e32 v5, v3
	v_cmp_o_f16_e32 vcc, v3, v3
	v_bfe_u32 v3, v5, 16, 1
	v_add3_u32 v3, v5, v3, s6
	v_cndmask_b32_sdwa v3, v8, v3, vcc dst_sel:DWORD dst_unused:UNUSED_PAD src0_sel:DWORD src1_sel:WORD_1
.LBB143_1931:
	s_cbranch_execnz .LBB143_1951
.LBB143_1932:
	s_cmp_lt_i32 s16, 2
	s_cbranch_scc1 .LBB143_1936
; %bb.1933:
	s_cmp_lt_i32 s16, 3
	s_cbranch_scc1 .LBB143_1937
; %bb.1934:
	s_cmp_gt_i32 s16, 3
	s_cbranch_scc0 .LBB143_1938
; %bb.1935:
	global_load_dwordx2 v[20:21], v[18:19], off
	s_movk_i32 s6, 0x7fff
	s_waitcnt vmcnt(0)
	v_xor_b32_e32 v5, v20, v21
	v_ffbh_i32_e32 v3, v21
	v_ashrrev_i32_e32 v5, 31, v5
	v_add_u32_e32 v3, -1, v3
	v_add_u32_e32 v5, 32, v5
	v_min_u32_e32 v3, v3, v5
	v_lshlrev_b64 v[20:21], v3, v[20:21]
	v_sub_u32_e32 v3, 32, v3
	v_min_u32_e32 v5, 1, v20
	v_or_b32_e32 v5, v21, v5
	v_cvt_f32_i32_e32 v5, v5
	v_ldexp_f32 v3, v5, v3
	v_bfe_u32 v5, v3, 16, 1
	v_add3_u32 v3, v3, v5, s6
	v_lshrrev_b32_e32 v3, 16, v3
	s_mov_b64 s[6:7], 0
	s_branch .LBB143_1939
.LBB143_1936:
	s_mov_b64 s[6:7], -1
                                        ; implicit-def: $vgpr3
	s_branch .LBB143_1945
.LBB143_1937:
	s_mov_b64 s[6:7], -1
                                        ; implicit-def: $vgpr3
	s_branch .LBB143_1942
.LBB143_1938:
	s_mov_b64 s[6:7], -1
                                        ; implicit-def: $vgpr3
.LBB143_1939:
	s_andn2_b64 vcc, exec, s[6:7]
	s_cbranch_vccnz .LBB143_1941
; %bb.1940:
	global_load_dword v3, v[18:19], off
	s_movk_i32 s6, 0x7fff
	s_waitcnt vmcnt(0)
	v_cvt_f32_i32_e32 v3, v3
	v_bfe_u32 v5, v3, 16, 1
	v_add3_u32 v3, v3, v5, s6
	v_lshrrev_b32_e32 v3, 16, v3
.LBB143_1941:
	s_mov_b64 s[6:7], 0
.LBB143_1942:
	s_andn2_b64 vcc, exec, s[6:7]
	s_cbranch_vccnz .LBB143_1944
; %bb.1943:
	global_load_sshort v3, v[18:19], off
	s_movk_i32 s6, 0x7fff
	s_waitcnt vmcnt(0)
	v_cvt_f32_i32_e32 v3, v3
	v_bfe_u32 v5, v3, 16, 1
	v_add3_u32 v3, v3, v5, s6
	v_lshrrev_b32_e32 v3, 16, v3
.LBB143_1944:
	s_mov_b64 s[6:7], 0
.LBB143_1945:
	s_andn2_b64 vcc, exec, s[6:7]
	s_cbranch_vccnz .LBB143_1951
; %bb.1946:
	s_cmp_gt_i32 s16, 0
	s_cbranch_scc0 .LBB143_1948
; %bb.1947:
	global_load_sbyte v3, v[18:19], off
	s_movk_i32 s6, 0x7fff
	s_waitcnt vmcnt(0)
	v_cvt_f32_i32_e32 v3, v3
	v_bfe_u32 v5, v3, 16, 1
	v_add3_u32 v3, v3, v5, s6
	v_lshrrev_b32_e32 v3, 16, v3
	s_mov_b64 s[6:7], 0
	s_branch .LBB143_1949
.LBB143_1948:
	s_mov_b64 s[6:7], -1
                                        ; implicit-def: $vgpr3
.LBB143_1949:
	s_andn2_b64 vcc, exec, s[6:7]
	s_cbranch_vccnz .LBB143_1951
; %bb.1950:
	global_load_ubyte v3, v[18:19], off
	s_movk_i32 s6, 0x7fff
	s_waitcnt vmcnt(0)
	v_cvt_f32_ubyte0_e32 v3, v3
	v_bfe_u32 v5, v3, 16, 1
	v_add3_u32 v3, v3, v5, s6
	v_lshrrev_b32_e32 v3, 16, v3
.LBB143_1951:
.LBB143_1952:
	s_load_dword s28, s[2:3], 0x1a0
	v_lshlrev_b32_e32 v1, 16, v1
	s_waitcnt vmcnt(0)
	v_lshlrev_b32_e32 v3, 16, v3
	s_mov_b64 s[16:17], 0
	s_waitcnt lgkmcnt(0)
	s_cmp_lt_i32 s28, 1
	s_cbranch_scc1 .LBB143_1956
; %bb.1953:
	s_cmp_gt_i32 s28, 1
	s_cbranch_scc0 .LBB143_1957
; %bb.1954:
	s_cmp_eq_u32 s28, 2
	s_cbranch_scc0 .LBB143_1958
; %bb.1955:
	v_cmp_le_f32_e64 s[6:7], v1, v3
	s_mov_b64 s[18:19], 0
	s_branch .LBB143_1959
.LBB143_1956:
                                        ; implicit-def: $sgpr6_sgpr7
	s_mov_b64 s[18:19], 0
	s_cbranch_execnz .LBB143_1963
	s_branch .LBB143_1964
.LBB143_1957:
	s_mov_b64 s[20:21], -1
	s_mov_b64 s[18:19], 0
                                        ; implicit-def: $sgpr6_sgpr7
	s_branch .LBB143_1960
.LBB143_1958:
	s_mov_b64 s[18:19], -1
                                        ; implicit-def: $sgpr6_sgpr7
.LBB143_1959:
	s_mov_b64 s[20:21], 0
.LBB143_1960:
	s_and_b64 vcc, exec, s[20:21]
	s_cbranch_vccz .LBB143_1962
; %bb.1961:
	v_cmp_gt_f32_e32 vcc, v1, v3
	s_andn2_b64 s[6:7], s[6:7], exec
	s_and_b64 s[20:21], vcc, exec
	s_or_b64 s[6:7], s[6:7], s[20:21]
.LBB143_1962:
	s_branch .LBB143_1964
.LBB143_1963:
	s_cmp_lg_u32 s28, 0
	s_mov_b64 s[16:17], -1
	s_cselect_b64 s[18:19], -1, 0
.LBB143_1964:
	s_andn2_b64 vcc, exec, s[18:19]
	s_cbranch_vccnz .LBB143_1966
; %bb.1965:
	v_cmp_lt_f32_e32 vcc, v1, v3
	s_andn2_b64 s[6:7], s[6:7], exec
	s_and_b64 s[18:19], vcc, exec
	s_or_b64 s[6:7], s[6:7], s[18:19]
	s_cbranch_execz .LBB143_1967
	s_branch .LBB143_1968
.LBB143_1966:
	s_andn2_b64 vcc, exec, s[16:17]
	s_cbranch_vccnz .LBB143_1968
.LBB143_1967:
	v_cmp_ge_f32_e32 vcc, v1, v3
	s_andn2_b64 s[6:7], s[6:7], exec
	s_and_b64 s[16:17], vcc, exec
	s_or_b64 s[6:7], s[6:7], s[16:17]
.LBB143_1968:
	s_lshr_b32 s16, s24, 8
	s_lshr_b32 s26, s24, 16
	v_mov_b32_e32 v1, s11
	s_and_b32 s29, s16, 0xff
	v_add_co_u32_e32 v16, vcc, s10, v17
	s_cmp_lt_i32 s29, 11
	v_addc_co_u32_e32 v17, vcc, 0, v1, vcc
	s_cbranch_scc1 .LBB143_1975
; %bb.1969:
	s_and_b32 s27, 0xffff, s29
	s_cmp_gt_i32 s27, 25
	s_mov_b64 s[18:19], 0
	s_cbranch_scc0 .LBB143_1977
; %bb.1970:
	s_cmp_gt_i32 s27, 28
	s_cbranch_scc0 .LBB143_1978
; %bb.1971:
	s_cmp_gt_i32 s27, 43
	;; [unrolled: 3-line block ×3, first 2 shown]
	s_cbranch_scc0 .LBB143_1981
; %bb.1973:
	s_cmp_eq_u32 s27, 46
	s_mov_b64 s[22:23], 0
	s_cbranch_scc0 .LBB143_1982
; %bb.1974:
	global_load_dword v1, v[16:17], off
	s_mov_b64 s[16:17], 0
	s_mov_b64 s[20:21], -1
	s_branch .LBB143_1983
.LBB143_1975:
	s_mov_b64 s[20:21], 0
                                        ; implicit-def: $vgpr1
	s_cbranch_execnz .LBB143_2049
.LBB143_1976:
	s_andn2_b64 vcc, exec, s[20:21]
	s_cbranch_vccnz .LBB143_2787
	s_branch .LBB143_2097
.LBB143_1977:
	s_mov_b64 s[22:23], -1
	s_mov_b64 s[20:21], 0
	s_mov_b64 s[16:17], 0
                                        ; implicit-def: $vgpr1
	s_branch .LBB143_2012
.LBB143_1978:
	s_mov_b64 s[22:23], -1
	s_mov_b64 s[20:21], 0
	s_mov_b64 s[16:17], 0
                                        ; implicit-def: $vgpr1
	s_branch .LBB143_1993
.LBB143_1979:
	s_mov_b64 s[22:23], -1
	s_mov_b64 s[20:21], 0
	s_mov_b64 s[16:17], 0
                                        ; implicit-def: $vgpr1
	s_branch .LBB143_1988
.LBB143_1980:
	s_trap 2
	s_or_b64 s[4:5], s[4:5], exec
	s_cbranch_execz .LBB143_1903
	s_branch .LBB143_1904
.LBB143_1981:
	s_mov_b64 s[22:23], -1
	s_mov_b64 s[20:21], 0
	s_mov_b64 s[16:17], 0
                                        ; implicit-def: $vgpr1
	s_branch .LBB143_1983
.LBB143_1982:
	s_mov_b64 s[16:17], -1
                                        ; implicit-def: $vgpr1
	s_mov_b64 s[20:21], 0
.LBB143_1983:
	s_and_b64 vcc, exec, s[22:23]
	s_cbranch_vccz .LBB143_1987
; %bb.1984:
	s_cmp_eq_u32 s27, 44
	s_cbranch_scc0 .LBB143_1986
; %bb.1985:
	global_load_ubyte v1, v[16:17], off
	s_movk_i32 s20, 0xff
	v_mov_b32_e32 v3, 0x7f800001
	v_mov_b32_e32 v5, 0x400000
	;; [unrolled: 1-line block ×3, first 2 shown]
	s_mov_b64 s[16:17], 0
	s_waitcnt vmcnt(0)
	v_lshlrev_b32_e32 v10, 23, v1
	v_cmp_ne_u32_e32 vcc, s20, v1
	v_cndmask_b32_e32 v3, v3, v10, vcc
	v_cmp_ne_u32_e32 vcc, 0, v1
	v_cndmask_b32_e32 v1, v5, v3, vcc
	v_add_u32_e32 v3, 0x7fff, v1
	v_cmp_o_f32_e32 vcc, v1, v1
	v_cndmask_b32_sdwa v1, v8, v3, vcc dst_sel:DWORD dst_unused:UNUSED_PAD src0_sel:DWORD src1_sel:WORD_1
	s_mov_b64 s[20:21], -1
	s_branch .LBB143_1987
.LBB143_1986:
	s_mov_b64 s[16:17], -1
                                        ; implicit-def: $vgpr1
.LBB143_1987:
	s_mov_b64 s[22:23], 0
.LBB143_1988:
	s_and_b64 vcc, exec, s[22:23]
	s_cbranch_vccz .LBB143_1992
; %bb.1989:
	s_cmp_eq_u32 s27, 29
	s_cbranch_scc0 .LBB143_1991
; %bb.1990:
	global_load_dwordx2 v[18:19], v[16:17], off
	s_movk_i32 s20, 0x7fff
	s_mov_b64 s[16:17], 0
	s_mov_b64 s[22:23], 0
	s_waitcnt vmcnt(0)
	v_ffbh_u32_e32 v1, v19
	v_min_u32_e32 v1, 32, v1
	v_lshlrev_b64 v[18:19], v1, v[18:19]
	v_sub_u32_e32 v1, 32, v1
	v_min_u32_e32 v3, 1, v18
	v_or_b32_e32 v3, v19, v3
	v_cvt_f32_u32_e32 v3, v3
	v_ldexp_f32 v1, v3, v1
	v_bfe_u32 v3, v1, 16, 1
	v_add3_u32 v1, v1, v3, s20
	v_lshrrev_b32_e32 v1, 16, v1
	s_mov_b64 s[20:21], -1
	s_branch .LBB143_1993
.LBB143_1991:
	s_mov_b64 s[16:17], -1
                                        ; implicit-def: $vgpr1
.LBB143_1992:
	s_mov_b64 s[22:23], 0
.LBB143_1993:
	s_and_b64 vcc, exec, s[22:23]
	s_cbranch_vccz .LBB143_2011
; %bb.1994:
	s_cmp_lt_i32 s27, 27
	s_cbranch_scc1 .LBB143_1997
; %bb.1995:
	s_cmp_gt_i32 s27, 27
	s_cbranch_scc0 .LBB143_1998
; %bb.1996:
	global_load_dword v1, v[16:17], off
	s_movk_i32 s20, 0x7fff
	s_waitcnt vmcnt(0)
	v_cvt_f32_u32_e32 v1, v1
	v_bfe_u32 v3, v1, 16, 1
	v_add3_u32 v1, v1, v3, s20
	v_lshrrev_b32_e32 v1, 16, v1
	s_mov_b64 s[20:21], 0
	s_branch .LBB143_1999
.LBB143_1997:
	s_mov_b64 s[20:21], -1
                                        ; implicit-def: $vgpr1
	s_branch .LBB143_2002
.LBB143_1998:
	s_mov_b64 s[20:21], -1
                                        ; implicit-def: $vgpr1
.LBB143_1999:
	s_andn2_b64 vcc, exec, s[20:21]
	s_cbranch_vccnz .LBB143_2001
; %bb.2000:
	global_load_ushort v1, v[16:17], off
	s_movk_i32 s20, 0x7fff
	s_waitcnt vmcnt(0)
	v_cvt_f32_u32_e32 v1, v1
	v_bfe_u32 v3, v1, 16, 1
	v_add3_u32 v1, v1, v3, s20
	v_lshrrev_b32_e32 v1, 16, v1
.LBB143_2001:
	s_mov_b64 s[20:21], 0
.LBB143_2002:
	s_andn2_b64 vcc, exec, s[20:21]
	s_cbranch_vccnz .LBB143_2010
; %bb.2003:
	global_load_ubyte v1, v[16:17], off
	s_movk_i32 s20, 0x7f
	s_waitcnt vmcnt(0)
	v_cmp_lt_i16_e32 vcc, s20, v1
	s_mov_b64 s[20:21], 0
	s_and_saveexec_b64 s[22:23], vcc
	s_xor_b64 s[22:23], exec, s[22:23]
	s_cbranch_execz .LBB143_2024
; %bb.2004:
	s_movk_i32 s20, 0x80
	v_cmp_eq_u16_e32 vcc, s20, v1
	s_mov_b64 s[20:21], -1
	s_and_saveexec_b64 s[24:25], vcc
; %bb.2005:
	s_xor_b64 s[20:21], exec, -1
; %bb.2006:
	s_or_b64 exec, exec, s[24:25]
	s_and_b64 s[20:21], s[20:21], exec
	s_or_saveexec_b64 s[22:23], s[22:23]
	v_mov_b32_e32 v3, 0x7f800001
	s_xor_b64 exec, exec, s[22:23]
	s_cbranch_execnz .LBB143_2025
.LBB143_2007:
	s_or_b64 exec, exec, s[22:23]
	s_and_saveexec_b64 s[22:23], s[20:21]
	s_cbranch_execz .LBB143_2009
.LBB143_2008:
	v_lshlrev_b32_e32 v3, 24, v1
	v_and_b32_e32 v1, 0xffff, v1
	v_and_b32_e32 v5, 7, v1
	v_ffbh_u32_e32 v10, v5
	v_min_u32_e32 v10, 32, v10
	v_subrev_u32_e32 v12, 28, v10
	v_bfe_u32 v8, v1, 3, 4
	v_lshlrev_b32_e32 v1, v12, v1
	v_sub_u32_e32 v10, 29, v10
	v_and_b32_e32 v1, 7, v1
	v_cmp_eq_u32_e32 vcc, 0, v8
	v_cndmask_b32_e32 v8, v8, v10, vcc
	v_cndmask_b32_e32 v1, v5, v1, vcc
	v_mov_b32_e32 v5, 0x3b800000
	v_lshlrev_b32_e32 v1, 20, v1
	v_and_b32_e32 v3, 0x80000000, v3
	v_lshl_add_u32 v5, v8, 23, v5
	v_or3_b32 v3, v3, v5, v1
.LBB143_2009:
	s_or_b64 exec, exec, s[22:23]
	v_bfe_u32 v1, v3, 16, 1
	s_movk_i32 s20, 0x7fff
	v_add3_u32 v1, v3, v1, s20
	v_cmp_o_f32_e32 vcc, v3, v3
	v_mov_b32_e32 v3, 0x7fc0
	v_cndmask_b32_sdwa v1, v3, v1, vcc dst_sel:DWORD dst_unused:UNUSED_PAD src0_sel:DWORD src1_sel:WORD_1
.LBB143_2010:
	s_mov_b64 s[20:21], -1
.LBB143_2011:
	s_mov_b64 s[22:23], 0
.LBB143_2012:
	s_and_b64 vcc, exec, s[22:23]
	s_cbranch_vccz .LBB143_2045
; %bb.2013:
	s_cmp_gt_i32 s27, 22
	s_cbranch_scc0 .LBB143_2023
; %bb.2014:
	s_cmp_lt_i32 s27, 24
	s_cbranch_scc1 .LBB143_2026
; %bb.2015:
	s_cmp_gt_i32 s27, 24
	s_cbranch_scc0 .LBB143_2027
; %bb.2016:
	global_load_ubyte v1, v[16:17], off
	s_movk_i32 s18, 0x7f
	s_waitcnt vmcnt(0)
	v_cmp_lt_i16_e32 vcc, s18, v1
	s_mov_b64 s[18:19], 0
	s_and_saveexec_b64 s[20:21], vcc
	s_xor_b64 s[20:21], exec, s[20:21]
	s_cbranch_execz .LBB143_2039
; %bb.2017:
	s_movk_i32 s18, 0x80
	v_cmp_eq_u16_e32 vcc, s18, v1
	s_mov_b64 s[18:19], -1
	s_and_saveexec_b64 s[22:23], vcc
; %bb.2018:
	s_xor_b64 s[18:19], exec, -1
; %bb.2019:
	s_or_b64 exec, exec, s[22:23]
	s_and_b64 s[18:19], s[18:19], exec
	s_or_saveexec_b64 s[20:21], s[20:21]
	v_mov_b32_e32 v3, 0x7f800001
	s_xor_b64 exec, exec, s[20:21]
	s_cbranch_execnz .LBB143_2040
.LBB143_2020:
	s_or_b64 exec, exec, s[20:21]
	s_and_saveexec_b64 s[20:21], s[18:19]
	s_cbranch_execz .LBB143_2022
.LBB143_2021:
	v_lshlrev_b32_e32 v3, 24, v1
	v_and_b32_e32 v1, 0xffff, v1
	v_and_b32_e32 v5, 3, v1
	v_ffbh_u32_e32 v10, v5
	v_min_u32_e32 v10, 32, v10
	v_subrev_u32_e32 v12, 29, v10
	v_bfe_u32 v8, v1, 2, 5
	v_lshlrev_b32_e32 v1, v12, v1
	v_sub_u32_e32 v10, 30, v10
	v_and_b32_e32 v1, 3, v1
	v_cmp_eq_u32_e32 vcc, 0, v8
	v_cndmask_b32_e32 v8, v8, v10, vcc
	v_cndmask_b32_e32 v1, v5, v1, vcc
	v_mov_b32_e32 v5, 0x37800000
	v_lshlrev_b32_e32 v1, 21, v1
	v_and_b32_e32 v3, 0x80000000, v3
	v_lshl_add_u32 v5, v8, 23, v5
	v_or3_b32 v3, v3, v5, v1
.LBB143_2022:
	s_or_b64 exec, exec, s[20:21]
	v_bfe_u32 v1, v3, 16, 1
	s_movk_i32 s18, 0x7fff
	v_add3_u32 v1, v3, v1, s18
	v_cmp_o_f32_e32 vcc, v3, v3
	v_mov_b32_e32 v3, 0x7fc0
	v_cndmask_b32_sdwa v1, v3, v1, vcc dst_sel:DWORD dst_unused:UNUSED_PAD src0_sel:DWORD src1_sel:WORD_1
	s_mov_b64 s[18:19], 0
	s_branch .LBB143_2028
.LBB143_2023:
	s_mov_b64 s[18:19], -1
                                        ; implicit-def: $vgpr1
	s_branch .LBB143_2034
.LBB143_2024:
	s_or_saveexec_b64 s[22:23], s[22:23]
	v_mov_b32_e32 v3, 0x7f800001
	s_xor_b64 exec, exec, s[22:23]
	s_cbranch_execz .LBB143_2007
.LBB143_2025:
	v_cmp_ne_u16_e32 vcc, 0, v1
	s_andn2_b64 s[20:21], s[20:21], exec
	s_and_b64 s[24:25], vcc, exec
	v_mov_b32_e32 v3, 0
	s_or_b64 s[20:21], s[20:21], s[24:25]
	s_or_b64 exec, exec, s[22:23]
	s_and_saveexec_b64 s[22:23], s[20:21]
	s_cbranch_execnz .LBB143_2008
	s_branch .LBB143_2009
.LBB143_2026:
	s_mov_b64 s[18:19], -1
                                        ; implicit-def: $vgpr1
	s_branch .LBB143_2031
.LBB143_2027:
	s_mov_b64 s[18:19], -1
                                        ; implicit-def: $vgpr1
.LBB143_2028:
	s_and_b64 vcc, exec, s[18:19]
	s_cbranch_vccz .LBB143_2030
; %bb.2029:
	global_load_ubyte v1, v[16:17], off
	s_mov_b32 s18, 0x7f800000
	s_brev_b32 s19, 1
	s_movk_i32 s20, 0x7fff
	s_waitcnt vmcnt(0)
	v_lshlrev_b32_e32 v1, 24, v1
	v_and_b32_e32 v3, 0x7f000000, v1
	v_ffbh_u32_e32 v5, v3
	v_min_u32_e32 v5, 32, v5
	v_sub_u32_e64 v5, v5, 4 clamp
	v_lshlrev_b32_e32 v10, v5, v3
	v_lshlrev_b32_e32 v5, 23, v5
	v_lshrrev_b32_e32 v10, 4, v10
	v_add_u32_e32 v8, 0x1000000, v3
	v_sub_u32_e32 v5, v10, v5
	v_ashrrev_i32_e32 v8, 8, v8
	v_add_u32_e32 v5, 0x3c000000, v5
	v_and_or_b32 v5, v8, s18, v5
	v_cmp_ne_u32_e32 vcc, 0, v3
	v_cndmask_b32_e32 v3, 0, v5, vcc
	v_and_or_b32 v1, v1, s19, v3
	v_bfe_u32 v3, v3, 16, 1
	v_add3_u32 v3, v1, v3, s20
	v_cmp_o_f32_e32 vcc, v1, v1
	v_mov_b32_e32 v1, 0x7fc0
	v_cndmask_b32_sdwa v1, v1, v3, vcc dst_sel:DWORD dst_unused:UNUSED_PAD src0_sel:DWORD src1_sel:WORD_1
.LBB143_2030:
	s_mov_b64 s[18:19], 0
.LBB143_2031:
	s_andn2_b64 vcc, exec, s[18:19]
	s_cbranch_vccnz .LBB143_2033
; %bb.2032:
	global_load_ubyte v1, v[16:17], off
	s_movk_i32 s18, 0x7f00
	s_brev_b32 s19, 16
	s_brev_b32 s20, 1
	s_movk_i32 s21, 0x7fff
	s_waitcnt vmcnt(0)
	v_lshlrev_b16_e32 v3, 8, v1
	v_lshlrev_b32_e32 v1, 25, v1
	v_lshrrev_b32_e32 v5, 4, v1
	v_and_or_b32 v8, v3, s18, 0.5
	v_or_b32_e32 v5, 0x70000000, v5
	v_add_f32_e32 v8, -0.5, v8
	v_mul_f32_e32 v5, 0x7800000, v5
	v_cmp_gt_u32_e32 vcc, s19, v1
	v_bfe_i32 v3, v3, 0, 16
	v_cndmask_b32_e32 v1, v5, v8, vcc
	v_and_or_b32 v3, v3, s20, v1
	v_bfe_u32 v1, v1, 16, 1
	v_add3_u32 v1, v3, v1, s21
	v_cmp_o_f32_e32 vcc, v3, v3
	v_mov_b32_e32 v3, 0x7fc0
	v_cndmask_b32_sdwa v1, v3, v1, vcc dst_sel:DWORD dst_unused:UNUSED_PAD src0_sel:DWORD src1_sel:WORD_1
.LBB143_2033:
	s_mov_b64 s[18:19], 0
	s_mov_b64 s[20:21], -1
.LBB143_2034:
	s_andn2_b64 vcc, exec, s[18:19]
	s_mov_b64 s[18:19], 0
	s_cbranch_vccnz .LBB143_2045
; %bb.2035:
	s_cmp_gt_i32 s27, 14
	s_cbranch_scc0 .LBB143_2038
; %bb.2036:
	s_cmp_eq_u32 s27, 15
	s_cbranch_scc0 .LBB143_2041
; %bb.2037:
	global_load_ushort v1, v[16:17], off
	s_mov_b64 s[16:17], 0
	s_mov_b64 s[20:21], -1
	s_branch .LBB143_2042
.LBB143_2038:
	s_mov_b64 s[22:23], -1
                                        ; implicit-def: $vgpr1
	s_branch .LBB143_2043
.LBB143_2039:
	s_or_saveexec_b64 s[20:21], s[20:21]
	v_mov_b32_e32 v3, 0x7f800001
	s_xor_b64 exec, exec, s[20:21]
	s_cbranch_execz .LBB143_2020
.LBB143_2040:
	v_cmp_ne_u16_e32 vcc, 0, v1
	s_andn2_b64 s[18:19], s[18:19], exec
	s_and_b64 s[22:23], vcc, exec
	v_mov_b32_e32 v3, 0
	s_or_b64 s[18:19], s[18:19], s[22:23]
	s_or_b64 exec, exec, s[20:21]
	s_and_saveexec_b64 s[20:21], s[18:19]
	s_cbranch_execnz .LBB143_2021
	s_branch .LBB143_2022
.LBB143_2041:
	s_mov_b64 s[16:17], -1
                                        ; implicit-def: $vgpr1
.LBB143_2042:
	s_mov_b64 s[22:23], 0
.LBB143_2043:
	s_and_b64 vcc, exec, s[22:23]
	s_cbranch_vccz .LBB143_2045
; %bb.2044:
	s_cmp_lg_u32 s27, 11
	s_mov_b64 s[18:19], -1
	s_cselect_b64 s[16:17], -1, 0
.LBB143_2045:
	s_and_b64 vcc, exec, s[16:17]
	s_cbranch_vccnz .LBB143_2108
; %bb.2046:
	s_andn2_b64 vcc, exec, s[18:19]
	s_cbranch_vccnz .LBB143_2048
.LBB143_2047:
	global_load_ubyte v1, v[16:17], off
	s_mov_b64 s[20:21], -1
	s_waitcnt vmcnt(0)
	v_cmp_ne_u16_e32 vcc, 0, v1
	v_cndmask_b32_e64 v1, 0, 1.0, vcc
	v_lshrrev_b32_e32 v1, 16, v1
.LBB143_2048:
	s_branch .LBB143_1976
.LBB143_2049:
	s_and_b32 s18, 0xffff, s29
	s_cmp_lt_i32 s18, 5
	s_cbranch_scc1 .LBB143_2054
; %bb.2050:
	s_cmp_lt_i32 s18, 8
	s_cbranch_scc1 .LBB143_2055
; %bb.2051:
	;; [unrolled: 3-line block ×3, first 2 shown]
	s_cmp_gt_i32 s18, 9
	s_cbranch_scc0 .LBB143_2057
; %bb.2053:
	global_load_dwordx2 v[18:19], v[16:17], off
	s_movk_i32 s16, 0x7fff
	v_mov_b32_e32 v3, 0x7fc0
	s_waitcnt vmcnt(0)
	v_cvt_f32_f64_e32 v1, v[18:19]
	v_bfe_u32 v5, v1, 16, 1
	v_cmp_o_f32_e32 vcc, v1, v1
	v_add3_u32 v1, v1, v5, s16
	v_cndmask_b32_sdwa v1, v3, v1, vcc dst_sel:DWORD dst_unused:UNUSED_PAD src0_sel:DWORD src1_sel:WORD_1
	s_mov_b64 s[16:17], 0
	s_branch .LBB143_2058
.LBB143_2054:
	s_mov_b64 s[16:17], -1
                                        ; implicit-def: $vgpr1
	s_branch .LBB143_2076
.LBB143_2055:
	s_mov_b64 s[16:17], -1
                                        ; implicit-def: $vgpr1
	s_branch .LBB143_2064
.LBB143_2056:
	s_mov_b64 s[16:17], -1
                                        ; implicit-def: $vgpr1
	s_branch .LBB143_2061
.LBB143_2057:
	s_mov_b64 s[16:17], -1
                                        ; implicit-def: $vgpr1
.LBB143_2058:
	s_andn2_b64 vcc, exec, s[16:17]
	s_cbranch_vccnz .LBB143_2060
; %bb.2059:
	global_load_dword v1, v[16:17], off
	s_movk_i32 s16, 0x7fff
	v_mov_b32_e32 v3, 0x7fc0
	s_waitcnt vmcnt(0)
	v_bfe_u32 v5, v1, 16, 1
	v_cmp_o_f32_e32 vcc, v1, v1
	v_add3_u32 v1, v1, v5, s16
	v_cndmask_b32_sdwa v1, v3, v1, vcc dst_sel:DWORD dst_unused:UNUSED_PAD src0_sel:DWORD src1_sel:WORD_1
.LBB143_2060:
	s_mov_b64 s[16:17], 0
.LBB143_2061:
	s_andn2_b64 vcc, exec, s[16:17]
	s_cbranch_vccnz .LBB143_2063
; %bb.2062:
	global_load_dword v1, v[16:17], off
	s_movk_i32 s16, 0x7fff
	v_mov_b32_e32 v5, 0x7fc0
	s_waitcnt vmcnt(0)
	v_cvt_f32_f16_e32 v3, v1
	v_cmp_o_f16_e32 vcc, v1, v1
	v_bfe_u32 v1, v3, 16, 1
	v_add3_u32 v1, v3, v1, s16
	v_cndmask_b32_sdwa v1, v5, v1, vcc dst_sel:DWORD dst_unused:UNUSED_PAD src0_sel:DWORD src1_sel:WORD_1
.LBB143_2063:
	s_mov_b64 s[16:17], 0
.LBB143_2064:
	s_andn2_b64 vcc, exec, s[16:17]
	s_cbranch_vccnz .LBB143_2075
; %bb.2065:
	s_cmp_lt_i32 s18, 6
	s_cbranch_scc1 .LBB143_2068
; %bb.2066:
	s_cmp_gt_i32 s18, 6
	s_cbranch_scc0 .LBB143_2069
; %bb.2067:
	global_load_dwordx2 v[18:19], v[16:17], off
	s_movk_i32 s16, 0x7fff
	v_mov_b32_e32 v3, 0x7fc0
	s_waitcnt vmcnt(0)
	v_cvt_f32_f64_e32 v1, v[18:19]
	v_bfe_u32 v5, v1, 16, 1
	v_cmp_o_f32_e32 vcc, v1, v1
	v_add3_u32 v1, v1, v5, s16
	v_cndmask_b32_sdwa v1, v3, v1, vcc dst_sel:DWORD dst_unused:UNUSED_PAD src0_sel:DWORD src1_sel:WORD_1
	s_mov_b64 s[16:17], 0
	s_branch .LBB143_2070
.LBB143_2068:
	s_mov_b64 s[16:17], -1
                                        ; implicit-def: $vgpr1
	s_branch .LBB143_2073
.LBB143_2069:
	s_mov_b64 s[16:17], -1
                                        ; implicit-def: $vgpr1
.LBB143_2070:
	s_andn2_b64 vcc, exec, s[16:17]
	s_cbranch_vccnz .LBB143_2072
; %bb.2071:
	global_load_dword v1, v[16:17], off
	s_movk_i32 s16, 0x7fff
	v_mov_b32_e32 v3, 0x7fc0
	s_waitcnt vmcnt(0)
	v_bfe_u32 v5, v1, 16, 1
	v_cmp_o_f32_e32 vcc, v1, v1
	v_add3_u32 v1, v1, v5, s16
	v_cndmask_b32_sdwa v1, v3, v1, vcc dst_sel:DWORD dst_unused:UNUSED_PAD src0_sel:DWORD src1_sel:WORD_1
.LBB143_2072:
	s_mov_b64 s[16:17], 0
.LBB143_2073:
	s_andn2_b64 vcc, exec, s[16:17]
	s_cbranch_vccnz .LBB143_2075
; %bb.2074:
	global_load_ushort v1, v[16:17], off
	s_movk_i32 s16, 0x7fff
	v_mov_b32_e32 v5, 0x7fc0
	s_waitcnt vmcnt(0)
	v_cvt_f32_f16_e32 v3, v1
	v_cmp_o_f16_e32 vcc, v1, v1
	v_bfe_u32 v1, v3, 16, 1
	v_add3_u32 v1, v3, v1, s16
	v_cndmask_b32_sdwa v1, v5, v1, vcc dst_sel:DWORD dst_unused:UNUSED_PAD src0_sel:DWORD src1_sel:WORD_1
.LBB143_2075:
	s_mov_b64 s[16:17], 0
.LBB143_2076:
	s_andn2_b64 vcc, exec, s[16:17]
	s_cbranch_vccnz .LBB143_2096
; %bb.2077:
	s_cmp_lt_i32 s18, 2
	s_cbranch_scc1 .LBB143_2081
; %bb.2078:
	s_cmp_lt_i32 s18, 3
	s_cbranch_scc1 .LBB143_2082
; %bb.2079:
	s_cmp_gt_i32 s18, 3
	s_cbranch_scc0 .LBB143_2083
; %bb.2080:
	global_load_dwordx2 v[18:19], v[16:17], off
	s_movk_i32 s16, 0x7fff
	s_waitcnt vmcnt(0)
	v_xor_b32_e32 v3, v18, v19
	v_ffbh_i32_e32 v1, v19
	v_ashrrev_i32_e32 v3, 31, v3
	v_add_u32_e32 v1, -1, v1
	v_add_u32_e32 v3, 32, v3
	v_min_u32_e32 v1, v1, v3
	v_lshlrev_b64 v[18:19], v1, v[18:19]
	v_sub_u32_e32 v1, 32, v1
	v_min_u32_e32 v3, 1, v18
	v_or_b32_e32 v3, v19, v3
	v_cvt_f32_i32_e32 v3, v3
	v_ldexp_f32 v1, v3, v1
	v_bfe_u32 v3, v1, 16, 1
	v_add3_u32 v1, v1, v3, s16
	v_lshrrev_b32_e32 v1, 16, v1
	s_mov_b64 s[16:17], 0
	s_branch .LBB143_2084
.LBB143_2081:
	s_mov_b64 s[16:17], -1
                                        ; implicit-def: $vgpr1
	s_branch .LBB143_2090
.LBB143_2082:
	s_mov_b64 s[16:17], -1
                                        ; implicit-def: $vgpr1
	s_branch .LBB143_2087
.LBB143_2083:
	s_mov_b64 s[16:17], -1
                                        ; implicit-def: $vgpr1
.LBB143_2084:
	s_andn2_b64 vcc, exec, s[16:17]
	s_cbranch_vccnz .LBB143_2086
; %bb.2085:
	global_load_dword v1, v[16:17], off
	s_movk_i32 s16, 0x7fff
	s_waitcnt vmcnt(0)
	v_cvt_f32_i32_e32 v1, v1
	v_bfe_u32 v3, v1, 16, 1
	v_add3_u32 v1, v1, v3, s16
	v_lshrrev_b32_e32 v1, 16, v1
.LBB143_2086:
	s_mov_b64 s[16:17], 0
.LBB143_2087:
	s_andn2_b64 vcc, exec, s[16:17]
	s_cbranch_vccnz .LBB143_2089
; %bb.2088:
	global_load_sshort v1, v[16:17], off
	s_movk_i32 s16, 0x7fff
	s_waitcnt vmcnt(0)
	v_cvt_f32_i32_e32 v1, v1
	v_bfe_u32 v3, v1, 16, 1
	v_add3_u32 v1, v1, v3, s16
	v_lshrrev_b32_e32 v1, 16, v1
.LBB143_2089:
	s_mov_b64 s[16:17], 0
.LBB143_2090:
	s_andn2_b64 vcc, exec, s[16:17]
	s_cbranch_vccnz .LBB143_2096
; %bb.2091:
	s_cmp_gt_i32 s18, 0
	s_cbranch_scc0 .LBB143_2093
; %bb.2092:
	global_load_sbyte v1, v[16:17], off
	s_movk_i32 s16, 0x7fff
	s_waitcnt vmcnt(0)
	v_cvt_f32_i32_e32 v1, v1
	v_bfe_u32 v3, v1, 16, 1
	v_add3_u32 v1, v1, v3, s16
	v_lshrrev_b32_e32 v1, 16, v1
	s_mov_b64 s[16:17], 0
	s_branch .LBB143_2094
.LBB143_2093:
	s_mov_b64 s[16:17], -1
                                        ; implicit-def: $vgpr1
.LBB143_2094:
	s_andn2_b64 vcc, exec, s[16:17]
	s_cbranch_vccnz .LBB143_2096
; %bb.2095:
	global_load_ubyte v1, v[16:17], off
	s_movk_i32 s16, 0x7fff
	s_waitcnt vmcnt(0)
	v_cvt_f32_ubyte0_e32 v1, v1
	v_bfe_u32 v3, v1, 16, 1
	v_add3_u32 v1, v1, v3, s16
	v_lshrrev_b32_e32 v1, 16, v1
.LBB143_2096:
.LBB143_2097:
	v_mov_b32_e32 v3, s1
	s_and_b32 s30, s26, 0xff
	v_add_co_u32_e32 v14, vcc, s0, v15
	s_cmp_lt_i32 s30, 11
	v_addc_co_u32_e32 v15, vcc, 0, v3, vcc
	s_cbranch_scc1 .LBB143_2104
; %bb.2098:
	s_and_b32 s26, 0xffff, s30
	s_cmp_gt_i32 s26, 25
	s_mov_b64 s[18:19], 0
	s_cbranch_scc0 .LBB143_2105
; %bb.2099:
	s_cmp_gt_i32 s26, 28
	s_cbranch_scc0 .LBB143_2106
; %bb.2100:
	s_cmp_gt_i32 s26, 43
	s_cbranch_scc0 .LBB143_2107
; %bb.2101:
	s_cmp_gt_i32 s26, 45
	s_cbranch_scc0 .LBB143_2109
; %bb.2102:
	s_cmp_eq_u32 s26, 46
	s_mov_b64 s[22:23], 0
	s_cbranch_scc0 .LBB143_2110
; %bb.2103:
	global_load_dword v3, v[14:15], off
	s_mov_b64 s[16:17], 0
	s_mov_b64 s[20:21], -1
	s_branch .LBB143_2111
.LBB143_2104:
	s_mov_b64 s[16:17], -1
	s_mov_b64 s[20:21], 0
                                        ; implicit-def: $vgpr3
	s_branch .LBB143_2177
.LBB143_2105:
	s_mov_b64 s[22:23], -1
	s_mov_b64 s[20:21], 0
	s_mov_b64 s[16:17], 0
                                        ; implicit-def: $vgpr3
	s_branch .LBB143_2140
.LBB143_2106:
	s_mov_b64 s[22:23], -1
	s_mov_b64 s[20:21], 0
	s_mov_b64 s[16:17], 0
                                        ; implicit-def: $vgpr3
	s_branch .LBB143_2121
.LBB143_2107:
	s_mov_b64 s[22:23], -1
	s_mov_b64 s[20:21], 0
	s_mov_b64 s[16:17], 0
                                        ; implicit-def: $vgpr3
	s_branch .LBB143_2116
.LBB143_2108:
	s_trap 2
	s_or_b64 s[4:5], s[4:5], exec
	s_cbranch_execz .LBB143_2047
	s_branch .LBB143_2048
.LBB143_2109:
	s_mov_b64 s[22:23], -1
	s_mov_b64 s[20:21], 0
	s_mov_b64 s[16:17], 0
                                        ; implicit-def: $vgpr3
	s_branch .LBB143_2111
.LBB143_2110:
	s_mov_b64 s[16:17], -1
                                        ; implicit-def: $vgpr3
	s_mov_b64 s[20:21], 0
.LBB143_2111:
	s_and_b64 vcc, exec, s[22:23]
	s_cbranch_vccz .LBB143_2115
; %bb.2112:
	s_cmp_eq_u32 s26, 44
	s_cbranch_scc0 .LBB143_2114
; %bb.2113:
	global_load_ubyte v3, v[14:15], off
	s_movk_i32 s20, 0xff
	v_mov_b32_e32 v5, 0x7f800001
	v_mov_b32_e32 v8, 0x400000
	;; [unrolled: 1-line block ×3, first 2 shown]
	s_mov_b64 s[16:17], 0
	s_waitcnt vmcnt(0)
	v_lshlrev_b32_e32 v12, 23, v3
	v_cmp_ne_u32_e32 vcc, s20, v3
	v_cndmask_b32_e32 v5, v5, v12, vcc
	v_cmp_ne_u32_e32 vcc, 0, v3
	v_cndmask_b32_e32 v3, v8, v5, vcc
	v_add_u32_e32 v5, 0x7fff, v3
	v_cmp_o_f32_e32 vcc, v3, v3
	v_cndmask_b32_sdwa v3, v10, v5, vcc dst_sel:DWORD dst_unused:UNUSED_PAD src0_sel:DWORD src1_sel:WORD_1
	s_mov_b64 s[20:21], -1
	s_branch .LBB143_2115
.LBB143_2114:
	s_mov_b64 s[16:17], -1
                                        ; implicit-def: $vgpr3
.LBB143_2115:
	s_mov_b64 s[22:23], 0
.LBB143_2116:
	s_and_b64 vcc, exec, s[22:23]
	s_cbranch_vccz .LBB143_2120
; %bb.2117:
	s_cmp_eq_u32 s26, 29
	s_cbranch_scc0 .LBB143_2119
; %bb.2118:
	global_load_dwordx2 v[16:17], v[14:15], off
	s_movk_i32 s20, 0x7fff
	s_mov_b64 s[16:17], 0
	s_mov_b64 s[22:23], 0
	s_waitcnt vmcnt(0)
	v_ffbh_u32_e32 v3, v17
	v_min_u32_e32 v3, 32, v3
	v_lshlrev_b64 v[16:17], v3, v[16:17]
	v_sub_u32_e32 v3, 32, v3
	v_min_u32_e32 v5, 1, v16
	v_or_b32_e32 v5, v17, v5
	v_cvt_f32_u32_e32 v5, v5
	v_ldexp_f32 v3, v5, v3
	v_bfe_u32 v5, v3, 16, 1
	v_add3_u32 v3, v3, v5, s20
	v_lshrrev_b32_e32 v3, 16, v3
	s_mov_b64 s[20:21], -1
	s_branch .LBB143_2121
.LBB143_2119:
	s_mov_b64 s[16:17], -1
                                        ; implicit-def: $vgpr3
.LBB143_2120:
	s_mov_b64 s[22:23], 0
.LBB143_2121:
	s_and_b64 vcc, exec, s[22:23]
	s_cbranch_vccz .LBB143_2139
; %bb.2122:
	s_cmp_lt_i32 s26, 27
	s_cbranch_scc1 .LBB143_2125
; %bb.2123:
	s_cmp_gt_i32 s26, 27
	s_cbranch_scc0 .LBB143_2126
; %bb.2124:
	global_load_dword v3, v[14:15], off
	s_movk_i32 s20, 0x7fff
	s_waitcnt vmcnt(0)
	v_cvt_f32_u32_e32 v3, v3
	v_bfe_u32 v5, v3, 16, 1
	v_add3_u32 v3, v3, v5, s20
	v_lshrrev_b32_e32 v3, 16, v3
	s_mov_b64 s[20:21], 0
	s_branch .LBB143_2127
.LBB143_2125:
	s_mov_b64 s[20:21], -1
                                        ; implicit-def: $vgpr3
	s_branch .LBB143_2130
.LBB143_2126:
	s_mov_b64 s[20:21], -1
                                        ; implicit-def: $vgpr3
.LBB143_2127:
	s_andn2_b64 vcc, exec, s[20:21]
	s_cbranch_vccnz .LBB143_2129
; %bb.2128:
	global_load_ushort v3, v[14:15], off
	s_movk_i32 s20, 0x7fff
	s_waitcnt vmcnt(0)
	v_cvt_f32_u32_e32 v3, v3
	v_bfe_u32 v5, v3, 16, 1
	v_add3_u32 v3, v3, v5, s20
	v_lshrrev_b32_e32 v3, 16, v3
.LBB143_2129:
	s_mov_b64 s[20:21], 0
.LBB143_2130:
	s_andn2_b64 vcc, exec, s[20:21]
	s_cbranch_vccnz .LBB143_2138
; %bb.2131:
	global_load_ubyte v3, v[14:15], off
	s_movk_i32 s20, 0x7f
	s_waitcnt vmcnt(0)
	v_cmp_lt_i16_e32 vcc, s20, v3
	s_mov_b64 s[20:21], 0
	s_and_saveexec_b64 s[22:23], vcc
	s_xor_b64 s[22:23], exec, s[22:23]
	s_cbranch_execz .LBB143_2152
; %bb.2132:
	s_movk_i32 s20, 0x80
	v_cmp_eq_u16_e32 vcc, s20, v3
	s_mov_b64 s[20:21], -1
	s_and_saveexec_b64 s[24:25], vcc
; %bb.2133:
	s_xor_b64 s[20:21], exec, -1
; %bb.2134:
	s_or_b64 exec, exec, s[24:25]
	s_and_b64 s[20:21], s[20:21], exec
	s_or_saveexec_b64 s[22:23], s[22:23]
	v_mov_b32_e32 v5, 0x7f800001
	s_xor_b64 exec, exec, s[22:23]
	s_cbranch_execnz .LBB143_2153
.LBB143_2135:
	s_or_b64 exec, exec, s[22:23]
	s_and_saveexec_b64 s[22:23], s[20:21]
	s_cbranch_execz .LBB143_2137
.LBB143_2136:
	v_lshlrev_b32_e32 v5, 24, v3
	v_and_b32_e32 v3, 0xffff, v3
	v_and_b32_e32 v8, 7, v3
	v_ffbh_u32_e32 v12, v8
	v_min_u32_e32 v12, 32, v12
	v_subrev_u32_e32 v16, 28, v12
	v_bfe_u32 v10, v3, 3, 4
	v_lshlrev_b32_e32 v3, v16, v3
	v_sub_u32_e32 v12, 29, v12
	v_and_b32_e32 v3, 7, v3
	v_cmp_eq_u32_e32 vcc, 0, v10
	v_cndmask_b32_e32 v10, v10, v12, vcc
	v_cndmask_b32_e32 v3, v8, v3, vcc
	v_mov_b32_e32 v8, 0x3b800000
	v_lshlrev_b32_e32 v3, 20, v3
	v_and_b32_e32 v5, 0x80000000, v5
	v_lshl_add_u32 v8, v10, 23, v8
	v_or3_b32 v5, v5, v8, v3
.LBB143_2137:
	s_or_b64 exec, exec, s[22:23]
	v_bfe_u32 v3, v5, 16, 1
	s_movk_i32 s20, 0x7fff
	v_add3_u32 v3, v5, v3, s20
	v_cmp_o_f32_e32 vcc, v5, v5
	v_mov_b32_e32 v5, 0x7fc0
	v_cndmask_b32_sdwa v3, v5, v3, vcc dst_sel:DWORD dst_unused:UNUSED_PAD src0_sel:DWORD src1_sel:WORD_1
.LBB143_2138:
	s_mov_b64 s[20:21], -1
.LBB143_2139:
	s_mov_b64 s[22:23], 0
.LBB143_2140:
	s_and_b64 vcc, exec, s[22:23]
	s_cbranch_vccz .LBB143_2173
; %bb.2141:
	s_cmp_gt_i32 s26, 22
	s_cbranch_scc0 .LBB143_2151
; %bb.2142:
	s_cmp_lt_i32 s26, 24
	s_cbranch_scc1 .LBB143_2154
; %bb.2143:
	s_cmp_gt_i32 s26, 24
	s_cbranch_scc0 .LBB143_2155
; %bb.2144:
	global_load_ubyte v3, v[14:15], off
	s_movk_i32 s18, 0x7f
	s_waitcnt vmcnt(0)
	v_cmp_lt_i16_e32 vcc, s18, v3
	s_mov_b64 s[18:19], 0
	s_and_saveexec_b64 s[20:21], vcc
	s_xor_b64 s[20:21], exec, s[20:21]
	s_cbranch_execz .LBB143_2167
; %bb.2145:
	s_movk_i32 s18, 0x80
	v_cmp_eq_u16_e32 vcc, s18, v3
	s_mov_b64 s[18:19], -1
	s_and_saveexec_b64 s[22:23], vcc
; %bb.2146:
	s_xor_b64 s[18:19], exec, -1
; %bb.2147:
	s_or_b64 exec, exec, s[22:23]
	s_and_b64 s[18:19], s[18:19], exec
	s_or_saveexec_b64 s[20:21], s[20:21]
	v_mov_b32_e32 v5, 0x7f800001
	s_xor_b64 exec, exec, s[20:21]
	s_cbranch_execnz .LBB143_2168
.LBB143_2148:
	s_or_b64 exec, exec, s[20:21]
	s_and_saveexec_b64 s[20:21], s[18:19]
	s_cbranch_execz .LBB143_2150
.LBB143_2149:
	v_lshlrev_b32_e32 v5, 24, v3
	v_and_b32_e32 v3, 0xffff, v3
	v_and_b32_e32 v8, 3, v3
	v_ffbh_u32_e32 v12, v8
	v_min_u32_e32 v12, 32, v12
	v_subrev_u32_e32 v16, 29, v12
	v_bfe_u32 v10, v3, 2, 5
	v_lshlrev_b32_e32 v3, v16, v3
	v_sub_u32_e32 v12, 30, v12
	v_and_b32_e32 v3, 3, v3
	v_cmp_eq_u32_e32 vcc, 0, v10
	v_cndmask_b32_e32 v10, v10, v12, vcc
	v_cndmask_b32_e32 v3, v8, v3, vcc
	v_mov_b32_e32 v8, 0x37800000
	v_lshlrev_b32_e32 v3, 21, v3
	v_and_b32_e32 v5, 0x80000000, v5
	v_lshl_add_u32 v8, v10, 23, v8
	v_or3_b32 v5, v5, v8, v3
.LBB143_2150:
	s_or_b64 exec, exec, s[20:21]
	v_bfe_u32 v3, v5, 16, 1
	s_movk_i32 s18, 0x7fff
	v_add3_u32 v3, v5, v3, s18
	v_cmp_o_f32_e32 vcc, v5, v5
	v_mov_b32_e32 v5, 0x7fc0
	v_cndmask_b32_sdwa v3, v5, v3, vcc dst_sel:DWORD dst_unused:UNUSED_PAD src0_sel:DWORD src1_sel:WORD_1
	s_mov_b64 s[18:19], 0
	s_branch .LBB143_2156
.LBB143_2151:
	s_mov_b64 s[18:19], -1
                                        ; implicit-def: $vgpr3
	s_branch .LBB143_2162
.LBB143_2152:
	s_or_saveexec_b64 s[22:23], s[22:23]
	v_mov_b32_e32 v5, 0x7f800001
	s_xor_b64 exec, exec, s[22:23]
	s_cbranch_execz .LBB143_2135
.LBB143_2153:
	v_cmp_ne_u16_e32 vcc, 0, v3
	s_andn2_b64 s[20:21], s[20:21], exec
	s_and_b64 s[24:25], vcc, exec
	v_mov_b32_e32 v5, 0
	s_or_b64 s[20:21], s[20:21], s[24:25]
	s_or_b64 exec, exec, s[22:23]
	s_and_saveexec_b64 s[22:23], s[20:21]
	s_cbranch_execnz .LBB143_2136
	s_branch .LBB143_2137
.LBB143_2154:
	s_mov_b64 s[18:19], -1
                                        ; implicit-def: $vgpr3
	s_branch .LBB143_2159
.LBB143_2155:
	s_mov_b64 s[18:19], -1
                                        ; implicit-def: $vgpr3
.LBB143_2156:
	s_and_b64 vcc, exec, s[18:19]
	s_cbranch_vccz .LBB143_2158
; %bb.2157:
	global_load_ubyte v3, v[14:15], off
	s_mov_b32 s18, 0x7f800000
	s_brev_b32 s19, 1
	s_movk_i32 s20, 0x7fff
	s_waitcnt vmcnt(0)
	v_lshlrev_b32_e32 v3, 24, v3
	v_and_b32_e32 v5, 0x7f000000, v3
	v_ffbh_u32_e32 v8, v5
	v_min_u32_e32 v8, 32, v8
	v_sub_u32_e64 v8, v8, 4 clamp
	v_lshlrev_b32_e32 v12, v8, v5
	v_lshlrev_b32_e32 v8, 23, v8
	v_lshrrev_b32_e32 v12, 4, v12
	v_add_u32_e32 v10, 0x1000000, v5
	v_sub_u32_e32 v8, v12, v8
	v_ashrrev_i32_e32 v10, 8, v10
	v_add_u32_e32 v8, 0x3c000000, v8
	v_and_or_b32 v8, v10, s18, v8
	v_cmp_ne_u32_e32 vcc, 0, v5
	v_cndmask_b32_e32 v5, 0, v8, vcc
	v_and_or_b32 v3, v3, s19, v5
	v_bfe_u32 v5, v5, 16, 1
	v_add3_u32 v5, v3, v5, s20
	v_cmp_o_f32_e32 vcc, v3, v3
	v_mov_b32_e32 v3, 0x7fc0
	v_cndmask_b32_sdwa v3, v3, v5, vcc dst_sel:DWORD dst_unused:UNUSED_PAD src0_sel:DWORD src1_sel:WORD_1
.LBB143_2158:
	s_mov_b64 s[18:19], 0
.LBB143_2159:
	s_andn2_b64 vcc, exec, s[18:19]
	s_cbranch_vccnz .LBB143_2161
; %bb.2160:
	global_load_ubyte v3, v[14:15], off
	s_movk_i32 s18, 0x7f00
	s_brev_b32 s19, 16
	s_brev_b32 s20, 1
	s_movk_i32 s21, 0x7fff
	s_waitcnt vmcnt(0)
	v_lshlrev_b16_e32 v5, 8, v3
	v_lshlrev_b32_e32 v3, 25, v3
	v_lshrrev_b32_e32 v8, 4, v3
	v_and_or_b32 v10, v5, s18, 0.5
	v_or_b32_e32 v8, 0x70000000, v8
	v_add_f32_e32 v10, -0.5, v10
	v_mul_f32_e32 v8, 0x7800000, v8
	v_cmp_gt_u32_e32 vcc, s19, v3
	v_bfe_i32 v5, v5, 0, 16
	v_cndmask_b32_e32 v3, v8, v10, vcc
	v_and_or_b32 v5, v5, s20, v3
	v_bfe_u32 v3, v3, 16, 1
	v_add3_u32 v3, v5, v3, s21
	v_cmp_o_f32_e32 vcc, v5, v5
	v_mov_b32_e32 v5, 0x7fc0
	v_cndmask_b32_sdwa v3, v5, v3, vcc dst_sel:DWORD dst_unused:UNUSED_PAD src0_sel:DWORD src1_sel:WORD_1
.LBB143_2161:
	s_mov_b64 s[18:19], 0
	s_mov_b64 s[20:21], -1
.LBB143_2162:
	s_andn2_b64 vcc, exec, s[18:19]
	s_mov_b64 s[18:19], 0
	s_cbranch_vccnz .LBB143_2173
; %bb.2163:
	s_cmp_gt_i32 s26, 14
	s_cbranch_scc0 .LBB143_2166
; %bb.2164:
	s_cmp_eq_u32 s26, 15
	s_cbranch_scc0 .LBB143_2169
; %bb.2165:
	global_load_ushort v3, v[14:15], off
	s_mov_b64 s[16:17], 0
	s_mov_b64 s[20:21], -1
	s_branch .LBB143_2170
.LBB143_2166:
	s_mov_b64 s[22:23], -1
                                        ; implicit-def: $vgpr3
	s_branch .LBB143_2171
.LBB143_2167:
	s_or_saveexec_b64 s[20:21], s[20:21]
	v_mov_b32_e32 v5, 0x7f800001
	s_xor_b64 exec, exec, s[20:21]
	s_cbranch_execz .LBB143_2148
.LBB143_2168:
	v_cmp_ne_u16_e32 vcc, 0, v3
	s_andn2_b64 s[18:19], s[18:19], exec
	s_and_b64 s[22:23], vcc, exec
	v_mov_b32_e32 v5, 0
	s_or_b64 s[18:19], s[18:19], s[22:23]
	s_or_b64 exec, exec, s[20:21]
	s_and_saveexec_b64 s[20:21], s[18:19]
	s_cbranch_execnz .LBB143_2149
	s_branch .LBB143_2150
.LBB143_2169:
	s_mov_b64 s[16:17], -1
                                        ; implicit-def: $vgpr3
.LBB143_2170:
	s_mov_b64 s[22:23], 0
.LBB143_2171:
	s_and_b64 vcc, exec, s[22:23]
	s_cbranch_vccz .LBB143_2173
; %bb.2172:
	s_cmp_lg_u32 s26, 11
	s_mov_b64 s[18:19], -1
	s_cselect_b64 s[16:17], -1, 0
.LBB143_2173:
	s_and_b64 vcc, exec, s[16:17]
	s_cbranch_vccnz .LBB143_2255
; %bb.2174:
	s_andn2_b64 vcc, exec, s[18:19]
	s_cbranch_vccnz .LBB143_2176
.LBB143_2175:
	global_load_ubyte v3, v[14:15], off
	s_mov_b64 s[20:21], -1
	s_waitcnt vmcnt(0)
	v_cmp_ne_u16_e32 vcc, 0, v3
	v_cndmask_b32_e64 v3, 0, 1.0, vcc
	v_lshrrev_b32_e32 v3, 16, v3
.LBB143_2176:
	s_mov_b64 s[16:17], 0
.LBB143_2177:
	s_and_b64 vcc, exec, s[16:17]
	s_cbranch_vccz .LBB143_2226
; %bb.2178:
	s_and_b32 s18, 0xffff, s30
	s_cmp_lt_i32 s18, 5
	s_cbranch_scc1 .LBB143_2183
; %bb.2179:
	s_cmp_lt_i32 s18, 8
	s_cbranch_scc1 .LBB143_2184
; %bb.2180:
	s_cmp_lt_i32 s18, 9
	s_cbranch_scc1 .LBB143_2185
; %bb.2181:
	s_cmp_gt_i32 s18, 9
	s_cbranch_scc0 .LBB143_2186
; %bb.2182:
	global_load_dwordx2 v[16:17], v[14:15], off
	s_movk_i32 s16, 0x7fff
	v_mov_b32_e32 v5, 0x7fc0
	s_waitcnt vmcnt(0)
	v_cvt_f32_f64_e32 v3, v[16:17]
	v_bfe_u32 v8, v3, 16, 1
	v_cmp_o_f32_e32 vcc, v3, v3
	v_add3_u32 v3, v3, v8, s16
	v_cndmask_b32_sdwa v3, v5, v3, vcc dst_sel:DWORD dst_unused:UNUSED_PAD src0_sel:DWORD src1_sel:WORD_1
	s_mov_b64 s[16:17], 0
	s_branch .LBB143_2187
.LBB143_2183:
	s_mov_b64 s[16:17], -1
                                        ; implicit-def: $vgpr3
	s_branch .LBB143_2205
.LBB143_2184:
	s_mov_b64 s[16:17], -1
                                        ; implicit-def: $vgpr3
	s_branch .LBB143_2193
.LBB143_2185:
	s_mov_b64 s[16:17], -1
                                        ; implicit-def: $vgpr3
	s_branch .LBB143_2190
.LBB143_2186:
	s_mov_b64 s[16:17], -1
                                        ; implicit-def: $vgpr3
.LBB143_2187:
	s_andn2_b64 vcc, exec, s[16:17]
	s_cbranch_vccnz .LBB143_2189
; %bb.2188:
	global_load_dword v3, v[14:15], off
	s_movk_i32 s16, 0x7fff
	v_mov_b32_e32 v5, 0x7fc0
	s_waitcnt vmcnt(0)
	v_bfe_u32 v8, v3, 16, 1
	v_cmp_o_f32_e32 vcc, v3, v3
	v_add3_u32 v3, v3, v8, s16
	v_cndmask_b32_sdwa v3, v5, v3, vcc dst_sel:DWORD dst_unused:UNUSED_PAD src0_sel:DWORD src1_sel:WORD_1
.LBB143_2189:
	s_mov_b64 s[16:17], 0
.LBB143_2190:
	s_andn2_b64 vcc, exec, s[16:17]
	s_cbranch_vccnz .LBB143_2192
; %bb.2191:
	global_load_dword v3, v[14:15], off
	s_movk_i32 s16, 0x7fff
	v_mov_b32_e32 v8, 0x7fc0
	s_waitcnt vmcnt(0)
	v_cvt_f32_f16_e32 v5, v3
	v_cmp_o_f16_e32 vcc, v3, v3
	v_bfe_u32 v3, v5, 16, 1
	v_add3_u32 v3, v5, v3, s16
	v_cndmask_b32_sdwa v3, v8, v3, vcc dst_sel:DWORD dst_unused:UNUSED_PAD src0_sel:DWORD src1_sel:WORD_1
.LBB143_2192:
	s_mov_b64 s[16:17], 0
.LBB143_2193:
	s_andn2_b64 vcc, exec, s[16:17]
	s_cbranch_vccnz .LBB143_2204
; %bb.2194:
	s_cmp_lt_i32 s18, 6
	s_cbranch_scc1 .LBB143_2197
; %bb.2195:
	s_cmp_gt_i32 s18, 6
	s_cbranch_scc0 .LBB143_2198
; %bb.2196:
	global_load_dwordx2 v[16:17], v[14:15], off
	s_movk_i32 s16, 0x7fff
	v_mov_b32_e32 v5, 0x7fc0
	s_waitcnt vmcnt(0)
	v_cvt_f32_f64_e32 v3, v[16:17]
	v_bfe_u32 v8, v3, 16, 1
	v_cmp_o_f32_e32 vcc, v3, v3
	v_add3_u32 v3, v3, v8, s16
	v_cndmask_b32_sdwa v3, v5, v3, vcc dst_sel:DWORD dst_unused:UNUSED_PAD src0_sel:DWORD src1_sel:WORD_1
	s_mov_b64 s[16:17], 0
	s_branch .LBB143_2199
.LBB143_2197:
	s_mov_b64 s[16:17], -1
                                        ; implicit-def: $vgpr3
	s_branch .LBB143_2202
.LBB143_2198:
	s_mov_b64 s[16:17], -1
                                        ; implicit-def: $vgpr3
.LBB143_2199:
	s_andn2_b64 vcc, exec, s[16:17]
	s_cbranch_vccnz .LBB143_2201
; %bb.2200:
	global_load_dword v3, v[14:15], off
	s_movk_i32 s16, 0x7fff
	v_mov_b32_e32 v5, 0x7fc0
	s_waitcnt vmcnt(0)
	v_bfe_u32 v8, v3, 16, 1
	v_cmp_o_f32_e32 vcc, v3, v3
	v_add3_u32 v3, v3, v8, s16
	v_cndmask_b32_sdwa v3, v5, v3, vcc dst_sel:DWORD dst_unused:UNUSED_PAD src0_sel:DWORD src1_sel:WORD_1
.LBB143_2201:
	s_mov_b64 s[16:17], 0
.LBB143_2202:
	s_andn2_b64 vcc, exec, s[16:17]
	s_cbranch_vccnz .LBB143_2204
; %bb.2203:
	global_load_ushort v3, v[14:15], off
	s_movk_i32 s16, 0x7fff
	v_mov_b32_e32 v8, 0x7fc0
	s_waitcnt vmcnt(0)
	v_cvt_f32_f16_e32 v5, v3
	v_cmp_o_f16_e32 vcc, v3, v3
	v_bfe_u32 v3, v5, 16, 1
	v_add3_u32 v3, v5, v3, s16
	v_cndmask_b32_sdwa v3, v8, v3, vcc dst_sel:DWORD dst_unused:UNUSED_PAD src0_sel:DWORD src1_sel:WORD_1
.LBB143_2204:
	s_mov_b64 s[16:17], 0
.LBB143_2205:
	s_andn2_b64 vcc, exec, s[16:17]
	s_cbranch_vccnz .LBB143_2225
; %bb.2206:
	s_cmp_lt_i32 s18, 2
	s_cbranch_scc1 .LBB143_2210
; %bb.2207:
	s_cmp_lt_i32 s18, 3
	s_cbranch_scc1 .LBB143_2211
; %bb.2208:
	s_cmp_gt_i32 s18, 3
	s_cbranch_scc0 .LBB143_2212
; %bb.2209:
	global_load_dwordx2 v[16:17], v[14:15], off
	s_movk_i32 s16, 0x7fff
	s_waitcnt vmcnt(0)
	v_xor_b32_e32 v5, v16, v17
	v_ffbh_i32_e32 v3, v17
	v_ashrrev_i32_e32 v5, 31, v5
	v_add_u32_e32 v3, -1, v3
	v_add_u32_e32 v5, 32, v5
	v_min_u32_e32 v3, v3, v5
	v_lshlrev_b64 v[16:17], v3, v[16:17]
	v_sub_u32_e32 v3, 32, v3
	v_min_u32_e32 v5, 1, v16
	v_or_b32_e32 v5, v17, v5
	v_cvt_f32_i32_e32 v5, v5
	v_ldexp_f32 v3, v5, v3
	v_bfe_u32 v5, v3, 16, 1
	v_add3_u32 v3, v3, v5, s16
	v_lshrrev_b32_e32 v3, 16, v3
	s_mov_b64 s[16:17], 0
	s_branch .LBB143_2213
.LBB143_2210:
	s_mov_b64 s[16:17], -1
                                        ; implicit-def: $vgpr3
	s_branch .LBB143_2219
.LBB143_2211:
	s_mov_b64 s[16:17], -1
                                        ; implicit-def: $vgpr3
	s_branch .LBB143_2216
.LBB143_2212:
	s_mov_b64 s[16:17], -1
                                        ; implicit-def: $vgpr3
.LBB143_2213:
	s_andn2_b64 vcc, exec, s[16:17]
	s_cbranch_vccnz .LBB143_2215
; %bb.2214:
	global_load_dword v3, v[14:15], off
	s_movk_i32 s16, 0x7fff
	s_waitcnt vmcnt(0)
	v_cvt_f32_i32_e32 v3, v3
	v_bfe_u32 v5, v3, 16, 1
	v_add3_u32 v3, v3, v5, s16
	v_lshrrev_b32_e32 v3, 16, v3
.LBB143_2215:
	s_mov_b64 s[16:17], 0
.LBB143_2216:
	s_andn2_b64 vcc, exec, s[16:17]
	s_cbranch_vccnz .LBB143_2218
; %bb.2217:
	global_load_sshort v3, v[14:15], off
	s_movk_i32 s16, 0x7fff
	s_waitcnt vmcnt(0)
	v_cvt_f32_i32_e32 v3, v3
	v_bfe_u32 v5, v3, 16, 1
	v_add3_u32 v3, v3, v5, s16
	v_lshrrev_b32_e32 v3, 16, v3
.LBB143_2218:
	s_mov_b64 s[16:17], 0
.LBB143_2219:
	s_andn2_b64 vcc, exec, s[16:17]
	s_cbranch_vccnz .LBB143_2225
; %bb.2220:
	s_cmp_gt_i32 s18, 0
	s_cbranch_scc0 .LBB143_2222
; %bb.2221:
	global_load_sbyte v3, v[14:15], off
	s_movk_i32 s16, 0x7fff
	s_waitcnt vmcnt(0)
	v_cvt_f32_i32_e32 v3, v3
	v_bfe_u32 v5, v3, 16, 1
	v_add3_u32 v3, v3, v5, s16
	v_lshrrev_b32_e32 v3, 16, v3
	s_mov_b64 s[16:17], 0
	s_branch .LBB143_2223
.LBB143_2222:
	s_mov_b64 s[16:17], -1
                                        ; implicit-def: $vgpr3
.LBB143_2223:
	s_andn2_b64 vcc, exec, s[16:17]
	s_cbranch_vccnz .LBB143_2225
; %bb.2224:
	global_load_ubyte v3, v[14:15], off
	s_movk_i32 s16, 0x7fff
	s_waitcnt vmcnt(0)
	v_cvt_f32_ubyte0_e32 v3, v3
	v_bfe_u32 v5, v3, 16, 1
	v_add3_u32 v3, v3, v5, s16
	v_lshrrev_b32_e32 v3, 16, v3
.LBB143_2225:
	s_mov_b64 s[20:21], -1
.LBB143_2226:
	s_andn2_b64 vcc, exec, s[20:21]
	s_cbranch_vccnz .LBB143_2787
; %bb.2227:
	s_waitcnt vmcnt(0)
	v_lshlrev_b32_e32 v1, 16, v1
	v_lshlrev_b32_e32 v3, 16, v3
	s_cmp_lt_i32 s28, 1
	s_mov_b64 s[18:19], 0
	s_cbranch_scc1 .LBB143_2231
; %bb.2228:
	s_cmp_gt_i32 s28, 1
	s_cbranch_scc0 .LBB143_2232
; %bb.2229:
	s_cmp_eq_u32 s28, 2
	s_cbranch_scc0 .LBB143_2233
; %bb.2230:
	v_cmp_le_f32_e64 s[16:17], v1, v3
	s_mov_b64 s[20:21], 0
	s_branch .LBB143_2234
.LBB143_2231:
	s_mov_b64 s[22:23], -1
                                        ; implicit-def: $sgpr16_sgpr17
	s_mov_b64 s[20:21], 0
	s_branch .LBB143_2238
.LBB143_2232:
	s_mov_b64 s[22:23], -1
	s_mov_b64 s[20:21], 0
                                        ; implicit-def: $sgpr16_sgpr17
	s_branch .LBB143_2235
.LBB143_2233:
	s_mov_b64 s[20:21], -1
                                        ; implicit-def: $sgpr16_sgpr17
.LBB143_2234:
	s_mov_b64 s[22:23], 0
.LBB143_2235:
	s_and_b64 vcc, exec, s[22:23]
	s_cbranch_vccz .LBB143_2237
; %bb.2236:
	v_cmp_gt_f32_e32 vcc, v1, v3
	s_andn2_b64 s[16:17], s[16:17], exec
	s_and_b64 s[22:23], vcc, exec
	s_or_b64 s[16:17], s[16:17], s[22:23]
.LBB143_2237:
	s_mov_b64 s[22:23], 0
.LBB143_2238:
	s_and_b64 vcc, exec, s[22:23]
	s_cbranch_vccz .LBB143_2249
; %bb.2239:
	s_cmp_lg_u32 s28, 0
	s_mov_b64 s[18:19], -1
	s_cselect_b64 s[20:21], -1, 0
	s_andn2_b64 vcc, exec, s[20:21]
	s_cbranch_vccz .LBB143_2250
.LBB143_2240:
	s_andn2_b64 vcc, exec, s[18:19]
	s_cbranch_vccnz .LBB143_2242
.LBB143_2241:
	v_cmp_ge_f32_e32 vcc, v1, v3
	s_andn2_b64 s[16:17], s[16:17], exec
	s_and_b64 s[18:19], vcc, exec
	s_or_b64 s[16:17], s[16:17], s[18:19]
.LBB143_2242:
	v_mov_b32_e32 v1, s11
	v_add_co_u32_e32 v12, vcc, s10, v13
	s_cmp_lt_i32 s29, 11
	v_addc_co_u32_e32 v13, vcc, 0, v1, vcc
	s_cbranch_scc1 .LBB143_2251
; %bb.2243:
	s_and_b32 s31, 0xffff, s29
	s_cmp_gt_i32 s31, 25
	s_mov_b64 s[20:21], 0
	s_cbranch_scc0 .LBB143_2252
; %bb.2244:
	s_cmp_gt_i32 s31, 28
	s_cbranch_scc0 .LBB143_2253
; %bb.2245:
	s_cmp_gt_i32 s31, 43
	;; [unrolled: 3-line block ×3, first 2 shown]
	s_cbranch_scc0 .LBB143_2256
; %bb.2247:
	s_cmp_eq_u32 s31, 46
	s_mov_b64 s[24:25], 0
	s_cbranch_scc0 .LBB143_2257
; %bb.2248:
	global_load_dword v1, v[12:13], off
	s_mov_b64 s[18:19], 0
	s_mov_b64 s[22:23], -1
	s_branch .LBB143_2258
.LBB143_2249:
	s_andn2_b64 vcc, exec, s[20:21]
	s_cbranch_vccnz .LBB143_2240
.LBB143_2250:
	v_cmp_lt_f32_e32 vcc, v1, v3
	s_andn2_b64 s[16:17], s[16:17], exec
	s_and_b64 s[20:21], vcc, exec
	s_or_b64 s[16:17], s[16:17], s[20:21]
	s_cbranch_execz .LBB143_2241
	s_branch .LBB143_2242
.LBB143_2251:
	s_mov_b64 s[18:19], -1
	s_mov_b64 s[22:23], 0
                                        ; implicit-def: $vgpr1
	s_branch .LBB143_2324
.LBB143_2252:
	s_mov_b64 s[24:25], -1
	s_mov_b64 s[22:23], 0
	s_mov_b64 s[18:19], 0
                                        ; implicit-def: $vgpr1
	s_branch .LBB143_2287
.LBB143_2253:
	s_mov_b64 s[24:25], -1
	s_mov_b64 s[22:23], 0
	s_mov_b64 s[18:19], 0
                                        ; implicit-def: $vgpr1
	s_branch .LBB143_2268
.LBB143_2254:
	s_mov_b64 s[24:25], -1
	s_mov_b64 s[22:23], 0
	s_mov_b64 s[18:19], 0
                                        ; implicit-def: $vgpr1
	s_branch .LBB143_2263
.LBB143_2255:
	s_trap 2
	s_or_b64 s[4:5], s[4:5], exec
	s_cbranch_execz .LBB143_2175
	s_branch .LBB143_2176
.LBB143_2256:
	s_mov_b64 s[24:25], -1
	s_mov_b64 s[22:23], 0
	s_mov_b64 s[18:19], 0
                                        ; implicit-def: $vgpr1
	s_branch .LBB143_2258
.LBB143_2257:
	s_mov_b64 s[18:19], -1
                                        ; implicit-def: $vgpr1
	s_mov_b64 s[22:23], 0
.LBB143_2258:
	s_and_b64 vcc, exec, s[24:25]
	s_cbranch_vccz .LBB143_2262
; %bb.2259:
	s_cmp_eq_u32 s31, 44
	s_cbranch_scc0 .LBB143_2261
; %bb.2260:
	global_load_ubyte v1, v[12:13], off
	s_movk_i32 s22, 0xff
	v_mov_b32_e32 v3, 0x7f800001
	v_mov_b32_e32 v5, 0x400000
	;; [unrolled: 1-line block ×3, first 2 shown]
	s_mov_b64 s[18:19], 0
	s_waitcnt vmcnt(0)
	v_lshlrev_b32_e32 v10, 23, v1
	v_cmp_ne_u32_e32 vcc, s22, v1
	v_cndmask_b32_e32 v3, v3, v10, vcc
	v_cmp_ne_u32_e32 vcc, 0, v1
	v_cndmask_b32_e32 v1, v5, v3, vcc
	v_add_u32_e32 v3, 0x7fff, v1
	v_cmp_o_f32_e32 vcc, v1, v1
	v_cndmask_b32_sdwa v1, v8, v3, vcc dst_sel:DWORD dst_unused:UNUSED_PAD src0_sel:DWORD src1_sel:WORD_1
	s_mov_b64 s[22:23], -1
	s_branch .LBB143_2262
.LBB143_2261:
	s_mov_b64 s[18:19], -1
                                        ; implicit-def: $vgpr1
.LBB143_2262:
	s_mov_b64 s[24:25], 0
.LBB143_2263:
	s_and_b64 vcc, exec, s[24:25]
	s_cbranch_vccz .LBB143_2267
; %bb.2264:
	s_cmp_eq_u32 s31, 29
	s_cbranch_scc0 .LBB143_2266
; %bb.2265:
	global_load_dwordx2 v[14:15], v[12:13], off
	s_movk_i32 s22, 0x7fff
	s_mov_b64 s[18:19], 0
	s_mov_b64 s[24:25], 0
	s_waitcnt vmcnt(0)
	v_ffbh_u32_e32 v1, v15
	v_min_u32_e32 v1, 32, v1
	v_lshlrev_b64 v[14:15], v1, v[14:15]
	v_sub_u32_e32 v1, 32, v1
	v_min_u32_e32 v3, 1, v14
	v_or_b32_e32 v3, v15, v3
	v_cvt_f32_u32_e32 v3, v3
	v_ldexp_f32 v1, v3, v1
	v_bfe_u32 v3, v1, 16, 1
	v_add3_u32 v1, v1, v3, s22
	v_lshrrev_b32_e32 v1, 16, v1
	s_mov_b64 s[22:23], -1
	s_branch .LBB143_2268
.LBB143_2266:
	s_mov_b64 s[18:19], -1
                                        ; implicit-def: $vgpr1
.LBB143_2267:
	s_mov_b64 s[24:25], 0
.LBB143_2268:
	s_and_b64 vcc, exec, s[24:25]
	s_cbranch_vccz .LBB143_2286
; %bb.2269:
	s_cmp_lt_i32 s31, 27
	s_cbranch_scc1 .LBB143_2272
; %bb.2270:
	s_cmp_gt_i32 s31, 27
	s_cbranch_scc0 .LBB143_2273
; %bb.2271:
	global_load_dword v1, v[12:13], off
	s_movk_i32 s22, 0x7fff
	s_waitcnt vmcnt(0)
	v_cvt_f32_u32_e32 v1, v1
	v_bfe_u32 v3, v1, 16, 1
	v_add3_u32 v1, v1, v3, s22
	v_lshrrev_b32_e32 v1, 16, v1
	s_mov_b64 s[22:23], 0
	s_branch .LBB143_2274
.LBB143_2272:
	s_mov_b64 s[22:23], -1
                                        ; implicit-def: $vgpr1
	s_branch .LBB143_2277
.LBB143_2273:
	s_mov_b64 s[22:23], -1
                                        ; implicit-def: $vgpr1
.LBB143_2274:
	s_andn2_b64 vcc, exec, s[22:23]
	s_cbranch_vccnz .LBB143_2276
; %bb.2275:
	global_load_ushort v1, v[12:13], off
	s_movk_i32 s22, 0x7fff
	s_waitcnt vmcnt(0)
	v_cvt_f32_u32_e32 v1, v1
	v_bfe_u32 v3, v1, 16, 1
	v_add3_u32 v1, v1, v3, s22
	v_lshrrev_b32_e32 v1, 16, v1
.LBB143_2276:
	s_mov_b64 s[22:23], 0
.LBB143_2277:
	s_andn2_b64 vcc, exec, s[22:23]
	s_cbranch_vccnz .LBB143_2285
; %bb.2278:
	global_load_ubyte v1, v[12:13], off
	s_movk_i32 s22, 0x7f
	s_waitcnt vmcnt(0)
	v_cmp_lt_i16_e32 vcc, s22, v1
	s_mov_b64 s[22:23], 0
	s_and_saveexec_b64 s[24:25], vcc
	s_xor_b64 s[24:25], exec, s[24:25]
	s_cbranch_execz .LBB143_2299
; %bb.2279:
	s_movk_i32 s22, 0x80
	v_cmp_eq_u16_e32 vcc, s22, v1
	s_mov_b64 s[22:23], -1
	s_and_saveexec_b64 s[26:27], vcc
; %bb.2280:
	s_xor_b64 s[22:23], exec, -1
; %bb.2281:
	s_or_b64 exec, exec, s[26:27]
	s_and_b64 s[22:23], s[22:23], exec
	s_or_saveexec_b64 s[24:25], s[24:25]
	v_mov_b32_e32 v3, 0x7f800001
	s_xor_b64 exec, exec, s[24:25]
	s_cbranch_execnz .LBB143_2300
.LBB143_2282:
	s_or_b64 exec, exec, s[24:25]
	s_and_saveexec_b64 s[24:25], s[22:23]
	s_cbranch_execz .LBB143_2284
.LBB143_2283:
	v_lshlrev_b32_e32 v3, 24, v1
	v_and_b32_e32 v1, 0xffff, v1
	v_and_b32_e32 v5, 7, v1
	v_ffbh_u32_e32 v10, v5
	v_min_u32_e32 v10, 32, v10
	v_subrev_u32_e32 v14, 28, v10
	v_bfe_u32 v8, v1, 3, 4
	v_lshlrev_b32_e32 v1, v14, v1
	v_sub_u32_e32 v10, 29, v10
	v_and_b32_e32 v1, 7, v1
	v_cmp_eq_u32_e32 vcc, 0, v8
	v_cndmask_b32_e32 v8, v8, v10, vcc
	v_cndmask_b32_e32 v1, v5, v1, vcc
	v_mov_b32_e32 v5, 0x3b800000
	v_lshlrev_b32_e32 v1, 20, v1
	v_and_b32_e32 v3, 0x80000000, v3
	v_lshl_add_u32 v5, v8, 23, v5
	v_or3_b32 v3, v3, v5, v1
.LBB143_2284:
	s_or_b64 exec, exec, s[24:25]
	v_bfe_u32 v1, v3, 16, 1
	s_movk_i32 s22, 0x7fff
	v_add3_u32 v1, v3, v1, s22
	v_cmp_o_f32_e32 vcc, v3, v3
	v_mov_b32_e32 v3, 0x7fc0
	v_cndmask_b32_sdwa v1, v3, v1, vcc dst_sel:DWORD dst_unused:UNUSED_PAD src0_sel:DWORD src1_sel:WORD_1
.LBB143_2285:
	s_mov_b64 s[22:23], -1
.LBB143_2286:
	s_mov_b64 s[24:25], 0
.LBB143_2287:
	s_and_b64 vcc, exec, s[24:25]
	s_cbranch_vccz .LBB143_2320
; %bb.2288:
	s_cmp_gt_i32 s31, 22
	s_cbranch_scc0 .LBB143_2298
; %bb.2289:
	s_cmp_lt_i32 s31, 24
	s_cbranch_scc1 .LBB143_2301
; %bb.2290:
	s_cmp_gt_i32 s31, 24
	s_cbranch_scc0 .LBB143_2302
; %bb.2291:
	global_load_ubyte v1, v[12:13], off
	s_movk_i32 s20, 0x7f
	s_waitcnt vmcnt(0)
	v_cmp_lt_i16_e32 vcc, s20, v1
	s_mov_b64 s[20:21], 0
	s_and_saveexec_b64 s[22:23], vcc
	s_xor_b64 s[22:23], exec, s[22:23]
	s_cbranch_execz .LBB143_2314
; %bb.2292:
	s_movk_i32 s20, 0x80
	v_cmp_eq_u16_e32 vcc, s20, v1
	s_mov_b64 s[20:21], -1
	s_and_saveexec_b64 s[24:25], vcc
; %bb.2293:
	s_xor_b64 s[20:21], exec, -1
; %bb.2294:
	s_or_b64 exec, exec, s[24:25]
	s_and_b64 s[20:21], s[20:21], exec
	s_or_saveexec_b64 s[22:23], s[22:23]
	v_mov_b32_e32 v3, 0x7f800001
	s_xor_b64 exec, exec, s[22:23]
	s_cbranch_execnz .LBB143_2315
.LBB143_2295:
	s_or_b64 exec, exec, s[22:23]
	s_and_saveexec_b64 s[22:23], s[20:21]
	s_cbranch_execz .LBB143_2297
.LBB143_2296:
	v_lshlrev_b32_e32 v3, 24, v1
	v_and_b32_e32 v1, 0xffff, v1
	v_and_b32_e32 v5, 3, v1
	v_ffbh_u32_e32 v10, v5
	v_min_u32_e32 v10, 32, v10
	v_subrev_u32_e32 v14, 29, v10
	v_bfe_u32 v8, v1, 2, 5
	v_lshlrev_b32_e32 v1, v14, v1
	v_sub_u32_e32 v10, 30, v10
	v_and_b32_e32 v1, 3, v1
	v_cmp_eq_u32_e32 vcc, 0, v8
	v_cndmask_b32_e32 v8, v8, v10, vcc
	v_cndmask_b32_e32 v1, v5, v1, vcc
	v_mov_b32_e32 v5, 0x37800000
	v_lshlrev_b32_e32 v1, 21, v1
	v_and_b32_e32 v3, 0x80000000, v3
	v_lshl_add_u32 v5, v8, 23, v5
	v_or3_b32 v3, v3, v5, v1
.LBB143_2297:
	s_or_b64 exec, exec, s[22:23]
	v_bfe_u32 v1, v3, 16, 1
	s_movk_i32 s20, 0x7fff
	v_add3_u32 v1, v3, v1, s20
	v_cmp_o_f32_e32 vcc, v3, v3
	v_mov_b32_e32 v3, 0x7fc0
	v_cndmask_b32_sdwa v1, v3, v1, vcc dst_sel:DWORD dst_unused:UNUSED_PAD src0_sel:DWORD src1_sel:WORD_1
	s_mov_b64 s[20:21], 0
	s_branch .LBB143_2303
.LBB143_2298:
	s_mov_b64 s[20:21], -1
                                        ; implicit-def: $vgpr1
	s_branch .LBB143_2309
.LBB143_2299:
	s_or_saveexec_b64 s[24:25], s[24:25]
	v_mov_b32_e32 v3, 0x7f800001
	s_xor_b64 exec, exec, s[24:25]
	s_cbranch_execz .LBB143_2282
.LBB143_2300:
	v_cmp_ne_u16_e32 vcc, 0, v1
	s_andn2_b64 s[22:23], s[22:23], exec
	s_and_b64 s[26:27], vcc, exec
	v_mov_b32_e32 v3, 0
	s_or_b64 s[22:23], s[22:23], s[26:27]
	s_or_b64 exec, exec, s[24:25]
	s_and_saveexec_b64 s[24:25], s[22:23]
	s_cbranch_execnz .LBB143_2283
	s_branch .LBB143_2284
.LBB143_2301:
	s_mov_b64 s[20:21], -1
                                        ; implicit-def: $vgpr1
	s_branch .LBB143_2306
.LBB143_2302:
	s_mov_b64 s[20:21], -1
                                        ; implicit-def: $vgpr1
.LBB143_2303:
	s_and_b64 vcc, exec, s[20:21]
	s_cbranch_vccz .LBB143_2305
; %bb.2304:
	global_load_ubyte v1, v[12:13], off
	s_mov_b32 s20, 0x7f800000
	s_brev_b32 s21, 1
	s_movk_i32 s22, 0x7fff
	s_waitcnt vmcnt(0)
	v_lshlrev_b32_e32 v1, 24, v1
	v_and_b32_e32 v3, 0x7f000000, v1
	v_ffbh_u32_e32 v5, v3
	v_min_u32_e32 v5, 32, v5
	v_sub_u32_e64 v5, v5, 4 clamp
	v_lshlrev_b32_e32 v10, v5, v3
	v_lshlrev_b32_e32 v5, 23, v5
	v_lshrrev_b32_e32 v10, 4, v10
	v_add_u32_e32 v8, 0x1000000, v3
	v_sub_u32_e32 v5, v10, v5
	v_ashrrev_i32_e32 v8, 8, v8
	v_add_u32_e32 v5, 0x3c000000, v5
	v_and_or_b32 v5, v8, s20, v5
	v_cmp_ne_u32_e32 vcc, 0, v3
	v_cndmask_b32_e32 v3, 0, v5, vcc
	v_and_or_b32 v1, v1, s21, v3
	v_bfe_u32 v3, v3, 16, 1
	v_add3_u32 v3, v1, v3, s22
	v_cmp_o_f32_e32 vcc, v1, v1
	v_mov_b32_e32 v1, 0x7fc0
	v_cndmask_b32_sdwa v1, v1, v3, vcc dst_sel:DWORD dst_unused:UNUSED_PAD src0_sel:DWORD src1_sel:WORD_1
.LBB143_2305:
	s_mov_b64 s[20:21], 0
.LBB143_2306:
	s_andn2_b64 vcc, exec, s[20:21]
	s_cbranch_vccnz .LBB143_2308
; %bb.2307:
	global_load_ubyte v1, v[12:13], off
	s_movk_i32 s20, 0x7f00
	s_brev_b32 s21, 16
	s_brev_b32 s22, 1
	s_movk_i32 s23, 0x7fff
	s_waitcnt vmcnt(0)
	v_lshlrev_b16_e32 v3, 8, v1
	v_lshlrev_b32_e32 v1, 25, v1
	v_lshrrev_b32_e32 v5, 4, v1
	v_and_or_b32 v8, v3, s20, 0.5
	v_or_b32_e32 v5, 0x70000000, v5
	v_add_f32_e32 v8, -0.5, v8
	v_mul_f32_e32 v5, 0x7800000, v5
	v_cmp_gt_u32_e32 vcc, s21, v1
	v_bfe_i32 v3, v3, 0, 16
	v_cndmask_b32_e32 v1, v5, v8, vcc
	v_and_or_b32 v3, v3, s22, v1
	v_bfe_u32 v1, v1, 16, 1
	v_add3_u32 v1, v3, v1, s23
	v_cmp_o_f32_e32 vcc, v3, v3
	v_mov_b32_e32 v3, 0x7fc0
	v_cndmask_b32_sdwa v1, v3, v1, vcc dst_sel:DWORD dst_unused:UNUSED_PAD src0_sel:DWORD src1_sel:WORD_1
.LBB143_2308:
	s_mov_b64 s[20:21], 0
	s_mov_b64 s[22:23], -1
.LBB143_2309:
	s_andn2_b64 vcc, exec, s[20:21]
	s_mov_b64 s[20:21], 0
	s_cbranch_vccnz .LBB143_2320
; %bb.2310:
	s_cmp_gt_i32 s31, 14
	s_cbranch_scc0 .LBB143_2313
; %bb.2311:
	s_cmp_eq_u32 s31, 15
	s_cbranch_scc0 .LBB143_2316
; %bb.2312:
	global_load_ushort v1, v[12:13], off
	s_mov_b64 s[18:19], 0
	s_mov_b64 s[22:23], -1
	s_branch .LBB143_2317
.LBB143_2313:
	s_mov_b64 s[24:25], -1
                                        ; implicit-def: $vgpr1
	s_branch .LBB143_2318
.LBB143_2314:
	s_or_saveexec_b64 s[22:23], s[22:23]
	v_mov_b32_e32 v3, 0x7f800001
	s_xor_b64 exec, exec, s[22:23]
	s_cbranch_execz .LBB143_2295
.LBB143_2315:
	v_cmp_ne_u16_e32 vcc, 0, v1
	s_andn2_b64 s[20:21], s[20:21], exec
	s_and_b64 s[24:25], vcc, exec
	v_mov_b32_e32 v3, 0
	s_or_b64 s[20:21], s[20:21], s[24:25]
	s_or_b64 exec, exec, s[22:23]
	s_and_saveexec_b64 s[22:23], s[20:21]
	s_cbranch_execnz .LBB143_2296
	s_branch .LBB143_2297
.LBB143_2316:
	s_mov_b64 s[18:19], -1
                                        ; implicit-def: $vgpr1
.LBB143_2317:
	s_mov_b64 s[24:25], 0
.LBB143_2318:
	s_and_b64 vcc, exec, s[24:25]
	s_cbranch_vccz .LBB143_2320
; %bb.2319:
	s_cmp_lg_u32 s31, 11
	s_mov_b64 s[20:21], -1
	s_cselect_b64 s[18:19], -1, 0
.LBB143_2320:
	s_and_b64 vcc, exec, s[18:19]
	s_cbranch_vccnz .LBB143_2385
; %bb.2321:
	s_andn2_b64 vcc, exec, s[20:21]
	s_cbranch_vccnz .LBB143_2323
.LBB143_2322:
	global_load_ubyte v1, v[12:13], off
	s_mov_b64 s[22:23], -1
	s_waitcnt vmcnt(0)
	v_cmp_ne_u16_e32 vcc, 0, v1
	v_cndmask_b32_e64 v1, 0, 1.0, vcc
	v_lshrrev_b32_e32 v1, 16, v1
.LBB143_2323:
	s_mov_b64 s[18:19], 0
.LBB143_2324:
	s_and_b64 vcc, exec, s[18:19]
	s_cbranch_vccz .LBB143_2373
; %bb.2325:
	s_and_b32 s20, 0xffff, s29
	s_cmp_lt_i32 s20, 5
	s_cbranch_scc1 .LBB143_2330
; %bb.2326:
	s_cmp_lt_i32 s20, 8
	s_cbranch_scc1 .LBB143_2331
; %bb.2327:
	;; [unrolled: 3-line block ×3, first 2 shown]
	s_cmp_gt_i32 s20, 9
	s_cbranch_scc0 .LBB143_2333
; %bb.2329:
	global_load_dwordx2 v[14:15], v[12:13], off
	s_movk_i32 s18, 0x7fff
	v_mov_b32_e32 v3, 0x7fc0
	s_waitcnt vmcnt(0)
	v_cvt_f32_f64_e32 v1, v[14:15]
	v_bfe_u32 v5, v1, 16, 1
	v_cmp_o_f32_e32 vcc, v1, v1
	v_add3_u32 v1, v1, v5, s18
	v_cndmask_b32_sdwa v1, v3, v1, vcc dst_sel:DWORD dst_unused:UNUSED_PAD src0_sel:DWORD src1_sel:WORD_1
	s_mov_b64 s[18:19], 0
	s_branch .LBB143_2334
.LBB143_2330:
	s_mov_b64 s[18:19], -1
                                        ; implicit-def: $vgpr1
	s_branch .LBB143_2352
.LBB143_2331:
	s_mov_b64 s[18:19], -1
                                        ; implicit-def: $vgpr1
	s_branch .LBB143_2340
.LBB143_2332:
	s_mov_b64 s[18:19], -1
                                        ; implicit-def: $vgpr1
	s_branch .LBB143_2337
.LBB143_2333:
	s_mov_b64 s[18:19], -1
                                        ; implicit-def: $vgpr1
.LBB143_2334:
	s_andn2_b64 vcc, exec, s[18:19]
	s_cbranch_vccnz .LBB143_2336
; %bb.2335:
	global_load_dword v1, v[12:13], off
	s_movk_i32 s18, 0x7fff
	v_mov_b32_e32 v3, 0x7fc0
	s_waitcnt vmcnt(0)
	v_bfe_u32 v5, v1, 16, 1
	v_cmp_o_f32_e32 vcc, v1, v1
	v_add3_u32 v1, v1, v5, s18
	v_cndmask_b32_sdwa v1, v3, v1, vcc dst_sel:DWORD dst_unused:UNUSED_PAD src0_sel:DWORD src1_sel:WORD_1
.LBB143_2336:
	s_mov_b64 s[18:19], 0
.LBB143_2337:
	s_andn2_b64 vcc, exec, s[18:19]
	s_cbranch_vccnz .LBB143_2339
; %bb.2338:
	global_load_dword v1, v[12:13], off
	s_movk_i32 s18, 0x7fff
	v_mov_b32_e32 v5, 0x7fc0
	s_waitcnt vmcnt(0)
	v_cvt_f32_f16_e32 v3, v1
	v_cmp_o_f16_e32 vcc, v1, v1
	v_bfe_u32 v1, v3, 16, 1
	v_add3_u32 v1, v3, v1, s18
	v_cndmask_b32_sdwa v1, v5, v1, vcc dst_sel:DWORD dst_unused:UNUSED_PAD src0_sel:DWORD src1_sel:WORD_1
.LBB143_2339:
	s_mov_b64 s[18:19], 0
.LBB143_2340:
	s_andn2_b64 vcc, exec, s[18:19]
	s_cbranch_vccnz .LBB143_2351
; %bb.2341:
	s_cmp_lt_i32 s20, 6
	s_cbranch_scc1 .LBB143_2344
; %bb.2342:
	s_cmp_gt_i32 s20, 6
	s_cbranch_scc0 .LBB143_2345
; %bb.2343:
	global_load_dwordx2 v[14:15], v[12:13], off
	s_movk_i32 s18, 0x7fff
	v_mov_b32_e32 v3, 0x7fc0
	s_waitcnt vmcnt(0)
	v_cvt_f32_f64_e32 v1, v[14:15]
	v_bfe_u32 v5, v1, 16, 1
	v_cmp_o_f32_e32 vcc, v1, v1
	v_add3_u32 v1, v1, v5, s18
	v_cndmask_b32_sdwa v1, v3, v1, vcc dst_sel:DWORD dst_unused:UNUSED_PAD src0_sel:DWORD src1_sel:WORD_1
	s_mov_b64 s[18:19], 0
	s_branch .LBB143_2346
.LBB143_2344:
	s_mov_b64 s[18:19], -1
                                        ; implicit-def: $vgpr1
	s_branch .LBB143_2349
.LBB143_2345:
	s_mov_b64 s[18:19], -1
                                        ; implicit-def: $vgpr1
.LBB143_2346:
	s_andn2_b64 vcc, exec, s[18:19]
	s_cbranch_vccnz .LBB143_2348
; %bb.2347:
	global_load_dword v1, v[12:13], off
	s_movk_i32 s18, 0x7fff
	v_mov_b32_e32 v3, 0x7fc0
	s_waitcnt vmcnt(0)
	v_bfe_u32 v5, v1, 16, 1
	v_cmp_o_f32_e32 vcc, v1, v1
	v_add3_u32 v1, v1, v5, s18
	v_cndmask_b32_sdwa v1, v3, v1, vcc dst_sel:DWORD dst_unused:UNUSED_PAD src0_sel:DWORD src1_sel:WORD_1
.LBB143_2348:
	s_mov_b64 s[18:19], 0
.LBB143_2349:
	s_andn2_b64 vcc, exec, s[18:19]
	s_cbranch_vccnz .LBB143_2351
; %bb.2350:
	global_load_ushort v1, v[12:13], off
	s_movk_i32 s18, 0x7fff
	v_mov_b32_e32 v5, 0x7fc0
	s_waitcnt vmcnt(0)
	v_cvt_f32_f16_e32 v3, v1
	v_cmp_o_f16_e32 vcc, v1, v1
	v_bfe_u32 v1, v3, 16, 1
	v_add3_u32 v1, v3, v1, s18
	v_cndmask_b32_sdwa v1, v5, v1, vcc dst_sel:DWORD dst_unused:UNUSED_PAD src0_sel:DWORD src1_sel:WORD_1
.LBB143_2351:
	s_mov_b64 s[18:19], 0
.LBB143_2352:
	s_andn2_b64 vcc, exec, s[18:19]
	s_cbranch_vccnz .LBB143_2372
; %bb.2353:
	s_cmp_lt_i32 s20, 2
	s_cbranch_scc1 .LBB143_2357
; %bb.2354:
	s_cmp_lt_i32 s20, 3
	s_cbranch_scc1 .LBB143_2358
; %bb.2355:
	s_cmp_gt_i32 s20, 3
	s_cbranch_scc0 .LBB143_2359
; %bb.2356:
	global_load_dwordx2 v[14:15], v[12:13], off
	s_movk_i32 s18, 0x7fff
	s_waitcnt vmcnt(0)
	v_xor_b32_e32 v3, v14, v15
	v_ffbh_i32_e32 v1, v15
	v_ashrrev_i32_e32 v3, 31, v3
	v_add_u32_e32 v1, -1, v1
	v_add_u32_e32 v3, 32, v3
	v_min_u32_e32 v1, v1, v3
	v_lshlrev_b64 v[14:15], v1, v[14:15]
	v_sub_u32_e32 v1, 32, v1
	v_min_u32_e32 v3, 1, v14
	v_or_b32_e32 v3, v15, v3
	v_cvt_f32_i32_e32 v3, v3
	v_ldexp_f32 v1, v3, v1
	v_bfe_u32 v3, v1, 16, 1
	v_add3_u32 v1, v1, v3, s18
	v_lshrrev_b32_e32 v1, 16, v1
	s_mov_b64 s[18:19], 0
	s_branch .LBB143_2360
.LBB143_2357:
	s_mov_b64 s[18:19], -1
                                        ; implicit-def: $vgpr1
	s_branch .LBB143_2366
.LBB143_2358:
	s_mov_b64 s[18:19], -1
                                        ; implicit-def: $vgpr1
	s_branch .LBB143_2363
.LBB143_2359:
	s_mov_b64 s[18:19], -1
                                        ; implicit-def: $vgpr1
.LBB143_2360:
	s_andn2_b64 vcc, exec, s[18:19]
	s_cbranch_vccnz .LBB143_2362
; %bb.2361:
	global_load_dword v1, v[12:13], off
	s_movk_i32 s18, 0x7fff
	s_waitcnt vmcnt(0)
	v_cvt_f32_i32_e32 v1, v1
	v_bfe_u32 v3, v1, 16, 1
	v_add3_u32 v1, v1, v3, s18
	v_lshrrev_b32_e32 v1, 16, v1
.LBB143_2362:
	s_mov_b64 s[18:19], 0
.LBB143_2363:
	s_andn2_b64 vcc, exec, s[18:19]
	s_cbranch_vccnz .LBB143_2365
; %bb.2364:
	global_load_sshort v1, v[12:13], off
	s_movk_i32 s18, 0x7fff
	s_waitcnt vmcnt(0)
	v_cvt_f32_i32_e32 v1, v1
	v_bfe_u32 v3, v1, 16, 1
	v_add3_u32 v1, v1, v3, s18
	v_lshrrev_b32_e32 v1, 16, v1
.LBB143_2365:
	s_mov_b64 s[18:19], 0
.LBB143_2366:
	s_andn2_b64 vcc, exec, s[18:19]
	s_cbranch_vccnz .LBB143_2372
; %bb.2367:
	s_cmp_gt_i32 s20, 0
	s_cbranch_scc0 .LBB143_2369
; %bb.2368:
	global_load_sbyte v1, v[12:13], off
	s_movk_i32 s18, 0x7fff
	s_waitcnt vmcnt(0)
	v_cvt_f32_i32_e32 v1, v1
	v_bfe_u32 v3, v1, 16, 1
	v_add3_u32 v1, v1, v3, s18
	v_lshrrev_b32_e32 v1, 16, v1
	s_mov_b64 s[18:19], 0
	s_branch .LBB143_2370
.LBB143_2369:
	s_mov_b64 s[18:19], -1
                                        ; implicit-def: $vgpr1
.LBB143_2370:
	s_andn2_b64 vcc, exec, s[18:19]
	s_cbranch_vccnz .LBB143_2372
; %bb.2371:
	global_load_ubyte v1, v[12:13], off
	s_movk_i32 s18, 0x7fff
	s_waitcnt vmcnt(0)
	v_cvt_f32_ubyte0_e32 v1, v1
	v_bfe_u32 v3, v1, 16, 1
	v_add3_u32 v1, v1, v3, s18
	v_lshrrev_b32_e32 v1, 16, v1
.LBB143_2372:
	s_mov_b64 s[22:23], -1
.LBB143_2373:
	s_andn2_b64 vcc, exec, s[22:23]
	s_cbranch_vccnz .LBB143_2787
; %bb.2374:
	v_mov_b32_e32 v3, s1
	v_add_co_u32_e32 v10, vcc, s0, v11
	s_cmp_lt_i32 s30, 11
	v_addc_co_u32_e32 v11, vcc, 0, v3, vcc
	s_cbranch_scc1 .LBB143_2381
; %bb.2375:
	s_and_b32 s31, 0xffff, s30
	s_cmp_gt_i32 s31, 25
	s_mov_b64 s[20:21], 0
	s_cbranch_scc0 .LBB143_2382
; %bb.2376:
	s_cmp_gt_i32 s31, 28
	s_cbranch_scc0 .LBB143_2383
; %bb.2377:
	s_cmp_gt_i32 s31, 43
	;; [unrolled: 3-line block ×3, first 2 shown]
	s_cbranch_scc0 .LBB143_2386
; %bb.2379:
	s_cmp_eq_u32 s31, 46
	s_mov_b64 s[24:25], 0
	s_cbranch_scc0 .LBB143_2389
; %bb.2380:
	global_load_dword v3, v[10:11], off
	s_mov_b64 s[18:19], 0
	s_mov_b64 s[22:23], -1
	s_branch .LBB143_2390
.LBB143_2381:
	s_mov_b64 s[18:19], -1
	s_mov_b64 s[22:23], 0
                                        ; implicit-def: $vgpr3
	s_branch .LBB143_2456
.LBB143_2382:
	s_mov_b64 s[24:25], -1
	s_mov_b64 s[22:23], 0
	s_mov_b64 s[18:19], 0
                                        ; implicit-def: $vgpr3
	s_branch .LBB143_2419
.LBB143_2383:
	s_mov_b64 s[24:25], -1
	s_mov_b64 s[22:23], 0
	s_mov_b64 s[18:19], 0
                                        ; implicit-def: $vgpr3
	s_branch .LBB143_2400
.LBB143_2384:
	s_mov_b64 s[24:25], -1
	s_mov_b64 s[22:23], 0
	s_mov_b64 s[18:19], 0
                                        ; implicit-def: $vgpr3
	s_branch .LBB143_2395
.LBB143_2385:
	s_trap 2
	s_or_b64 s[4:5], s[4:5], exec
	s_cbranch_execz .LBB143_2322
	s_branch .LBB143_2323
.LBB143_2386:
	s_mov_b64 s[24:25], -1
	s_mov_b64 s[22:23], 0
	s_mov_b64 s[18:19], 0
                                        ; implicit-def: $vgpr3
	s_branch .LBB143_2390
.LBB143_2387:
	s_andn2_saveexec_b64 s[66:67], s[66:67]
	s_cbranch_execz .LBB143_1169
.LBB143_2388:
	v_add_f32_e32 v2, 0x42800000, v3
	v_and_b32_e32 v2, 0xff, v2
	v_cmp_ne_u32_e32 vcc, 0, v2
	s_andn2_b64 s[64:65], s[64:65], exec
	s_and_b64 s[76:77], vcc, exec
	s_or_b64 s[64:65], s[64:65], s[76:77]
	s_or_b64 exec, exec, s[66:67]
	v_mov_b32_e32 v4, 0
	s_and_saveexec_b64 s[66:67], s[64:65]
	s_cbranch_execnz .LBB143_1170
	s_branch .LBB143_1171
.LBB143_2389:
	s_mov_b64 s[18:19], -1
                                        ; implicit-def: $vgpr3
	s_mov_b64 s[22:23], 0
.LBB143_2390:
	s_and_b64 vcc, exec, s[24:25]
	s_cbranch_vccz .LBB143_2394
; %bb.2391:
	s_cmp_eq_u32 s31, 44
	s_cbranch_scc0 .LBB143_2393
; %bb.2392:
	global_load_ubyte v3, v[10:11], off
	s_movk_i32 s22, 0xff
	v_mov_b32_e32 v5, 0x7f800001
	v_mov_b32_e32 v8, 0x400000
	;; [unrolled: 1-line block ×3, first 2 shown]
	s_mov_b64 s[18:19], 0
	s_waitcnt vmcnt(0)
	v_lshlrev_b32_e32 v13, 23, v3
	v_cmp_ne_u32_e32 vcc, s22, v3
	v_cndmask_b32_e32 v5, v5, v13, vcc
	v_cmp_ne_u32_e32 vcc, 0, v3
	v_cndmask_b32_e32 v3, v8, v5, vcc
	v_add_u32_e32 v5, 0x7fff, v3
	v_cmp_o_f32_e32 vcc, v3, v3
	v_cndmask_b32_sdwa v3, v12, v5, vcc dst_sel:DWORD dst_unused:UNUSED_PAD src0_sel:DWORD src1_sel:WORD_1
	s_mov_b64 s[22:23], -1
	s_branch .LBB143_2394
.LBB143_2393:
	s_mov_b64 s[18:19], -1
                                        ; implicit-def: $vgpr3
.LBB143_2394:
	s_mov_b64 s[24:25], 0
.LBB143_2395:
	s_and_b64 vcc, exec, s[24:25]
	s_cbranch_vccz .LBB143_2399
; %bb.2396:
	s_cmp_eq_u32 s31, 29
	s_cbranch_scc0 .LBB143_2398
; %bb.2397:
	global_load_dwordx2 v[12:13], v[10:11], off
	s_movk_i32 s22, 0x7fff
	s_mov_b64 s[18:19], 0
	s_mov_b64 s[24:25], 0
	s_waitcnt vmcnt(0)
	v_ffbh_u32_e32 v3, v13
	v_min_u32_e32 v3, 32, v3
	v_lshlrev_b64 v[12:13], v3, v[12:13]
	v_sub_u32_e32 v3, 32, v3
	v_min_u32_e32 v5, 1, v12
	v_or_b32_e32 v5, v13, v5
	v_cvt_f32_u32_e32 v5, v5
	v_ldexp_f32 v3, v5, v3
	v_bfe_u32 v5, v3, 16, 1
	v_add3_u32 v3, v3, v5, s22
	v_lshrrev_b32_e32 v3, 16, v3
	s_mov_b64 s[22:23], -1
	s_branch .LBB143_2400
.LBB143_2398:
	s_mov_b64 s[18:19], -1
                                        ; implicit-def: $vgpr3
.LBB143_2399:
	s_mov_b64 s[24:25], 0
.LBB143_2400:
	s_and_b64 vcc, exec, s[24:25]
	s_cbranch_vccz .LBB143_2418
; %bb.2401:
	s_cmp_lt_i32 s31, 27
	s_cbranch_scc1 .LBB143_2404
; %bb.2402:
	s_cmp_gt_i32 s31, 27
	s_cbranch_scc0 .LBB143_2405
; %bb.2403:
	global_load_dword v3, v[10:11], off
	s_movk_i32 s22, 0x7fff
	s_waitcnt vmcnt(0)
	v_cvt_f32_u32_e32 v3, v3
	v_bfe_u32 v5, v3, 16, 1
	v_add3_u32 v3, v3, v5, s22
	v_lshrrev_b32_e32 v3, 16, v3
	s_mov_b64 s[22:23], 0
	s_branch .LBB143_2406
.LBB143_2404:
	s_mov_b64 s[22:23], -1
                                        ; implicit-def: $vgpr3
	s_branch .LBB143_2409
.LBB143_2405:
	s_mov_b64 s[22:23], -1
                                        ; implicit-def: $vgpr3
.LBB143_2406:
	s_andn2_b64 vcc, exec, s[22:23]
	s_cbranch_vccnz .LBB143_2408
; %bb.2407:
	global_load_ushort v3, v[10:11], off
	s_movk_i32 s22, 0x7fff
	s_waitcnt vmcnt(0)
	v_cvt_f32_u32_e32 v3, v3
	v_bfe_u32 v5, v3, 16, 1
	v_add3_u32 v3, v3, v5, s22
	v_lshrrev_b32_e32 v3, 16, v3
.LBB143_2408:
	s_mov_b64 s[22:23], 0
.LBB143_2409:
	s_andn2_b64 vcc, exec, s[22:23]
	s_cbranch_vccnz .LBB143_2417
; %bb.2410:
	global_load_ubyte v3, v[10:11], off
	s_movk_i32 s22, 0x7f
	s_waitcnt vmcnt(0)
	v_cmp_lt_i16_e32 vcc, s22, v3
	s_mov_b64 s[22:23], 0
	s_and_saveexec_b64 s[24:25], vcc
	s_xor_b64 s[24:25], exec, s[24:25]
	s_cbranch_execz .LBB143_2431
; %bb.2411:
	s_movk_i32 s22, 0x80
	v_cmp_eq_u16_e32 vcc, s22, v3
	s_mov_b64 s[22:23], -1
	s_and_saveexec_b64 s[26:27], vcc
; %bb.2412:
	s_xor_b64 s[22:23], exec, -1
; %bb.2413:
	s_or_b64 exec, exec, s[26:27]
	s_and_b64 s[22:23], s[22:23], exec
	s_or_saveexec_b64 s[24:25], s[24:25]
	v_mov_b32_e32 v5, 0x7f800001
	s_xor_b64 exec, exec, s[24:25]
	s_cbranch_execnz .LBB143_2432
.LBB143_2414:
	s_or_b64 exec, exec, s[24:25]
	s_and_saveexec_b64 s[24:25], s[22:23]
	s_cbranch_execz .LBB143_2416
.LBB143_2415:
	v_lshlrev_b32_e32 v5, 24, v3
	v_and_b32_e32 v3, 0xffff, v3
	v_and_b32_e32 v8, 7, v3
	v_ffbh_u32_e32 v13, v8
	v_min_u32_e32 v13, 32, v13
	v_subrev_u32_e32 v14, 28, v13
	v_bfe_u32 v12, v3, 3, 4
	v_lshlrev_b32_e32 v3, v14, v3
	v_sub_u32_e32 v13, 29, v13
	v_and_b32_e32 v3, 7, v3
	v_cmp_eq_u32_e32 vcc, 0, v12
	v_cndmask_b32_e32 v12, v12, v13, vcc
	v_cndmask_b32_e32 v3, v8, v3, vcc
	v_mov_b32_e32 v8, 0x3b800000
	v_lshlrev_b32_e32 v3, 20, v3
	v_and_b32_e32 v5, 0x80000000, v5
	v_lshl_add_u32 v8, v12, 23, v8
	v_or3_b32 v5, v5, v8, v3
.LBB143_2416:
	s_or_b64 exec, exec, s[24:25]
	v_bfe_u32 v3, v5, 16, 1
	s_movk_i32 s22, 0x7fff
	v_add3_u32 v3, v5, v3, s22
	v_cmp_o_f32_e32 vcc, v5, v5
	v_mov_b32_e32 v5, 0x7fc0
	v_cndmask_b32_sdwa v3, v5, v3, vcc dst_sel:DWORD dst_unused:UNUSED_PAD src0_sel:DWORD src1_sel:WORD_1
.LBB143_2417:
	s_mov_b64 s[22:23], -1
.LBB143_2418:
	s_mov_b64 s[24:25], 0
.LBB143_2419:
	s_and_b64 vcc, exec, s[24:25]
	s_cbranch_vccz .LBB143_2452
; %bb.2420:
	s_cmp_gt_i32 s31, 22
	s_cbranch_scc0 .LBB143_2430
; %bb.2421:
	s_cmp_lt_i32 s31, 24
	s_cbranch_scc1 .LBB143_2433
; %bb.2422:
	s_cmp_gt_i32 s31, 24
	s_cbranch_scc0 .LBB143_2434
; %bb.2423:
	global_load_ubyte v3, v[10:11], off
	s_movk_i32 s20, 0x7f
	s_waitcnt vmcnt(0)
	v_cmp_lt_i16_e32 vcc, s20, v3
	s_mov_b64 s[20:21], 0
	s_and_saveexec_b64 s[22:23], vcc
	s_xor_b64 s[22:23], exec, s[22:23]
	s_cbranch_execz .LBB143_2446
; %bb.2424:
	s_movk_i32 s20, 0x80
	v_cmp_eq_u16_e32 vcc, s20, v3
	s_mov_b64 s[20:21], -1
	s_and_saveexec_b64 s[24:25], vcc
; %bb.2425:
	s_xor_b64 s[20:21], exec, -1
; %bb.2426:
	s_or_b64 exec, exec, s[24:25]
	s_and_b64 s[20:21], s[20:21], exec
	s_or_saveexec_b64 s[22:23], s[22:23]
	v_mov_b32_e32 v5, 0x7f800001
	s_xor_b64 exec, exec, s[22:23]
	s_cbranch_execnz .LBB143_2447
.LBB143_2427:
	s_or_b64 exec, exec, s[22:23]
	s_and_saveexec_b64 s[22:23], s[20:21]
	s_cbranch_execz .LBB143_2429
.LBB143_2428:
	v_lshlrev_b32_e32 v5, 24, v3
	v_and_b32_e32 v3, 0xffff, v3
	v_and_b32_e32 v8, 3, v3
	v_ffbh_u32_e32 v13, v8
	v_min_u32_e32 v13, 32, v13
	v_subrev_u32_e32 v14, 29, v13
	v_bfe_u32 v12, v3, 2, 5
	v_lshlrev_b32_e32 v3, v14, v3
	v_sub_u32_e32 v13, 30, v13
	v_and_b32_e32 v3, 3, v3
	v_cmp_eq_u32_e32 vcc, 0, v12
	v_cndmask_b32_e32 v12, v12, v13, vcc
	v_cndmask_b32_e32 v3, v8, v3, vcc
	v_mov_b32_e32 v8, 0x37800000
	v_lshlrev_b32_e32 v3, 21, v3
	v_and_b32_e32 v5, 0x80000000, v5
	v_lshl_add_u32 v8, v12, 23, v8
	v_or3_b32 v5, v5, v8, v3
.LBB143_2429:
	s_or_b64 exec, exec, s[22:23]
	v_bfe_u32 v3, v5, 16, 1
	s_movk_i32 s20, 0x7fff
	v_add3_u32 v3, v5, v3, s20
	v_cmp_o_f32_e32 vcc, v5, v5
	v_mov_b32_e32 v5, 0x7fc0
	v_cndmask_b32_sdwa v3, v5, v3, vcc dst_sel:DWORD dst_unused:UNUSED_PAD src0_sel:DWORD src1_sel:WORD_1
	s_mov_b64 s[20:21], 0
	s_branch .LBB143_2435
.LBB143_2430:
	s_mov_b64 s[20:21], -1
                                        ; implicit-def: $vgpr3
	s_branch .LBB143_2441
.LBB143_2431:
	s_or_saveexec_b64 s[24:25], s[24:25]
	v_mov_b32_e32 v5, 0x7f800001
	s_xor_b64 exec, exec, s[24:25]
	s_cbranch_execz .LBB143_2414
.LBB143_2432:
	v_cmp_ne_u16_e32 vcc, 0, v3
	s_andn2_b64 s[22:23], s[22:23], exec
	s_and_b64 s[26:27], vcc, exec
	v_mov_b32_e32 v5, 0
	s_or_b64 s[22:23], s[22:23], s[26:27]
	s_or_b64 exec, exec, s[24:25]
	s_and_saveexec_b64 s[24:25], s[22:23]
	s_cbranch_execnz .LBB143_2415
	s_branch .LBB143_2416
.LBB143_2433:
	s_mov_b64 s[20:21], -1
                                        ; implicit-def: $vgpr3
	s_branch .LBB143_2438
.LBB143_2434:
	s_mov_b64 s[20:21], -1
                                        ; implicit-def: $vgpr3
.LBB143_2435:
	s_and_b64 vcc, exec, s[20:21]
	s_cbranch_vccz .LBB143_2437
; %bb.2436:
	global_load_ubyte v3, v[10:11], off
	s_mov_b32 s20, 0x7f800000
	s_brev_b32 s21, 1
	s_movk_i32 s22, 0x7fff
	s_waitcnt vmcnt(0)
	v_lshlrev_b32_e32 v3, 24, v3
	v_and_b32_e32 v5, 0x7f000000, v3
	v_ffbh_u32_e32 v8, v5
	v_min_u32_e32 v8, 32, v8
	v_sub_u32_e64 v8, v8, 4 clamp
	v_lshlrev_b32_e32 v13, v8, v5
	v_lshlrev_b32_e32 v8, 23, v8
	v_lshrrev_b32_e32 v13, 4, v13
	v_add_u32_e32 v12, 0x1000000, v5
	v_sub_u32_e32 v8, v13, v8
	v_ashrrev_i32_e32 v12, 8, v12
	v_add_u32_e32 v8, 0x3c000000, v8
	v_and_or_b32 v8, v12, s20, v8
	v_cmp_ne_u32_e32 vcc, 0, v5
	v_cndmask_b32_e32 v5, 0, v8, vcc
	v_and_or_b32 v3, v3, s21, v5
	v_bfe_u32 v5, v5, 16, 1
	v_add3_u32 v5, v3, v5, s22
	v_cmp_o_f32_e32 vcc, v3, v3
	v_mov_b32_e32 v3, 0x7fc0
	v_cndmask_b32_sdwa v3, v3, v5, vcc dst_sel:DWORD dst_unused:UNUSED_PAD src0_sel:DWORD src1_sel:WORD_1
.LBB143_2437:
	s_mov_b64 s[20:21], 0
.LBB143_2438:
	s_andn2_b64 vcc, exec, s[20:21]
	s_cbranch_vccnz .LBB143_2440
; %bb.2439:
	global_load_ubyte v3, v[10:11], off
	s_movk_i32 s20, 0x7f00
	s_brev_b32 s21, 16
	s_brev_b32 s22, 1
	s_movk_i32 s23, 0x7fff
	s_waitcnt vmcnt(0)
	v_lshlrev_b16_e32 v5, 8, v3
	v_lshlrev_b32_e32 v3, 25, v3
	v_lshrrev_b32_e32 v8, 4, v3
	v_and_or_b32 v12, v5, s20, 0.5
	v_or_b32_e32 v8, 0x70000000, v8
	v_add_f32_e32 v12, -0.5, v12
	v_mul_f32_e32 v8, 0x7800000, v8
	v_cmp_gt_u32_e32 vcc, s21, v3
	v_bfe_i32 v5, v5, 0, 16
	v_cndmask_b32_e32 v3, v8, v12, vcc
	v_and_or_b32 v5, v5, s22, v3
	v_bfe_u32 v3, v3, 16, 1
	v_add3_u32 v3, v5, v3, s23
	v_cmp_o_f32_e32 vcc, v5, v5
	v_mov_b32_e32 v5, 0x7fc0
	v_cndmask_b32_sdwa v3, v5, v3, vcc dst_sel:DWORD dst_unused:UNUSED_PAD src0_sel:DWORD src1_sel:WORD_1
.LBB143_2440:
	s_mov_b64 s[20:21], 0
	s_mov_b64 s[22:23], -1
.LBB143_2441:
	s_andn2_b64 vcc, exec, s[20:21]
	s_mov_b64 s[20:21], 0
	s_cbranch_vccnz .LBB143_2452
; %bb.2442:
	s_cmp_gt_i32 s31, 14
	s_cbranch_scc0 .LBB143_2445
; %bb.2443:
	s_cmp_eq_u32 s31, 15
	s_cbranch_scc0 .LBB143_2448
; %bb.2444:
	global_load_ushort v3, v[10:11], off
	s_mov_b64 s[18:19], 0
	s_mov_b64 s[22:23], -1
	s_branch .LBB143_2449
.LBB143_2445:
	s_mov_b64 s[24:25], -1
                                        ; implicit-def: $vgpr3
	s_branch .LBB143_2450
.LBB143_2446:
	s_or_saveexec_b64 s[22:23], s[22:23]
	v_mov_b32_e32 v5, 0x7f800001
	s_xor_b64 exec, exec, s[22:23]
	s_cbranch_execz .LBB143_2427
.LBB143_2447:
	v_cmp_ne_u16_e32 vcc, 0, v3
	s_andn2_b64 s[20:21], s[20:21], exec
	s_and_b64 s[24:25], vcc, exec
	v_mov_b32_e32 v5, 0
	s_or_b64 s[20:21], s[20:21], s[24:25]
	s_or_b64 exec, exec, s[22:23]
	s_and_saveexec_b64 s[22:23], s[20:21]
	s_cbranch_execnz .LBB143_2428
	s_branch .LBB143_2429
.LBB143_2448:
	s_mov_b64 s[18:19], -1
                                        ; implicit-def: $vgpr3
.LBB143_2449:
	s_mov_b64 s[24:25], 0
.LBB143_2450:
	s_and_b64 vcc, exec, s[24:25]
	s_cbranch_vccz .LBB143_2452
; %bb.2451:
	s_cmp_lg_u32 s31, 11
	s_mov_b64 s[20:21], -1
	s_cselect_b64 s[18:19], -1, 0
.LBB143_2452:
	s_and_b64 vcc, exec, s[18:19]
	s_cbranch_vccnz .LBB143_2534
; %bb.2453:
	s_andn2_b64 vcc, exec, s[20:21]
	s_cbranch_vccnz .LBB143_2455
.LBB143_2454:
	global_load_ubyte v3, v[10:11], off
	s_mov_b64 s[22:23], -1
	s_waitcnt vmcnt(0)
	v_cmp_ne_u16_e32 vcc, 0, v3
	v_cndmask_b32_e64 v3, 0, 1.0, vcc
	v_lshrrev_b32_e32 v3, 16, v3
.LBB143_2455:
	s_mov_b64 s[18:19], 0
.LBB143_2456:
	s_and_b64 vcc, exec, s[18:19]
	s_cbranch_vccz .LBB143_2505
; %bb.2457:
	s_and_b32 s20, 0xffff, s30
	s_cmp_lt_i32 s20, 5
	s_cbranch_scc1 .LBB143_2462
; %bb.2458:
	s_cmp_lt_i32 s20, 8
	s_cbranch_scc1 .LBB143_2463
; %bb.2459:
	;; [unrolled: 3-line block ×3, first 2 shown]
	s_cmp_gt_i32 s20, 9
	s_cbranch_scc0 .LBB143_2465
; %bb.2461:
	global_load_dwordx2 v[12:13], v[10:11], off
	s_movk_i32 s18, 0x7fff
	v_mov_b32_e32 v5, 0x7fc0
	s_waitcnt vmcnt(0)
	v_cvt_f32_f64_e32 v3, v[12:13]
	v_bfe_u32 v8, v3, 16, 1
	v_cmp_o_f32_e32 vcc, v3, v3
	v_add3_u32 v3, v3, v8, s18
	v_cndmask_b32_sdwa v3, v5, v3, vcc dst_sel:DWORD dst_unused:UNUSED_PAD src0_sel:DWORD src1_sel:WORD_1
	s_mov_b64 s[18:19], 0
	s_branch .LBB143_2466
.LBB143_2462:
	s_mov_b64 s[18:19], -1
                                        ; implicit-def: $vgpr3
	s_branch .LBB143_2484
.LBB143_2463:
	s_mov_b64 s[18:19], -1
                                        ; implicit-def: $vgpr3
	s_branch .LBB143_2472
.LBB143_2464:
	s_mov_b64 s[18:19], -1
                                        ; implicit-def: $vgpr3
	s_branch .LBB143_2469
.LBB143_2465:
	s_mov_b64 s[18:19], -1
                                        ; implicit-def: $vgpr3
.LBB143_2466:
	s_andn2_b64 vcc, exec, s[18:19]
	s_cbranch_vccnz .LBB143_2468
; %bb.2467:
	global_load_dword v3, v[10:11], off
	s_movk_i32 s18, 0x7fff
	v_mov_b32_e32 v5, 0x7fc0
	s_waitcnt vmcnt(0)
	v_bfe_u32 v8, v3, 16, 1
	v_cmp_o_f32_e32 vcc, v3, v3
	v_add3_u32 v3, v3, v8, s18
	v_cndmask_b32_sdwa v3, v5, v3, vcc dst_sel:DWORD dst_unused:UNUSED_PAD src0_sel:DWORD src1_sel:WORD_1
.LBB143_2468:
	s_mov_b64 s[18:19], 0
.LBB143_2469:
	s_andn2_b64 vcc, exec, s[18:19]
	s_cbranch_vccnz .LBB143_2471
; %bb.2470:
	global_load_dword v3, v[10:11], off
	s_movk_i32 s18, 0x7fff
	v_mov_b32_e32 v8, 0x7fc0
	s_waitcnt vmcnt(0)
	v_cvt_f32_f16_e32 v5, v3
	v_cmp_o_f16_e32 vcc, v3, v3
	v_bfe_u32 v3, v5, 16, 1
	v_add3_u32 v3, v5, v3, s18
	v_cndmask_b32_sdwa v3, v8, v3, vcc dst_sel:DWORD dst_unused:UNUSED_PAD src0_sel:DWORD src1_sel:WORD_1
.LBB143_2471:
	s_mov_b64 s[18:19], 0
.LBB143_2472:
	s_andn2_b64 vcc, exec, s[18:19]
	s_cbranch_vccnz .LBB143_2483
; %bb.2473:
	s_cmp_lt_i32 s20, 6
	s_cbranch_scc1 .LBB143_2476
; %bb.2474:
	s_cmp_gt_i32 s20, 6
	s_cbranch_scc0 .LBB143_2477
; %bb.2475:
	global_load_dwordx2 v[12:13], v[10:11], off
	s_movk_i32 s18, 0x7fff
	v_mov_b32_e32 v5, 0x7fc0
	s_waitcnt vmcnt(0)
	v_cvt_f32_f64_e32 v3, v[12:13]
	v_bfe_u32 v8, v3, 16, 1
	v_cmp_o_f32_e32 vcc, v3, v3
	v_add3_u32 v3, v3, v8, s18
	v_cndmask_b32_sdwa v3, v5, v3, vcc dst_sel:DWORD dst_unused:UNUSED_PAD src0_sel:DWORD src1_sel:WORD_1
	s_mov_b64 s[18:19], 0
	s_branch .LBB143_2478
.LBB143_2476:
	s_mov_b64 s[18:19], -1
                                        ; implicit-def: $vgpr3
	s_branch .LBB143_2481
.LBB143_2477:
	s_mov_b64 s[18:19], -1
                                        ; implicit-def: $vgpr3
.LBB143_2478:
	s_andn2_b64 vcc, exec, s[18:19]
	s_cbranch_vccnz .LBB143_2480
; %bb.2479:
	global_load_dword v3, v[10:11], off
	s_movk_i32 s18, 0x7fff
	v_mov_b32_e32 v5, 0x7fc0
	s_waitcnt vmcnt(0)
	v_bfe_u32 v8, v3, 16, 1
	v_cmp_o_f32_e32 vcc, v3, v3
	v_add3_u32 v3, v3, v8, s18
	v_cndmask_b32_sdwa v3, v5, v3, vcc dst_sel:DWORD dst_unused:UNUSED_PAD src0_sel:DWORD src1_sel:WORD_1
.LBB143_2480:
	s_mov_b64 s[18:19], 0
.LBB143_2481:
	s_andn2_b64 vcc, exec, s[18:19]
	s_cbranch_vccnz .LBB143_2483
; %bb.2482:
	global_load_ushort v3, v[10:11], off
	s_movk_i32 s18, 0x7fff
	v_mov_b32_e32 v8, 0x7fc0
	s_waitcnt vmcnt(0)
	v_cvt_f32_f16_e32 v5, v3
	v_cmp_o_f16_e32 vcc, v3, v3
	v_bfe_u32 v3, v5, 16, 1
	v_add3_u32 v3, v5, v3, s18
	v_cndmask_b32_sdwa v3, v8, v3, vcc dst_sel:DWORD dst_unused:UNUSED_PAD src0_sel:DWORD src1_sel:WORD_1
.LBB143_2483:
	s_mov_b64 s[18:19], 0
.LBB143_2484:
	s_andn2_b64 vcc, exec, s[18:19]
	s_cbranch_vccnz .LBB143_2504
; %bb.2485:
	s_cmp_lt_i32 s20, 2
	s_cbranch_scc1 .LBB143_2489
; %bb.2486:
	s_cmp_lt_i32 s20, 3
	s_cbranch_scc1 .LBB143_2490
; %bb.2487:
	s_cmp_gt_i32 s20, 3
	s_cbranch_scc0 .LBB143_2491
; %bb.2488:
	global_load_dwordx2 v[12:13], v[10:11], off
	s_movk_i32 s18, 0x7fff
	s_waitcnt vmcnt(0)
	v_xor_b32_e32 v5, v12, v13
	v_ffbh_i32_e32 v3, v13
	v_ashrrev_i32_e32 v5, 31, v5
	v_add_u32_e32 v3, -1, v3
	v_add_u32_e32 v5, 32, v5
	v_min_u32_e32 v3, v3, v5
	v_lshlrev_b64 v[12:13], v3, v[12:13]
	v_sub_u32_e32 v3, 32, v3
	v_min_u32_e32 v5, 1, v12
	v_or_b32_e32 v5, v13, v5
	v_cvt_f32_i32_e32 v5, v5
	v_ldexp_f32 v3, v5, v3
	v_bfe_u32 v5, v3, 16, 1
	v_add3_u32 v3, v3, v5, s18
	v_lshrrev_b32_e32 v3, 16, v3
	s_mov_b64 s[18:19], 0
	s_branch .LBB143_2492
.LBB143_2489:
	s_mov_b64 s[18:19], -1
                                        ; implicit-def: $vgpr3
	s_branch .LBB143_2498
.LBB143_2490:
	s_mov_b64 s[18:19], -1
                                        ; implicit-def: $vgpr3
	s_branch .LBB143_2495
.LBB143_2491:
	s_mov_b64 s[18:19], -1
                                        ; implicit-def: $vgpr3
.LBB143_2492:
	s_andn2_b64 vcc, exec, s[18:19]
	s_cbranch_vccnz .LBB143_2494
; %bb.2493:
	global_load_dword v3, v[10:11], off
	s_movk_i32 s18, 0x7fff
	s_waitcnt vmcnt(0)
	v_cvt_f32_i32_e32 v3, v3
	v_bfe_u32 v5, v3, 16, 1
	v_add3_u32 v3, v3, v5, s18
	v_lshrrev_b32_e32 v3, 16, v3
.LBB143_2494:
	s_mov_b64 s[18:19], 0
.LBB143_2495:
	s_andn2_b64 vcc, exec, s[18:19]
	s_cbranch_vccnz .LBB143_2497
; %bb.2496:
	global_load_sshort v3, v[10:11], off
	s_movk_i32 s18, 0x7fff
	s_waitcnt vmcnt(0)
	v_cvt_f32_i32_e32 v3, v3
	v_bfe_u32 v5, v3, 16, 1
	v_add3_u32 v3, v3, v5, s18
	v_lshrrev_b32_e32 v3, 16, v3
.LBB143_2497:
	s_mov_b64 s[18:19], 0
.LBB143_2498:
	s_andn2_b64 vcc, exec, s[18:19]
	s_cbranch_vccnz .LBB143_2504
; %bb.2499:
	s_cmp_gt_i32 s20, 0
	s_cbranch_scc0 .LBB143_2501
; %bb.2500:
	global_load_sbyte v3, v[10:11], off
	s_movk_i32 s18, 0x7fff
	s_waitcnt vmcnt(0)
	v_cvt_f32_i32_e32 v3, v3
	v_bfe_u32 v5, v3, 16, 1
	v_add3_u32 v3, v3, v5, s18
	v_lshrrev_b32_e32 v3, 16, v3
	s_mov_b64 s[18:19], 0
	s_branch .LBB143_2502
.LBB143_2501:
	s_mov_b64 s[18:19], -1
                                        ; implicit-def: $vgpr3
.LBB143_2502:
	s_andn2_b64 vcc, exec, s[18:19]
	s_cbranch_vccnz .LBB143_2504
; %bb.2503:
	global_load_ubyte v3, v[10:11], off
	s_movk_i32 s18, 0x7fff
	s_waitcnt vmcnt(0)
	v_cvt_f32_ubyte0_e32 v3, v3
	v_bfe_u32 v5, v3, 16, 1
	v_add3_u32 v3, v3, v5, s18
	v_lshrrev_b32_e32 v3, 16, v3
.LBB143_2504:
	s_mov_b64 s[22:23], -1
.LBB143_2505:
	s_andn2_b64 vcc, exec, s[22:23]
	s_cbranch_vccnz .LBB143_2787
; %bb.2506:
	s_waitcnt vmcnt(0)
	v_lshlrev_b32_e32 v1, 16, v1
	v_lshlrev_b32_e32 v3, 16, v3
	s_cmp_lt_i32 s28, 1
	s_mov_b64 s[20:21], 0
	s_cbranch_scc1 .LBB143_2510
; %bb.2507:
	s_cmp_gt_i32 s28, 1
	s_cbranch_scc0 .LBB143_2511
; %bb.2508:
	s_cmp_eq_u32 s28, 2
	s_cbranch_scc0 .LBB143_2512
; %bb.2509:
	v_cmp_le_f32_e64 s[18:19], v1, v3
	s_mov_b64 s[22:23], 0
	s_branch .LBB143_2513
.LBB143_2510:
	s_mov_b64 s[24:25], -1
                                        ; implicit-def: $sgpr18_sgpr19
	s_mov_b64 s[22:23], 0
	s_branch .LBB143_2517
.LBB143_2511:
	s_mov_b64 s[24:25], -1
	s_mov_b64 s[22:23], 0
                                        ; implicit-def: $sgpr18_sgpr19
	s_branch .LBB143_2514
.LBB143_2512:
	s_mov_b64 s[22:23], -1
                                        ; implicit-def: $sgpr18_sgpr19
.LBB143_2513:
	s_mov_b64 s[24:25], 0
.LBB143_2514:
	s_and_b64 vcc, exec, s[24:25]
	s_cbranch_vccz .LBB143_2516
; %bb.2515:
	v_cmp_gt_f32_e32 vcc, v1, v3
	s_andn2_b64 s[18:19], s[18:19], exec
	s_and_b64 s[24:25], vcc, exec
	s_or_b64 s[18:19], s[18:19], s[24:25]
.LBB143_2516:
	s_mov_b64 s[24:25], 0
.LBB143_2517:
	s_and_b64 vcc, exec, s[24:25]
	s_cbranch_vccz .LBB143_2528
; %bb.2518:
	s_cmp_lg_u32 s28, 0
	s_mov_b64 s[20:21], -1
	s_cselect_b64 s[22:23], -1, 0
	s_andn2_b64 vcc, exec, s[22:23]
	s_cbranch_vccz .LBB143_2529
.LBB143_2519:
	s_andn2_b64 vcc, exec, s[20:21]
	s_cbranch_vccnz .LBB143_2521
.LBB143_2520:
	v_cmp_ge_f32_e32 vcc, v1, v3
	s_andn2_b64 s[18:19], s[18:19], exec
	s_and_b64 s[20:21], vcc, exec
	s_or_b64 s[18:19], s[18:19], s[20:21]
.LBB143_2521:
	v_mov_b32_e32 v1, s11
	v_add_co_u32_e32 v8, vcc, s10, v9
	s_cmp_lt_i32 s29, 11
	v_addc_co_u32_e32 v9, vcc, 0, v1, vcc
	s_cbranch_scc1 .LBB143_2530
; %bb.2522:
	s_and_b32 s31, 0xffff, s29
	s_cmp_gt_i32 s31, 25
	s_mov_b64 s[20:21], 0
	s_cbranch_scc0 .LBB143_2531
; %bb.2523:
	s_cmp_gt_i32 s31, 28
	s_cbranch_scc0 .LBB143_2532
; %bb.2524:
	s_cmp_gt_i32 s31, 43
	;; [unrolled: 3-line block ×3, first 2 shown]
	s_cbranch_scc0 .LBB143_2535
; %bb.2526:
	s_cmp_eq_u32 s31, 46
	s_mov_b64 s[24:25], 0
	s_cbranch_scc0 .LBB143_2536
; %bb.2527:
	global_load_dword v1, v[8:9], off
	s_mov_b64 s[10:11], 0
	s_mov_b64 s[22:23], -1
	s_branch .LBB143_2537
.LBB143_2528:
	s_andn2_b64 vcc, exec, s[22:23]
	s_cbranch_vccnz .LBB143_2519
.LBB143_2529:
	v_cmp_lt_f32_e32 vcc, v1, v3
	s_andn2_b64 s[18:19], s[18:19], exec
	s_and_b64 s[22:23], vcc, exec
	s_or_b64 s[18:19], s[18:19], s[22:23]
	s_cbranch_execz .LBB143_2520
	s_branch .LBB143_2521
.LBB143_2530:
	s_mov_b64 s[10:11], -1
	s_mov_b64 s[22:23], 0
                                        ; implicit-def: $vgpr1
	s_branch .LBB143_2603
.LBB143_2531:
	s_mov_b64 s[24:25], -1
	s_mov_b64 s[22:23], 0
	s_mov_b64 s[10:11], 0
                                        ; implicit-def: $vgpr1
	s_branch .LBB143_2566
.LBB143_2532:
	s_mov_b64 s[24:25], -1
	s_mov_b64 s[22:23], 0
	s_mov_b64 s[10:11], 0
                                        ; implicit-def: $vgpr1
	s_branch .LBB143_2547
.LBB143_2533:
	s_mov_b64 s[24:25], -1
	s_mov_b64 s[22:23], 0
	s_mov_b64 s[10:11], 0
                                        ; implicit-def: $vgpr1
	s_branch .LBB143_2542
.LBB143_2534:
	s_trap 2
	s_or_b64 s[4:5], s[4:5], exec
	s_cbranch_execz .LBB143_2454
	s_branch .LBB143_2455
.LBB143_2535:
	s_mov_b64 s[24:25], -1
	s_mov_b64 s[22:23], 0
	s_mov_b64 s[10:11], 0
                                        ; implicit-def: $vgpr1
	s_branch .LBB143_2537
.LBB143_2536:
	s_mov_b64 s[10:11], -1
                                        ; implicit-def: $vgpr1
	s_mov_b64 s[22:23], 0
.LBB143_2537:
	s_and_b64 vcc, exec, s[24:25]
	s_cbranch_vccz .LBB143_2541
; %bb.2538:
	s_cmp_eq_u32 s31, 44
	s_cbranch_scc0 .LBB143_2540
; %bb.2539:
	global_load_ubyte v1, v[8:9], off
	s_movk_i32 s22, 0xff
	v_mov_b32_e32 v3, 0x7f800001
	v_mov_b32_e32 v5, 0x400000
	;; [unrolled: 1-line block ×3, first 2 shown]
	s_mov_b64 s[10:11], 0
	s_waitcnt vmcnt(0)
	v_lshlrev_b32_e32 v11, 23, v1
	v_cmp_ne_u32_e32 vcc, s22, v1
	v_cndmask_b32_e32 v3, v3, v11, vcc
	v_cmp_ne_u32_e32 vcc, 0, v1
	v_cndmask_b32_e32 v1, v5, v3, vcc
	v_add_u32_e32 v3, 0x7fff, v1
	v_cmp_o_f32_e32 vcc, v1, v1
	v_cndmask_b32_sdwa v1, v10, v3, vcc dst_sel:DWORD dst_unused:UNUSED_PAD src0_sel:DWORD src1_sel:WORD_1
	s_mov_b64 s[22:23], -1
	s_branch .LBB143_2541
.LBB143_2540:
	s_mov_b64 s[10:11], -1
                                        ; implicit-def: $vgpr1
.LBB143_2541:
	s_mov_b64 s[24:25], 0
.LBB143_2542:
	s_and_b64 vcc, exec, s[24:25]
	s_cbranch_vccz .LBB143_2546
; %bb.2543:
	s_cmp_eq_u32 s31, 29
	s_cbranch_scc0 .LBB143_2545
; %bb.2544:
	global_load_dwordx2 v[10:11], v[8:9], off
	s_movk_i32 s22, 0x7fff
	s_mov_b64 s[10:11], 0
	s_mov_b64 s[24:25], 0
	s_waitcnt vmcnt(0)
	v_ffbh_u32_e32 v1, v11
	v_min_u32_e32 v1, 32, v1
	v_lshlrev_b64 v[10:11], v1, v[10:11]
	v_sub_u32_e32 v1, 32, v1
	v_min_u32_e32 v3, 1, v10
	v_or_b32_e32 v3, v11, v3
	v_cvt_f32_u32_e32 v3, v3
	v_ldexp_f32 v1, v3, v1
	v_bfe_u32 v3, v1, 16, 1
	v_add3_u32 v1, v1, v3, s22
	v_lshrrev_b32_e32 v1, 16, v1
	s_mov_b64 s[22:23], -1
	s_branch .LBB143_2547
.LBB143_2545:
	s_mov_b64 s[10:11], -1
                                        ; implicit-def: $vgpr1
.LBB143_2546:
	s_mov_b64 s[24:25], 0
.LBB143_2547:
	s_and_b64 vcc, exec, s[24:25]
	s_cbranch_vccz .LBB143_2565
; %bb.2548:
	s_cmp_lt_i32 s31, 27
	s_cbranch_scc1 .LBB143_2551
; %bb.2549:
	s_cmp_gt_i32 s31, 27
	s_cbranch_scc0 .LBB143_2552
; %bb.2550:
	global_load_dword v1, v[8:9], off
	s_movk_i32 s22, 0x7fff
	s_waitcnt vmcnt(0)
	v_cvt_f32_u32_e32 v1, v1
	v_bfe_u32 v3, v1, 16, 1
	v_add3_u32 v1, v1, v3, s22
	v_lshrrev_b32_e32 v1, 16, v1
	s_mov_b64 s[22:23], 0
	s_branch .LBB143_2553
.LBB143_2551:
	s_mov_b64 s[22:23], -1
                                        ; implicit-def: $vgpr1
	s_branch .LBB143_2556
.LBB143_2552:
	s_mov_b64 s[22:23], -1
                                        ; implicit-def: $vgpr1
.LBB143_2553:
	s_andn2_b64 vcc, exec, s[22:23]
	s_cbranch_vccnz .LBB143_2555
; %bb.2554:
	global_load_ushort v1, v[8:9], off
	s_movk_i32 s22, 0x7fff
	s_waitcnt vmcnt(0)
	v_cvt_f32_u32_e32 v1, v1
	v_bfe_u32 v3, v1, 16, 1
	v_add3_u32 v1, v1, v3, s22
	v_lshrrev_b32_e32 v1, 16, v1
.LBB143_2555:
	s_mov_b64 s[22:23], 0
.LBB143_2556:
	s_andn2_b64 vcc, exec, s[22:23]
	s_cbranch_vccnz .LBB143_2564
; %bb.2557:
	global_load_ubyte v1, v[8:9], off
	s_movk_i32 s22, 0x7f
	s_waitcnt vmcnt(0)
	v_cmp_lt_i16_e32 vcc, s22, v1
	s_mov_b64 s[22:23], 0
	s_and_saveexec_b64 s[24:25], vcc
	s_xor_b64 s[24:25], exec, s[24:25]
	s_cbranch_execz .LBB143_2578
; %bb.2558:
	s_movk_i32 s22, 0x80
	v_cmp_eq_u16_e32 vcc, s22, v1
	s_mov_b64 s[22:23], -1
	s_and_saveexec_b64 s[26:27], vcc
; %bb.2559:
	s_xor_b64 s[22:23], exec, -1
; %bb.2560:
	s_or_b64 exec, exec, s[26:27]
	s_and_b64 s[22:23], s[22:23], exec
	s_or_saveexec_b64 s[24:25], s[24:25]
	v_mov_b32_e32 v3, 0x7f800001
	s_xor_b64 exec, exec, s[24:25]
	s_cbranch_execnz .LBB143_2579
.LBB143_2561:
	s_or_b64 exec, exec, s[24:25]
	s_and_saveexec_b64 s[24:25], s[22:23]
	s_cbranch_execz .LBB143_2563
.LBB143_2562:
	v_lshlrev_b32_e32 v3, 24, v1
	v_and_b32_e32 v1, 0xffff, v1
	v_and_b32_e32 v5, 7, v1
	v_ffbh_u32_e32 v11, v5
	v_min_u32_e32 v11, 32, v11
	v_subrev_u32_e32 v12, 28, v11
	v_bfe_u32 v10, v1, 3, 4
	v_lshlrev_b32_e32 v1, v12, v1
	v_sub_u32_e32 v11, 29, v11
	v_and_b32_e32 v1, 7, v1
	v_cmp_eq_u32_e32 vcc, 0, v10
	v_cndmask_b32_e32 v10, v10, v11, vcc
	v_cndmask_b32_e32 v1, v5, v1, vcc
	v_mov_b32_e32 v5, 0x3b800000
	v_lshlrev_b32_e32 v1, 20, v1
	v_and_b32_e32 v3, 0x80000000, v3
	v_lshl_add_u32 v5, v10, 23, v5
	v_or3_b32 v3, v3, v5, v1
.LBB143_2563:
	s_or_b64 exec, exec, s[24:25]
	v_bfe_u32 v1, v3, 16, 1
	s_movk_i32 s22, 0x7fff
	v_add3_u32 v1, v3, v1, s22
	v_cmp_o_f32_e32 vcc, v3, v3
	v_mov_b32_e32 v3, 0x7fc0
	v_cndmask_b32_sdwa v1, v3, v1, vcc dst_sel:DWORD dst_unused:UNUSED_PAD src0_sel:DWORD src1_sel:WORD_1
.LBB143_2564:
	s_mov_b64 s[22:23], -1
.LBB143_2565:
	s_mov_b64 s[24:25], 0
.LBB143_2566:
	s_and_b64 vcc, exec, s[24:25]
	s_cbranch_vccz .LBB143_2599
; %bb.2567:
	s_cmp_gt_i32 s31, 22
	s_cbranch_scc0 .LBB143_2577
; %bb.2568:
	s_cmp_lt_i32 s31, 24
	s_cbranch_scc1 .LBB143_2580
; %bb.2569:
	s_cmp_gt_i32 s31, 24
	s_cbranch_scc0 .LBB143_2581
; %bb.2570:
	global_load_ubyte v1, v[8:9], off
	s_movk_i32 s20, 0x7f
	s_waitcnt vmcnt(0)
	v_cmp_lt_i16_e32 vcc, s20, v1
	s_mov_b64 s[20:21], 0
	s_and_saveexec_b64 s[22:23], vcc
	s_xor_b64 s[22:23], exec, s[22:23]
	s_cbranch_execz .LBB143_2593
; %bb.2571:
	s_movk_i32 s20, 0x80
	v_cmp_eq_u16_e32 vcc, s20, v1
	s_mov_b64 s[20:21], -1
	s_and_saveexec_b64 s[24:25], vcc
; %bb.2572:
	s_xor_b64 s[20:21], exec, -1
; %bb.2573:
	s_or_b64 exec, exec, s[24:25]
	s_and_b64 s[20:21], s[20:21], exec
	s_or_saveexec_b64 s[22:23], s[22:23]
	v_mov_b32_e32 v3, 0x7f800001
	s_xor_b64 exec, exec, s[22:23]
	s_cbranch_execnz .LBB143_2594
.LBB143_2574:
	s_or_b64 exec, exec, s[22:23]
	s_and_saveexec_b64 s[22:23], s[20:21]
	s_cbranch_execz .LBB143_2576
.LBB143_2575:
	v_lshlrev_b32_e32 v3, 24, v1
	v_and_b32_e32 v1, 0xffff, v1
	v_and_b32_e32 v5, 3, v1
	v_ffbh_u32_e32 v11, v5
	v_min_u32_e32 v11, 32, v11
	v_subrev_u32_e32 v12, 29, v11
	v_bfe_u32 v10, v1, 2, 5
	v_lshlrev_b32_e32 v1, v12, v1
	v_sub_u32_e32 v11, 30, v11
	v_and_b32_e32 v1, 3, v1
	v_cmp_eq_u32_e32 vcc, 0, v10
	v_cndmask_b32_e32 v10, v10, v11, vcc
	v_cndmask_b32_e32 v1, v5, v1, vcc
	v_mov_b32_e32 v5, 0x37800000
	v_lshlrev_b32_e32 v1, 21, v1
	v_and_b32_e32 v3, 0x80000000, v3
	v_lshl_add_u32 v5, v10, 23, v5
	v_or3_b32 v3, v3, v5, v1
.LBB143_2576:
	s_or_b64 exec, exec, s[22:23]
	v_bfe_u32 v1, v3, 16, 1
	s_movk_i32 s20, 0x7fff
	v_add3_u32 v1, v3, v1, s20
	v_cmp_o_f32_e32 vcc, v3, v3
	v_mov_b32_e32 v3, 0x7fc0
	v_cndmask_b32_sdwa v1, v3, v1, vcc dst_sel:DWORD dst_unused:UNUSED_PAD src0_sel:DWORD src1_sel:WORD_1
	s_mov_b64 s[20:21], 0
	s_branch .LBB143_2582
.LBB143_2577:
	s_mov_b64 s[20:21], -1
                                        ; implicit-def: $vgpr1
	s_branch .LBB143_2588
.LBB143_2578:
	s_or_saveexec_b64 s[24:25], s[24:25]
	v_mov_b32_e32 v3, 0x7f800001
	s_xor_b64 exec, exec, s[24:25]
	s_cbranch_execz .LBB143_2561
.LBB143_2579:
	v_cmp_ne_u16_e32 vcc, 0, v1
	s_andn2_b64 s[22:23], s[22:23], exec
	s_and_b64 s[26:27], vcc, exec
	v_mov_b32_e32 v3, 0
	s_or_b64 s[22:23], s[22:23], s[26:27]
	s_or_b64 exec, exec, s[24:25]
	s_and_saveexec_b64 s[24:25], s[22:23]
	s_cbranch_execnz .LBB143_2562
	s_branch .LBB143_2563
.LBB143_2580:
	s_mov_b64 s[20:21], -1
                                        ; implicit-def: $vgpr1
	s_branch .LBB143_2585
.LBB143_2581:
	s_mov_b64 s[20:21], -1
                                        ; implicit-def: $vgpr1
.LBB143_2582:
	s_and_b64 vcc, exec, s[20:21]
	s_cbranch_vccz .LBB143_2584
; %bb.2583:
	global_load_ubyte v1, v[8:9], off
	s_mov_b32 s20, 0x7f800000
	s_brev_b32 s21, 1
	s_movk_i32 s22, 0x7fff
	s_waitcnt vmcnt(0)
	v_lshlrev_b32_e32 v1, 24, v1
	v_and_b32_e32 v3, 0x7f000000, v1
	v_ffbh_u32_e32 v5, v3
	v_min_u32_e32 v5, 32, v5
	v_sub_u32_e64 v5, v5, 4 clamp
	v_lshlrev_b32_e32 v11, v5, v3
	v_lshlrev_b32_e32 v5, 23, v5
	v_lshrrev_b32_e32 v11, 4, v11
	v_add_u32_e32 v10, 0x1000000, v3
	v_sub_u32_e32 v5, v11, v5
	v_ashrrev_i32_e32 v10, 8, v10
	v_add_u32_e32 v5, 0x3c000000, v5
	v_and_or_b32 v5, v10, s20, v5
	v_cmp_ne_u32_e32 vcc, 0, v3
	v_cndmask_b32_e32 v3, 0, v5, vcc
	v_and_or_b32 v1, v1, s21, v3
	v_bfe_u32 v3, v3, 16, 1
	v_add3_u32 v3, v1, v3, s22
	v_cmp_o_f32_e32 vcc, v1, v1
	v_mov_b32_e32 v1, 0x7fc0
	v_cndmask_b32_sdwa v1, v1, v3, vcc dst_sel:DWORD dst_unused:UNUSED_PAD src0_sel:DWORD src1_sel:WORD_1
.LBB143_2584:
	s_mov_b64 s[20:21], 0
.LBB143_2585:
	s_andn2_b64 vcc, exec, s[20:21]
	s_cbranch_vccnz .LBB143_2587
; %bb.2586:
	global_load_ubyte v1, v[8:9], off
	s_movk_i32 s20, 0x7f00
	s_brev_b32 s21, 16
	s_brev_b32 s22, 1
	s_movk_i32 s23, 0x7fff
	s_waitcnt vmcnt(0)
	v_lshlrev_b16_e32 v3, 8, v1
	v_lshlrev_b32_e32 v1, 25, v1
	v_lshrrev_b32_e32 v5, 4, v1
	v_and_or_b32 v10, v3, s20, 0.5
	v_or_b32_e32 v5, 0x70000000, v5
	v_add_f32_e32 v10, -0.5, v10
	v_mul_f32_e32 v5, 0x7800000, v5
	v_cmp_gt_u32_e32 vcc, s21, v1
	v_bfe_i32 v3, v3, 0, 16
	v_cndmask_b32_e32 v1, v5, v10, vcc
	v_and_or_b32 v3, v3, s22, v1
	v_bfe_u32 v1, v1, 16, 1
	v_add3_u32 v1, v3, v1, s23
	v_cmp_o_f32_e32 vcc, v3, v3
	v_mov_b32_e32 v3, 0x7fc0
	v_cndmask_b32_sdwa v1, v3, v1, vcc dst_sel:DWORD dst_unused:UNUSED_PAD src0_sel:DWORD src1_sel:WORD_1
.LBB143_2587:
	s_mov_b64 s[20:21], 0
	s_mov_b64 s[22:23], -1
.LBB143_2588:
	s_andn2_b64 vcc, exec, s[20:21]
	s_mov_b64 s[20:21], 0
	s_cbranch_vccnz .LBB143_2599
; %bb.2589:
	s_cmp_gt_i32 s31, 14
	s_cbranch_scc0 .LBB143_2592
; %bb.2590:
	s_cmp_eq_u32 s31, 15
	s_cbranch_scc0 .LBB143_2595
; %bb.2591:
	global_load_ushort v1, v[8:9], off
	s_mov_b64 s[10:11], 0
	s_mov_b64 s[22:23], -1
	s_branch .LBB143_2596
.LBB143_2592:
	s_mov_b64 s[24:25], -1
                                        ; implicit-def: $vgpr1
	s_branch .LBB143_2597
.LBB143_2593:
	s_or_saveexec_b64 s[22:23], s[22:23]
	v_mov_b32_e32 v3, 0x7f800001
	s_xor_b64 exec, exec, s[22:23]
	s_cbranch_execz .LBB143_2574
.LBB143_2594:
	v_cmp_ne_u16_e32 vcc, 0, v1
	s_andn2_b64 s[20:21], s[20:21], exec
	s_and_b64 s[24:25], vcc, exec
	v_mov_b32_e32 v3, 0
	s_or_b64 s[20:21], s[20:21], s[24:25]
	s_or_b64 exec, exec, s[22:23]
	s_and_saveexec_b64 s[22:23], s[20:21]
	s_cbranch_execnz .LBB143_2575
	s_branch .LBB143_2576
.LBB143_2595:
	s_mov_b64 s[10:11], -1
                                        ; implicit-def: $vgpr1
.LBB143_2596:
	s_mov_b64 s[24:25], 0
.LBB143_2597:
	s_and_b64 vcc, exec, s[24:25]
	s_cbranch_vccz .LBB143_2599
; %bb.2598:
	s_cmp_lg_u32 s31, 11
	s_mov_b64 s[20:21], -1
	s_cselect_b64 s[10:11], -1, 0
.LBB143_2599:
	s_and_b64 vcc, exec, s[10:11]
	s_cbranch_vccnz .LBB143_2664
; %bb.2600:
	s_andn2_b64 vcc, exec, s[20:21]
	s_cbranch_vccnz .LBB143_2602
.LBB143_2601:
	global_load_ubyte v1, v[8:9], off
	s_mov_b64 s[22:23], -1
	s_waitcnt vmcnt(0)
	v_cmp_ne_u16_e32 vcc, 0, v1
	v_cndmask_b32_e64 v1, 0, 1.0, vcc
	v_lshrrev_b32_e32 v1, 16, v1
.LBB143_2602:
	s_mov_b64 s[10:11], 0
.LBB143_2603:
	s_and_b64 vcc, exec, s[10:11]
	s_cbranch_vccz .LBB143_2652
; %bb.2604:
	s_and_b32 s20, 0xffff, s29
	s_cmp_lt_i32 s20, 5
	s_cbranch_scc1 .LBB143_2609
; %bb.2605:
	s_cmp_lt_i32 s20, 8
	s_cbranch_scc1 .LBB143_2610
; %bb.2606:
	;; [unrolled: 3-line block ×3, first 2 shown]
	s_cmp_gt_i32 s20, 9
	s_cbranch_scc0 .LBB143_2612
; %bb.2608:
	global_load_dwordx2 v[10:11], v[8:9], off
	s_movk_i32 s10, 0x7fff
	v_mov_b32_e32 v3, 0x7fc0
	s_waitcnt vmcnt(0)
	v_cvt_f32_f64_e32 v1, v[10:11]
	v_bfe_u32 v5, v1, 16, 1
	v_cmp_o_f32_e32 vcc, v1, v1
	v_add3_u32 v1, v1, v5, s10
	v_cndmask_b32_sdwa v1, v3, v1, vcc dst_sel:DWORD dst_unused:UNUSED_PAD src0_sel:DWORD src1_sel:WORD_1
	s_mov_b64 s[10:11], 0
	s_branch .LBB143_2613
.LBB143_2609:
	s_mov_b64 s[10:11], -1
                                        ; implicit-def: $vgpr1
	s_branch .LBB143_2631
.LBB143_2610:
	s_mov_b64 s[10:11], -1
                                        ; implicit-def: $vgpr1
	s_branch .LBB143_2619
.LBB143_2611:
	s_mov_b64 s[10:11], -1
                                        ; implicit-def: $vgpr1
	s_branch .LBB143_2616
.LBB143_2612:
	s_mov_b64 s[10:11], -1
                                        ; implicit-def: $vgpr1
.LBB143_2613:
	s_andn2_b64 vcc, exec, s[10:11]
	s_cbranch_vccnz .LBB143_2615
; %bb.2614:
	global_load_dword v1, v[8:9], off
	s_movk_i32 s10, 0x7fff
	v_mov_b32_e32 v3, 0x7fc0
	s_waitcnt vmcnt(0)
	v_bfe_u32 v5, v1, 16, 1
	v_cmp_o_f32_e32 vcc, v1, v1
	v_add3_u32 v1, v1, v5, s10
	v_cndmask_b32_sdwa v1, v3, v1, vcc dst_sel:DWORD dst_unused:UNUSED_PAD src0_sel:DWORD src1_sel:WORD_1
.LBB143_2615:
	s_mov_b64 s[10:11], 0
.LBB143_2616:
	s_andn2_b64 vcc, exec, s[10:11]
	s_cbranch_vccnz .LBB143_2618
; %bb.2617:
	global_load_dword v1, v[8:9], off
	s_movk_i32 s10, 0x7fff
	v_mov_b32_e32 v5, 0x7fc0
	s_waitcnt vmcnt(0)
	v_cvt_f32_f16_e32 v3, v1
	v_cmp_o_f16_e32 vcc, v1, v1
	v_bfe_u32 v1, v3, 16, 1
	v_add3_u32 v1, v3, v1, s10
	v_cndmask_b32_sdwa v1, v5, v1, vcc dst_sel:DWORD dst_unused:UNUSED_PAD src0_sel:DWORD src1_sel:WORD_1
.LBB143_2618:
	s_mov_b64 s[10:11], 0
.LBB143_2619:
	s_andn2_b64 vcc, exec, s[10:11]
	s_cbranch_vccnz .LBB143_2630
; %bb.2620:
	s_cmp_lt_i32 s20, 6
	s_cbranch_scc1 .LBB143_2623
; %bb.2621:
	s_cmp_gt_i32 s20, 6
	s_cbranch_scc0 .LBB143_2624
; %bb.2622:
	global_load_dwordx2 v[10:11], v[8:9], off
	s_movk_i32 s10, 0x7fff
	v_mov_b32_e32 v3, 0x7fc0
	s_waitcnt vmcnt(0)
	v_cvt_f32_f64_e32 v1, v[10:11]
	v_bfe_u32 v5, v1, 16, 1
	v_cmp_o_f32_e32 vcc, v1, v1
	v_add3_u32 v1, v1, v5, s10
	v_cndmask_b32_sdwa v1, v3, v1, vcc dst_sel:DWORD dst_unused:UNUSED_PAD src0_sel:DWORD src1_sel:WORD_1
	s_mov_b64 s[10:11], 0
	s_branch .LBB143_2625
.LBB143_2623:
	s_mov_b64 s[10:11], -1
                                        ; implicit-def: $vgpr1
	s_branch .LBB143_2628
.LBB143_2624:
	s_mov_b64 s[10:11], -1
                                        ; implicit-def: $vgpr1
.LBB143_2625:
	s_andn2_b64 vcc, exec, s[10:11]
	s_cbranch_vccnz .LBB143_2627
; %bb.2626:
	global_load_dword v1, v[8:9], off
	s_movk_i32 s10, 0x7fff
	v_mov_b32_e32 v3, 0x7fc0
	s_waitcnt vmcnt(0)
	v_bfe_u32 v5, v1, 16, 1
	v_cmp_o_f32_e32 vcc, v1, v1
	v_add3_u32 v1, v1, v5, s10
	v_cndmask_b32_sdwa v1, v3, v1, vcc dst_sel:DWORD dst_unused:UNUSED_PAD src0_sel:DWORD src1_sel:WORD_1
.LBB143_2627:
	s_mov_b64 s[10:11], 0
.LBB143_2628:
	s_andn2_b64 vcc, exec, s[10:11]
	s_cbranch_vccnz .LBB143_2630
; %bb.2629:
	global_load_ushort v1, v[8:9], off
	s_movk_i32 s10, 0x7fff
	v_mov_b32_e32 v5, 0x7fc0
	s_waitcnt vmcnt(0)
	v_cvt_f32_f16_e32 v3, v1
	v_cmp_o_f16_e32 vcc, v1, v1
	v_bfe_u32 v1, v3, 16, 1
	v_add3_u32 v1, v3, v1, s10
	v_cndmask_b32_sdwa v1, v5, v1, vcc dst_sel:DWORD dst_unused:UNUSED_PAD src0_sel:DWORD src1_sel:WORD_1
.LBB143_2630:
	s_mov_b64 s[10:11], 0
.LBB143_2631:
	s_andn2_b64 vcc, exec, s[10:11]
	s_cbranch_vccnz .LBB143_2651
; %bb.2632:
	s_cmp_lt_i32 s20, 2
	s_cbranch_scc1 .LBB143_2636
; %bb.2633:
	s_cmp_lt_i32 s20, 3
	s_cbranch_scc1 .LBB143_2637
; %bb.2634:
	s_cmp_gt_i32 s20, 3
	s_cbranch_scc0 .LBB143_2638
; %bb.2635:
	global_load_dwordx2 v[10:11], v[8:9], off
	s_movk_i32 s10, 0x7fff
	s_waitcnt vmcnt(0)
	v_xor_b32_e32 v3, v10, v11
	v_ffbh_i32_e32 v1, v11
	v_ashrrev_i32_e32 v3, 31, v3
	v_add_u32_e32 v1, -1, v1
	v_add_u32_e32 v3, 32, v3
	v_min_u32_e32 v1, v1, v3
	v_lshlrev_b64 v[10:11], v1, v[10:11]
	v_sub_u32_e32 v1, 32, v1
	v_min_u32_e32 v3, 1, v10
	v_or_b32_e32 v3, v11, v3
	v_cvt_f32_i32_e32 v3, v3
	v_ldexp_f32 v1, v3, v1
	v_bfe_u32 v3, v1, 16, 1
	v_add3_u32 v1, v1, v3, s10
	v_lshrrev_b32_e32 v1, 16, v1
	s_mov_b64 s[10:11], 0
	s_branch .LBB143_2639
.LBB143_2636:
	s_mov_b64 s[10:11], -1
                                        ; implicit-def: $vgpr1
	s_branch .LBB143_2645
.LBB143_2637:
	s_mov_b64 s[10:11], -1
                                        ; implicit-def: $vgpr1
	s_branch .LBB143_2642
.LBB143_2638:
	s_mov_b64 s[10:11], -1
                                        ; implicit-def: $vgpr1
.LBB143_2639:
	s_andn2_b64 vcc, exec, s[10:11]
	s_cbranch_vccnz .LBB143_2641
; %bb.2640:
	global_load_dword v1, v[8:9], off
	s_movk_i32 s10, 0x7fff
	s_waitcnt vmcnt(0)
	v_cvt_f32_i32_e32 v1, v1
	v_bfe_u32 v3, v1, 16, 1
	v_add3_u32 v1, v1, v3, s10
	v_lshrrev_b32_e32 v1, 16, v1
.LBB143_2641:
	s_mov_b64 s[10:11], 0
.LBB143_2642:
	s_andn2_b64 vcc, exec, s[10:11]
	s_cbranch_vccnz .LBB143_2644
; %bb.2643:
	global_load_sshort v1, v[8:9], off
	s_movk_i32 s10, 0x7fff
	s_waitcnt vmcnt(0)
	v_cvt_f32_i32_e32 v1, v1
	v_bfe_u32 v3, v1, 16, 1
	v_add3_u32 v1, v1, v3, s10
	v_lshrrev_b32_e32 v1, 16, v1
.LBB143_2644:
	s_mov_b64 s[10:11], 0
.LBB143_2645:
	s_andn2_b64 vcc, exec, s[10:11]
	s_cbranch_vccnz .LBB143_2651
; %bb.2646:
	s_cmp_gt_i32 s20, 0
	s_cbranch_scc0 .LBB143_2648
; %bb.2647:
	global_load_sbyte v1, v[8:9], off
	s_movk_i32 s10, 0x7fff
	s_waitcnt vmcnt(0)
	v_cvt_f32_i32_e32 v1, v1
	v_bfe_u32 v3, v1, 16, 1
	v_add3_u32 v1, v1, v3, s10
	v_lshrrev_b32_e32 v1, 16, v1
	s_mov_b64 s[10:11], 0
	s_branch .LBB143_2649
.LBB143_2648:
	s_mov_b64 s[10:11], -1
                                        ; implicit-def: $vgpr1
.LBB143_2649:
	s_andn2_b64 vcc, exec, s[10:11]
	s_cbranch_vccnz .LBB143_2651
; %bb.2650:
	global_load_ubyte v1, v[8:9], off
	s_movk_i32 s10, 0x7fff
	s_waitcnt vmcnt(0)
	v_cvt_f32_ubyte0_e32 v1, v1
	v_bfe_u32 v3, v1, 16, 1
	v_add3_u32 v1, v1, v3, s10
	v_lshrrev_b32_e32 v1, 16, v1
.LBB143_2651:
	s_mov_b64 s[22:23], -1
.LBB143_2652:
	s_andn2_b64 vcc, exec, s[22:23]
	s_cbranch_vccnz .LBB143_2787
; %bb.2653:
	v_mov_b32_e32 v3, s1
	v_add_co_u32_e32 v7, vcc, s0, v7
	s_cmp_lt_i32 s30, 11
	v_addc_co_u32_e32 v8, vcc, 0, v3, vcc
	s_cbranch_scc1 .LBB143_2660
; %bb.2654:
	s_and_b32 s26, 0xffff, s30
	s_cmp_gt_i32 s26, 25
	s_mov_b64 s[10:11], 0
	s_cbranch_scc0 .LBB143_2661
; %bb.2655:
	s_cmp_gt_i32 s26, 28
	s_cbranch_scc0 .LBB143_2662
; %bb.2656:
	s_cmp_gt_i32 s26, 43
	s_cbranch_scc0 .LBB143_2663
; %bb.2657:
	s_cmp_gt_i32 s26, 45
	s_cbranch_scc0 .LBB143_2665
; %bb.2658:
	s_cmp_eq_u32 s26, 46
	s_mov_b64 s[22:23], 0
	s_cbranch_scc0 .LBB143_2666
; %bb.2659:
	global_load_dword v3, v[7:8], off
	s_mov_b64 s[0:1], 0
	s_mov_b64 s[20:21], -1
	s_branch .LBB143_2667
.LBB143_2660:
	s_mov_b64 s[0:1], -1
	s_mov_b64 s[20:21], 0
                                        ; implicit-def: $vgpr3
	s_branch .LBB143_2733
.LBB143_2661:
	s_mov_b64 s[22:23], -1
	s_mov_b64 s[20:21], 0
	s_mov_b64 s[0:1], 0
                                        ; implicit-def: $vgpr3
	s_branch .LBB143_2696
.LBB143_2662:
	s_mov_b64 s[22:23], -1
	s_mov_b64 s[20:21], 0
	s_mov_b64 s[0:1], 0
                                        ; implicit-def: $vgpr3
	s_branch .LBB143_2677
.LBB143_2663:
	s_mov_b64 s[22:23], -1
	s_mov_b64 s[20:21], 0
	s_mov_b64 s[0:1], 0
                                        ; implicit-def: $vgpr3
	s_branch .LBB143_2672
.LBB143_2664:
	s_trap 2
	s_or_b64 s[4:5], s[4:5], exec
	s_cbranch_execz .LBB143_2601
	s_branch .LBB143_2602
.LBB143_2665:
	s_mov_b64 s[22:23], -1
	s_mov_b64 s[20:21], 0
	s_mov_b64 s[0:1], 0
                                        ; implicit-def: $vgpr3
	s_branch .LBB143_2667
.LBB143_2666:
	s_mov_b64 s[0:1], -1
                                        ; implicit-def: $vgpr3
	s_mov_b64 s[20:21], 0
.LBB143_2667:
	s_and_b64 vcc, exec, s[22:23]
	s_cbranch_vccz .LBB143_2671
; %bb.2668:
	s_cmp_eq_u32 s26, 44
	s_cbranch_scc0 .LBB143_2670
; %bb.2669:
	global_load_ubyte v3, v[7:8], off
	s_movk_i32 s20, 0xff
	v_mov_b32_e32 v5, 0x7f800001
	v_mov_b32_e32 v9, 0x400000
	;; [unrolled: 1-line block ×3, first 2 shown]
	s_mov_b64 s[0:1], 0
	s_waitcnt vmcnt(0)
	v_lshlrev_b32_e32 v11, 23, v3
	v_cmp_ne_u32_e32 vcc, s20, v3
	v_cndmask_b32_e32 v5, v5, v11, vcc
	v_cmp_ne_u32_e32 vcc, 0, v3
	v_cndmask_b32_e32 v3, v9, v5, vcc
	v_add_u32_e32 v5, 0x7fff, v3
	v_cmp_o_f32_e32 vcc, v3, v3
	v_cndmask_b32_sdwa v3, v10, v5, vcc dst_sel:DWORD dst_unused:UNUSED_PAD src0_sel:DWORD src1_sel:WORD_1
	s_mov_b64 s[20:21], -1
	s_branch .LBB143_2671
.LBB143_2670:
	s_mov_b64 s[0:1], -1
                                        ; implicit-def: $vgpr3
.LBB143_2671:
	s_mov_b64 s[22:23], 0
.LBB143_2672:
	s_and_b64 vcc, exec, s[22:23]
	s_cbranch_vccz .LBB143_2676
; %bb.2673:
	s_cmp_eq_u32 s26, 29
	s_cbranch_scc0 .LBB143_2675
; %bb.2674:
	global_load_dwordx2 v[9:10], v[7:8], off
	s_movk_i32 s20, 0x7fff
	s_mov_b64 s[0:1], 0
	s_mov_b64 s[22:23], 0
	s_waitcnt vmcnt(0)
	v_ffbh_u32_e32 v3, v10
	v_min_u32_e32 v3, 32, v3
	v_lshlrev_b64 v[9:10], v3, v[9:10]
	v_sub_u32_e32 v3, 32, v3
	v_min_u32_e32 v5, 1, v9
	v_or_b32_e32 v5, v10, v5
	v_cvt_f32_u32_e32 v5, v5
	v_ldexp_f32 v3, v5, v3
	v_bfe_u32 v5, v3, 16, 1
	v_add3_u32 v3, v3, v5, s20
	v_lshrrev_b32_e32 v3, 16, v3
	s_mov_b64 s[20:21], -1
	s_branch .LBB143_2677
.LBB143_2675:
	s_mov_b64 s[0:1], -1
                                        ; implicit-def: $vgpr3
.LBB143_2676:
	s_mov_b64 s[22:23], 0
.LBB143_2677:
	s_and_b64 vcc, exec, s[22:23]
	s_cbranch_vccz .LBB143_2695
; %bb.2678:
	s_cmp_lt_i32 s26, 27
	s_cbranch_scc1 .LBB143_2681
; %bb.2679:
	s_cmp_gt_i32 s26, 27
	s_cbranch_scc0 .LBB143_2682
; %bb.2680:
	global_load_dword v3, v[7:8], off
	s_movk_i32 s20, 0x7fff
	s_waitcnt vmcnt(0)
	v_cvt_f32_u32_e32 v3, v3
	v_bfe_u32 v5, v3, 16, 1
	v_add3_u32 v3, v3, v5, s20
	v_lshrrev_b32_e32 v3, 16, v3
	s_mov_b64 s[20:21], 0
	s_branch .LBB143_2683
.LBB143_2681:
	s_mov_b64 s[20:21], -1
                                        ; implicit-def: $vgpr3
	s_branch .LBB143_2686
.LBB143_2682:
	s_mov_b64 s[20:21], -1
                                        ; implicit-def: $vgpr3
.LBB143_2683:
	s_andn2_b64 vcc, exec, s[20:21]
	s_cbranch_vccnz .LBB143_2685
; %bb.2684:
	global_load_ushort v3, v[7:8], off
	s_movk_i32 s20, 0x7fff
	s_waitcnt vmcnt(0)
	v_cvt_f32_u32_e32 v3, v3
	v_bfe_u32 v5, v3, 16, 1
	v_add3_u32 v3, v3, v5, s20
	v_lshrrev_b32_e32 v3, 16, v3
.LBB143_2685:
	s_mov_b64 s[20:21], 0
.LBB143_2686:
	s_andn2_b64 vcc, exec, s[20:21]
	s_cbranch_vccnz .LBB143_2694
; %bb.2687:
	global_load_ubyte v3, v[7:8], off
	s_movk_i32 s20, 0x7f
	s_waitcnt vmcnt(0)
	v_cmp_lt_i16_e32 vcc, s20, v3
	s_mov_b64 s[20:21], 0
	s_and_saveexec_b64 s[22:23], vcc
	s_xor_b64 s[22:23], exec, s[22:23]
	s_cbranch_execz .LBB143_2708
; %bb.2688:
	s_movk_i32 s20, 0x80
	v_cmp_eq_u16_e32 vcc, s20, v3
	s_mov_b64 s[20:21], -1
	s_and_saveexec_b64 s[24:25], vcc
; %bb.2689:
	s_xor_b64 s[20:21], exec, -1
; %bb.2690:
	s_or_b64 exec, exec, s[24:25]
	s_and_b64 s[20:21], s[20:21], exec
	s_or_saveexec_b64 s[22:23], s[22:23]
	v_mov_b32_e32 v5, 0x7f800001
	s_xor_b64 exec, exec, s[22:23]
	s_cbranch_execnz .LBB143_2709
.LBB143_2691:
	s_or_b64 exec, exec, s[22:23]
	s_and_saveexec_b64 s[22:23], s[20:21]
	s_cbranch_execz .LBB143_2693
.LBB143_2692:
	v_lshlrev_b32_e32 v5, 24, v3
	v_and_b32_e32 v3, 0xffff, v3
	v_and_b32_e32 v9, 7, v3
	v_ffbh_u32_e32 v11, v9
	v_min_u32_e32 v11, 32, v11
	v_subrev_u32_e32 v12, 28, v11
	v_bfe_u32 v10, v3, 3, 4
	v_lshlrev_b32_e32 v3, v12, v3
	v_sub_u32_e32 v11, 29, v11
	v_and_b32_e32 v3, 7, v3
	v_cmp_eq_u32_e32 vcc, 0, v10
	v_cndmask_b32_e32 v10, v10, v11, vcc
	v_cndmask_b32_e32 v3, v9, v3, vcc
	v_mov_b32_e32 v9, 0x3b800000
	v_lshlrev_b32_e32 v3, 20, v3
	v_and_b32_e32 v5, 0x80000000, v5
	v_lshl_add_u32 v9, v10, 23, v9
	v_or3_b32 v5, v5, v9, v3
.LBB143_2693:
	s_or_b64 exec, exec, s[22:23]
	v_bfe_u32 v3, v5, 16, 1
	s_movk_i32 s20, 0x7fff
	v_add3_u32 v3, v5, v3, s20
	v_cmp_o_f32_e32 vcc, v5, v5
	v_mov_b32_e32 v5, 0x7fc0
	v_cndmask_b32_sdwa v3, v5, v3, vcc dst_sel:DWORD dst_unused:UNUSED_PAD src0_sel:DWORD src1_sel:WORD_1
.LBB143_2694:
	s_mov_b64 s[20:21], -1
.LBB143_2695:
	s_mov_b64 s[22:23], 0
.LBB143_2696:
	s_and_b64 vcc, exec, s[22:23]
	s_cbranch_vccz .LBB143_2729
; %bb.2697:
	s_cmp_gt_i32 s26, 22
	s_cbranch_scc0 .LBB143_2707
; %bb.2698:
	s_cmp_lt_i32 s26, 24
	s_cbranch_scc1 .LBB143_2710
; %bb.2699:
	s_cmp_gt_i32 s26, 24
	s_cbranch_scc0 .LBB143_2711
; %bb.2700:
	global_load_ubyte v3, v[7:8], off
	s_movk_i32 s10, 0x7f
	s_waitcnt vmcnt(0)
	v_cmp_lt_i16_e32 vcc, s10, v3
	s_mov_b64 s[10:11], 0
	s_and_saveexec_b64 s[20:21], vcc
	s_xor_b64 s[20:21], exec, s[20:21]
	s_cbranch_execz .LBB143_2723
; %bb.2701:
	s_movk_i32 s10, 0x80
	v_cmp_eq_u16_e32 vcc, s10, v3
	s_mov_b64 s[10:11], -1
	s_and_saveexec_b64 s[22:23], vcc
; %bb.2702:
	s_xor_b64 s[10:11], exec, -1
; %bb.2703:
	s_or_b64 exec, exec, s[22:23]
	s_and_b64 s[10:11], s[10:11], exec
	s_or_saveexec_b64 s[20:21], s[20:21]
	v_mov_b32_e32 v5, 0x7f800001
	s_xor_b64 exec, exec, s[20:21]
	s_cbranch_execnz .LBB143_2724
.LBB143_2704:
	s_or_b64 exec, exec, s[20:21]
	s_and_saveexec_b64 s[20:21], s[10:11]
	s_cbranch_execz .LBB143_2706
.LBB143_2705:
	v_lshlrev_b32_e32 v5, 24, v3
	v_and_b32_e32 v3, 0xffff, v3
	v_and_b32_e32 v9, 3, v3
	v_ffbh_u32_e32 v11, v9
	v_min_u32_e32 v11, 32, v11
	v_subrev_u32_e32 v12, 29, v11
	v_bfe_u32 v10, v3, 2, 5
	v_lshlrev_b32_e32 v3, v12, v3
	v_sub_u32_e32 v11, 30, v11
	v_and_b32_e32 v3, 3, v3
	v_cmp_eq_u32_e32 vcc, 0, v10
	v_cndmask_b32_e32 v10, v10, v11, vcc
	v_cndmask_b32_e32 v3, v9, v3, vcc
	v_mov_b32_e32 v9, 0x37800000
	v_lshlrev_b32_e32 v3, 21, v3
	v_and_b32_e32 v5, 0x80000000, v5
	v_lshl_add_u32 v9, v10, 23, v9
	v_or3_b32 v5, v5, v9, v3
.LBB143_2706:
	s_or_b64 exec, exec, s[20:21]
	v_bfe_u32 v3, v5, 16, 1
	s_movk_i32 s10, 0x7fff
	v_add3_u32 v3, v5, v3, s10
	v_cmp_o_f32_e32 vcc, v5, v5
	v_mov_b32_e32 v5, 0x7fc0
	v_cndmask_b32_sdwa v3, v5, v3, vcc dst_sel:DWORD dst_unused:UNUSED_PAD src0_sel:DWORD src1_sel:WORD_1
	s_mov_b64 s[10:11], 0
	s_branch .LBB143_2712
.LBB143_2707:
	s_mov_b64 s[10:11], -1
                                        ; implicit-def: $vgpr3
	s_branch .LBB143_2718
.LBB143_2708:
	s_or_saveexec_b64 s[22:23], s[22:23]
	v_mov_b32_e32 v5, 0x7f800001
	s_xor_b64 exec, exec, s[22:23]
	s_cbranch_execz .LBB143_2691
.LBB143_2709:
	v_cmp_ne_u16_e32 vcc, 0, v3
	s_andn2_b64 s[20:21], s[20:21], exec
	s_and_b64 s[24:25], vcc, exec
	v_mov_b32_e32 v5, 0
	s_or_b64 s[20:21], s[20:21], s[24:25]
	s_or_b64 exec, exec, s[22:23]
	s_and_saveexec_b64 s[22:23], s[20:21]
	s_cbranch_execnz .LBB143_2692
	s_branch .LBB143_2693
.LBB143_2710:
	s_mov_b64 s[10:11], -1
                                        ; implicit-def: $vgpr3
	s_branch .LBB143_2715
.LBB143_2711:
	s_mov_b64 s[10:11], -1
                                        ; implicit-def: $vgpr3
.LBB143_2712:
	s_and_b64 vcc, exec, s[10:11]
	s_cbranch_vccz .LBB143_2714
; %bb.2713:
	global_load_ubyte v3, v[7:8], off
	s_mov_b32 s10, 0x7f800000
	s_brev_b32 s11, 1
	s_movk_i32 s20, 0x7fff
	s_waitcnt vmcnt(0)
	v_lshlrev_b32_e32 v3, 24, v3
	v_and_b32_e32 v5, 0x7f000000, v3
	v_ffbh_u32_e32 v9, v5
	v_min_u32_e32 v9, 32, v9
	v_sub_u32_e64 v9, v9, 4 clamp
	v_lshlrev_b32_e32 v11, v9, v5
	v_lshlrev_b32_e32 v9, 23, v9
	v_lshrrev_b32_e32 v11, 4, v11
	v_add_u32_e32 v10, 0x1000000, v5
	v_sub_u32_e32 v9, v11, v9
	v_ashrrev_i32_e32 v10, 8, v10
	v_add_u32_e32 v9, 0x3c000000, v9
	v_and_or_b32 v9, v10, s10, v9
	v_cmp_ne_u32_e32 vcc, 0, v5
	v_cndmask_b32_e32 v5, 0, v9, vcc
	v_and_or_b32 v3, v3, s11, v5
	v_bfe_u32 v5, v5, 16, 1
	v_add3_u32 v5, v3, v5, s20
	v_cmp_o_f32_e32 vcc, v3, v3
	v_mov_b32_e32 v3, 0x7fc0
	v_cndmask_b32_sdwa v3, v3, v5, vcc dst_sel:DWORD dst_unused:UNUSED_PAD src0_sel:DWORD src1_sel:WORD_1
.LBB143_2714:
	s_mov_b64 s[10:11], 0
.LBB143_2715:
	s_andn2_b64 vcc, exec, s[10:11]
	s_cbranch_vccnz .LBB143_2717
; %bb.2716:
	global_load_ubyte v3, v[7:8], off
	s_movk_i32 s10, 0x7f00
	s_brev_b32 s11, 16
	s_brev_b32 s20, 1
	s_movk_i32 s21, 0x7fff
	s_waitcnt vmcnt(0)
	v_lshlrev_b16_e32 v5, 8, v3
	v_lshlrev_b32_e32 v3, 25, v3
	v_lshrrev_b32_e32 v9, 4, v3
	v_and_or_b32 v10, v5, s10, 0.5
	v_or_b32_e32 v9, 0x70000000, v9
	v_add_f32_e32 v10, -0.5, v10
	v_mul_f32_e32 v9, 0x7800000, v9
	v_cmp_gt_u32_e32 vcc, s11, v3
	v_bfe_i32 v5, v5, 0, 16
	v_cndmask_b32_e32 v3, v9, v10, vcc
	v_and_or_b32 v5, v5, s20, v3
	v_bfe_u32 v3, v3, 16, 1
	v_add3_u32 v3, v5, v3, s21
	v_cmp_o_f32_e32 vcc, v5, v5
	v_mov_b32_e32 v5, 0x7fc0
	v_cndmask_b32_sdwa v3, v5, v3, vcc dst_sel:DWORD dst_unused:UNUSED_PAD src0_sel:DWORD src1_sel:WORD_1
.LBB143_2717:
	s_mov_b64 s[10:11], 0
	s_mov_b64 s[20:21], -1
.LBB143_2718:
	s_andn2_b64 vcc, exec, s[10:11]
	s_mov_b64 s[10:11], 0
	s_cbranch_vccnz .LBB143_2729
; %bb.2719:
	s_cmp_gt_i32 s26, 14
	s_cbranch_scc0 .LBB143_2722
; %bb.2720:
	s_cmp_eq_u32 s26, 15
	s_cbranch_scc0 .LBB143_2725
; %bb.2721:
	global_load_ushort v3, v[7:8], off
	s_mov_b64 s[0:1], 0
	s_mov_b64 s[20:21], -1
	s_branch .LBB143_2726
.LBB143_2722:
	s_mov_b64 s[22:23], -1
                                        ; implicit-def: $vgpr3
	s_branch .LBB143_2727
.LBB143_2723:
	s_or_saveexec_b64 s[20:21], s[20:21]
	v_mov_b32_e32 v5, 0x7f800001
	s_xor_b64 exec, exec, s[20:21]
	s_cbranch_execz .LBB143_2704
.LBB143_2724:
	v_cmp_ne_u16_e32 vcc, 0, v3
	s_andn2_b64 s[10:11], s[10:11], exec
	s_and_b64 s[22:23], vcc, exec
	v_mov_b32_e32 v5, 0
	s_or_b64 s[10:11], s[10:11], s[22:23]
	s_or_b64 exec, exec, s[20:21]
	s_and_saveexec_b64 s[20:21], s[10:11]
	s_cbranch_execnz .LBB143_2705
	s_branch .LBB143_2706
.LBB143_2725:
	s_mov_b64 s[0:1], -1
                                        ; implicit-def: $vgpr3
.LBB143_2726:
	s_mov_b64 s[22:23], 0
.LBB143_2727:
	s_and_b64 vcc, exec, s[22:23]
	s_cbranch_vccz .LBB143_2729
; %bb.2728:
	s_cmp_lg_u32 s26, 11
	s_mov_b64 s[10:11], -1
	s_cselect_b64 s[0:1], -1, 0
.LBB143_2729:
	s_and_b64 vcc, exec, s[0:1]
	s_cbranch_vccnz .LBB143_3281
; %bb.2730:
	s_andn2_b64 vcc, exec, s[10:11]
	s_cbranch_vccnz .LBB143_2732
.LBB143_2731:
	global_load_ubyte v3, v[7:8], off
	s_mov_b64 s[20:21], -1
	s_waitcnt vmcnt(0)
	v_cmp_ne_u16_e32 vcc, 0, v3
	v_cndmask_b32_e64 v3, 0, 1.0, vcc
	v_lshrrev_b32_e32 v3, 16, v3
.LBB143_2732:
	s_mov_b64 s[0:1], 0
.LBB143_2733:
	s_and_b64 vcc, exec, s[0:1]
	s_cbranch_vccz .LBB143_2782
; %bb.2734:
	s_and_b32 s10, 0xffff, s30
	s_cmp_lt_i32 s10, 5
	s_cbranch_scc1 .LBB143_2739
; %bb.2735:
	s_cmp_lt_i32 s10, 8
	s_cbranch_scc1 .LBB143_2740
; %bb.2736:
	;; [unrolled: 3-line block ×3, first 2 shown]
	s_cmp_gt_i32 s10, 9
	s_cbranch_scc0 .LBB143_2742
; %bb.2738:
	global_load_dwordx2 v[9:10], v[7:8], off
	s_movk_i32 s0, 0x7fff
	v_mov_b32_e32 v5, 0x7fc0
	s_waitcnt vmcnt(0)
	v_cvt_f32_f64_e32 v3, v[9:10]
	v_bfe_u32 v9, v3, 16, 1
	v_cmp_o_f32_e32 vcc, v3, v3
	v_add3_u32 v3, v3, v9, s0
	v_cndmask_b32_sdwa v3, v5, v3, vcc dst_sel:DWORD dst_unused:UNUSED_PAD src0_sel:DWORD src1_sel:WORD_1
	s_mov_b64 s[0:1], 0
	s_branch .LBB143_2743
.LBB143_2739:
	s_mov_b64 s[0:1], -1
                                        ; implicit-def: $vgpr3
	s_branch .LBB143_2761
.LBB143_2740:
	s_mov_b64 s[0:1], -1
                                        ; implicit-def: $vgpr3
	s_branch .LBB143_2749
.LBB143_2741:
	s_mov_b64 s[0:1], -1
                                        ; implicit-def: $vgpr3
	s_branch .LBB143_2746
.LBB143_2742:
	s_mov_b64 s[0:1], -1
                                        ; implicit-def: $vgpr3
.LBB143_2743:
	s_andn2_b64 vcc, exec, s[0:1]
	s_cbranch_vccnz .LBB143_2745
; %bb.2744:
	global_load_dword v3, v[7:8], off
	s_movk_i32 s0, 0x7fff
	v_mov_b32_e32 v5, 0x7fc0
	s_waitcnt vmcnt(0)
	v_bfe_u32 v9, v3, 16, 1
	v_cmp_o_f32_e32 vcc, v3, v3
	v_add3_u32 v3, v3, v9, s0
	v_cndmask_b32_sdwa v3, v5, v3, vcc dst_sel:DWORD dst_unused:UNUSED_PAD src0_sel:DWORD src1_sel:WORD_1
.LBB143_2745:
	s_mov_b64 s[0:1], 0
.LBB143_2746:
	s_andn2_b64 vcc, exec, s[0:1]
	s_cbranch_vccnz .LBB143_2748
; %bb.2747:
	global_load_dword v3, v[7:8], off
	s_movk_i32 s0, 0x7fff
	v_mov_b32_e32 v9, 0x7fc0
	s_waitcnt vmcnt(0)
	v_cvt_f32_f16_e32 v5, v3
	v_cmp_o_f16_e32 vcc, v3, v3
	v_bfe_u32 v3, v5, 16, 1
	v_add3_u32 v3, v5, v3, s0
	v_cndmask_b32_sdwa v3, v9, v3, vcc dst_sel:DWORD dst_unused:UNUSED_PAD src0_sel:DWORD src1_sel:WORD_1
.LBB143_2748:
	s_mov_b64 s[0:1], 0
.LBB143_2749:
	s_andn2_b64 vcc, exec, s[0:1]
	s_cbranch_vccnz .LBB143_2760
; %bb.2750:
	s_cmp_lt_i32 s10, 6
	s_cbranch_scc1 .LBB143_2753
; %bb.2751:
	s_cmp_gt_i32 s10, 6
	s_cbranch_scc0 .LBB143_2754
; %bb.2752:
	global_load_dwordx2 v[9:10], v[7:8], off
	s_movk_i32 s0, 0x7fff
	v_mov_b32_e32 v5, 0x7fc0
	s_waitcnt vmcnt(0)
	v_cvt_f32_f64_e32 v3, v[9:10]
	v_bfe_u32 v9, v3, 16, 1
	v_cmp_o_f32_e32 vcc, v3, v3
	v_add3_u32 v3, v3, v9, s0
	v_cndmask_b32_sdwa v3, v5, v3, vcc dst_sel:DWORD dst_unused:UNUSED_PAD src0_sel:DWORD src1_sel:WORD_1
	s_mov_b64 s[0:1], 0
	s_branch .LBB143_2755
.LBB143_2753:
	s_mov_b64 s[0:1], -1
                                        ; implicit-def: $vgpr3
	s_branch .LBB143_2758
.LBB143_2754:
	s_mov_b64 s[0:1], -1
                                        ; implicit-def: $vgpr3
.LBB143_2755:
	s_andn2_b64 vcc, exec, s[0:1]
	s_cbranch_vccnz .LBB143_2757
; %bb.2756:
	global_load_dword v3, v[7:8], off
	s_movk_i32 s0, 0x7fff
	v_mov_b32_e32 v5, 0x7fc0
	s_waitcnt vmcnt(0)
	v_bfe_u32 v9, v3, 16, 1
	v_cmp_o_f32_e32 vcc, v3, v3
	v_add3_u32 v3, v3, v9, s0
	v_cndmask_b32_sdwa v3, v5, v3, vcc dst_sel:DWORD dst_unused:UNUSED_PAD src0_sel:DWORD src1_sel:WORD_1
.LBB143_2757:
	s_mov_b64 s[0:1], 0
.LBB143_2758:
	s_andn2_b64 vcc, exec, s[0:1]
	s_cbranch_vccnz .LBB143_2760
; %bb.2759:
	global_load_ushort v3, v[7:8], off
	s_movk_i32 s0, 0x7fff
	v_mov_b32_e32 v9, 0x7fc0
	s_waitcnt vmcnt(0)
	v_cvt_f32_f16_e32 v5, v3
	v_cmp_o_f16_e32 vcc, v3, v3
	v_bfe_u32 v3, v5, 16, 1
	v_add3_u32 v3, v5, v3, s0
	v_cndmask_b32_sdwa v3, v9, v3, vcc dst_sel:DWORD dst_unused:UNUSED_PAD src0_sel:DWORD src1_sel:WORD_1
.LBB143_2760:
	s_mov_b64 s[0:1], 0
.LBB143_2761:
	s_andn2_b64 vcc, exec, s[0:1]
	s_cbranch_vccnz .LBB143_2781
; %bb.2762:
	s_cmp_lt_i32 s10, 2
	s_cbranch_scc1 .LBB143_2766
; %bb.2763:
	s_cmp_lt_i32 s10, 3
	s_cbranch_scc1 .LBB143_2767
; %bb.2764:
	s_cmp_gt_i32 s10, 3
	s_cbranch_scc0 .LBB143_2768
; %bb.2765:
	global_load_dwordx2 v[9:10], v[7:8], off
	s_movk_i32 s0, 0x7fff
	s_waitcnt vmcnt(0)
	v_xor_b32_e32 v5, v9, v10
	v_ffbh_i32_e32 v3, v10
	v_ashrrev_i32_e32 v5, 31, v5
	v_add_u32_e32 v3, -1, v3
	v_add_u32_e32 v5, 32, v5
	v_min_u32_e32 v3, v3, v5
	v_lshlrev_b64 v[9:10], v3, v[9:10]
	v_sub_u32_e32 v3, 32, v3
	v_min_u32_e32 v5, 1, v9
	v_or_b32_e32 v5, v10, v5
	v_cvt_f32_i32_e32 v5, v5
	v_ldexp_f32 v3, v5, v3
	v_bfe_u32 v5, v3, 16, 1
	v_add3_u32 v3, v3, v5, s0
	v_lshrrev_b32_e32 v3, 16, v3
	s_mov_b64 s[0:1], 0
	s_branch .LBB143_2769
.LBB143_2766:
	s_mov_b64 s[0:1], -1
                                        ; implicit-def: $vgpr3
	s_branch .LBB143_2775
.LBB143_2767:
	s_mov_b64 s[0:1], -1
                                        ; implicit-def: $vgpr3
	s_branch .LBB143_2772
.LBB143_2768:
	s_mov_b64 s[0:1], -1
                                        ; implicit-def: $vgpr3
.LBB143_2769:
	s_andn2_b64 vcc, exec, s[0:1]
	s_cbranch_vccnz .LBB143_2771
; %bb.2770:
	global_load_dword v3, v[7:8], off
	s_movk_i32 s0, 0x7fff
	s_waitcnt vmcnt(0)
	v_cvt_f32_i32_e32 v3, v3
	v_bfe_u32 v5, v3, 16, 1
	v_add3_u32 v3, v3, v5, s0
	v_lshrrev_b32_e32 v3, 16, v3
.LBB143_2771:
	s_mov_b64 s[0:1], 0
.LBB143_2772:
	s_andn2_b64 vcc, exec, s[0:1]
	s_cbranch_vccnz .LBB143_2774
; %bb.2773:
	global_load_sshort v3, v[7:8], off
	s_movk_i32 s0, 0x7fff
	s_waitcnt vmcnt(0)
	v_cvt_f32_i32_e32 v3, v3
	v_bfe_u32 v5, v3, 16, 1
	v_add3_u32 v3, v3, v5, s0
	v_lshrrev_b32_e32 v3, 16, v3
.LBB143_2774:
	s_mov_b64 s[0:1], 0
.LBB143_2775:
	s_andn2_b64 vcc, exec, s[0:1]
	s_cbranch_vccnz .LBB143_2781
; %bb.2776:
	s_cmp_gt_i32 s10, 0
	s_cbranch_scc0 .LBB143_2778
; %bb.2777:
	global_load_sbyte v3, v[7:8], off
	s_movk_i32 s0, 0x7fff
	s_waitcnt vmcnt(0)
	v_cvt_f32_i32_e32 v3, v3
	v_bfe_u32 v5, v3, 16, 1
	v_add3_u32 v3, v3, v5, s0
	v_lshrrev_b32_e32 v3, 16, v3
	s_mov_b64 s[0:1], 0
	s_branch .LBB143_2779
.LBB143_2778:
	s_mov_b64 s[0:1], -1
                                        ; implicit-def: $vgpr3
.LBB143_2779:
	s_andn2_b64 vcc, exec, s[0:1]
	s_cbranch_vccnz .LBB143_2781
; %bb.2780:
	global_load_ubyte v3, v[7:8], off
	s_movk_i32 s0, 0x7fff
	s_waitcnt vmcnt(0)
	v_cvt_f32_ubyte0_e32 v3, v3
	v_bfe_u32 v5, v3, 16, 1
	v_add3_u32 v3, v3, v5, s0
	v_lshrrev_b32_e32 v3, 16, v3
.LBB143_2781:
	s_mov_b64 s[20:21], -1
.LBB143_2782:
	s_andn2_b64 vcc, exec, s[20:21]
	s_cbranch_vccnz .LBB143_2787
; %bb.2783:
	s_waitcnt vmcnt(0)
	v_lshlrev_b32_e32 v1, 16, v1
	v_lshlrev_b32_e32 v3, 16, v3
	s_cmp_lt_i32 s28, 1
	s_mov_b64 s[0:1], 0
	s_cbranch_scc1 .LBB143_2833
; %bb.2784:
	s_cmp_gt_i32 s28, 1
	s_cbranch_scc0 .LBB143_2834
; %bb.2785:
	s_cmp_eq_u32 s28, 2
	s_cbranch_scc0 .LBB143_2835
; %bb.2786:
	v_cmp_le_f32_e64 s[10:11], v1, v3
	s_mov_b64 s[20:21], 0
	s_branch .LBB143_2836
.LBB143_2787:
	s_mov_b64 s[0:1], 0
                                        ; implicit-def: $sgpr10_sgpr11
.LBB143_2788:
	s_mov_b64 s[2:3], 0
                                        ; implicit-def: $vgpr0_vgpr1
                                        ; implicit-def: $sgpr26
.LBB143_2789:
	s_and_b64 s[6:7], s[2:3], exec
	s_andn2_b64 s[2:3], s[12:13], exec
	s_and_b64 s[4:5], s[4:5], exec
	s_and_b64 s[0:1], s[0:1], exec
	s_or_b64 s[12:13], s[2:3], s[4:5]
.LBB143_2790:
	s_or_b64 exec, exec, s[14:15]
	s_and_saveexec_b64 s[2:3], s[12:13]
	s_cbranch_execz .LBB143_2793
; %bb.2791:
	; divergent unreachable
	s_or_b64 exec, exec, s[2:3]
	s_and_saveexec_b64 s[2:3], s[6:7]
	s_xor_b64 s[2:3], exec, s[2:3]
	s_cbranch_execnz .LBB143_2794
.LBB143_2792:
	s_or_b64 exec, exec, s[2:3]
	s_and_saveexec_b64 s[2:3], s[0:1]
	s_cbranch_execnz .LBB143_2795
	s_branch .LBB143_2832
.LBB143_2793:
	s_or_b64 exec, exec, s[2:3]
	s_and_saveexec_b64 s[2:3], s[6:7]
	s_xor_b64 s[2:3], exec, s[2:3]
	s_cbranch_execz .LBB143_2792
.LBB143_2794:
	v_cndmask_b32_e64 v2, 0, 1, s[10:11]
	s_waitcnt vmcnt(0)
	global_store_byte v[0:1], v2, off
	s_or_b64 exec, exec, s[2:3]
	s_and_saveexec_b64 s[2:3], s[0:1]
	s_cbranch_execz .LBB143_2832
.LBB143_2795:
	s_sext_i32_i16 s2, s26
	s_cmp_lt_i32 s2, 5
	s_mov_b64 s[0:1], -1
	s_cbranch_scc1 .LBB143_2816
; %bb.2796:
	s_cmp_lt_i32 s2, 8
	s_cbranch_scc1 .LBB143_2806
; %bb.2797:
	s_cmp_lt_i32 s2, 9
	s_cbranch_scc1 .LBB143_2803
; %bb.2798:
	s_cmp_gt_i32 s2, 9
	s_cbranch_scc0 .LBB143_2800
; %bb.2799:
	v_cndmask_b32_e64 v2, 0, 1, s[10:11]
	s_waitcnt vmcnt(0)
	v_cvt_f64_u32_e32 v[2:3], v2
	v_mov_b32_e32 v4, 0
	v_mov_b32_e32 v5, v4
	s_mov_b64 s[0:1], 0
	global_store_dwordx4 v[0:1], v[2:5], off
.LBB143_2800:
	s_andn2_b64 vcc, exec, s[0:1]
	s_cbranch_vccnz .LBB143_2802
; %bb.2801:
	v_cndmask_b32_e64 v2, 0, 1.0, s[10:11]
	s_waitcnt vmcnt(0)
	v_mov_b32_e32 v3, 0
	global_store_dwordx2 v[0:1], v[2:3], off
.LBB143_2802:
	s_mov_b64 s[0:1], 0
.LBB143_2803:
	s_andn2_b64 vcc, exec, s[0:1]
	s_cbranch_vccnz .LBB143_2805
; %bb.2804:
	v_cndmask_b32_e64 v2, 0, 1.0, s[10:11]
	v_cvt_f16_f32_e32 v2, v2
	s_waitcnt vmcnt(0)
	global_store_dword v[0:1], v2, off
.LBB143_2805:
	s_mov_b64 s[0:1], 0
.LBB143_2806:
	s_andn2_b64 vcc, exec, s[0:1]
	s_cbranch_vccnz .LBB143_2815
; %bb.2807:
	s_sext_i32_i16 s2, s26
	s_cmp_lt_i32 s2, 6
	s_mov_b64 s[0:1], -1
	s_cbranch_scc1 .LBB143_2813
; %bb.2808:
	s_cmp_gt_i32 s2, 6
	s_cbranch_scc0 .LBB143_2810
; %bb.2809:
	v_cndmask_b32_e64 v2, 0, 1, s[10:11]
	s_waitcnt vmcnt(0)
	v_cvt_f64_u32_e32 v[2:3], v2
	s_mov_b64 s[0:1], 0
	global_store_dwordx2 v[0:1], v[2:3], off
.LBB143_2810:
	s_andn2_b64 vcc, exec, s[0:1]
	s_cbranch_vccnz .LBB143_2812
; %bb.2811:
	v_cndmask_b32_e64 v2, 0, 1.0, s[10:11]
	s_waitcnt vmcnt(0)
	global_store_dword v[0:1], v2, off
.LBB143_2812:
	s_mov_b64 s[0:1], 0
.LBB143_2813:
	s_andn2_b64 vcc, exec, s[0:1]
	s_cbranch_vccnz .LBB143_2815
; %bb.2814:
	v_cndmask_b32_e64 v2, 0, 1.0, s[10:11]
	v_cvt_f16_f32_e32 v2, v2
	s_waitcnt vmcnt(0)
	global_store_short v[0:1], v2, off
.LBB143_2815:
	s_mov_b64 s[0:1], 0
.LBB143_2816:
	s_andn2_b64 vcc, exec, s[0:1]
	s_cbranch_vccnz .LBB143_2832
; %bb.2817:
	s_sext_i32_i16 s2, s26
	s_cmp_lt_i32 s2, 2
	s_mov_b64 s[0:1], -1
	s_cbranch_scc1 .LBB143_2827
; %bb.2818:
	s_cmp_lt_i32 s2, 3
	s_cbranch_scc1 .LBB143_2824
; %bb.2819:
	s_cmp_gt_i32 s2, 3
	s_cbranch_scc0 .LBB143_2821
; %bb.2820:
	s_mov_b32 s0, 0
	v_cndmask_b32_e64 v2, 0, 1, s[10:11]
	s_waitcnt vmcnt(0)
	v_mov_b32_e32 v3, s0
	global_store_dwordx2 v[0:1], v[2:3], off
	s_mov_b64 s[0:1], 0
.LBB143_2821:
	s_andn2_b64 vcc, exec, s[0:1]
	s_cbranch_vccnz .LBB143_2823
; %bb.2822:
	v_cndmask_b32_e64 v2, 0, 1, s[10:11]
	s_waitcnt vmcnt(0)
	global_store_dword v[0:1], v2, off
.LBB143_2823:
	s_mov_b64 s[0:1], 0
.LBB143_2824:
	s_andn2_b64 vcc, exec, s[0:1]
	s_cbranch_vccnz .LBB143_2826
; %bb.2825:
	v_cndmask_b32_e64 v2, 0, 1, s[10:11]
	s_waitcnt vmcnt(0)
	global_store_short v[0:1], v2, off
.LBB143_2826:
	s_mov_b64 s[0:1], 0
.LBB143_2827:
	s_andn2_b64 vcc, exec, s[0:1]
	s_cbranch_vccnz .LBB143_2832
; %bb.2828:
	s_sext_i32_i16 s0, s26
	s_cmp_gt_i32 s0, 0
	s_mov_b64 s[0:1], -1
	s_cbranch_scc0 .LBB143_2830
; %bb.2829:
	v_cndmask_b32_e64 v2, 0, 1, s[10:11]
	s_waitcnt vmcnt(0)
	global_store_byte v[0:1], v2, off
	s_mov_b64 s[0:1], 0
.LBB143_2830:
	s_andn2_b64 vcc, exec, s[0:1]
	s_cbranch_vccnz .LBB143_2832
; %bb.2831:
	v_cndmask_b32_e64 v2, 0, 1, s[10:11]
	s_waitcnt vmcnt(0)
	global_store_byte v[0:1], v2, off
	s_endpgm
.LBB143_2832:
	s_endpgm
.LBB143_2833:
	s_mov_b64 s[22:23], -1
                                        ; implicit-def: $sgpr10_sgpr11
	s_mov_b64 s[20:21], 0
	s_branch .LBB143_2840
.LBB143_2834:
	s_mov_b64 s[22:23], -1
	s_mov_b64 s[20:21], 0
                                        ; implicit-def: $sgpr10_sgpr11
	s_branch .LBB143_2837
.LBB143_2835:
	s_mov_b64 s[20:21], -1
                                        ; implicit-def: $sgpr10_sgpr11
.LBB143_2836:
	s_mov_b64 s[22:23], 0
.LBB143_2837:
	s_and_b64 vcc, exec, s[22:23]
	s_cbranch_vccz .LBB143_2839
; %bb.2838:
	v_cmp_gt_f32_e32 vcc, v1, v3
	s_andn2_b64 s[10:11], s[10:11], exec
	s_and_b64 s[22:23], vcc, exec
	s_or_b64 s[10:11], s[10:11], s[22:23]
.LBB143_2839:
	s_mov_b64 s[22:23], 0
.LBB143_2840:
	s_and_b64 vcc, exec, s[22:23]
	s_cbranch_vccz .LBB143_2922
; %bb.2841:
	s_cmp_lg_u32 s28, 0
	s_mov_b64 s[0:1], -1
	s_cselect_b64 s[20:21], -1, 0
	s_andn2_b64 vcc, exec, s[20:21]
	s_cbranch_vccz .LBB143_2923
.LBB143_2842:
	s_andn2_b64 vcc, exec, s[0:1]
	s_cbranch_vccnz .LBB143_2844
.LBB143_2843:
	v_cmp_ge_f32_e32 vcc, v1, v3
	s_andn2_b64 s[0:1], s[10:11], exec
	s_and_b64 s[10:11], vcc, exec
	s_or_b64 s[10:11], s[0:1], s[10:11]
.LBB143_2844:
	s_load_dword s0, s[2:3], 0x1a4
	v_mov_b32_e32 v1, s9
	v_add_co_u32_e32 v5, vcc, s8, v6
	v_addc_co_u32_e32 v6, vcc, 0, v1, vcc
	s_waitcnt lgkmcnt(0)
	s_and_b32 s26, s0, 0xff
	s_cmp_lt_i32 s26, 11
	s_cbranch_scc1 .LBB143_2924
; %bb.2845:
	s_and_b32 s27, 0xffff, s26
	s_mov_b64 s[22:23], -1
	s_mov_b64 s[2:3], 0
	s_cmp_gt_i32 s27, 25
	s_mov_b64 s[20:21], 0
	s_mov_b64 s[0:1], 0
	s_cbranch_scc0 .LBB143_2878
; %bb.2846:
	s_cmp_gt_i32 s27, 28
	s_cbranch_scc0 .LBB143_2861
; %bb.2847:
	s_cmp_gt_i32 s27, 43
	;; [unrolled: 3-line block ×3, first 2 shown]
	s_cbranch_scc0 .LBB143_2851
; %bb.2849:
	s_mov_b64 s[0:1], -1
	s_mov_b64 s[22:23], 0
	s_cmp_eq_u32 s27, 46
	s_cbranch_scc0 .LBB143_2851
; %bb.2850:
	v_cndmask_b32_e64 v1, 0, 1.0, s[6:7]
	v_bfe_u32 v3, v1, 16, 1
	s_movk_i32 s0, 0x7fff
	v_add3_u32 v1, v1, v3, s0
	v_lshrrev_b32_e32 v1, 16, v1
	global_store_dword v[5:6], v1, off
	s_mov_b64 s[0:1], 0
	s_mov_b64 s[20:21], -1
.LBB143_2851:
	s_and_b64 vcc, exec, s[22:23]
	s_cbranch_vccz .LBB143_2856
; %bb.2852:
	s_cmp_eq_u32 s27, 44
	s_mov_b64 s[0:1], -1
	s_cbranch_scc0 .LBB143_2856
; %bb.2853:
	v_cndmask_b32_e64 v3, 0, 1.0, s[6:7]
	v_lshrrev_b32_e32 v1, 23, v3
	s_movk_i32 s0, 0xff
	v_cmp_ne_u32_e32 vcc, s0, v1
	v_mov_b32_e32 v7, 0xff
	s_and_saveexec_b64 s[20:21], vcc
; %bb.2854:
	s_mov_b32 s0, 0x3fffff
	v_and_b32_e32 v7, 0x400000, v3
	v_and_or_b32 v3, v3, s0, v1
	v_cmp_ne_u32_e32 vcc, 0, v7
	v_cmp_ne_u32_e64 s[0:1], 0, v3
	s_and_b64 s[0:1], vcc, s[0:1]
	v_cndmask_b32_e64 v3, 0, 1, s[0:1]
	v_add_u32_e32 v7, v1, v3
; %bb.2855:
	s_or_b64 exec, exec, s[20:21]
	s_mov_b64 s[0:1], 0
	s_mov_b64 s[20:21], -1
	global_store_byte v[5:6], v7, off
.LBB143_2856:
	s_mov_b64 s[22:23], 0
.LBB143_2857:
	s_and_b64 vcc, exec, s[22:23]
	s_cbranch_vccz .LBB143_2860
; %bb.2858:
	s_cmp_eq_u32 s27, 29
	s_mov_b64 s[0:1], -1
	s_cbranch_scc0 .LBB143_2860
; %bb.2859:
	s_mov_b32 s0, 0
	v_cndmask_b32_e64 v7, 0, 1, s[6:7]
	v_mov_b32_e32 v8, s0
	global_store_dwordx2 v[5:6], v[7:8], off
	s_mov_b64 s[0:1], 0
	s_mov_b64 s[20:21], -1
.LBB143_2860:
	s_mov_b64 s[22:23], 0
.LBB143_2861:
	s_and_b64 vcc, exec, s[22:23]
	s_cbranch_vccz .LBB143_2877
; %bb.2862:
	s_cmp_lt_i32 s27, 27
	s_mov_b64 s[20:21], -1
	s_cbranch_scc1 .LBB143_2868
; %bb.2863:
	s_cmp_gt_i32 s27, 27
	s_cbranch_scc0 .LBB143_2865
; %bb.2864:
	v_cndmask_b32_e64 v1, 0, 1, s[6:7]
	s_mov_b64 s[20:21], 0
	global_store_dword v[5:6], v1, off
.LBB143_2865:
	s_andn2_b64 vcc, exec, s[20:21]
	s_cbranch_vccnz .LBB143_2867
; %bb.2866:
	v_cndmask_b32_e64 v1, 0, 1, s[6:7]
	global_store_short v[5:6], v1, off
.LBB143_2867:
	s_mov_b64 s[20:21], 0
.LBB143_2868:
	s_andn2_b64 vcc, exec, s[20:21]
	s_cbranch_vccnz .LBB143_2876
; %bb.2869:
	v_cndmask_b32_e64 v3, 0, 1.0, s[6:7]
	s_mov_b32 s20, 0x43800000
	v_cmp_gt_u32_e32 vcc, s20, v3
	v_mov_b32_e32 v7, 0x80
	s_and_saveexec_b64 s[20:21], vcc
	s_cbranch_execz .LBB143_2875
; %bb.2870:
	s_mov_b32 s22, 0x3bffffff
	v_cmp_lt_u32_e32 vcc, s22, v3
	s_mov_b64 s[22:23], 0
                                        ; implicit-def: $vgpr1
	s_and_saveexec_b64 s[24:25], vcc
	s_xor_b64 s[24:25], exec, s[24:25]
	s_cbranch_execz .LBB143_3282
; %bb.2871:
	v_bfe_u32 v1, v3, 20, 1
	s_mov_b32 s28, 0x487ffff
	v_add3_u32 v1, v3, v1, s28
	s_mov_b64 s[22:23], exec
	v_lshrrev_b32_e32 v1, 20, v1
                                        ; implicit-def: $vgpr3
	s_andn2_saveexec_b64 s[24:25], s[24:25]
	s_cbranch_execnz .LBB143_3283
.LBB143_2872:
	s_or_b64 exec, exec, s[24:25]
	v_mov_b32_e32 v7, 0
	s_and_saveexec_b64 s[24:25], s[22:23]
.LBB143_2873:
	v_mov_b32_e32 v7, v1
.LBB143_2874:
	s_or_b64 exec, exec, s[24:25]
.LBB143_2875:
	s_or_b64 exec, exec, s[20:21]
	global_store_byte v[5:6], v7, off
.LBB143_2876:
	s_mov_b64 s[20:21], -1
.LBB143_2877:
	s_mov_b64 s[22:23], 0
.LBB143_2878:
	s_and_b64 vcc, exec, s[22:23]
	s_cbranch_vccz .LBB143_2918
; %bb.2879:
	s_cmp_gt_i32 s27, 22
	s_mov_b64 s[2:3], -1
	s_cbranch_scc0 .LBB143_2911
; %bb.2880:
	s_cmp_lt_i32 s27, 24
	s_cbranch_scc1 .LBB143_2900
; %bb.2881:
	s_cmp_gt_i32 s27, 24
	s_cbranch_scc0 .LBB143_2889
; %bb.2882:
	v_cndmask_b32_e64 v3, 0, 1.0, s[6:7]
	s_mov_b32 s2, 0x47800000
	v_cmp_gt_u32_e32 vcc, s2, v3
	v_mov_b32_e32 v7, 0x80
	s_and_saveexec_b64 s[2:3], vcc
	s_cbranch_execz .LBB143_2888
; %bb.2883:
	s_mov_b32 s20, 0x37ffffff
	v_cmp_lt_u32_e32 vcc, s20, v3
	s_mov_b64 s[20:21], 0
                                        ; implicit-def: $vgpr1
	s_and_saveexec_b64 s[22:23], vcc
	s_xor_b64 s[22:23], exec, s[22:23]
	s_cbranch_execz .LBB143_3285
; %bb.2884:
	v_bfe_u32 v1, v3, 21, 1
	s_mov_b32 s24, 0x88fffff
	v_add3_u32 v1, v3, v1, s24
	s_mov_b64 s[20:21], exec
	v_lshrrev_b32_e32 v1, 21, v1
                                        ; implicit-def: $vgpr3
	s_andn2_saveexec_b64 s[22:23], s[22:23]
	s_cbranch_execnz .LBB143_3286
.LBB143_2885:
	s_or_b64 exec, exec, s[22:23]
	v_mov_b32_e32 v7, 0
	s_and_saveexec_b64 s[22:23], s[20:21]
.LBB143_2886:
	v_mov_b32_e32 v7, v1
.LBB143_2887:
	s_or_b64 exec, exec, s[22:23]
.LBB143_2888:
	s_or_b64 exec, exec, s[2:3]
	s_mov_b64 s[2:3], 0
	global_store_byte v[5:6], v7, off
.LBB143_2889:
	s_and_b64 vcc, exec, s[2:3]
	s_cbranch_vccz .LBB143_2899
; %bb.2890:
	v_cndmask_b32_e64 v1, 0, 1.0, s[6:7]
	s_mov_b32 s2, 0x43f00000
	v_cmp_gt_u32_e32 vcc, s2, v1
                                        ; implicit-def: $vgpr3
	s_and_saveexec_b64 s[2:3], vcc
	s_xor_b64 s[2:3], exec, s[2:3]
	s_cbranch_execz .LBB143_2896
; %bb.2891:
	s_mov_b32 s20, 0x3c7fffff
	v_cmp_lt_u32_e32 vcc, s20, v1
                                        ; implicit-def: $vgpr3
	s_and_saveexec_b64 s[20:21], vcc
	s_xor_b64 s[20:21], exec, s[20:21]
; %bb.2892:
	v_bfe_u32 v3, v1, 20, 1
	s_mov_b32 s22, 0x407ffff
	v_add3_u32 v1, v1, v3, s22
	v_lshrrev_b32_e32 v3, 20, v1
	v_and_b32_e32 v1, 0xff00000, v1
	s_mov_b32 s22, 0x7f00000
	v_mov_b32_e32 v7, 0x7e
	v_cmp_ne_u32_e32 vcc, s22, v1
	v_cndmask_b32_e32 v3, v7, v3, vcc
                                        ; implicit-def: $vgpr1
; %bb.2893:
	s_andn2_saveexec_b64 s[20:21], s[20:21]
; %bb.2894:
	v_add_f32_e32 v3, 0x46800000, v1
; %bb.2895:
	s_or_b64 exec, exec, s[20:21]
                                        ; implicit-def: $vgpr1
.LBB143_2896:
	s_andn2_saveexec_b64 s[2:3], s[2:3]
; %bb.2897:
	s_mov_b32 s20, 0x7f800000
	v_mov_b32_e32 v3, 0x7e
	v_mov_b32_e32 v7, 0x7f
	v_cmp_lt_u32_e32 vcc, s20, v1
	v_cndmask_b32_e32 v3, v3, v7, vcc
; %bb.2898:
	s_or_b64 exec, exec, s[2:3]
	global_store_byte v[5:6], v3, off
.LBB143_2899:
	s_mov_b64 s[2:3], 0
.LBB143_2900:
	s_andn2_b64 vcc, exec, s[2:3]
	s_cbranch_vccnz .LBB143_2910
; %bb.2901:
	v_cndmask_b32_e64 v1, 0, 1.0, s[6:7]
	s_mov_b32 s2, 0x47800000
	v_cmp_gt_u32_e32 vcc, s2, v1
                                        ; implicit-def: $vgpr3
	s_and_saveexec_b64 s[2:3], vcc
	s_xor_b64 s[2:3], exec, s[2:3]
	s_cbranch_execz .LBB143_2907
; %bb.2902:
	s_mov_b32 s20, 0x387fffff
	v_cmp_lt_u32_e32 vcc, s20, v1
                                        ; implicit-def: $vgpr3
	s_and_saveexec_b64 s[20:21], vcc
	s_xor_b64 s[20:21], exec, s[20:21]
; %bb.2903:
	v_bfe_u32 v3, v1, 21, 1
	s_mov_b32 s22, 0x80fffff
	v_add3_u32 v1, v1, v3, s22
	v_lshrrev_b32_e32 v3, 21, v1
                                        ; implicit-def: $vgpr1
; %bb.2904:
	s_andn2_saveexec_b64 s[20:21], s[20:21]
; %bb.2905:
	v_add_f32_e32 v3, 0x43000000, v1
; %bb.2906:
	s_or_b64 exec, exec, s[20:21]
                                        ; implicit-def: $vgpr1
.LBB143_2907:
	s_andn2_saveexec_b64 s[2:3], s[2:3]
; %bb.2908:
	s_mov_b32 s20, 0x7f800000
	v_mov_b32_e32 v3, 0x7c
	v_mov_b32_e32 v7, 0x7f
	v_cmp_lt_u32_e32 vcc, s20, v1
	v_cndmask_b32_e32 v3, v3, v7, vcc
; %bb.2909:
	s_or_b64 exec, exec, s[2:3]
	global_store_byte v[5:6], v3, off
.LBB143_2910:
	s_mov_b64 s[2:3], 0
	s_mov_b64 s[20:21], -1
.LBB143_2911:
	s_andn2_b64 vcc, exec, s[2:3]
	s_mov_b64 s[2:3], 0
	s_cbranch_vccnz .LBB143_2918
; %bb.2912:
	s_cmp_gt_i32 s27, 14
	s_mov_b64 s[22:23], -1
	s_cbranch_scc0 .LBB143_2916
; %bb.2913:
	s_cmp_eq_u32 s27, 15
	s_mov_b64 s[0:1], -1
	s_cbranch_scc0 .LBB143_2915
; %bb.2914:
	v_cndmask_b32_e64 v1, 0, 1.0, s[6:7]
	v_bfe_u32 v3, v1, 16, 1
	s_movk_i32 s0, 0x7fff
	v_add3_u32 v1, v1, v3, s0
	global_store_short_d16_hi v[5:6], v1, off
	s_mov_b64 s[0:1], 0
	s_mov_b64 s[20:21], -1
.LBB143_2915:
	s_mov_b64 s[22:23], 0
.LBB143_2916:
	s_and_b64 vcc, exec, s[22:23]
	s_cbranch_vccz .LBB143_2918
; %bb.2917:
	s_cmp_lg_u32 s27, 11
	s_mov_b64 s[2:3], -1
	s_cselect_b64 s[0:1], -1, 0
.LBB143_2918:
	s_and_b64 vcc, exec, s[0:1]
	s_cbranch_vccnz .LBB143_3284
; %bb.2919:
	s_andn2_b64 vcc, exec, s[2:3]
	s_cbranch_vccnz .LBB143_2921
.LBB143_2920:
	v_cndmask_b32_e64 v1, 0, 1, s[6:7]
	s_mov_b64 s[20:21], -1
	global_store_byte v[5:6], v1, off
.LBB143_2921:
	s_mov_b64 s[0:1], 0
	s_branch .LBB143_2925
.LBB143_2922:
	s_andn2_b64 vcc, exec, s[20:21]
	s_cbranch_vccnz .LBB143_2842
.LBB143_2923:
	v_cmp_lt_f32_e32 vcc, v1, v3
	s_andn2_b64 s[10:11], s[10:11], exec
	s_and_b64 s[20:21], vcc, exec
	s_or_b64 s[10:11], s[10:11], s[20:21]
	s_cbranch_execz .LBB143_2843
	s_branch .LBB143_2844
.LBB143_2924:
	s_mov_b64 s[0:1], -1
	s_mov_b64 s[20:21], 0
.LBB143_2925:
	s_and_b64 vcc, exec, s[0:1]
	s_cbranch_vccz .LBB143_2964
; %bb.2926:
	s_and_b32 s2, 0xffff, s26
	s_cmp_lt_i32 s2, 5
	s_mov_b64 s[0:1], -1
	s_cbranch_scc1 .LBB143_2947
; %bb.2927:
	s_cmp_lt_i32 s2, 8
	s_cbranch_scc1 .LBB143_2937
; %bb.2928:
	s_cmp_lt_i32 s2, 9
	s_cbranch_scc1 .LBB143_2934
; %bb.2929:
	s_cmp_gt_i32 s2, 9
	s_cbranch_scc0 .LBB143_2931
; %bb.2930:
	v_cndmask_b32_e64 v1, 0, 1, s[6:7]
	v_cvt_f64_u32_e32 v[7:8], v1
	v_mov_b32_e32 v9, 0
	v_mov_b32_e32 v10, v9
	s_mov_b64 s[0:1], 0
	global_store_dwordx4 v[5:6], v[7:10], off
.LBB143_2931:
	s_andn2_b64 vcc, exec, s[0:1]
	s_cbranch_vccnz .LBB143_2933
; %bb.2932:
	v_cndmask_b32_e64 v7, 0, 1.0, s[6:7]
	v_mov_b32_e32 v8, 0
	global_store_dwordx2 v[5:6], v[7:8], off
.LBB143_2933:
	s_mov_b64 s[0:1], 0
.LBB143_2934:
	s_andn2_b64 vcc, exec, s[0:1]
	s_cbranch_vccnz .LBB143_2936
; %bb.2935:
	v_cndmask_b32_e64 v1, 0, 1.0, s[6:7]
	v_cvt_f16_f32_e32 v1, v1
	global_store_dword v[5:6], v1, off
.LBB143_2936:
	s_mov_b64 s[0:1], 0
.LBB143_2937:
	s_andn2_b64 vcc, exec, s[0:1]
	s_cbranch_vccnz .LBB143_2946
; %bb.2938:
	s_cmp_lt_i32 s2, 6
	s_mov_b64 s[0:1], -1
	s_cbranch_scc1 .LBB143_2944
; %bb.2939:
	s_cmp_gt_i32 s2, 6
	s_cbranch_scc0 .LBB143_2941
; %bb.2940:
	v_cndmask_b32_e64 v1, 0, 1, s[6:7]
	v_cvt_f64_u32_e32 v[7:8], v1
	s_mov_b64 s[0:1], 0
	global_store_dwordx2 v[5:6], v[7:8], off
.LBB143_2941:
	s_andn2_b64 vcc, exec, s[0:1]
	s_cbranch_vccnz .LBB143_2943
; %bb.2942:
	v_cndmask_b32_e64 v1, 0, 1.0, s[6:7]
	global_store_dword v[5:6], v1, off
.LBB143_2943:
	s_mov_b64 s[0:1], 0
.LBB143_2944:
	s_andn2_b64 vcc, exec, s[0:1]
	s_cbranch_vccnz .LBB143_2946
; %bb.2945:
	v_cndmask_b32_e64 v1, 0, 1.0, s[6:7]
	v_cvt_f16_f32_e32 v1, v1
	global_store_short v[5:6], v1, off
.LBB143_2946:
	s_mov_b64 s[0:1], 0
.LBB143_2947:
	s_andn2_b64 vcc, exec, s[0:1]
	s_cbranch_vccnz .LBB143_2963
; %bb.2948:
	s_cmp_lt_i32 s2, 2
	s_mov_b64 s[0:1], -1
	s_cbranch_scc1 .LBB143_2958
; %bb.2949:
	s_cmp_lt_i32 s2, 3
	s_cbranch_scc1 .LBB143_2955
; %bb.2950:
	s_cmp_gt_i32 s2, 3
	s_cbranch_scc0 .LBB143_2952
; %bb.2951:
	s_mov_b32 s0, 0
	v_cndmask_b32_e64 v7, 0, 1, s[6:7]
	v_mov_b32_e32 v8, s0
	global_store_dwordx2 v[5:6], v[7:8], off
	s_mov_b64 s[0:1], 0
.LBB143_2952:
	s_andn2_b64 vcc, exec, s[0:1]
	s_cbranch_vccnz .LBB143_2954
; %bb.2953:
	v_cndmask_b32_e64 v1, 0, 1, s[6:7]
	global_store_dword v[5:6], v1, off
.LBB143_2954:
	s_mov_b64 s[0:1], 0
.LBB143_2955:
	s_andn2_b64 vcc, exec, s[0:1]
	s_cbranch_vccnz .LBB143_2957
; %bb.2956:
	v_cndmask_b32_e64 v1, 0, 1, s[6:7]
	global_store_short v[5:6], v1, off
.LBB143_2957:
	s_mov_b64 s[0:1], 0
.LBB143_2958:
	s_andn2_b64 vcc, exec, s[0:1]
	s_cbranch_vccnz .LBB143_2963
; %bb.2959:
	s_mov_b64 s[0:1], -1
	s_cmp_gt_i32 s2, 0
	v_cndmask_b32_e64 v1, 0, 1, s[6:7]
	s_cbranch_scc0 .LBB143_2961
; %bb.2960:
	global_store_byte v[5:6], v1, off
	s_mov_b64 s[0:1], 0
.LBB143_2961:
	s_andn2_b64 vcc, exec, s[0:1]
	s_cbranch_vccnz .LBB143_2963
; %bb.2962:
	global_store_byte v[5:6], v1, off
.LBB143_2963:
	s_mov_b64 s[20:21], -1
.LBB143_2964:
	s_andn2_b64 vcc, exec, s[20:21]
	s_cbranch_vccnz .LBB143_3279
; %bb.2965:
	v_mov_b32_e32 v1, s9
	s_and_b32 s24, 0xffff, s26
	v_add_co_u32_e32 v3, vcc, s8, v4
	s_cmp_lt_i32 s24, 11
	v_addc_co_u32_e32 v4, vcc, 0, v1, vcc
	s_cbranch_scc1 .LBB143_3043
; %bb.2966:
	s_mov_b64 s[20:21], -1
	s_mov_b64 s[2:3], 0
	s_cmp_gt_i32 s24, 25
	s_mov_b64 s[6:7], 0
	s_mov_b64 s[0:1], 0
	s_cbranch_scc0 .LBB143_2999
; %bb.2967:
	s_cmp_gt_i32 s24, 28
	s_cbranch_scc0 .LBB143_2982
; %bb.2968:
	s_cmp_gt_i32 s24, 43
	;; [unrolled: 3-line block ×3, first 2 shown]
	s_cbranch_scc0 .LBB143_2972
; %bb.2970:
	s_mov_b64 s[0:1], -1
	s_mov_b64 s[20:21], 0
	s_cmp_eq_u32 s24, 46
	s_cbranch_scc0 .LBB143_2972
; %bb.2971:
	v_cndmask_b32_e64 v1, 0, 1.0, s[16:17]
	v_bfe_u32 v5, v1, 16, 1
	s_movk_i32 s0, 0x7fff
	v_add3_u32 v1, v1, v5, s0
	v_lshrrev_b32_e32 v1, 16, v1
	global_store_dword v[3:4], v1, off
	s_mov_b64 s[0:1], 0
	s_mov_b64 s[6:7], -1
.LBB143_2972:
	s_and_b64 vcc, exec, s[20:21]
	s_cbranch_vccz .LBB143_2977
; %bb.2973:
	s_cmp_eq_u32 s24, 44
	s_mov_b64 s[0:1], -1
	s_cbranch_scc0 .LBB143_2977
; %bb.2974:
	v_cndmask_b32_e64 v5, 0, 1.0, s[16:17]
	v_lshrrev_b32_e32 v1, 23, v5
	s_movk_i32 s0, 0xff
	v_cmp_ne_u32_e32 vcc, s0, v1
	v_mov_b32_e32 v6, 0xff
	s_and_saveexec_b64 s[6:7], vcc
; %bb.2975:
	s_mov_b32 s0, 0x3fffff
	v_and_b32_e32 v6, 0x400000, v5
	v_and_or_b32 v5, v5, s0, v1
	v_cmp_ne_u32_e32 vcc, 0, v6
	v_cmp_ne_u32_e64 s[0:1], 0, v5
	s_and_b64 s[0:1], vcc, s[0:1]
	v_cndmask_b32_e64 v5, 0, 1, s[0:1]
	v_add_u32_e32 v6, v1, v5
; %bb.2976:
	s_or_b64 exec, exec, s[6:7]
	s_mov_b64 s[0:1], 0
	s_mov_b64 s[6:7], -1
	global_store_byte v[3:4], v6, off
.LBB143_2977:
	s_mov_b64 s[20:21], 0
.LBB143_2978:
	s_and_b64 vcc, exec, s[20:21]
	s_cbranch_vccz .LBB143_2981
; %bb.2979:
	s_cmp_eq_u32 s24, 29
	s_mov_b64 s[0:1], -1
	s_cbranch_scc0 .LBB143_2981
; %bb.2980:
	s_mov_b32 s0, 0
	v_cndmask_b32_e64 v5, 0, 1, s[16:17]
	v_mov_b32_e32 v6, s0
	global_store_dwordx2 v[3:4], v[5:6], off
	s_mov_b64 s[0:1], 0
	s_mov_b64 s[6:7], -1
.LBB143_2981:
	s_mov_b64 s[20:21], 0
.LBB143_2982:
	s_and_b64 vcc, exec, s[20:21]
	s_cbranch_vccz .LBB143_2998
; %bb.2983:
	s_cmp_lt_i32 s24, 27
	s_mov_b64 s[6:7], -1
	s_cbranch_scc1 .LBB143_2989
; %bb.2984:
	s_cmp_gt_i32 s24, 27
	s_cbranch_scc0 .LBB143_2986
; %bb.2985:
	v_cndmask_b32_e64 v1, 0, 1, s[16:17]
	s_mov_b64 s[6:7], 0
	global_store_dword v[3:4], v1, off
.LBB143_2986:
	s_andn2_b64 vcc, exec, s[6:7]
	s_cbranch_vccnz .LBB143_2988
; %bb.2987:
	v_cndmask_b32_e64 v1, 0, 1, s[16:17]
	global_store_short v[3:4], v1, off
.LBB143_2988:
	s_mov_b64 s[6:7], 0
.LBB143_2989:
	s_andn2_b64 vcc, exec, s[6:7]
	s_cbranch_vccnz .LBB143_2997
; %bb.2990:
	v_cndmask_b32_e64 v5, 0, 1.0, s[16:17]
	s_mov_b32 s6, 0x43800000
	v_cmp_gt_u32_e32 vcc, s6, v5
	v_mov_b32_e32 v6, 0x80
	s_and_saveexec_b64 s[6:7], vcc
	s_cbranch_execz .LBB143_2996
; %bb.2991:
	s_mov_b32 s20, 0x3bffffff
	v_cmp_lt_u32_e32 vcc, s20, v5
	s_mov_b64 s[20:21], 0
                                        ; implicit-def: $vgpr1
	s_and_saveexec_b64 s[22:23], vcc
	s_xor_b64 s[22:23], exec, s[22:23]
	s_cbranch_execz .LBB143_3287
; %bb.2992:
	v_bfe_u32 v1, v5, 20, 1
	s_mov_b32 s25, 0x487ffff
	v_add3_u32 v1, v5, v1, s25
	s_mov_b64 s[20:21], exec
	v_lshrrev_b32_e32 v1, 20, v1
                                        ; implicit-def: $vgpr5
	s_andn2_saveexec_b64 s[22:23], s[22:23]
	s_cbranch_execnz .LBB143_3288
.LBB143_2993:
	s_or_b64 exec, exec, s[22:23]
	v_mov_b32_e32 v6, 0
	s_and_saveexec_b64 s[22:23], s[20:21]
.LBB143_2994:
	v_mov_b32_e32 v6, v1
.LBB143_2995:
	s_or_b64 exec, exec, s[22:23]
.LBB143_2996:
	s_or_b64 exec, exec, s[6:7]
	global_store_byte v[3:4], v6, off
.LBB143_2997:
	s_mov_b64 s[6:7], -1
.LBB143_2998:
	s_mov_b64 s[20:21], 0
.LBB143_2999:
	s_and_b64 vcc, exec, s[20:21]
	s_cbranch_vccz .LBB143_3039
; %bb.3000:
	s_cmp_gt_i32 s24, 22
	s_mov_b64 s[2:3], -1
	s_cbranch_scc0 .LBB143_3032
; %bb.3001:
	s_cmp_lt_i32 s24, 24
	s_cbranch_scc1 .LBB143_3021
; %bb.3002:
	s_cmp_gt_i32 s24, 24
	s_cbranch_scc0 .LBB143_3010
; %bb.3003:
	v_cndmask_b32_e64 v5, 0, 1.0, s[16:17]
	s_mov_b32 s2, 0x47800000
	v_cmp_gt_u32_e32 vcc, s2, v5
	v_mov_b32_e32 v6, 0x80
	s_and_saveexec_b64 s[2:3], vcc
	s_cbranch_execz .LBB143_3009
; %bb.3004:
	s_mov_b32 s6, 0x37ffffff
	v_cmp_lt_u32_e32 vcc, s6, v5
	s_mov_b64 s[6:7], 0
                                        ; implicit-def: $vgpr1
	s_and_saveexec_b64 s[20:21], vcc
	s_xor_b64 s[20:21], exec, s[20:21]
	s_cbranch_execz .LBB143_3290
; %bb.3005:
	v_bfe_u32 v1, v5, 21, 1
	s_mov_b32 s22, 0x88fffff
	v_add3_u32 v1, v5, v1, s22
	s_mov_b64 s[6:7], exec
	v_lshrrev_b32_e32 v1, 21, v1
                                        ; implicit-def: $vgpr5
	s_andn2_saveexec_b64 s[20:21], s[20:21]
	s_cbranch_execnz .LBB143_3291
.LBB143_3006:
	s_or_b64 exec, exec, s[20:21]
	v_mov_b32_e32 v6, 0
	s_and_saveexec_b64 s[20:21], s[6:7]
.LBB143_3007:
	v_mov_b32_e32 v6, v1
.LBB143_3008:
	s_or_b64 exec, exec, s[20:21]
.LBB143_3009:
	s_or_b64 exec, exec, s[2:3]
	s_mov_b64 s[2:3], 0
	global_store_byte v[3:4], v6, off
.LBB143_3010:
	s_and_b64 vcc, exec, s[2:3]
	s_cbranch_vccz .LBB143_3020
; %bb.3011:
	v_cndmask_b32_e64 v1, 0, 1.0, s[16:17]
	s_mov_b32 s2, 0x43f00000
	v_cmp_gt_u32_e32 vcc, s2, v1
                                        ; implicit-def: $vgpr5
	s_and_saveexec_b64 s[2:3], vcc
	s_xor_b64 s[2:3], exec, s[2:3]
	s_cbranch_execz .LBB143_3017
; %bb.3012:
	s_mov_b32 s6, 0x3c7fffff
	v_cmp_lt_u32_e32 vcc, s6, v1
                                        ; implicit-def: $vgpr5
	s_and_saveexec_b64 s[6:7], vcc
	s_xor_b64 s[6:7], exec, s[6:7]
; %bb.3013:
	v_bfe_u32 v5, v1, 20, 1
	s_mov_b32 s20, 0x407ffff
	v_add3_u32 v1, v1, v5, s20
	v_lshrrev_b32_e32 v5, 20, v1
	v_and_b32_e32 v1, 0xff00000, v1
	s_mov_b32 s20, 0x7f00000
	v_mov_b32_e32 v6, 0x7e
	v_cmp_ne_u32_e32 vcc, s20, v1
	v_cndmask_b32_e32 v5, v6, v5, vcc
                                        ; implicit-def: $vgpr1
; %bb.3014:
	s_andn2_saveexec_b64 s[6:7], s[6:7]
; %bb.3015:
	v_add_f32_e32 v5, 0x46800000, v1
; %bb.3016:
	s_or_b64 exec, exec, s[6:7]
                                        ; implicit-def: $vgpr1
.LBB143_3017:
	s_andn2_saveexec_b64 s[2:3], s[2:3]
; %bb.3018:
	s_mov_b32 s6, 0x7f800000
	v_mov_b32_e32 v5, 0x7e
	v_mov_b32_e32 v6, 0x7f
	v_cmp_lt_u32_e32 vcc, s6, v1
	v_cndmask_b32_e32 v5, v5, v6, vcc
; %bb.3019:
	s_or_b64 exec, exec, s[2:3]
	global_store_byte v[3:4], v5, off
.LBB143_3020:
	s_mov_b64 s[2:3], 0
.LBB143_3021:
	s_andn2_b64 vcc, exec, s[2:3]
	s_cbranch_vccnz .LBB143_3031
; %bb.3022:
	v_cndmask_b32_e64 v1, 0, 1.0, s[16:17]
	s_mov_b32 s2, 0x47800000
	v_cmp_gt_u32_e32 vcc, s2, v1
                                        ; implicit-def: $vgpr5
	s_and_saveexec_b64 s[2:3], vcc
	s_xor_b64 s[2:3], exec, s[2:3]
	s_cbranch_execz .LBB143_3028
; %bb.3023:
	s_mov_b32 s6, 0x387fffff
	v_cmp_lt_u32_e32 vcc, s6, v1
                                        ; implicit-def: $vgpr5
	s_and_saveexec_b64 s[6:7], vcc
	s_xor_b64 s[6:7], exec, s[6:7]
; %bb.3024:
	v_bfe_u32 v5, v1, 21, 1
	s_mov_b32 s20, 0x80fffff
	v_add3_u32 v1, v1, v5, s20
	v_lshrrev_b32_e32 v5, 21, v1
                                        ; implicit-def: $vgpr1
; %bb.3025:
	s_andn2_saveexec_b64 s[6:7], s[6:7]
; %bb.3026:
	v_add_f32_e32 v5, 0x43000000, v1
; %bb.3027:
	s_or_b64 exec, exec, s[6:7]
                                        ; implicit-def: $vgpr1
.LBB143_3028:
	s_andn2_saveexec_b64 s[2:3], s[2:3]
; %bb.3029:
	s_mov_b32 s6, 0x7f800000
	v_mov_b32_e32 v5, 0x7c
	v_mov_b32_e32 v6, 0x7f
	v_cmp_lt_u32_e32 vcc, s6, v1
	v_cndmask_b32_e32 v5, v5, v6, vcc
; %bb.3030:
	s_or_b64 exec, exec, s[2:3]
	global_store_byte v[3:4], v5, off
.LBB143_3031:
	s_mov_b64 s[2:3], 0
	s_mov_b64 s[6:7], -1
.LBB143_3032:
	s_andn2_b64 vcc, exec, s[2:3]
	s_mov_b64 s[2:3], 0
	s_cbranch_vccnz .LBB143_3039
; %bb.3033:
	s_cmp_gt_i32 s24, 14
	s_mov_b64 s[20:21], -1
	s_cbranch_scc0 .LBB143_3037
; %bb.3034:
	s_cmp_eq_u32 s24, 15
	s_mov_b64 s[0:1], -1
	s_cbranch_scc0 .LBB143_3036
; %bb.3035:
	v_cndmask_b32_e64 v1, 0, 1.0, s[16:17]
	v_bfe_u32 v5, v1, 16, 1
	s_movk_i32 s0, 0x7fff
	v_add3_u32 v1, v1, v5, s0
	global_store_short_d16_hi v[3:4], v1, off
	s_mov_b64 s[0:1], 0
	s_mov_b64 s[6:7], -1
.LBB143_3036:
	s_mov_b64 s[20:21], 0
.LBB143_3037:
	s_and_b64 vcc, exec, s[20:21]
	s_cbranch_vccz .LBB143_3039
; %bb.3038:
	s_cmp_lg_u32 s24, 11
	s_mov_b64 s[2:3], -1
	s_cselect_b64 s[0:1], -1, 0
.LBB143_3039:
	s_and_b64 vcc, exec, s[0:1]
	s_cbranch_vccnz .LBB143_3289
; %bb.3040:
	s_andn2_b64 vcc, exec, s[2:3]
	s_cbranch_vccnz .LBB143_3042
.LBB143_3041:
	v_cndmask_b32_e64 v1, 0, 1, s[16:17]
	s_mov_b64 s[6:7], -1
	global_store_byte v[3:4], v1, off
.LBB143_3042:
	s_mov_b64 s[0:1], 0
	s_branch .LBB143_3044
.LBB143_3043:
	s_mov_b64 s[0:1], -1
	s_mov_b64 s[6:7], 0
.LBB143_3044:
	s_and_b64 vcc, exec, s[0:1]
	s_cbranch_vccz .LBB143_3083
; %bb.3045:
	s_cmp_lt_i32 s24, 5
	s_mov_b64 s[0:1], -1
	s_cbranch_scc1 .LBB143_3066
; %bb.3046:
	s_cmp_lt_i32 s24, 8
	s_cbranch_scc1 .LBB143_3056
; %bb.3047:
	s_cmp_lt_i32 s24, 9
	s_cbranch_scc1 .LBB143_3053
; %bb.3048:
	s_cmp_gt_i32 s24, 9
	s_cbranch_scc0 .LBB143_3050
; %bb.3049:
	v_cndmask_b32_e64 v1, 0, 1, s[16:17]
	v_cvt_f64_u32_e32 v[5:6], v1
	v_mov_b32_e32 v7, 0
	v_mov_b32_e32 v8, v7
	s_mov_b64 s[0:1], 0
	global_store_dwordx4 v[3:4], v[5:8], off
.LBB143_3050:
	s_andn2_b64 vcc, exec, s[0:1]
	s_cbranch_vccnz .LBB143_3052
; %bb.3051:
	v_cndmask_b32_e64 v5, 0, 1.0, s[16:17]
	v_mov_b32_e32 v6, 0
	global_store_dwordx2 v[3:4], v[5:6], off
.LBB143_3052:
	s_mov_b64 s[0:1], 0
.LBB143_3053:
	s_andn2_b64 vcc, exec, s[0:1]
	s_cbranch_vccnz .LBB143_3055
; %bb.3054:
	v_cndmask_b32_e64 v1, 0, 1.0, s[16:17]
	v_cvt_f16_f32_e32 v1, v1
	global_store_dword v[3:4], v1, off
.LBB143_3055:
	s_mov_b64 s[0:1], 0
.LBB143_3056:
	s_andn2_b64 vcc, exec, s[0:1]
	s_cbranch_vccnz .LBB143_3065
; %bb.3057:
	s_cmp_lt_i32 s24, 6
	s_mov_b64 s[0:1], -1
	s_cbranch_scc1 .LBB143_3063
; %bb.3058:
	s_cmp_gt_i32 s24, 6
	s_cbranch_scc0 .LBB143_3060
; %bb.3059:
	v_cndmask_b32_e64 v1, 0, 1, s[16:17]
	v_cvt_f64_u32_e32 v[5:6], v1
	s_mov_b64 s[0:1], 0
	global_store_dwordx2 v[3:4], v[5:6], off
.LBB143_3060:
	s_andn2_b64 vcc, exec, s[0:1]
	s_cbranch_vccnz .LBB143_3062
; %bb.3061:
	v_cndmask_b32_e64 v1, 0, 1.0, s[16:17]
	global_store_dword v[3:4], v1, off
.LBB143_3062:
	s_mov_b64 s[0:1], 0
.LBB143_3063:
	s_andn2_b64 vcc, exec, s[0:1]
	s_cbranch_vccnz .LBB143_3065
; %bb.3064:
	v_cndmask_b32_e64 v1, 0, 1.0, s[16:17]
	v_cvt_f16_f32_e32 v1, v1
	global_store_short v[3:4], v1, off
.LBB143_3065:
	s_mov_b64 s[0:1], 0
.LBB143_3066:
	s_andn2_b64 vcc, exec, s[0:1]
	s_cbranch_vccnz .LBB143_3082
; %bb.3067:
	s_cmp_lt_i32 s24, 2
	s_mov_b64 s[0:1], -1
	s_cbranch_scc1 .LBB143_3077
; %bb.3068:
	s_cmp_lt_i32 s24, 3
	s_cbranch_scc1 .LBB143_3074
; %bb.3069:
	s_cmp_gt_i32 s24, 3
	s_cbranch_scc0 .LBB143_3071
; %bb.3070:
	s_mov_b32 s0, 0
	v_cndmask_b32_e64 v5, 0, 1, s[16:17]
	v_mov_b32_e32 v6, s0
	global_store_dwordx2 v[3:4], v[5:6], off
	s_mov_b64 s[0:1], 0
.LBB143_3071:
	s_andn2_b64 vcc, exec, s[0:1]
	s_cbranch_vccnz .LBB143_3073
; %bb.3072:
	v_cndmask_b32_e64 v1, 0, 1, s[16:17]
	global_store_dword v[3:4], v1, off
.LBB143_3073:
	s_mov_b64 s[0:1], 0
.LBB143_3074:
	s_andn2_b64 vcc, exec, s[0:1]
	s_cbranch_vccnz .LBB143_3076
; %bb.3075:
	v_cndmask_b32_e64 v1, 0, 1, s[16:17]
	global_store_short v[3:4], v1, off
.LBB143_3076:
	s_mov_b64 s[0:1], 0
.LBB143_3077:
	s_andn2_b64 vcc, exec, s[0:1]
	s_cbranch_vccnz .LBB143_3082
; %bb.3078:
	s_mov_b64 s[0:1], -1
	s_cmp_gt_i32 s24, 0
	v_cndmask_b32_e64 v1, 0, 1, s[16:17]
	s_cbranch_scc0 .LBB143_3080
; %bb.3079:
	global_store_byte v[3:4], v1, off
	s_mov_b64 s[0:1], 0
.LBB143_3080:
	s_andn2_b64 vcc, exec, s[0:1]
	s_cbranch_vccnz .LBB143_3082
; %bb.3081:
	global_store_byte v[3:4], v1, off
.LBB143_3082:
	s_mov_b64 s[6:7], -1
.LBB143_3083:
	s_andn2_b64 vcc, exec, s[6:7]
	s_cbranch_vccnz .LBB143_3279
; %bb.3084:
	v_mov_b32_e32 v3, s9
	v_add_co_u32_e32 v1, vcc, s8, v2
	s_cmp_lt_i32 s24, 11
	v_addc_co_u32_e32 v2, vcc, 0, v3, vcc
	s_cbranch_scc1 .LBB143_3162
; %bb.3085:
	s_mov_b64 s[16:17], -1
	s_mov_b64 s[2:3], 0
	s_cmp_gt_i32 s24, 25
	s_mov_b64 s[6:7], 0
	s_mov_b64 s[0:1], 0
	s_cbranch_scc0 .LBB143_3118
; %bb.3086:
	s_cmp_gt_i32 s24, 28
	s_cbranch_scc0 .LBB143_3101
; %bb.3087:
	s_cmp_gt_i32 s24, 43
	;; [unrolled: 3-line block ×3, first 2 shown]
	s_cbranch_scc0 .LBB143_3091
; %bb.3089:
	s_mov_b64 s[0:1], -1
	s_mov_b64 s[16:17], 0
	s_cmp_eq_u32 s24, 46
	s_cbranch_scc0 .LBB143_3091
; %bb.3090:
	v_cndmask_b32_e64 v3, 0, 1.0, s[18:19]
	v_bfe_u32 v4, v3, 16, 1
	s_movk_i32 s0, 0x7fff
	v_add3_u32 v3, v3, v4, s0
	v_lshrrev_b32_e32 v3, 16, v3
	global_store_dword v[1:2], v3, off
	s_mov_b64 s[0:1], 0
	s_mov_b64 s[6:7], -1
.LBB143_3091:
	s_and_b64 vcc, exec, s[16:17]
	s_cbranch_vccz .LBB143_3096
; %bb.3092:
	s_cmp_eq_u32 s24, 44
	s_mov_b64 s[0:1], -1
	s_cbranch_scc0 .LBB143_3096
; %bb.3093:
	v_cndmask_b32_e64 v4, 0, 1.0, s[18:19]
	v_lshrrev_b32_e32 v3, 23, v4
	s_movk_i32 s0, 0xff
	v_cmp_ne_u32_e32 vcc, s0, v3
	v_mov_b32_e32 v5, 0xff
	s_and_saveexec_b64 s[6:7], vcc
; %bb.3094:
	s_mov_b32 s0, 0x3fffff
	v_and_b32_e32 v5, 0x400000, v4
	v_and_or_b32 v4, v4, s0, v3
	v_cmp_ne_u32_e32 vcc, 0, v5
	v_cmp_ne_u32_e64 s[0:1], 0, v4
	s_and_b64 s[0:1], vcc, s[0:1]
	v_cndmask_b32_e64 v4, 0, 1, s[0:1]
	v_add_u32_e32 v5, v3, v4
; %bb.3095:
	s_or_b64 exec, exec, s[6:7]
	s_mov_b64 s[0:1], 0
	s_mov_b64 s[6:7], -1
	global_store_byte v[1:2], v5, off
.LBB143_3096:
	s_mov_b64 s[16:17], 0
.LBB143_3097:
	s_and_b64 vcc, exec, s[16:17]
	s_cbranch_vccz .LBB143_3100
; %bb.3098:
	s_cmp_eq_u32 s24, 29
	s_mov_b64 s[0:1], -1
	s_cbranch_scc0 .LBB143_3100
; %bb.3099:
	s_mov_b32 s0, 0
	v_cndmask_b32_e64 v3, 0, 1, s[18:19]
	v_mov_b32_e32 v4, s0
	global_store_dwordx2 v[1:2], v[3:4], off
	s_mov_b64 s[0:1], 0
	s_mov_b64 s[6:7], -1
.LBB143_3100:
	s_mov_b64 s[16:17], 0
.LBB143_3101:
	s_and_b64 vcc, exec, s[16:17]
	s_cbranch_vccz .LBB143_3117
; %bb.3102:
	s_cmp_lt_i32 s24, 27
	s_mov_b64 s[6:7], -1
	s_cbranch_scc1 .LBB143_3108
; %bb.3103:
	s_cmp_gt_i32 s24, 27
	s_cbranch_scc0 .LBB143_3105
; %bb.3104:
	v_cndmask_b32_e64 v3, 0, 1, s[18:19]
	s_mov_b64 s[6:7], 0
	global_store_dword v[1:2], v3, off
.LBB143_3105:
	s_andn2_b64 vcc, exec, s[6:7]
	s_cbranch_vccnz .LBB143_3107
; %bb.3106:
	v_cndmask_b32_e64 v3, 0, 1, s[18:19]
	global_store_short v[1:2], v3, off
.LBB143_3107:
	s_mov_b64 s[6:7], 0
.LBB143_3108:
	s_andn2_b64 vcc, exec, s[6:7]
	s_cbranch_vccnz .LBB143_3116
; %bb.3109:
	v_cndmask_b32_e64 v4, 0, 1.0, s[18:19]
	s_mov_b32 s6, 0x43800000
	v_cmp_gt_u32_e32 vcc, s6, v4
	v_mov_b32_e32 v5, 0x80
	s_and_saveexec_b64 s[6:7], vcc
	s_cbranch_execz .LBB143_3115
; %bb.3110:
	s_mov_b32 s16, 0x3bffffff
	v_cmp_lt_u32_e32 vcc, s16, v4
	s_mov_b64 s[16:17], 0
                                        ; implicit-def: $vgpr3
	s_and_saveexec_b64 s[20:21], vcc
	s_xor_b64 s[20:21], exec, s[20:21]
	s_cbranch_execz .LBB143_3292
; %bb.3111:
	v_bfe_u32 v3, v4, 20, 1
	s_mov_b32 s22, 0x487ffff
	v_add3_u32 v3, v4, v3, s22
	s_mov_b64 s[16:17], exec
	v_lshrrev_b32_e32 v3, 20, v3
                                        ; implicit-def: $vgpr4
	s_andn2_saveexec_b64 s[20:21], s[20:21]
	s_cbranch_execnz .LBB143_3293
.LBB143_3112:
	s_or_b64 exec, exec, s[20:21]
	v_mov_b32_e32 v5, 0
	s_and_saveexec_b64 s[20:21], s[16:17]
.LBB143_3113:
	v_mov_b32_e32 v5, v3
.LBB143_3114:
	s_or_b64 exec, exec, s[20:21]
.LBB143_3115:
	s_or_b64 exec, exec, s[6:7]
	global_store_byte v[1:2], v5, off
.LBB143_3116:
	s_mov_b64 s[6:7], -1
.LBB143_3117:
	s_mov_b64 s[16:17], 0
.LBB143_3118:
	s_and_b64 vcc, exec, s[16:17]
	s_cbranch_vccz .LBB143_3158
; %bb.3119:
	s_cmp_gt_i32 s24, 22
	s_mov_b64 s[2:3], -1
	s_cbranch_scc0 .LBB143_3151
; %bb.3120:
	s_cmp_lt_i32 s24, 24
	s_cbranch_scc1 .LBB143_3140
; %bb.3121:
	s_cmp_gt_i32 s24, 24
	s_cbranch_scc0 .LBB143_3129
; %bb.3122:
	v_cndmask_b32_e64 v4, 0, 1.0, s[18:19]
	s_mov_b32 s2, 0x47800000
	v_cmp_gt_u32_e32 vcc, s2, v4
	v_mov_b32_e32 v5, 0x80
	s_and_saveexec_b64 s[2:3], vcc
	s_cbranch_execz .LBB143_3128
; %bb.3123:
	s_mov_b32 s6, 0x37ffffff
	v_cmp_lt_u32_e32 vcc, s6, v4
	s_mov_b64 s[6:7], 0
                                        ; implicit-def: $vgpr3
	s_and_saveexec_b64 s[16:17], vcc
	s_xor_b64 s[16:17], exec, s[16:17]
	s_cbranch_execz .LBB143_3295
; %bb.3124:
	v_bfe_u32 v3, v4, 21, 1
	s_mov_b32 s20, 0x88fffff
	v_add3_u32 v3, v4, v3, s20
	s_mov_b64 s[6:7], exec
	v_lshrrev_b32_e32 v3, 21, v3
                                        ; implicit-def: $vgpr4
	s_andn2_saveexec_b64 s[16:17], s[16:17]
	s_cbranch_execnz .LBB143_3296
.LBB143_3125:
	s_or_b64 exec, exec, s[16:17]
	v_mov_b32_e32 v5, 0
	s_and_saveexec_b64 s[16:17], s[6:7]
.LBB143_3126:
	v_mov_b32_e32 v5, v3
.LBB143_3127:
	s_or_b64 exec, exec, s[16:17]
.LBB143_3128:
	s_or_b64 exec, exec, s[2:3]
	s_mov_b64 s[2:3], 0
	global_store_byte v[1:2], v5, off
.LBB143_3129:
	s_and_b64 vcc, exec, s[2:3]
	s_cbranch_vccz .LBB143_3139
; %bb.3130:
	v_cndmask_b32_e64 v3, 0, 1.0, s[18:19]
	s_mov_b32 s2, 0x43f00000
	v_cmp_gt_u32_e32 vcc, s2, v3
                                        ; implicit-def: $vgpr4
	s_and_saveexec_b64 s[2:3], vcc
	s_xor_b64 s[2:3], exec, s[2:3]
	s_cbranch_execz .LBB143_3136
; %bb.3131:
	s_mov_b32 s6, 0x3c7fffff
	v_cmp_lt_u32_e32 vcc, s6, v3
                                        ; implicit-def: $vgpr4
	s_and_saveexec_b64 s[6:7], vcc
	s_xor_b64 s[6:7], exec, s[6:7]
; %bb.3132:
	v_bfe_u32 v4, v3, 20, 1
	s_mov_b32 s16, 0x407ffff
	v_add3_u32 v3, v3, v4, s16
	v_lshrrev_b32_e32 v4, 20, v3
	v_and_b32_e32 v3, 0xff00000, v3
	s_mov_b32 s16, 0x7f00000
	v_mov_b32_e32 v5, 0x7e
	v_cmp_ne_u32_e32 vcc, s16, v3
	v_cndmask_b32_e32 v4, v5, v4, vcc
                                        ; implicit-def: $vgpr3
; %bb.3133:
	s_andn2_saveexec_b64 s[6:7], s[6:7]
; %bb.3134:
	v_add_f32_e32 v4, 0x46800000, v3
; %bb.3135:
	s_or_b64 exec, exec, s[6:7]
                                        ; implicit-def: $vgpr3
.LBB143_3136:
	s_andn2_saveexec_b64 s[2:3], s[2:3]
; %bb.3137:
	s_mov_b32 s6, 0x7f800000
	v_mov_b32_e32 v4, 0x7e
	v_mov_b32_e32 v5, 0x7f
	v_cmp_lt_u32_e32 vcc, s6, v3
	v_cndmask_b32_e32 v4, v4, v5, vcc
; %bb.3138:
	s_or_b64 exec, exec, s[2:3]
	global_store_byte v[1:2], v4, off
.LBB143_3139:
	s_mov_b64 s[2:3], 0
.LBB143_3140:
	s_andn2_b64 vcc, exec, s[2:3]
	s_cbranch_vccnz .LBB143_3150
; %bb.3141:
	v_cndmask_b32_e64 v3, 0, 1.0, s[18:19]
	s_mov_b32 s2, 0x47800000
	v_cmp_gt_u32_e32 vcc, s2, v3
                                        ; implicit-def: $vgpr4
	s_and_saveexec_b64 s[2:3], vcc
	s_xor_b64 s[2:3], exec, s[2:3]
	s_cbranch_execz .LBB143_3147
; %bb.3142:
	s_mov_b32 s6, 0x387fffff
	v_cmp_lt_u32_e32 vcc, s6, v3
                                        ; implicit-def: $vgpr4
	s_and_saveexec_b64 s[6:7], vcc
	s_xor_b64 s[6:7], exec, s[6:7]
; %bb.3143:
	v_bfe_u32 v4, v3, 21, 1
	s_mov_b32 s16, 0x80fffff
	v_add3_u32 v3, v3, v4, s16
	v_lshrrev_b32_e32 v4, 21, v3
                                        ; implicit-def: $vgpr3
; %bb.3144:
	s_andn2_saveexec_b64 s[6:7], s[6:7]
; %bb.3145:
	v_add_f32_e32 v4, 0x43000000, v3
; %bb.3146:
	s_or_b64 exec, exec, s[6:7]
                                        ; implicit-def: $vgpr3
.LBB143_3147:
	s_andn2_saveexec_b64 s[2:3], s[2:3]
; %bb.3148:
	s_mov_b32 s6, 0x7f800000
	v_mov_b32_e32 v4, 0x7c
	v_mov_b32_e32 v5, 0x7f
	v_cmp_lt_u32_e32 vcc, s6, v3
	v_cndmask_b32_e32 v4, v4, v5, vcc
; %bb.3149:
	s_or_b64 exec, exec, s[2:3]
	global_store_byte v[1:2], v4, off
.LBB143_3150:
	s_mov_b64 s[2:3], 0
	s_mov_b64 s[6:7], -1
.LBB143_3151:
	s_andn2_b64 vcc, exec, s[2:3]
	s_mov_b64 s[2:3], 0
	s_cbranch_vccnz .LBB143_3158
; %bb.3152:
	s_cmp_gt_i32 s24, 14
	s_mov_b64 s[16:17], -1
	s_cbranch_scc0 .LBB143_3156
; %bb.3153:
	s_cmp_eq_u32 s24, 15
	s_mov_b64 s[0:1], -1
	s_cbranch_scc0 .LBB143_3155
; %bb.3154:
	v_cndmask_b32_e64 v3, 0, 1.0, s[18:19]
	v_bfe_u32 v4, v3, 16, 1
	s_movk_i32 s0, 0x7fff
	v_add3_u32 v3, v3, v4, s0
	global_store_short_d16_hi v[1:2], v3, off
	s_mov_b64 s[0:1], 0
	s_mov_b64 s[6:7], -1
.LBB143_3155:
	s_mov_b64 s[16:17], 0
.LBB143_3156:
	s_and_b64 vcc, exec, s[16:17]
	s_cbranch_vccz .LBB143_3158
; %bb.3157:
	s_cmp_lg_u32 s24, 11
	s_mov_b64 s[2:3], -1
	s_cselect_b64 s[0:1], -1, 0
.LBB143_3158:
	s_and_b64 vcc, exec, s[0:1]
	s_cbranch_vccnz .LBB143_3294
; %bb.3159:
	s_andn2_b64 vcc, exec, s[2:3]
	s_cbranch_vccnz .LBB143_3161
.LBB143_3160:
	v_cndmask_b32_e64 v3, 0, 1, s[18:19]
	s_mov_b64 s[6:7], -1
	global_store_byte v[1:2], v3, off
.LBB143_3161:
	s_mov_b64 s[0:1], 0
	s_branch .LBB143_3163
.LBB143_3162:
	s_mov_b64 s[0:1], -1
	s_mov_b64 s[6:7], 0
.LBB143_3163:
	s_and_b64 vcc, exec, s[0:1]
	s_cbranch_vccz .LBB143_3202
; %bb.3164:
	s_cmp_lt_i32 s24, 5
	s_mov_b64 s[0:1], -1
	s_cbranch_scc1 .LBB143_3185
; %bb.3165:
	s_cmp_lt_i32 s24, 8
	s_cbranch_scc1 .LBB143_3175
; %bb.3166:
	s_cmp_lt_i32 s24, 9
	s_cbranch_scc1 .LBB143_3172
; %bb.3167:
	s_cmp_gt_i32 s24, 9
	s_cbranch_scc0 .LBB143_3169
; %bb.3168:
	v_cndmask_b32_e64 v3, 0, 1, s[18:19]
	v_cvt_f64_u32_e32 v[3:4], v3
	v_mov_b32_e32 v5, 0
	v_mov_b32_e32 v6, v5
	s_mov_b64 s[0:1], 0
	global_store_dwordx4 v[1:2], v[3:6], off
.LBB143_3169:
	s_andn2_b64 vcc, exec, s[0:1]
	s_cbranch_vccnz .LBB143_3171
; %bb.3170:
	v_cndmask_b32_e64 v3, 0, 1.0, s[18:19]
	v_mov_b32_e32 v4, 0
	global_store_dwordx2 v[1:2], v[3:4], off
.LBB143_3171:
	s_mov_b64 s[0:1], 0
.LBB143_3172:
	s_andn2_b64 vcc, exec, s[0:1]
	s_cbranch_vccnz .LBB143_3174
; %bb.3173:
	v_cndmask_b32_e64 v3, 0, 1.0, s[18:19]
	v_cvt_f16_f32_e32 v3, v3
	global_store_dword v[1:2], v3, off
.LBB143_3174:
	s_mov_b64 s[0:1], 0
.LBB143_3175:
	s_andn2_b64 vcc, exec, s[0:1]
	s_cbranch_vccnz .LBB143_3184
; %bb.3176:
	s_cmp_lt_i32 s24, 6
	s_mov_b64 s[0:1], -1
	s_cbranch_scc1 .LBB143_3182
; %bb.3177:
	s_cmp_gt_i32 s24, 6
	s_cbranch_scc0 .LBB143_3179
; %bb.3178:
	v_cndmask_b32_e64 v3, 0, 1, s[18:19]
	v_cvt_f64_u32_e32 v[3:4], v3
	s_mov_b64 s[0:1], 0
	global_store_dwordx2 v[1:2], v[3:4], off
.LBB143_3179:
	s_andn2_b64 vcc, exec, s[0:1]
	s_cbranch_vccnz .LBB143_3181
; %bb.3180:
	v_cndmask_b32_e64 v3, 0, 1.0, s[18:19]
	global_store_dword v[1:2], v3, off
.LBB143_3181:
	s_mov_b64 s[0:1], 0
.LBB143_3182:
	s_andn2_b64 vcc, exec, s[0:1]
	s_cbranch_vccnz .LBB143_3184
; %bb.3183:
	v_cndmask_b32_e64 v3, 0, 1.0, s[18:19]
	v_cvt_f16_f32_e32 v3, v3
	global_store_short v[1:2], v3, off
.LBB143_3184:
	s_mov_b64 s[0:1], 0
.LBB143_3185:
	s_andn2_b64 vcc, exec, s[0:1]
	s_cbranch_vccnz .LBB143_3201
; %bb.3186:
	s_cmp_lt_i32 s24, 2
	s_mov_b64 s[0:1], -1
	s_cbranch_scc1 .LBB143_3196
; %bb.3187:
	s_cmp_lt_i32 s24, 3
	s_cbranch_scc1 .LBB143_3193
; %bb.3188:
	s_cmp_gt_i32 s24, 3
	s_cbranch_scc0 .LBB143_3190
; %bb.3189:
	s_mov_b32 s0, 0
	v_cndmask_b32_e64 v3, 0, 1, s[18:19]
	v_mov_b32_e32 v4, s0
	global_store_dwordx2 v[1:2], v[3:4], off
	s_mov_b64 s[0:1], 0
.LBB143_3190:
	s_andn2_b64 vcc, exec, s[0:1]
	s_cbranch_vccnz .LBB143_3192
; %bb.3191:
	v_cndmask_b32_e64 v3, 0, 1, s[18:19]
	global_store_dword v[1:2], v3, off
.LBB143_3192:
	s_mov_b64 s[0:1], 0
.LBB143_3193:
	s_andn2_b64 vcc, exec, s[0:1]
	s_cbranch_vccnz .LBB143_3195
; %bb.3194:
	v_cndmask_b32_e64 v3, 0, 1, s[18:19]
	global_store_short v[1:2], v3, off
.LBB143_3195:
	s_mov_b64 s[0:1], 0
.LBB143_3196:
	s_andn2_b64 vcc, exec, s[0:1]
	s_cbranch_vccnz .LBB143_3201
; %bb.3197:
	s_cmp_gt_i32 s24, 0
	s_mov_b64 s[0:1], -1
	s_cbranch_scc0 .LBB143_3199
; %bb.3198:
	v_cndmask_b32_e64 v3, 0, 1, s[18:19]
	global_store_byte v[1:2], v3, off
	s_mov_b64 s[0:1], 0
.LBB143_3199:
	s_andn2_b64 vcc, exec, s[0:1]
	s_cbranch_vccnz .LBB143_3201
; %bb.3200:
	v_cndmask_b32_e64 v3, 0, 1, s[18:19]
	global_store_byte v[1:2], v3, off
.LBB143_3201:
	s_mov_b64 s[6:7], -1
.LBB143_3202:
	s_andn2_b64 vcc, exec, s[6:7]
	s_cbranch_vccnz .LBB143_3279
; %bb.3203:
	v_mov_b32_e32 v1, s9
	v_add_co_u32_e32 v0, vcc, s8, v0
	s_cmp_lt_i32 s24, 11
	v_addc_co_u32_e32 v1, vcc, 0, v1, vcc
	s_cbranch_scc1 .LBB143_3280
; %bb.3204:
	s_mov_b64 s[6:7], -1
	s_mov_b64 s[2:3], 0
	s_cmp_gt_i32 s24, 25
	s_mov_b64 s[0:1], 0
	s_cbranch_scc0 .LBB143_3237
; %bb.3205:
	s_cmp_gt_i32 s24, 28
	s_cbranch_scc0 .LBB143_3221
; %bb.3206:
	s_cmp_gt_i32 s24, 43
	;; [unrolled: 3-line block ×3, first 2 shown]
	s_cbranch_scc0 .LBB143_3211
; %bb.3208:
	s_cmp_eq_u32 s24, 46
	s_mov_b64 s[0:1], -1
	s_cbranch_scc0 .LBB143_3210
; %bb.3209:
	v_cndmask_b32_e64 v2, 0, 1.0, s[10:11]
	v_bfe_u32 v3, v2, 16, 1
	s_movk_i32 s0, 0x7fff
	v_add3_u32 v2, v2, v3, s0
	v_lshrrev_b32_e32 v2, 16, v2
	global_store_dword v[0:1], v2, off
	s_mov_b64 s[0:1], 0
.LBB143_3210:
	s_mov_b64 s[6:7], 0
.LBB143_3211:
	s_and_b64 vcc, exec, s[6:7]
	s_cbranch_vccz .LBB143_3216
; %bb.3212:
	s_cmp_eq_u32 s24, 44
	s_mov_b64 s[0:1], -1
	s_cbranch_scc0 .LBB143_3216
; %bb.3213:
	v_cndmask_b32_e64 v3, 0, 1.0, s[10:11]
	v_lshrrev_b32_e32 v2, 23, v3
	s_movk_i32 s0, 0xff
	v_cmp_ne_u32_e32 vcc, s0, v2
	v_mov_b32_e32 v4, 0xff
	s_and_saveexec_b64 s[6:7], vcc
; %bb.3214:
	s_mov_b32 s0, 0x3fffff
	v_and_b32_e32 v4, 0x400000, v3
	v_and_or_b32 v3, v3, s0, v2
	v_cmp_ne_u32_e32 vcc, 0, v4
	v_cmp_ne_u32_e64 s[0:1], 0, v3
	s_and_b64 s[0:1], vcc, s[0:1]
	v_cndmask_b32_e64 v3, 0, 1, s[0:1]
	v_add_u32_e32 v4, v2, v3
; %bb.3215:
	s_or_b64 exec, exec, s[6:7]
	s_mov_b64 s[0:1], 0
	global_store_byte v[0:1], v4, off
.LBB143_3216:
	s_mov_b64 s[6:7], 0
.LBB143_3217:
	s_and_b64 vcc, exec, s[6:7]
	s_cbranch_vccz .LBB143_3220
; %bb.3218:
	s_cmp_eq_u32 s24, 29
	s_mov_b64 s[0:1], -1
	s_cbranch_scc0 .LBB143_3220
; %bb.3219:
	s_mov_b32 s0, 0
	v_cndmask_b32_e64 v2, 0, 1, s[10:11]
	v_mov_b32_e32 v3, s0
	global_store_dwordx2 v[0:1], v[2:3], off
	s_mov_b64 s[0:1], 0
.LBB143_3220:
	s_mov_b64 s[6:7], 0
.LBB143_3221:
	s_and_b64 vcc, exec, s[6:7]
	s_cbranch_vccz .LBB143_3236
; %bb.3222:
	s_cmp_lt_i32 s24, 27
	s_mov_b64 s[6:7], -1
	s_cbranch_scc1 .LBB143_3228
; %bb.3223:
	s_cmp_gt_i32 s24, 27
	v_cndmask_b32_e64 v2, 0, 1, s[10:11]
	s_cbranch_scc0 .LBB143_3225
; %bb.3224:
	global_store_dword v[0:1], v2, off
	s_mov_b64 s[6:7], 0
.LBB143_3225:
	s_andn2_b64 vcc, exec, s[6:7]
	s_cbranch_vccnz .LBB143_3227
; %bb.3226:
	global_store_short v[0:1], v2, off
.LBB143_3227:
	s_mov_b64 s[6:7], 0
.LBB143_3228:
	s_andn2_b64 vcc, exec, s[6:7]
	s_cbranch_vccnz .LBB143_3236
; %bb.3229:
	v_cndmask_b32_e64 v3, 0, 1.0, s[10:11]
	s_mov_b32 s6, 0x43800000
	v_cmp_gt_u32_e32 vcc, s6, v3
	v_mov_b32_e32 v4, 0x80
	s_and_saveexec_b64 s[6:7], vcc
	s_cbranch_execz .LBB143_3235
; %bb.3230:
	s_mov_b32 s8, 0x3bffffff
	v_cmp_lt_u32_e32 vcc, s8, v3
	s_mov_b64 s[8:9], 0
                                        ; implicit-def: $vgpr2
	s_and_saveexec_b64 s[16:17], vcc
	s_xor_b64 s[16:17], exec, s[16:17]
	s_cbranch_execz .LBB143_3297
; %bb.3231:
	v_bfe_u32 v2, v3, 20, 1
	s_mov_b32 s18, 0x487ffff
	v_add3_u32 v2, v3, v2, s18
	s_mov_b64 s[8:9], exec
	v_lshrrev_b32_e32 v2, 20, v2
                                        ; implicit-def: $vgpr3
	s_andn2_saveexec_b64 s[16:17], s[16:17]
	s_cbranch_execnz .LBB143_3298
.LBB143_3232:
	s_or_b64 exec, exec, s[16:17]
	v_mov_b32_e32 v4, 0
	s_and_saveexec_b64 s[16:17], s[8:9]
.LBB143_3233:
	v_mov_b32_e32 v4, v2
.LBB143_3234:
	s_or_b64 exec, exec, s[16:17]
.LBB143_3235:
	s_or_b64 exec, exec, s[6:7]
	global_store_byte v[0:1], v4, off
.LBB143_3236:
	s_mov_b64 s[6:7], 0
.LBB143_3237:
	s_and_b64 vcc, exec, s[6:7]
	s_cbranch_vccz .LBB143_3277
; %bb.3238:
	s_cmp_gt_i32 s24, 22
	s_mov_b64 s[2:3], -1
	s_cbranch_scc0 .LBB143_3270
; %bb.3239:
	s_cmp_lt_i32 s24, 24
	s_cbranch_scc1 .LBB143_3259
; %bb.3240:
	s_cmp_gt_i32 s24, 24
	s_cbranch_scc0 .LBB143_3248
; %bb.3241:
	v_cndmask_b32_e64 v3, 0, 1.0, s[10:11]
	s_mov_b32 s2, 0x47800000
	v_cmp_gt_u32_e32 vcc, s2, v3
	v_mov_b32_e32 v4, 0x80
	s_and_saveexec_b64 s[2:3], vcc
	s_cbranch_execz .LBB143_3247
; %bb.3242:
	s_mov_b32 s6, 0x37ffffff
	v_cmp_lt_u32_e32 vcc, s6, v3
	s_mov_b64 s[6:7], 0
                                        ; implicit-def: $vgpr2
	s_and_saveexec_b64 s[8:9], vcc
	s_xor_b64 s[8:9], exec, s[8:9]
	s_cbranch_execz .LBB143_3300
; %bb.3243:
	v_bfe_u32 v2, v3, 21, 1
	s_mov_b32 s16, 0x88fffff
	v_add3_u32 v2, v3, v2, s16
	s_mov_b64 s[6:7], exec
	v_lshrrev_b32_e32 v2, 21, v2
                                        ; implicit-def: $vgpr3
	s_andn2_saveexec_b64 s[8:9], s[8:9]
	s_cbranch_execnz .LBB143_3301
.LBB143_3244:
	s_or_b64 exec, exec, s[8:9]
	v_mov_b32_e32 v4, 0
	s_and_saveexec_b64 s[8:9], s[6:7]
.LBB143_3245:
	v_mov_b32_e32 v4, v2
.LBB143_3246:
	s_or_b64 exec, exec, s[8:9]
.LBB143_3247:
	s_or_b64 exec, exec, s[2:3]
	s_mov_b64 s[2:3], 0
	global_store_byte v[0:1], v4, off
.LBB143_3248:
	s_and_b64 vcc, exec, s[2:3]
	s_cbranch_vccz .LBB143_3258
; %bb.3249:
	v_cndmask_b32_e64 v2, 0, 1.0, s[10:11]
	s_mov_b32 s2, 0x43f00000
	v_cmp_gt_u32_e32 vcc, s2, v2
                                        ; implicit-def: $vgpr3
	s_and_saveexec_b64 s[2:3], vcc
	s_xor_b64 s[2:3], exec, s[2:3]
	s_cbranch_execz .LBB143_3255
; %bb.3250:
	s_mov_b32 s6, 0x3c7fffff
	v_cmp_lt_u32_e32 vcc, s6, v2
                                        ; implicit-def: $vgpr3
	s_and_saveexec_b64 s[6:7], vcc
	s_xor_b64 s[6:7], exec, s[6:7]
; %bb.3251:
	v_bfe_u32 v3, v2, 20, 1
	s_mov_b32 s8, 0x407ffff
	v_add3_u32 v2, v2, v3, s8
	v_lshrrev_b32_e32 v3, 20, v2
	v_and_b32_e32 v2, 0xff00000, v2
	s_mov_b32 s8, 0x7f00000
	v_mov_b32_e32 v4, 0x7e
	v_cmp_ne_u32_e32 vcc, s8, v2
	v_cndmask_b32_e32 v3, v4, v3, vcc
                                        ; implicit-def: $vgpr2
; %bb.3252:
	s_andn2_saveexec_b64 s[6:7], s[6:7]
; %bb.3253:
	v_add_f32_e32 v3, 0x46800000, v2
; %bb.3254:
	s_or_b64 exec, exec, s[6:7]
                                        ; implicit-def: $vgpr2
.LBB143_3255:
	s_andn2_saveexec_b64 s[2:3], s[2:3]
; %bb.3256:
	s_mov_b32 s6, 0x7f800000
	v_mov_b32_e32 v3, 0x7e
	v_mov_b32_e32 v4, 0x7f
	v_cmp_lt_u32_e32 vcc, s6, v2
	v_cndmask_b32_e32 v3, v3, v4, vcc
; %bb.3257:
	s_or_b64 exec, exec, s[2:3]
	global_store_byte v[0:1], v3, off
.LBB143_3258:
	s_mov_b64 s[2:3], 0
.LBB143_3259:
	s_andn2_b64 vcc, exec, s[2:3]
	s_cbranch_vccnz .LBB143_3269
; %bb.3260:
	v_cndmask_b32_e64 v2, 0, 1.0, s[10:11]
	s_mov_b32 s2, 0x47800000
	v_cmp_gt_u32_e32 vcc, s2, v2
                                        ; implicit-def: $vgpr3
	s_and_saveexec_b64 s[2:3], vcc
	s_xor_b64 s[2:3], exec, s[2:3]
	s_cbranch_execz .LBB143_3266
; %bb.3261:
	s_mov_b32 s6, 0x387fffff
	v_cmp_lt_u32_e32 vcc, s6, v2
                                        ; implicit-def: $vgpr3
	s_and_saveexec_b64 s[6:7], vcc
	s_xor_b64 s[6:7], exec, s[6:7]
; %bb.3262:
	v_bfe_u32 v3, v2, 21, 1
	s_mov_b32 s8, 0x80fffff
	v_add3_u32 v2, v2, v3, s8
	v_lshrrev_b32_e32 v3, 21, v2
                                        ; implicit-def: $vgpr2
; %bb.3263:
	s_andn2_saveexec_b64 s[6:7], s[6:7]
; %bb.3264:
	v_add_f32_e32 v3, 0x43000000, v2
; %bb.3265:
	s_or_b64 exec, exec, s[6:7]
                                        ; implicit-def: $vgpr2
.LBB143_3266:
	s_andn2_saveexec_b64 s[2:3], s[2:3]
; %bb.3267:
	s_mov_b32 s6, 0x7f800000
	v_mov_b32_e32 v3, 0x7c
	v_mov_b32_e32 v4, 0x7f
	v_cmp_lt_u32_e32 vcc, s6, v2
	v_cndmask_b32_e32 v3, v3, v4, vcc
; %bb.3268:
	s_or_b64 exec, exec, s[2:3]
	global_store_byte v[0:1], v3, off
.LBB143_3269:
	s_mov_b64 s[2:3], 0
.LBB143_3270:
	s_andn2_b64 vcc, exec, s[2:3]
	s_mov_b64 s[2:3], 0
	s_cbranch_vccnz .LBB143_3277
; %bb.3271:
	s_cmp_gt_i32 s24, 14
	s_mov_b64 s[6:7], -1
	s_cbranch_scc0 .LBB143_3275
; %bb.3272:
	s_cmp_eq_u32 s24, 15
	s_mov_b64 s[0:1], -1
	s_cbranch_scc0 .LBB143_3274
; %bb.3273:
	v_cndmask_b32_e64 v2, 0, 1.0, s[10:11]
	v_bfe_u32 v3, v2, 16, 1
	s_movk_i32 s0, 0x7fff
	v_add3_u32 v2, v2, v3, s0
	global_store_short_d16_hi v[0:1], v2, off
	s_mov_b64 s[0:1], 0
.LBB143_3274:
	s_mov_b64 s[6:7], 0
.LBB143_3275:
	s_and_b64 vcc, exec, s[6:7]
	s_cbranch_vccz .LBB143_3277
; %bb.3276:
	s_cmp_lg_u32 s24, 11
	s_mov_b64 s[2:3], -1
	s_cselect_b64 s[0:1], -1, 0
.LBB143_3277:
	s_and_b64 vcc, exec, s[0:1]
	s_cbranch_vccnz .LBB143_3299
.LBB143_3278:
	s_mov_b64 s[0:1], 0
	s_branch .LBB143_2789
.LBB143_3279:
	s_mov_b64 s[0:1], 0
	s_branch .LBB143_2788
.LBB143_3280:
	s_mov_b64 s[2:3], 0
	s_mov_b64 s[0:1], -1
	s_branch .LBB143_2789
.LBB143_3281:
	s_trap 2
	s_or_b64 s[4:5], s[4:5], exec
	s_cbranch_execz .LBB143_2731
	s_branch .LBB143_2732
.LBB143_3282:
	s_andn2_saveexec_b64 s[24:25], s[24:25]
	s_cbranch_execz .LBB143_2872
.LBB143_3283:
	v_add_f32_e32 v1, 0x46000000, v3
	v_and_b32_e32 v1, 0xff, v1
	v_cmp_ne_u32_e32 vcc, 0, v1
	s_andn2_b64 s[22:23], s[22:23], exec
	s_and_b64 s[28:29], vcc, exec
	s_or_b64 s[22:23], s[22:23], s[28:29]
	s_or_b64 exec, exec, s[24:25]
	v_mov_b32_e32 v7, 0
	s_and_saveexec_b64 s[24:25], s[22:23]
	s_cbranch_execnz .LBB143_2873
	s_branch .LBB143_2874
.LBB143_3284:
	s_trap 2
	s_or_b64 s[4:5], s[4:5], exec
	s_cbranch_execz .LBB143_2920
	s_branch .LBB143_2921
.LBB143_3285:
	s_andn2_saveexec_b64 s[22:23], s[22:23]
	s_cbranch_execz .LBB143_2885
.LBB143_3286:
	v_add_f32_e32 v1, 0x42800000, v3
	v_and_b32_e32 v1, 0xff, v1
	v_cmp_ne_u32_e32 vcc, 0, v1
	s_andn2_b64 s[20:21], s[20:21], exec
	s_and_b64 s[24:25], vcc, exec
	s_or_b64 s[20:21], s[20:21], s[24:25]
	s_or_b64 exec, exec, s[22:23]
	v_mov_b32_e32 v7, 0
	s_and_saveexec_b64 s[22:23], s[20:21]
	s_cbranch_execnz .LBB143_2886
	s_branch .LBB143_2887
.LBB143_3287:
	s_andn2_saveexec_b64 s[22:23], s[22:23]
	s_cbranch_execz .LBB143_2993
.LBB143_3288:
	v_add_f32_e32 v1, 0x46000000, v5
	v_and_b32_e32 v1, 0xff, v1
	v_cmp_ne_u32_e32 vcc, 0, v1
	s_andn2_b64 s[20:21], s[20:21], exec
	s_and_b64 s[28:29], vcc, exec
	s_or_b64 s[20:21], s[20:21], s[28:29]
	s_or_b64 exec, exec, s[22:23]
	v_mov_b32_e32 v6, 0
	s_and_saveexec_b64 s[22:23], s[20:21]
	s_cbranch_execnz .LBB143_2994
	s_branch .LBB143_2995
.LBB143_3289:
	s_trap 2
	s_or_b64 s[4:5], s[4:5], exec
	s_cbranch_execz .LBB143_3041
	s_branch .LBB143_3042
.LBB143_3290:
	s_andn2_saveexec_b64 s[20:21], s[20:21]
	s_cbranch_execz .LBB143_3006
.LBB143_3291:
	v_add_f32_e32 v1, 0x42800000, v5
	v_and_b32_e32 v1, 0xff, v1
	v_cmp_ne_u32_e32 vcc, 0, v1
	s_andn2_b64 s[6:7], s[6:7], exec
	s_and_b64 s[22:23], vcc, exec
	s_or_b64 s[6:7], s[6:7], s[22:23]
	s_or_b64 exec, exec, s[20:21]
	v_mov_b32_e32 v6, 0
	s_and_saveexec_b64 s[20:21], s[6:7]
	s_cbranch_execnz .LBB143_3007
	s_branch .LBB143_3008
.LBB143_3292:
	s_andn2_saveexec_b64 s[20:21], s[20:21]
	s_cbranch_execz .LBB143_3112
.LBB143_3293:
	v_add_f32_e32 v3, 0x46000000, v4
	v_and_b32_e32 v3, 0xff, v3
	v_cmp_ne_u32_e32 vcc, 0, v3
	s_andn2_b64 s[16:17], s[16:17], exec
	s_and_b64 s[22:23], vcc, exec
	s_or_b64 s[16:17], s[16:17], s[22:23]
	s_or_b64 exec, exec, s[20:21]
	v_mov_b32_e32 v5, 0
	s_and_saveexec_b64 s[20:21], s[16:17]
	s_cbranch_execnz .LBB143_3113
	s_branch .LBB143_3114
.LBB143_3294:
	s_trap 2
	s_or_b64 s[4:5], s[4:5], exec
	s_cbranch_execz .LBB143_3160
	s_branch .LBB143_3161
.LBB143_3295:
	s_andn2_saveexec_b64 s[16:17], s[16:17]
	s_cbranch_execz .LBB143_3125
.LBB143_3296:
	v_add_f32_e32 v3, 0x42800000, v4
	v_and_b32_e32 v3, 0xff, v3
	v_cmp_ne_u32_e32 vcc, 0, v3
	s_andn2_b64 s[6:7], s[6:7], exec
	s_and_b64 s[20:21], vcc, exec
	s_or_b64 s[6:7], s[6:7], s[20:21]
	s_or_b64 exec, exec, s[16:17]
	v_mov_b32_e32 v5, 0
	s_and_saveexec_b64 s[16:17], s[6:7]
	s_cbranch_execnz .LBB143_3126
	s_branch .LBB143_3127
.LBB143_3297:
	s_andn2_saveexec_b64 s[16:17], s[16:17]
	s_cbranch_execz .LBB143_3232
.LBB143_3298:
	v_add_f32_e32 v2, 0x46000000, v3
	v_and_b32_e32 v2, 0xff, v2
	v_cmp_ne_u32_e32 vcc, 0, v2
	s_andn2_b64 s[8:9], s[8:9], exec
	s_and_b64 s[18:19], vcc, exec
	s_or_b64 s[8:9], s[8:9], s[18:19]
	s_or_b64 exec, exec, s[16:17]
	v_mov_b32_e32 v4, 0
	s_and_saveexec_b64 s[16:17], s[8:9]
	s_cbranch_execnz .LBB143_3233
	s_branch .LBB143_3234
.LBB143_3299:
	s_mov_b64 s[2:3], 0
	s_or_b64 s[4:5], s[4:5], exec
	s_trap 2
	s_branch .LBB143_3278
.LBB143_3300:
	s_andn2_saveexec_b64 s[8:9], s[8:9]
	s_cbranch_execz .LBB143_3244
.LBB143_3301:
	v_add_f32_e32 v2, 0x42800000, v3
	v_and_b32_e32 v2, 0xff, v2
	v_cmp_ne_u32_e32 vcc, 0, v2
	s_andn2_b64 s[6:7], s[6:7], exec
	s_and_b64 s[16:17], vcc, exec
	s_or_b64 s[6:7], s[6:7], s[16:17]
	s_or_b64 exec, exec, s[8:9]
	v_mov_b32_e32 v4, 0
	s_and_saveexec_b64 s[8:9], s[6:7]
	s_cbranch_execnz .LBB143_3245
	s_branch .LBB143_3246
	.section	.rodata,"a",@progbits
	.p2align	6, 0x0
	.amdhsa_kernel _ZN2at6native32elementwise_kernel_manual_unrollILi128ELi4EZNS0_15gpu_kernel_implINS0_12_GLOBAL__N_114CompareFunctorIN3c108BFloat16EEEEEvRNS_18TensorIteratorBaseERKT_EUlibE0_EEviT1_
		.amdhsa_group_segment_fixed_size 0
		.amdhsa_private_segment_fixed_size 0
		.amdhsa_kernarg_size 432
		.amdhsa_user_sgpr_count 6
		.amdhsa_user_sgpr_private_segment_buffer 1
		.amdhsa_user_sgpr_dispatch_ptr 0
		.amdhsa_user_sgpr_queue_ptr 0
		.amdhsa_user_sgpr_kernarg_segment_ptr 1
		.amdhsa_user_sgpr_dispatch_id 0
		.amdhsa_user_sgpr_flat_scratch_init 0
		.amdhsa_user_sgpr_private_segment_size 0
		.amdhsa_uses_dynamic_stack 0
		.amdhsa_system_sgpr_private_segment_wavefront_offset 0
		.amdhsa_system_sgpr_workgroup_id_x 1
		.amdhsa_system_sgpr_workgroup_id_y 0
		.amdhsa_system_sgpr_workgroup_id_z 0
		.amdhsa_system_sgpr_workgroup_info 0
		.amdhsa_system_vgpr_workitem_id 0
		.amdhsa_next_free_vgpr 24
		.amdhsa_next_free_sgpr 80
		.amdhsa_reserve_vcc 1
		.amdhsa_reserve_flat_scratch 0
		.amdhsa_float_round_mode_32 0
		.amdhsa_float_round_mode_16_64 0
		.amdhsa_float_denorm_mode_32 3
		.amdhsa_float_denorm_mode_16_64 3
		.amdhsa_dx10_clamp 1
		.amdhsa_ieee_mode 1
		.amdhsa_fp16_overflow 0
		.amdhsa_exception_fp_ieee_invalid_op 0
		.amdhsa_exception_fp_denorm_src 0
		.amdhsa_exception_fp_ieee_div_zero 0
		.amdhsa_exception_fp_ieee_overflow 0
		.amdhsa_exception_fp_ieee_underflow 0
		.amdhsa_exception_fp_ieee_inexact 0
		.amdhsa_exception_int_div_zero 0
	.end_amdhsa_kernel
	.section	.text._ZN2at6native32elementwise_kernel_manual_unrollILi128ELi4EZNS0_15gpu_kernel_implINS0_12_GLOBAL__N_114CompareFunctorIN3c108BFloat16EEEEEvRNS_18TensorIteratorBaseERKT_EUlibE0_EEviT1_,"axG",@progbits,_ZN2at6native32elementwise_kernel_manual_unrollILi128ELi4EZNS0_15gpu_kernel_implINS0_12_GLOBAL__N_114CompareFunctorIN3c108BFloat16EEEEEvRNS_18TensorIteratorBaseERKT_EUlibE0_EEviT1_,comdat
.Lfunc_end143:
	.size	_ZN2at6native32elementwise_kernel_manual_unrollILi128ELi4EZNS0_15gpu_kernel_implINS0_12_GLOBAL__N_114CompareFunctorIN3c108BFloat16EEEEEvRNS_18TensorIteratorBaseERKT_EUlibE0_EEviT1_, .Lfunc_end143-_ZN2at6native32elementwise_kernel_manual_unrollILi128ELi4EZNS0_15gpu_kernel_implINS0_12_GLOBAL__N_114CompareFunctorIN3c108BFloat16EEEEEvRNS_18TensorIteratorBaseERKT_EUlibE0_EEviT1_
                                        ; -- End function
	.set _ZN2at6native32elementwise_kernel_manual_unrollILi128ELi4EZNS0_15gpu_kernel_implINS0_12_GLOBAL__N_114CompareFunctorIN3c108BFloat16EEEEEvRNS_18TensorIteratorBaseERKT_EUlibE0_EEviT1_.num_vgpr, 24
	.set _ZN2at6native32elementwise_kernel_manual_unrollILi128ELi4EZNS0_15gpu_kernel_implINS0_12_GLOBAL__N_114CompareFunctorIN3c108BFloat16EEEEEvRNS_18TensorIteratorBaseERKT_EUlibE0_EEviT1_.num_agpr, 0
	.set _ZN2at6native32elementwise_kernel_manual_unrollILi128ELi4EZNS0_15gpu_kernel_implINS0_12_GLOBAL__N_114CompareFunctorIN3c108BFloat16EEEEEvRNS_18TensorIteratorBaseERKT_EUlibE0_EEviT1_.numbered_sgpr, 80
	.set _ZN2at6native32elementwise_kernel_manual_unrollILi128ELi4EZNS0_15gpu_kernel_implINS0_12_GLOBAL__N_114CompareFunctorIN3c108BFloat16EEEEEvRNS_18TensorIteratorBaseERKT_EUlibE0_EEviT1_.num_named_barrier, 0
	.set _ZN2at6native32elementwise_kernel_manual_unrollILi128ELi4EZNS0_15gpu_kernel_implINS0_12_GLOBAL__N_114CompareFunctorIN3c108BFloat16EEEEEvRNS_18TensorIteratorBaseERKT_EUlibE0_EEviT1_.private_seg_size, 0
	.set _ZN2at6native32elementwise_kernel_manual_unrollILi128ELi4EZNS0_15gpu_kernel_implINS0_12_GLOBAL__N_114CompareFunctorIN3c108BFloat16EEEEEvRNS_18TensorIteratorBaseERKT_EUlibE0_EEviT1_.uses_vcc, 1
	.set _ZN2at6native32elementwise_kernel_manual_unrollILi128ELi4EZNS0_15gpu_kernel_implINS0_12_GLOBAL__N_114CompareFunctorIN3c108BFloat16EEEEEvRNS_18TensorIteratorBaseERKT_EUlibE0_EEviT1_.uses_flat_scratch, 0
	.set _ZN2at6native32elementwise_kernel_manual_unrollILi128ELi4EZNS0_15gpu_kernel_implINS0_12_GLOBAL__N_114CompareFunctorIN3c108BFloat16EEEEEvRNS_18TensorIteratorBaseERKT_EUlibE0_EEviT1_.has_dyn_sized_stack, 0
	.set _ZN2at6native32elementwise_kernel_manual_unrollILi128ELi4EZNS0_15gpu_kernel_implINS0_12_GLOBAL__N_114CompareFunctorIN3c108BFloat16EEEEEvRNS_18TensorIteratorBaseERKT_EUlibE0_EEviT1_.has_recursion, 0
	.set _ZN2at6native32elementwise_kernel_manual_unrollILi128ELi4EZNS0_15gpu_kernel_implINS0_12_GLOBAL__N_114CompareFunctorIN3c108BFloat16EEEEEvRNS_18TensorIteratorBaseERKT_EUlibE0_EEviT1_.has_indirect_call, 0
	.section	.AMDGPU.csdata,"",@progbits
; Kernel info:
; codeLenInByte = 62288
; TotalNumSgprs: 84
; NumVgprs: 24
; ScratchSize: 0
; MemoryBound: 0
; FloatMode: 240
; IeeeMode: 1
; LDSByteSize: 0 bytes/workgroup (compile time only)
; SGPRBlocks: 10
; VGPRBlocks: 5
; NumSGPRsForWavesPerEU: 84
; NumVGPRsForWavesPerEU: 24
; Occupancy: 9
; WaveLimiterHint : 1
; COMPUTE_PGM_RSRC2:SCRATCH_EN: 0
; COMPUTE_PGM_RSRC2:USER_SGPR: 6
; COMPUTE_PGM_RSRC2:TRAP_HANDLER: 0
; COMPUTE_PGM_RSRC2:TGID_X_EN: 1
; COMPUTE_PGM_RSRC2:TGID_Y_EN: 0
; COMPUTE_PGM_RSRC2:TGID_Z_EN: 0
; COMPUTE_PGM_RSRC2:TIDIG_COMP_CNT: 0
	.section	.text._ZN2at6native29vectorized_elementwise_kernelILi16EZNS0_21compare_scalar_kernelIbEEvRNS_18TensorIteratorBaseENS0_12_GLOBAL__N_16OpTypeET_EUlbE_St5arrayIPcLm2EEEEviT0_T1_,"axG",@progbits,_ZN2at6native29vectorized_elementwise_kernelILi16EZNS0_21compare_scalar_kernelIbEEvRNS_18TensorIteratorBaseENS0_12_GLOBAL__N_16OpTypeET_EUlbE_St5arrayIPcLm2EEEEviT0_T1_,comdat
	.globl	_ZN2at6native29vectorized_elementwise_kernelILi16EZNS0_21compare_scalar_kernelIbEEvRNS_18TensorIteratorBaseENS0_12_GLOBAL__N_16OpTypeET_EUlbE_St5arrayIPcLm2EEEEviT0_T1_ ; -- Begin function _ZN2at6native29vectorized_elementwise_kernelILi16EZNS0_21compare_scalar_kernelIbEEvRNS_18TensorIteratorBaseENS0_12_GLOBAL__N_16OpTypeET_EUlbE_St5arrayIPcLm2EEEEviT0_T1_
	.p2align	8
	.type	_ZN2at6native29vectorized_elementwise_kernelILi16EZNS0_21compare_scalar_kernelIbEEvRNS_18TensorIteratorBaseENS0_12_GLOBAL__N_16OpTypeET_EUlbE_St5arrayIPcLm2EEEEviT0_T1_,@function
_ZN2at6native29vectorized_elementwise_kernelILi16EZNS0_21compare_scalar_kernelIbEEvRNS_18TensorIteratorBaseENS0_12_GLOBAL__N_16OpTypeET_EUlbE_St5arrayIPcLm2EEEEviT0_T1_: ; @_ZN2at6native29vectorized_elementwise_kernelILi16EZNS0_21compare_scalar_kernelIbEEvRNS_18TensorIteratorBaseENS0_12_GLOBAL__N_16OpTypeET_EUlbE_St5arrayIPcLm2EEEEviT0_T1_
; %bb.0:
	s_load_dwordx8 s[8:15], s[4:5], 0x0
	s_lshl_b32 s33, s6, 12
	s_mov_b64 s[0:1], -1
	s_waitcnt lgkmcnt(0)
	s_sub_i32 s8, s8, s33
	s_cmpk_gt_i32 s8, 0xfff
	s_cbranch_scc0 .LBB144_205
; %bb.1:
	s_ashr_i32 s11, s33, 31
	s_add_u32 s0, s14, s33
	s_addc_u32 s1, s15, s11
	v_lshlrev_b32_e32 v5, 4, v0
	global_load_dwordx4 v[1:4], v5, s[0:1]
	s_bitcmp1_b32 s10, 0
	s_cselect_b64 s[6:7], -1, 0
	v_mov_b32_e32 v6, 0
	s_xor_b64 s[2:3], s[6:7], -1
	s_mov_b64 s[20:21], -1
	s_mov_b64 s[16:17], 0
	s_cmp_lt_i32 s9, 1
	s_mov_b64 s[18:19], 0
                                        ; implicit-def: $sgpr4_sgpr5
	s_waitcnt vmcnt(0)
	v_cmp_ne_u16_sdwa s[0:1], v1, v6 src0_sel:BYTE_0 src1_sel:DWORD
	s_cbranch_scc0 .LBB144_10
; %bb.2:
	s_and_b64 vcc, exec, s[20:21]
	s_cbranch_vccnz .LBB144_250
.LBB144_3:
	s_andn2_b64 vcc, exec, s[18:19]
	s_cbranch_vccz .LBB144_251
.LBB144_4:
	s_andn2_b64 vcc, exec, s[16:17]
	s_cbranch_vccnz .LBB144_6
.LBB144_5:
	s_or_b64 s[0:1], s[0:1], s[2:3]
	s_andn2_b64 s[4:5], s[4:5], exec
	s_and_b64 s[0:1], s[0:1], exec
	s_or_b64 s[4:5], s[4:5], s[0:1]
.LBB144_6:
	v_lshrrev_b32_e32 v9, 8, v1
	v_mov_b32_e32 v10, 0
	v_lshrrev_b32_e32 v6, 8, v4
	v_lshrrev_b32_e32 v7, 8, v3
	;; [unrolled: 1-line block ×3, first 2 shown]
	v_cmp_ne_u16_sdwa s[0:1], v9, v10 src0_sel:BYTE_0 src1_sel:DWORD
	s_cmp_lt_i32 s9, 1
	s_mov_b64 s[18:19], 0
	s_cbranch_scc1 .LBB144_13
; %bb.7:
	s_cmp_gt_i32 s9, 1
	s_cbranch_scc0 .LBB144_14
; %bb.8:
	s_cmp_eq_u32 s9, 2
	s_cbranch_scc0 .LBB144_245
; %bb.9:
	s_xor_b64 s[16:17], s[0:1], -1
	s_or_b64 s[16:17], s[6:7], s[16:17]
	s_mov_b64 s[20:21], 0
	s_branch .LBB144_16
.LBB144_10:
	s_cmp_gt_i32 s9, 1
	s_cbranch_scc0 .LBB144_27
; %bb.11:
	s_cmp_eq_u32 s9, 2
	s_cbranch_scc0 .LBB144_246
; %bb.12:
	s_xor_b64 s[4:5], s[0:1], -1
	s_or_b64 s[4:5], s[6:7], s[4:5]
	s_branch .LBB144_247
.LBB144_13:
                                        ; implicit-def: $sgpr16_sgpr17
	s_mov_b64 s[20:21], 0
	s_cbranch_execnz .LBB144_17
	s_branch .LBB144_18
.LBB144_14:
	s_mov_b64 s[20:21], 0
                                        ; implicit-def: $sgpr16_sgpr17
	s_cbranch_execz .LBB144_16
; %bb.15:
	s_and_b64 s[22:23], s[0:1], s[2:3]
	s_andn2_b64 s[16:17], s[16:17], exec
	s_and_b64 s[22:23], s[22:23], exec
	s_or_b64 s[16:17], s[16:17], s[22:23]
.LBB144_16:
	s_branch .LBB144_18
.LBB144_17:
	s_cmp_lg_u32 s9, 0
	s_mov_b64 s[18:19], -1
	s_cselect_b64 s[20:21], -1, 0
.LBB144_18:
	s_andn2_b64 vcc, exec, s[20:21]
	s_cbranch_vccz .LBB144_25
; %bb.19:
	s_andn2_b64 vcc, exec, s[18:19]
	s_cbranch_vccnz .LBB144_21
.LBB144_20:
	s_or_b64 s[0:1], s[0:1], s[2:3]
	s_andn2_b64 s[16:17], s[16:17], exec
	s_and_b64 s[0:1], s[0:1], exec
	s_or_b64 s[16:17], s[16:17], s[0:1]
.LBB144_21:
	s_movk_i32 s0, 0xff
	v_and_b32_sdwa v9, v1, s0 dst_sel:DWORD dst_unused:UNUSED_PAD src0_sel:WORD_1 src1_sel:DWORD
	v_cmp_ne_u16_e64 s[0:1], 0, v9
	s_cmp_lt_i32 s9, 1
	s_mov_b64 s[20:21], 0
	s_cbranch_scc1 .LBB144_26
; %bb.22:
	s_cmp_gt_i32 s9, 1
	s_cbranch_scc0 .LBB144_28
; %bb.23:
	s_cmp_eq_u32 s9, 2
	s_cbranch_scc0 .LBB144_252
; %bb.24:
	s_xor_b64 s[18:19], s[0:1], -1
	s_or_b64 s[18:19], s[6:7], s[18:19]
	s_mov_b64 s[22:23], 0
	s_branch .LBB144_30
.LBB144_25:
	s_xor_b64 s[18:19], s[0:1], -1
	s_and_b64 s[20:21], s[6:7], s[18:19]
	s_andn2_b64 s[16:17], s[16:17], exec
	s_and_b64 s[20:21], s[20:21], exec
	s_or_b64 s[16:17], s[16:17], s[20:21]
	s_cbranch_execz .LBB144_20
	s_branch .LBB144_21
.LBB144_26:
                                        ; implicit-def: $sgpr18_sgpr19
	s_mov_b64 s[22:23], 0
	s_cbranch_execnz .LBB144_31
	s_branch .LBB144_32
.LBB144_27:
                                        ; implicit-def: $sgpr4_sgpr5
	s_and_b64 vcc, exec, s[20:21]
	s_cbranch_vccnz .LBB144_248
	s_branch .LBB144_249
.LBB144_28:
	s_mov_b64 s[22:23], 0
                                        ; implicit-def: $sgpr18_sgpr19
	s_cbranch_execz .LBB144_30
; %bb.29:
	s_and_b64 s[24:25], s[0:1], s[2:3]
	s_andn2_b64 s[18:19], s[18:19], exec
	s_and_b64 s[24:25], s[24:25], exec
	s_or_b64 s[18:19], s[18:19], s[24:25]
.LBB144_30:
	s_branch .LBB144_32
.LBB144_31:
	s_cmp_lg_u32 s9, 0
	s_mov_b64 s[20:21], -1
	s_cselect_b64 s[22:23], -1, 0
.LBB144_32:
	s_andn2_b64 vcc, exec, s[22:23]
	s_cbranch_vccz .LBB144_39
; %bb.33:
	s_andn2_b64 vcc, exec, s[20:21]
	s_cbranch_vccnz .LBB144_35
.LBB144_34:
	s_or_b64 s[0:1], s[0:1], s[2:3]
	s_andn2_b64 s[18:19], s[18:19], exec
	s_and_b64 s[0:1], s[0:1], exec
	s_or_b64 s[18:19], s[18:19], s[0:1]
.LBB144_35:
	v_mov_b32_e32 v9, 0
	v_cmp_ne_u16_sdwa s[0:1], v1, v9 src0_sel:BYTE_3 src1_sel:DWORD
	s_cmp_lt_i32 s9, 1
	s_mov_b64 s[22:23], 0
	s_cbranch_scc1 .LBB144_40
; %bb.36:
	s_cmp_gt_i32 s9, 1
	s_cbranch_scc0 .LBB144_41
; %bb.37:
	s_cmp_eq_u32 s9, 2
	s_cbranch_scc0 .LBB144_253
; %bb.38:
	s_xor_b64 s[20:21], s[0:1], -1
	s_or_b64 s[20:21], s[6:7], s[20:21]
	s_mov_b64 s[24:25], 0
	s_branch .LBB144_43
.LBB144_39:
	s_xor_b64 s[20:21], s[0:1], -1
	s_and_b64 s[22:23], s[6:7], s[20:21]
	s_andn2_b64 s[18:19], s[18:19], exec
	s_and_b64 s[22:23], s[22:23], exec
	s_or_b64 s[18:19], s[18:19], s[22:23]
	s_cbranch_execz .LBB144_34
	s_branch .LBB144_35
.LBB144_40:
                                        ; implicit-def: $sgpr20_sgpr21
	s_mov_b64 s[24:25], 0
	s_cbranch_execnz .LBB144_44
	s_branch .LBB144_45
.LBB144_41:
	s_mov_b64 s[24:25], 0
                                        ; implicit-def: $sgpr20_sgpr21
	s_cbranch_execz .LBB144_43
; %bb.42:
	s_and_b64 s[26:27], s[0:1], s[2:3]
	s_andn2_b64 s[20:21], s[20:21], exec
	s_and_b64 s[26:27], s[26:27], exec
	s_or_b64 s[20:21], s[20:21], s[26:27]
.LBB144_43:
	s_branch .LBB144_45
.LBB144_44:
	s_cmp_lg_u32 s9, 0
	s_mov_b64 s[22:23], -1
	s_cselect_b64 s[24:25], -1, 0
.LBB144_45:
	s_andn2_b64 vcc, exec, s[24:25]
	s_cbranch_vccz .LBB144_52
; %bb.46:
	s_andn2_b64 vcc, exec, s[22:23]
	s_cbranch_vccnz .LBB144_48
.LBB144_47:
	s_or_b64 s[0:1], s[0:1], s[2:3]
	s_andn2_b64 s[20:21], s[20:21], exec
	s_and_b64 s[0:1], s[0:1], exec
	s_or_b64 s[20:21], s[20:21], s[0:1]
.LBB144_48:
	v_mov_b32_e32 v1, 0
	v_cmp_ne_u16_sdwa s[0:1], v2, v1 src0_sel:BYTE_0 src1_sel:DWORD
	s_cmp_lt_i32 s9, 1
	s_mov_b64 s[24:25], 0
	s_cbranch_scc1 .LBB144_53
; %bb.49:
	s_cmp_gt_i32 s9, 1
	s_cbranch_scc0 .LBB144_54
; %bb.50:
	s_cmp_eq_u32 s9, 2
	s_cbranch_scc0 .LBB144_254
; %bb.51:
	s_xor_b64 s[22:23], s[0:1], -1
	s_or_b64 s[22:23], s[6:7], s[22:23]
	s_mov_b64 s[26:27], 0
	s_branch .LBB144_56
.LBB144_52:
	s_xor_b64 s[22:23], s[0:1], -1
	s_and_b64 s[24:25], s[6:7], s[22:23]
	s_andn2_b64 s[20:21], s[20:21], exec
	s_and_b64 s[24:25], s[24:25], exec
	s_or_b64 s[20:21], s[20:21], s[24:25]
	s_cbranch_execz .LBB144_47
	s_branch .LBB144_48
.LBB144_53:
                                        ; implicit-def: $sgpr22_sgpr23
	s_mov_b64 s[26:27], 0
	s_cbranch_execnz .LBB144_57
	s_branch .LBB144_58
.LBB144_54:
	s_mov_b64 s[26:27], 0
                                        ; implicit-def: $sgpr22_sgpr23
	s_cbranch_execz .LBB144_56
; %bb.55:
	s_and_b64 s[28:29], s[0:1], s[2:3]
	s_andn2_b64 s[22:23], s[22:23], exec
	s_and_b64 s[28:29], s[28:29], exec
	s_or_b64 s[22:23], s[22:23], s[28:29]
.LBB144_56:
	s_branch .LBB144_58
.LBB144_57:
	s_cmp_lg_u32 s9, 0
	s_mov_b64 s[24:25], -1
	s_cselect_b64 s[26:27], -1, 0
.LBB144_58:
	s_andn2_b64 vcc, exec, s[26:27]
	s_cbranch_vccz .LBB144_65
; %bb.59:
	s_andn2_b64 vcc, exec, s[24:25]
	s_cbranch_vccnz .LBB144_61
.LBB144_60:
	s_or_b64 s[0:1], s[0:1], s[2:3]
	s_andn2_b64 s[22:23], s[22:23], exec
	s_and_b64 s[0:1], s[0:1], exec
	s_or_b64 s[22:23], s[22:23], s[0:1]
.LBB144_61:
	v_mov_b32_e32 v1, 0
	v_cmp_ne_u16_sdwa s[0:1], v8, v1 src0_sel:BYTE_0 src1_sel:DWORD
	s_cmp_lt_i32 s9, 1
	s_mov_b64 s[26:27], 0
	s_cbranch_scc1 .LBB144_66
; %bb.62:
	s_cmp_gt_i32 s9, 1
	s_cbranch_scc0 .LBB144_67
; %bb.63:
	s_cmp_eq_u32 s9, 2
	s_cbranch_scc0 .LBB144_255
; %bb.64:
	s_xor_b64 s[24:25], s[0:1], -1
	s_or_b64 s[24:25], s[6:7], s[24:25]
	s_mov_b64 s[28:29], 0
	s_branch .LBB144_69
.LBB144_65:
	s_xor_b64 s[24:25], s[0:1], -1
	s_and_b64 s[26:27], s[6:7], s[24:25]
	s_andn2_b64 s[22:23], s[22:23], exec
	s_and_b64 s[26:27], s[26:27], exec
	s_or_b64 s[22:23], s[22:23], s[26:27]
	s_cbranch_execz .LBB144_60
	s_branch .LBB144_61
.LBB144_66:
                                        ; implicit-def: $sgpr24_sgpr25
	s_mov_b64 s[28:29], 0
	s_cbranch_execnz .LBB144_70
	s_branch .LBB144_71
.LBB144_67:
	s_mov_b64 s[28:29], 0
                                        ; implicit-def: $sgpr24_sgpr25
	s_cbranch_execz .LBB144_69
; %bb.68:
	s_and_b64 s[30:31], s[0:1], s[2:3]
	s_andn2_b64 s[24:25], s[24:25], exec
	s_and_b64 s[30:31], s[30:31], exec
	s_or_b64 s[24:25], s[24:25], s[30:31]
.LBB144_69:
	s_branch .LBB144_71
.LBB144_70:
	s_cmp_lg_u32 s9, 0
	s_mov_b64 s[26:27], -1
	s_cselect_b64 s[28:29], -1, 0
.LBB144_71:
	s_andn2_b64 vcc, exec, s[28:29]
	s_cbranch_vccz .LBB144_78
; %bb.72:
	s_andn2_b64 vcc, exec, s[26:27]
	s_cbranch_vccnz .LBB144_74
.LBB144_73:
	s_or_b64 s[0:1], s[0:1], s[2:3]
	s_andn2_b64 s[24:25], s[24:25], exec
	s_and_b64 s[0:1], s[0:1], exec
	s_or_b64 s[24:25], s[24:25], s[0:1]
.LBB144_74:
	s_movk_i32 s0, 0xff
	v_and_b32_sdwa v1, v2, s0 dst_sel:DWORD dst_unused:UNUSED_PAD src0_sel:WORD_1 src1_sel:DWORD
	v_cmp_ne_u16_e64 s[0:1], 0, v1
	s_cmp_lt_i32 s9, 1
	s_mov_b64 s[28:29], 0
	s_cbranch_scc1 .LBB144_79
; %bb.75:
	s_cmp_gt_i32 s9, 1
	s_cbranch_scc0 .LBB144_80
; %bb.76:
	s_cmp_eq_u32 s9, 2
	s_cbranch_scc0 .LBB144_256
; %bb.77:
	s_xor_b64 s[26:27], s[0:1], -1
	s_or_b64 s[26:27], s[6:7], s[26:27]
	s_mov_b64 s[30:31], 0
	s_branch .LBB144_82
.LBB144_78:
	s_xor_b64 s[26:27], s[0:1], -1
	s_and_b64 s[28:29], s[6:7], s[26:27]
	s_andn2_b64 s[24:25], s[24:25], exec
	s_and_b64 s[28:29], s[28:29], exec
	s_or_b64 s[24:25], s[24:25], s[28:29]
	s_cbranch_execz .LBB144_73
	s_branch .LBB144_74
.LBB144_79:
                                        ; implicit-def: $sgpr26_sgpr27
	s_mov_b64 s[30:31], 0
	s_cbranch_execnz .LBB144_83
	s_branch .LBB144_84
.LBB144_80:
	s_mov_b64 s[30:31], 0
                                        ; implicit-def: $sgpr26_sgpr27
	s_cbranch_execz .LBB144_82
; %bb.81:
	s_and_b64 s[34:35], s[0:1], s[2:3]
	s_andn2_b64 s[26:27], s[26:27], exec
	s_and_b64 s[34:35], s[34:35], exec
	s_or_b64 s[26:27], s[26:27], s[34:35]
.LBB144_82:
	s_branch .LBB144_84
.LBB144_83:
	s_cmp_lg_u32 s9, 0
	s_mov_b64 s[28:29], -1
	s_cselect_b64 s[30:31], -1, 0
.LBB144_84:
	s_andn2_b64 vcc, exec, s[30:31]
	s_cbranch_vccz .LBB144_91
; %bb.85:
	s_andn2_b64 vcc, exec, s[28:29]
	s_cbranch_vccnz .LBB144_87
.LBB144_86:
	s_or_b64 s[0:1], s[0:1], s[2:3]
	s_andn2_b64 s[26:27], s[26:27], exec
	s_and_b64 s[0:1], s[0:1], exec
	s_or_b64 s[26:27], s[26:27], s[0:1]
.LBB144_87:
	v_mov_b32_e32 v1, 0
	v_cmp_ne_u16_sdwa s[0:1], v2, v1 src0_sel:BYTE_3 src1_sel:DWORD
	s_cmp_lt_i32 s9, 1
	s_mov_b64 s[30:31], 0
	s_cbranch_scc1 .LBB144_92
; %bb.88:
	s_cmp_gt_i32 s9, 1
	s_cbranch_scc0 .LBB144_93
; %bb.89:
	s_cmp_eq_u32 s9, 2
	s_cbranch_scc0 .LBB144_257
; %bb.90:
	s_xor_b64 s[28:29], s[0:1], -1
	s_or_b64 s[28:29], s[6:7], s[28:29]
	s_mov_b64 s[34:35], 0
	s_branch .LBB144_95
.LBB144_91:
	s_xor_b64 s[28:29], s[0:1], -1
	s_and_b64 s[30:31], s[6:7], s[28:29]
	s_andn2_b64 s[26:27], s[26:27], exec
	s_and_b64 s[30:31], s[30:31], exec
	s_or_b64 s[26:27], s[26:27], s[30:31]
	s_cbranch_execz .LBB144_86
	s_branch .LBB144_87
.LBB144_92:
                                        ; implicit-def: $sgpr28_sgpr29
	s_mov_b64 s[34:35], 0
	s_cbranch_execnz .LBB144_96
	s_branch .LBB144_97
.LBB144_93:
	s_mov_b64 s[34:35], 0
                                        ; implicit-def: $sgpr28_sgpr29
	s_cbranch_execz .LBB144_95
; %bb.94:
	s_and_b64 s[36:37], s[0:1], s[2:3]
	s_andn2_b64 s[28:29], s[28:29], exec
	s_and_b64 s[36:37], s[36:37], exec
	s_or_b64 s[28:29], s[28:29], s[36:37]
.LBB144_95:
	s_branch .LBB144_97
.LBB144_96:
	s_cmp_lg_u32 s9, 0
	s_mov_b64 s[30:31], -1
	s_cselect_b64 s[34:35], -1, 0
.LBB144_97:
	s_andn2_b64 vcc, exec, s[34:35]
	s_cbranch_vccz .LBB144_104
; %bb.98:
	s_andn2_b64 vcc, exec, s[30:31]
	s_cbranch_vccnz .LBB144_100
.LBB144_99:
	s_or_b64 s[0:1], s[0:1], s[2:3]
	s_andn2_b64 s[28:29], s[28:29], exec
	s_and_b64 s[0:1], s[0:1], exec
	s_or_b64 s[28:29], s[28:29], s[0:1]
.LBB144_100:
	v_mov_b32_e32 v1, 0
	v_cmp_ne_u16_sdwa s[0:1], v3, v1 src0_sel:BYTE_0 src1_sel:DWORD
	s_cmp_lt_i32 s9, 1
	s_mov_b64 s[34:35], 0
	s_cbranch_scc1 .LBB144_105
; %bb.101:
	s_cmp_gt_i32 s9, 1
	s_cbranch_scc0 .LBB144_106
; %bb.102:
	s_cmp_eq_u32 s9, 2
	s_cbranch_scc0 .LBB144_258
; %bb.103:
	s_xor_b64 s[30:31], s[0:1], -1
	s_or_b64 s[30:31], s[6:7], s[30:31]
	s_mov_b64 s[36:37], 0
	s_branch .LBB144_108
.LBB144_104:
	s_xor_b64 s[30:31], s[0:1], -1
	s_and_b64 s[34:35], s[6:7], s[30:31]
	s_andn2_b64 s[28:29], s[28:29], exec
	s_and_b64 s[34:35], s[34:35], exec
	s_or_b64 s[28:29], s[28:29], s[34:35]
	s_cbranch_execz .LBB144_99
	s_branch .LBB144_100
.LBB144_105:
                                        ; implicit-def: $sgpr30_sgpr31
	s_mov_b64 s[36:37], 0
	s_cbranch_execnz .LBB144_109
	s_branch .LBB144_110
.LBB144_106:
	s_mov_b64 s[36:37], 0
                                        ; implicit-def: $sgpr30_sgpr31
	s_cbranch_execz .LBB144_108
; %bb.107:
	s_and_b64 s[38:39], s[0:1], s[2:3]
	s_andn2_b64 s[30:31], s[30:31], exec
	s_and_b64 s[38:39], s[38:39], exec
	s_or_b64 s[30:31], s[30:31], s[38:39]
.LBB144_108:
	s_branch .LBB144_110
.LBB144_109:
	s_cmp_lg_u32 s9, 0
	s_mov_b64 s[34:35], -1
	s_cselect_b64 s[36:37], -1, 0
.LBB144_110:
	s_andn2_b64 vcc, exec, s[36:37]
	s_cbranch_vccz .LBB144_117
; %bb.111:
	s_andn2_b64 vcc, exec, s[34:35]
	s_cbranch_vccnz .LBB144_113
.LBB144_112:
	s_or_b64 s[0:1], s[0:1], s[2:3]
	s_andn2_b64 s[30:31], s[30:31], exec
	s_and_b64 s[0:1], s[0:1], exec
	s_or_b64 s[30:31], s[30:31], s[0:1]
.LBB144_113:
	v_mov_b32_e32 v1, 0
	v_cmp_ne_u16_sdwa s[0:1], v7, v1 src0_sel:BYTE_0 src1_sel:DWORD
	s_cmp_lt_i32 s9, 1
	s_mov_b64 s[36:37], 0
	s_cbranch_scc1 .LBB144_118
; %bb.114:
	s_cmp_gt_i32 s9, 1
	s_cbranch_scc0 .LBB144_119
; %bb.115:
	s_cmp_eq_u32 s9, 2
	s_cbranch_scc0 .LBB144_259
; %bb.116:
	s_xor_b64 s[34:35], s[0:1], -1
	s_or_b64 s[34:35], s[6:7], s[34:35]
	s_mov_b64 s[38:39], 0
	s_branch .LBB144_121
.LBB144_117:
	s_xor_b64 s[34:35], s[0:1], -1
	s_and_b64 s[36:37], s[6:7], s[34:35]
	s_andn2_b64 s[30:31], s[30:31], exec
	s_and_b64 s[36:37], s[36:37], exec
	s_or_b64 s[30:31], s[30:31], s[36:37]
	s_cbranch_execz .LBB144_112
	s_branch .LBB144_113
.LBB144_118:
                                        ; implicit-def: $sgpr34_sgpr35
	s_mov_b64 s[38:39], 0
	s_cbranch_execnz .LBB144_122
	s_branch .LBB144_123
.LBB144_119:
	s_mov_b64 s[38:39], 0
                                        ; implicit-def: $sgpr34_sgpr35
	s_cbranch_execz .LBB144_121
; %bb.120:
	s_and_b64 s[40:41], s[0:1], s[2:3]
	s_andn2_b64 s[34:35], s[34:35], exec
	s_and_b64 s[40:41], s[40:41], exec
	s_or_b64 s[34:35], s[34:35], s[40:41]
.LBB144_121:
	s_branch .LBB144_123
.LBB144_122:
	s_cmp_lg_u32 s9, 0
	s_mov_b64 s[36:37], -1
	s_cselect_b64 s[38:39], -1, 0
.LBB144_123:
	s_andn2_b64 vcc, exec, s[38:39]
	s_cbranch_vccz .LBB144_130
; %bb.124:
	s_andn2_b64 vcc, exec, s[36:37]
	s_cbranch_vccnz .LBB144_126
.LBB144_125:
	s_or_b64 s[0:1], s[0:1], s[2:3]
	s_andn2_b64 s[34:35], s[34:35], exec
	s_and_b64 s[0:1], s[0:1], exec
	s_or_b64 s[34:35], s[34:35], s[0:1]
.LBB144_126:
	s_movk_i32 s0, 0xff
	v_and_b32_sdwa v1, v3, s0 dst_sel:DWORD dst_unused:UNUSED_PAD src0_sel:WORD_1 src1_sel:DWORD
	v_cmp_ne_u16_e64 s[0:1], 0, v1
	s_cmp_lt_i32 s9, 1
	s_mov_b64 s[38:39], 0
	s_cbranch_scc1 .LBB144_131
; %bb.127:
	s_cmp_gt_i32 s9, 1
	s_cbranch_scc0 .LBB144_132
; %bb.128:
	s_cmp_eq_u32 s9, 2
	s_cbranch_scc0 .LBB144_260
; %bb.129:
	s_xor_b64 s[36:37], s[0:1], -1
	s_or_b64 s[36:37], s[6:7], s[36:37]
	s_mov_b64 s[40:41], 0
	s_branch .LBB144_134
.LBB144_130:
	s_xor_b64 s[36:37], s[0:1], -1
	s_and_b64 s[38:39], s[6:7], s[36:37]
	s_andn2_b64 s[34:35], s[34:35], exec
	s_and_b64 s[38:39], s[38:39], exec
	s_or_b64 s[34:35], s[34:35], s[38:39]
	s_cbranch_execz .LBB144_125
	s_branch .LBB144_126
.LBB144_131:
                                        ; implicit-def: $sgpr36_sgpr37
	s_mov_b64 s[40:41], 0
	s_cbranch_execnz .LBB144_135
	s_branch .LBB144_136
.LBB144_132:
	s_mov_b64 s[40:41], 0
                                        ; implicit-def: $sgpr36_sgpr37
	s_cbranch_execz .LBB144_134
; %bb.133:
	s_and_b64 s[42:43], s[0:1], s[2:3]
	s_andn2_b64 s[36:37], s[36:37], exec
	s_and_b64 s[42:43], s[42:43], exec
	s_or_b64 s[36:37], s[36:37], s[42:43]
.LBB144_134:
	s_branch .LBB144_136
.LBB144_135:
	s_cmp_lg_u32 s9, 0
	s_mov_b64 s[38:39], -1
	s_cselect_b64 s[40:41], -1, 0
.LBB144_136:
	s_andn2_b64 vcc, exec, s[40:41]
	s_cbranch_vccz .LBB144_143
; %bb.137:
	s_andn2_b64 vcc, exec, s[38:39]
	s_cbranch_vccnz .LBB144_139
.LBB144_138:
	s_or_b64 s[0:1], s[0:1], s[2:3]
	s_andn2_b64 s[36:37], s[36:37], exec
	s_and_b64 s[0:1], s[0:1], exec
	s_or_b64 s[36:37], s[36:37], s[0:1]
.LBB144_139:
	v_mov_b32_e32 v1, 0
	v_cmp_ne_u16_sdwa s[0:1], v3, v1 src0_sel:BYTE_3 src1_sel:DWORD
	s_cmp_lt_i32 s9, 1
	s_mov_b64 s[40:41], 0
	s_cbranch_scc1 .LBB144_144
; %bb.140:
	s_cmp_gt_i32 s9, 1
	s_cbranch_scc0 .LBB144_145
; %bb.141:
	s_cmp_eq_u32 s9, 2
	s_cbranch_scc0 .LBB144_261
; %bb.142:
	s_xor_b64 s[38:39], s[0:1], -1
	s_or_b64 s[38:39], s[6:7], s[38:39]
	s_mov_b64 s[42:43], 0
	s_branch .LBB144_147
.LBB144_143:
	s_xor_b64 s[38:39], s[0:1], -1
	s_and_b64 s[40:41], s[6:7], s[38:39]
	s_andn2_b64 s[36:37], s[36:37], exec
	s_and_b64 s[40:41], s[40:41], exec
	s_or_b64 s[36:37], s[36:37], s[40:41]
	s_cbranch_execz .LBB144_138
	s_branch .LBB144_139
.LBB144_144:
                                        ; implicit-def: $sgpr38_sgpr39
	s_mov_b64 s[42:43], 0
	s_cbranch_execnz .LBB144_148
	s_branch .LBB144_149
.LBB144_145:
	s_mov_b64 s[42:43], 0
                                        ; implicit-def: $sgpr38_sgpr39
	s_cbranch_execz .LBB144_147
; %bb.146:
	s_and_b64 s[44:45], s[0:1], s[2:3]
	s_andn2_b64 s[38:39], s[38:39], exec
	s_and_b64 s[44:45], s[44:45], exec
	s_or_b64 s[38:39], s[38:39], s[44:45]
.LBB144_147:
	s_branch .LBB144_149
.LBB144_148:
	s_cmp_lg_u32 s9, 0
	s_mov_b64 s[40:41], -1
	s_cselect_b64 s[42:43], -1, 0
.LBB144_149:
	s_andn2_b64 vcc, exec, s[42:43]
	s_cbranch_vccz .LBB144_156
; %bb.150:
	s_andn2_b64 vcc, exec, s[40:41]
	s_cbranch_vccnz .LBB144_152
.LBB144_151:
	s_or_b64 s[0:1], s[0:1], s[2:3]
	s_andn2_b64 s[38:39], s[38:39], exec
	s_and_b64 s[0:1], s[0:1], exec
	s_or_b64 s[38:39], s[38:39], s[0:1]
.LBB144_152:
	v_mov_b32_e32 v1, 0
	v_cmp_ne_u16_sdwa s[0:1], v4, v1 src0_sel:BYTE_0 src1_sel:DWORD
	s_cmp_lt_i32 s9, 1
	s_mov_b64 s[42:43], 0
	s_cbranch_scc1 .LBB144_157
; %bb.153:
	s_cmp_gt_i32 s9, 1
	s_cbranch_scc0 .LBB144_158
; %bb.154:
	s_cmp_eq_u32 s9, 2
	s_cbranch_scc0 .LBB144_262
; %bb.155:
	s_xor_b64 s[40:41], s[0:1], -1
	s_or_b64 s[40:41], s[6:7], s[40:41]
	s_mov_b64 s[44:45], 0
	s_branch .LBB144_160
.LBB144_156:
	s_xor_b64 s[40:41], s[0:1], -1
	s_and_b64 s[42:43], s[6:7], s[40:41]
	s_andn2_b64 s[38:39], s[38:39], exec
	s_and_b64 s[42:43], s[42:43], exec
	s_or_b64 s[38:39], s[38:39], s[42:43]
	s_cbranch_execz .LBB144_151
	s_branch .LBB144_152
.LBB144_157:
                                        ; implicit-def: $sgpr40_sgpr41
	s_mov_b64 s[44:45], 0
	s_cbranch_execnz .LBB144_161
	s_branch .LBB144_162
.LBB144_158:
	s_mov_b64 s[44:45], 0
                                        ; implicit-def: $sgpr40_sgpr41
	s_cbranch_execz .LBB144_160
; %bb.159:
	s_and_b64 s[46:47], s[0:1], s[2:3]
	s_andn2_b64 s[40:41], s[40:41], exec
	s_and_b64 s[46:47], s[46:47], exec
	s_or_b64 s[40:41], s[40:41], s[46:47]
.LBB144_160:
	s_branch .LBB144_162
.LBB144_161:
	s_cmp_lg_u32 s9, 0
	s_mov_b64 s[42:43], -1
	s_cselect_b64 s[44:45], -1, 0
.LBB144_162:
	s_andn2_b64 vcc, exec, s[44:45]
	s_cbranch_vccz .LBB144_169
; %bb.163:
	s_andn2_b64 vcc, exec, s[42:43]
	s_cbranch_vccnz .LBB144_165
.LBB144_164:
	s_or_b64 s[0:1], s[0:1], s[2:3]
	s_andn2_b64 s[40:41], s[40:41], exec
	s_and_b64 s[0:1], s[0:1], exec
	s_or_b64 s[40:41], s[40:41], s[0:1]
.LBB144_165:
	v_mov_b32_e32 v1, 0
	v_cmp_ne_u16_sdwa s[0:1], v6, v1 src0_sel:BYTE_0 src1_sel:DWORD
	s_cmp_lt_i32 s9, 1
	s_mov_b64 s[44:45], 0
	s_cbranch_scc1 .LBB144_170
; %bb.166:
	s_cmp_gt_i32 s9, 1
	s_cbranch_scc0 .LBB144_171
; %bb.167:
	s_cmp_eq_u32 s9, 2
	s_cbranch_scc0 .LBB144_263
; %bb.168:
	s_xor_b64 s[42:43], s[0:1], -1
	s_or_b64 s[42:43], s[6:7], s[42:43]
	s_mov_b64 s[46:47], 0
	s_branch .LBB144_173
.LBB144_169:
	s_xor_b64 s[42:43], s[0:1], -1
	s_and_b64 s[44:45], s[6:7], s[42:43]
	s_andn2_b64 s[40:41], s[40:41], exec
	s_and_b64 s[44:45], s[44:45], exec
	s_or_b64 s[40:41], s[40:41], s[44:45]
	s_cbranch_execz .LBB144_164
	s_branch .LBB144_165
.LBB144_170:
                                        ; implicit-def: $sgpr42_sgpr43
	s_mov_b64 s[46:47], 0
	s_cbranch_execnz .LBB144_174
	s_branch .LBB144_175
.LBB144_171:
	s_mov_b64 s[46:47], 0
                                        ; implicit-def: $sgpr42_sgpr43
	s_cbranch_execz .LBB144_173
; %bb.172:
	s_and_b64 s[48:49], s[0:1], s[2:3]
	s_andn2_b64 s[42:43], s[42:43], exec
	s_and_b64 s[48:49], s[48:49], exec
	s_or_b64 s[42:43], s[42:43], s[48:49]
.LBB144_173:
	s_branch .LBB144_175
.LBB144_174:
	s_cmp_lg_u32 s9, 0
	s_mov_b64 s[44:45], -1
	s_cselect_b64 s[46:47], -1, 0
.LBB144_175:
	s_andn2_b64 vcc, exec, s[46:47]
	s_cbranch_vccz .LBB144_182
; %bb.176:
	s_andn2_b64 vcc, exec, s[44:45]
	s_cbranch_vccnz .LBB144_178
.LBB144_177:
	s_or_b64 s[0:1], s[0:1], s[2:3]
	s_andn2_b64 s[42:43], s[42:43], exec
	s_and_b64 s[0:1], s[0:1], exec
	s_or_b64 s[42:43], s[42:43], s[0:1]
.LBB144_178:
	s_movk_i32 s0, 0xff
	v_and_b32_sdwa v1, v4, s0 dst_sel:DWORD dst_unused:UNUSED_PAD src0_sel:WORD_1 src1_sel:DWORD
	v_cmp_ne_u16_e64 s[0:1], 0, v1
	s_cmp_lt_i32 s9, 1
	s_mov_b64 s[46:47], 0
	s_cbranch_scc1 .LBB144_183
; %bb.179:
	s_cmp_gt_i32 s9, 1
	s_cbranch_scc0 .LBB144_184
; %bb.180:
	s_cmp_eq_u32 s9, 2
	s_cbranch_scc0 .LBB144_264
; %bb.181:
	s_xor_b64 s[44:45], s[0:1], -1
	s_or_b64 s[44:45], s[6:7], s[44:45]
	s_mov_b64 s[48:49], 0
	s_branch .LBB144_186
.LBB144_182:
	s_xor_b64 s[44:45], s[0:1], -1
	s_and_b64 s[46:47], s[6:7], s[44:45]
	s_andn2_b64 s[42:43], s[42:43], exec
	s_and_b64 s[46:47], s[46:47], exec
	s_or_b64 s[42:43], s[42:43], s[46:47]
	s_cbranch_execz .LBB144_177
	s_branch .LBB144_178
.LBB144_183:
                                        ; implicit-def: $sgpr44_sgpr45
	s_mov_b64 s[48:49], 0
	s_cbranch_execnz .LBB144_187
	s_branch .LBB144_188
.LBB144_184:
	s_mov_b64 s[48:49], 0
                                        ; implicit-def: $sgpr44_sgpr45
	s_cbranch_execz .LBB144_186
; %bb.185:
	s_and_b64 s[50:51], s[0:1], s[2:3]
	s_andn2_b64 s[44:45], s[44:45], exec
	s_and_b64 s[50:51], s[50:51], exec
	s_or_b64 s[44:45], s[44:45], s[50:51]
.LBB144_186:
	s_branch .LBB144_188
.LBB144_187:
	s_cmp_lg_u32 s9, 0
	s_mov_b64 s[46:47], -1
	s_cselect_b64 s[48:49], -1, 0
.LBB144_188:
	s_andn2_b64 vcc, exec, s[48:49]
	s_cbranch_vccz .LBB144_195
; %bb.189:
	s_andn2_b64 vcc, exec, s[46:47]
	s_cbranch_vccnz .LBB144_191
.LBB144_190:
	s_or_b64 s[0:1], s[0:1], s[2:3]
	s_andn2_b64 s[44:45], s[44:45], exec
	s_and_b64 s[0:1], s[0:1], exec
	s_or_b64 s[44:45], s[44:45], s[0:1]
.LBB144_191:
	v_mov_b32_e32 v1, 0
	v_cmp_ne_u16_sdwa s[46:47], v4, v1 src0_sel:BYTE_3 src1_sel:DWORD
	s_cmp_lt_i32 s9, 1
	s_mov_b64 s[48:49], 0
	s_cbranch_scc1 .LBB144_196
; %bb.192:
	s_cmp_gt_i32 s9, 1
	s_cbranch_scc0 .LBB144_197
; %bb.193:
	s_cmp_eq_u32 s9, 2
	s_cbranch_scc0 .LBB144_265
; %bb.194:
	s_xor_b64 s[0:1], s[46:47], -1
	s_or_b64 s[0:1], s[6:7], s[0:1]
	s_mov_b64 s[50:51], 0
	s_branch .LBB144_199
.LBB144_195:
	s_xor_b64 s[46:47], s[0:1], -1
	s_and_b64 s[48:49], s[6:7], s[46:47]
	s_andn2_b64 s[44:45], s[44:45], exec
	s_and_b64 s[48:49], s[48:49], exec
	s_or_b64 s[44:45], s[44:45], s[48:49]
	s_cbranch_execz .LBB144_190
	s_branch .LBB144_191
.LBB144_196:
                                        ; implicit-def: $sgpr0_sgpr1
	s_mov_b64 s[50:51], 0
	s_cbranch_execnz .LBB144_200
	s_branch .LBB144_201
.LBB144_197:
	s_mov_b64 s[50:51], 0
                                        ; implicit-def: $sgpr0_sgpr1
	s_cbranch_execz .LBB144_199
; %bb.198:
	s_and_b64 s[52:53], s[46:47], s[2:3]
	s_andn2_b64 s[0:1], s[0:1], exec
	s_and_b64 s[52:53], s[52:53], exec
	s_or_b64 s[0:1], s[0:1], s[52:53]
.LBB144_199:
	s_branch .LBB144_201
.LBB144_200:
	s_cmp_lg_u32 s9, 0
	s_mov_b64 s[48:49], -1
	s_cselect_b64 s[50:51], -1, 0
.LBB144_201:
	s_andn2_b64 vcc, exec, s[50:51]
	s_cbranch_vccz .LBB144_243
; %bb.202:
	s_andn2_b64 vcc, exec, s[48:49]
	s_cbranch_vccnz .LBB144_204
.LBB144_203:
	s_or_b64 s[2:3], s[46:47], s[2:3]
	s_andn2_b64 s[0:1], s[0:1], exec
	s_and_b64 s[2:3], s[2:3], exec
	s_or_b64 s[0:1], s[0:1], s[2:3]
.LBB144_204:
	v_cndmask_b32_e64 v1, 0, 1, s[16:17]
	v_lshlrev_b16_e32 v1, 8, v1
	v_cndmask_b32_e64 v2, 0, 1, s[4:5]
	v_or_b32_e32 v1, v2, v1
	v_cndmask_b32_e64 v2, 0, 1, s[20:21]
	v_lshlrev_b16_e32 v2, 8, v2
	v_cndmask_b32_e64 v3, 0, 1, s[18:19]
	v_or_b32_sdwa v2, v3, v2 dst_sel:WORD_1 dst_unused:UNUSED_PAD src0_sel:DWORD src1_sel:DWORD
	v_or_b32_sdwa v1, v1, v2 dst_sel:DWORD dst_unused:UNUSED_PAD src0_sel:WORD_0 src1_sel:DWORD
	v_cndmask_b32_e64 v2, 0, 1, s[24:25]
	v_lshlrev_b16_e32 v2, 8, v2
	v_cndmask_b32_e64 v3, 0, 1, s[22:23]
	v_or_b32_e32 v2, v3, v2
	v_cndmask_b32_e64 v3, 0, 1, s[28:29]
	v_lshlrev_b16_e32 v3, 8, v3
	v_cndmask_b32_e64 v4, 0, 1, s[26:27]
	v_or_b32_sdwa v3, v4, v3 dst_sel:WORD_1 dst_unused:UNUSED_PAD src0_sel:DWORD src1_sel:DWORD
	v_or_b32_sdwa v2, v2, v3 dst_sel:DWORD dst_unused:UNUSED_PAD src0_sel:WORD_0 src1_sel:DWORD
	;; [unrolled: 9-line block ×3, first 2 shown]
	v_cndmask_b32_e64 v4, 0, 1, s[42:43]
	v_lshlrev_b16_e32 v4, 8, v4
	v_cndmask_b32_e64 v6, 0, 1, s[40:41]
	v_or_b32_e32 v4, v6, v4
	v_cndmask_b32_e64 v6, 0, 1, s[0:1]
	v_lshlrev_b16_e32 v6, 8, v6
	v_cndmask_b32_e64 v7, 0, 1, s[44:45]
	s_add_u32 s2, s12, s33
	v_or_b32_sdwa v6, v7, v6 dst_sel:WORD_1 dst_unused:UNUSED_PAD src0_sel:DWORD src1_sel:DWORD
	s_addc_u32 s3, s13, s11
	v_or_b32_sdwa v4, v4, v6 dst_sel:DWORD dst_unused:UNUSED_PAD src0_sel:WORD_0 src1_sel:DWORD
	global_store_dwordx4 v5, v[1:4], s[2:3]
	s_mov_b64 s[0:1], 0
.LBB144_205:
	s_and_b64 vcc, exec, s[0:1]
	s_cbranch_vccz .LBB144_519
; %bb.206:
	v_cmp_gt_i32_e64 s[0:1], s8, v0
	s_mov_b64 s[44:45], 0
	v_or_b32_e32 v1, s33, v0
	s_mov_b64 s[46:47], 0
	v_mov_b32_e32 v2, v0
	s_and_saveexec_b64 s[2:3], s[0:1]
	s_cbranch_execz .LBB144_208
; %bb.207:
	global_load_ubyte v3, v1, s[14:15]
	v_or_b32_e32 v2, 0x100, v0
	s_waitcnt vmcnt(0)
	v_cmp_ne_u16_e32 vcc, 0, v3
	s_and_b64 s[46:47], vcc, exec
.LBB144_208:
	s_or_b64 exec, exec, s[2:3]
	v_cmp_gt_i32_e32 vcc, s8, v2
	s_and_saveexec_b64 s[2:3], vcc
	s_cbranch_execz .LBB144_210
; %bb.209:
	v_add_u32_e32 v3, s33, v2
	global_load_ubyte v3, v3, s[14:15]
	v_add_u32_e32 v2, 0x100, v2
	s_waitcnt vmcnt(0)
	v_cmp_ne_u16_e32 vcc, 0, v3
	s_and_b64 s[44:45], vcc, exec
.LBB144_210:
	s_or_b64 exec, exec, s[2:3]
	v_cmp_gt_i32_e32 vcc, s8, v2
	s_mov_b64 s[40:41], 0
	s_mov_b64 s[42:43], 0
	s_and_saveexec_b64 s[2:3], vcc
	s_cbranch_execz .LBB144_212
; %bb.211:
	v_add_u32_e32 v3, s33, v2
	global_load_ubyte v3, v3, s[14:15]
	v_add_u32_e32 v2, 0x100, v2
	s_waitcnt vmcnt(0)
	v_cmp_ne_u16_e32 vcc, 0, v3
	s_and_b64 s[42:43], vcc, exec
.LBB144_212:
	s_or_b64 exec, exec, s[2:3]
	v_cmp_gt_i32_e32 vcc, s8, v2
	s_and_saveexec_b64 s[2:3], vcc
	s_cbranch_execz .LBB144_214
; %bb.213:
	v_add_u32_e32 v3, s33, v2
	global_load_ubyte v3, v3, s[14:15]
	v_add_u32_e32 v2, 0x100, v2
	s_waitcnt vmcnt(0)
	v_cmp_ne_u16_e32 vcc, 0, v3
	s_and_b64 s[40:41], vcc, exec
.LBB144_214:
	s_or_b64 exec, exec, s[2:3]
	v_cmp_gt_i32_e32 vcc, s8, v2
	s_mov_b64 s[36:37], 0
	s_mov_b64 s[38:39], 0
	s_and_saveexec_b64 s[2:3], vcc
	s_cbranch_execz .LBB144_216
; %bb.215:
	v_add_u32_e32 v3, s33, v2
	global_load_ubyte v3, v3, s[14:15]
	v_add_u32_e32 v2, 0x100, v2
	s_waitcnt vmcnt(0)
	v_cmp_ne_u16_e32 vcc, 0, v3
	s_and_b64 s[38:39], vcc, exec
.LBB144_216:
	;; [unrolled: 26-line block ×7, first 2 shown]
	s_or_b64 exec, exec, s[4:5]
	v_cmp_gt_i32_e32 vcc, s8, v2
	s_and_saveexec_b64 s[4:5], vcc
	s_cbranch_execz .LBB144_238
; %bb.237:
	v_add_u32_e32 v2, s33, v2
	global_load_ubyte v2, v2, s[14:15]
	s_waitcnt vmcnt(0)
	v_cmp_ne_u16_e32 vcc, 0, v2
	s_and_b64 s[2:3], vcc, exec
.LBB144_238:
	s_or_b64 exec, exec, s[4:5]
	s_bitcmp1_b32 s10, 0
	s_cselect_b64 s[6:7], -1, 0
	v_mov_b32_e32 v5, 0
	s_xor_b64 s[4:5], s[6:7], -1
	v_mov_b32_e32 v4, v5
	v_mov_b32_e32 v3, v5
	;; [unrolled: 1-line block ×3, first 2 shown]
	s_and_saveexec_b64 s[10:11], s[0:1]
	s_cbranch_execz .LBB144_276
; %bb.239:
	s_cmp_lt_i32 s9, 1
	s_mov_b64 s[14:15], 0
	s_cbranch_scc1 .LBB144_244
; %bb.240:
	s_cmp_gt_i32 s9, 1
	s_cbranch_scc0 .LBB144_266
; %bb.241:
	s_cmp_eq_u32 s9, 2
	s_cbranch_scc0 .LBB144_267
; %bb.242:
	s_xor_b64 s[48:49], s[46:47], -1
	s_or_b64 s[48:49], s[6:7], s[48:49]
	s_mov_b64 s[50:51], 0
	s_branch .LBB144_268
.LBB144_243:
	s_xor_b64 s[48:49], s[46:47], -1
	s_and_b64 s[6:7], s[6:7], s[48:49]
	s_andn2_b64 s[0:1], s[0:1], exec
	s_and_b64 s[6:7], s[6:7], exec
	s_or_b64 s[0:1], s[0:1], s[6:7]
	s_cbranch_execz .LBB144_203
	s_branch .LBB144_204
.LBB144_244:
                                        ; implicit-def: $sgpr48_sgpr49
	s_mov_b64 s[50:51], 0
	s_cbranch_execnz .LBB144_271
	s_branch .LBB144_272
.LBB144_245:
	s_mov_b64 s[20:21], -1
                                        ; implicit-def: $sgpr16_sgpr17
	s_branch .LBB144_16
.LBB144_246:
	s_mov_b64 s[18:19], -1
                                        ; implicit-def: $sgpr4_sgpr5
.LBB144_247:
	s_branch .LBB144_249
.LBB144_248:
	s_and_b64 s[20:21], s[0:1], s[2:3]
	s_andn2_b64 s[4:5], s[4:5], exec
	s_and_b64 s[20:21], s[20:21], exec
	s_or_b64 s[4:5], s[4:5], s[20:21]
.LBB144_249:
	s_branch .LBB144_3
.LBB144_250:
	s_cmp_lg_u32 s9, 0
	s_mov_b64 s[16:17], -1
	s_cselect_b64 s[18:19], -1, 0
	s_andn2_b64 vcc, exec, s[18:19]
	s_cbranch_vccnz .LBB144_4
.LBB144_251:
	s_xor_b64 s[16:17], s[0:1], -1
	s_and_b64 s[18:19], s[6:7], s[16:17]
	s_andn2_b64 s[4:5], s[4:5], exec
	s_and_b64 s[18:19], s[18:19], exec
	s_or_b64 s[4:5], s[4:5], s[18:19]
	s_cbranch_execz .LBB144_5
	s_branch .LBB144_6
.LBB144_252:
	s_mov_b64 s[22:23], -1
                                        ; implicit-def: $sgpr18_sgpr19
	s_branch .LBB144_30
.LBB144_253:
	s_mov_b64 s[24:25], -1
                                        ; implicit-def: $sgpr20_sgpr21
	s_branch .LBB144_43
.LBB144_254:
	s_mov_b64 s[26:27], -1
                                        ; implicit-def: $sgpr22_sgpr23
	s_branch .LBB144_56
.LBB144_255:
	s_mov_b64 s[28:29], -1
                                        ; implicit-def: $sgpr24_sgpr25
	s_branch .LBB144_69
.LBB144_256:
	s_mov_b64 s[30:31], -1
                                        ; implicit-def: $sgpr26_sgpr27
	s_branch .LBB144_82
.LBB144_257:
	s_mov_b64 s[34:35], -1
                                        ; implicit-def: $sgpr28_sgpr29
	s_branch .LBB144_95
.LBB144_258:
	s_mov_b64 s[36:37], -1
                                        ; implicit-def: $sgpr30_sgpr31
	s_branch .LBB144_108
.LBB144_259:
	s_mov_b64 s[38:39], -1
                                        ; implicit-def: $sgpr34_sgpr35
	s_branch .LBB144_121
.LBB144_260:
	s_mov_b64 s[40:41], -1
                                        ; implicit-def: $sgpr36_sgpr37
	s_branch .LBB144_134
.LBB144_261:
	s_mov_b64 s[42:43], -1
                                        ; implicit-def: $sgpr38_sgpr39
	s_branch .LBB144_147
.LBB144_262:
	s_mov_b64 s[44:45], -1
                                        ; implicit-def: $sgpr40_sgpr41
	s_branch .LBB144_160
.LBB144_263:
	s_mov_b64 s[46:47], -1
                                        ; implicit-def: $sgpr42_sgpr43
	s_branch .LBB144_173
.LBB144_264:
	s_mov_b64 s[48:49], -1
                                        ; implicit-def: $sgpr44_sgpr45
	s_branch .LBB144_186
.LBB144_265:
	s_mov_b64 s[50:51], -1
                                        ; implicit-def: $sgpr0_sgpr1
	s_branch .LBB144_199
.LBB144_266:
	s_mov_b64 s[50:51], 0
                                        ; implicit-def: $sgpr48_sgpr49
	s_cbranch_execnz .LBB144_269
	s_branch .LBB144_270
.LBB144_267:
	s_mov_b64 s[50:51], -1
                                        ; implicit-def: $sgpr48_sgpr49
.LBB144_268:
	s_branch .LBB144_270
.LBB144_269:
	s_and_b64 s[52:53], s[46:47], s[4:5]
	s_andn2_b64 s[48:49], s[48:49], exec
	s_and_b64 s[52:53], s[52:53], exec
	s_or_b64 s[48:49], s[48:49], s[52:53]
.LBB144_270:
	s_branch .LBB144_272
.LBB144_271:
	s_cmp_lg_u32 s9, 0
	s_mov_b64 s[14:15], -1
	s_cselect_b64 s[50:51], -1, 0
.LBB144_272:
	s_andn2_b64 vcc, exec, s[50:51]
	s_cbranch_vccz .LBB144_281
; %bb.273:
	s_andn2_b64 vcc, exec, s[14:15]
	s_cbranch_vccnz .LBB144_275
.LBB144_274:
	s_or_b64 s[14:15], s[46:47], s[4:5]
	s_andn2_b64 s[46:47], s[48:49], exec
	s_and_b64 s[14:15], s[14:15], exec
	s_or_b64 s[48:49], s[46:47], s[14:15]
.LBB144_275:
	v_cndmask_b32_e64 v2, 0, 1, s[48:49]
	v_mov_b32_e32 v4, 0
	v_and_b32_e32 v5, 0xffff, v2
	v_mov_b32_e32 v3, v4
	v_mov_b32_e32 v2, v4
.LBB144_276:
	s_or_b64 exec, exec, s[10:11]
	v_or_b32_e32 v6, 0x100, v0
	v_cmp_gt_i32_e32 vcc, s8, v6
	s_and_saveexec_b64 s[10:11], vcc
	s_cbranch_execz .LBB144_291
; %bb.277:
	s_cmp_lt_i32 s9, 1
	s_mov_b64 s[14:15], 0
	s_cbranch_scc1 .LBB144_282
; %bb.278:
	s_cmp_gt_i32 s9, 1
	s_cbranch_scc0 .LBB144_283
; %bb.279:
	s_cmp_eq_u32 s9, 2
	s_cbranch_scc0 .LBB144_535
; %bb.280:
	s_xor_b64 s[46:47], s[44:45], -1
	s_or_b64 s[46:47], s[6:7], s[46:47]
	s_mov_b64 s[48:49], 0
	s_branch .LBB144_285
.LBB144_281:
	s_xor_b64 s[14:15], s[46:47], -1
	s_and_b64 s[50:51], s[6:7], s[14:15]
	s_andn2_b64 s[48:49], s[48:49], exec
	s_and_b64 s[50:51], s[50:51], exec
	s_or_b64 s[48:49], s[48:49], s[50:51]
	s_cbranch_execz .LBB144_274
	s_branch .LBB144_275
.LBB144_282:
                                        ; implicit-def: $sgpr46_sgpr47
	s_mov_b64 s[48:49], 0
	s_cbranch_execnz .LBB144_286
	s_branch .LBB144_287
.LBB144_283:
	s_mov_b64 s[48:49], 0
                                        ; implicit-def: $sgpr46_sgpr47
	s_cbranch_execz .LBB144_285
; %bb.284:
	s_and_b64 s[50:51], s[44:45], s[4:5]
	s_andn2_b64 s[46:47], s[46:47], exec
	s_and_b64 s[50:51], s[50:51], exec
	s_or_b64 s[46:47], s[46:47], s[50:51]
.LBB144_285:
	s_branch .LBB144_287
.LBB144_286:
	s_cmp_lg_u32 s9, 0
	s_mov_b64 s[14:15], -1
	s_cselect_b64 s[48:49], -1, 0
.LBB144_287:
	s_andn2_b64 vcc, exec, s[48:49]
	s_cbranch_vccz .LBB144_296
; %bb.288:
	s_andn2_b64 vcc, exec, s[14:15]
	s_cbranch_vccnz .LBB144_290
.LBB144_289:
	s_or_b64 s[14:15], s[44:45], s[4:5]
	s_andn2_b64 s[44:45], s[46:47], exec
	s_and_b64 s[14:15], s[14:15], exec
	s_or_b64 s[46:47], s[44:45], s[14:15]
.LBB144_290:
	v_cndmask_b32_e64 v7, 0, 1, s[46:47]
	v_lshlrev_b16_e32 v7, 8, v7
	v_or_b32_sdwa v7, v5, v7 dst_sel:DWORD dst_unused:UNUSED_PAD src0_sel:BYTE_0 src1_sel:DWORD
	v_and_b32_e32 v7, 0xffff, v7
	s_mov_b32 s14, 0xffff0000
	v_and_or_b32 v5, v5, s14, v7
.LBB144_291:
	s_or_b64 exec, exec, s[10:11]
	v_or_b32_e32 v7, 0x200, v0
	v_cmp_gt_i32_e32 vcc, s8, v7
	s_and_saveexec_b64 s[10:11], vcc
	s_cbranch_execz .LBB144_306
; %bb.292:
	s_cmp_lt_i32 s9, 1
	s_mov_b64 s[14:15], 0
	s_cbranch_scc1 .LBB144_297
; %bb.293:
	s_cmp_gt_i32 s9, 1
	s_cbranch_scc0 .LBB144_298
; %bb.294:
	s_cmp_eq_u32 s9, 2
	s_cbranch_scc0 .LBB144_536
; %bb.295:
	s_xor_b64 s[44:45], s[42:43], -1
	s_or_b64 s[44:45], s[6:7], s[44:45]
	s_mov_b64 s[46:47], 0
	s_branch .LBB144_300
.LBB144_296:
	s_xor_b64 s[14:15], s[44:45], -1
	s_and_b64 s[48:49], s[6:7], s[14:15]
	s_andn2_b64 s[46:47], s[46:47], exec
	s_and_b64 s[48:49], s[48:49], exec
	s_or_b64 s[46:47], s[46:47], s[48:49]
	s_cbranch_execz .LBB144_289
	s_branch .LBB144_290
.LBB144_297:
                                        ; implicit-def: $sgpr44_sgpr45
	s_mov_b64 s[46:47], 0
	s_cbranch_execnz .LBB144_301
	s_branch .LBB144_302
.LBB144_298:
	s_mov_b64 s[46:47], 0
                                        ; implicit-def: $sgpr44_sgpr45
	s_cbranch_execz .LBB144_300
; %bb.299:
	s_and_b64 s[48:49], s[42:43], s[4:5]
	s_andn2_b64 s[44:45], s[44:45], exec
	s_and_b64 s[48:49], s[48:49], exec
	s_or_b64 s[44:45], s[44:45], s[48:49]
.LBB144_300:
	s_branch .LBB144_302
.LBB144_301:
	s_cmp_lg_u32 s9, 0
	s_mov_b64 s[14:15], -1
	s_cselect_b64 s[46:47], -1, 0
.LBB144_302:
	s_andn2_b64 vcc, exec, s[46:47]
	s_cbranch_vccz .LBB144_311
; %bb.303:
	s_andn2_b64 vcc, exec, s[14:15]
	s_cbranch_vccnz .LBB144_305
.LBB144_304:
	s_or_b64 s[14:15], s[42:43], s[4:5]
	s_andn2_b64 s[42:43], s[44:45], exec
	s_and_b64 s[14:15], s[14:15], exec
	s_or_b64 s[44:45], s[42:43], s[14:15]
.LBB144_305:
	s_movk_i32 s14, 0xff00
	v_and_b32_sdwa v7, v5, s14 dst_sel:DWORD dst_unused:UNUSED_PAD src0_sel:WORD_1 src1_sel:DWORD
	v_cndmask_b32_e64 v8, 0, 1, s[44:45]
	v_or_b32_sdwa v7, v8, v7 dst_sel:WORD_1 dst_unused:UNUSED_PAD src0_sel:DWORD src1_sel:DWORD
	s_mov_b32 s14, 0xffff
	v_and_or_b32 v5, v5, s14, v7
.LBB144_306:
	s_or_b64 exec, exec, s[10:11]
	v_or_b32_e32 v7, 0x300, v0
	v_cmp_gt_i32_e32 vcc, s8, v7
	s_and_saveexec_b64 s[10:11], vcc
	s_cbranch_execz .LBB144_321
; %bb.307:
	s_cmp_lt_i32 s9, 1
	s_mov_b64 s[14:15], 0
	s_cbranch_scc1 .LBB144_312
; %bb.308:
	s_cmp_gt_i32 s9, 1
	s_cbranch_scc0 .LBB144_313
; %bb.309:
	s_cmp_eq_u32 s9, 2
	s_cbranch_scc0 .LBB144_537
; %bb.310:
	s_xor_b64 s[42:43], s[40:41], -1
	s_or_b64 s[42:43], s[6:7], s[42:43]
	s_mov_b64 s[44:45], 0
	s_branch .LBB144_315
.LBB144_311:
	s_xor_b64 s[14:15], s[42:43], -1
	s_and_b64 s[46:47], s[6:7], s[14:15]
	s_andn2_b64 s[44:45], s[44:45], exec
	s_and_b64 s[46:47], s[46:47], exec
	s_or_b64 s[44:45], s[44:45], s[46:47]
	s_cbranch_execz .LBB144_304
	s_branch .LBB144_305
.LBB144_312:
                                        ; implicit-def: $sgpr42_sgpr43
	s_mov_b64 s[44:45], 0
	s_cbranch_execnz .LBB144_316
	s_branch .LBB144_317
.LBB144_313:
	s_mov_b64 s[44:45], 0
                                        ; implicit-def: $sgpr42_sgpr43
	s_cbranch_execz .LBB144_315
; %bb.314:
	s_and_b64 s[46:47], s[40:41], s[4:5]
	s_andn2_b64 s[42:43], s[42:43], exec
	s_and_b64 s[46:47], s[46:47], exec
	s_or_b64 s[42:43], s[42:43], s[46:47]
.LBB144_315:
	s_branch .LBB144_317
.LBB144_316:
	s_cmp_lg_u32 s9, 0
	s_mov_b64 s[14:15], -1
	s_cselect_b64 s[44:45], -1, 0
.LBB144_317:
	s_andn2_b64 vcc, exec, s[44:45]
	s_cbranch_vccz .LBB144_326
; %bb.318:
	s_andn2_b64 vcc, exec, s[14:15]
	s_cbranch_vccnz .LBB144_320
.LBB144_319:
	s_or_b64 s[14:15], s[40:41], s[4:5]
	s_andn2_b64 s[40:41], s[42:43], exec
	s_and_b64 s[14:15], s[14:15], exec
	s_or_b64 s[42:43], s[40:41], s[14:15]
.LBB144_320:
	s_movk_i32 s14, 0xff
	v_cndmask_b32_e64 v8, 0, 1, s[42:43]
	v_and_b32_sdwa v7, v5, s14 dst_sel:DWORD dst_unused:UNUSED_PAD src0_sel:WORD_1 src1_sel:DWORD
	v_lshlrev_b16_e32 v8, 8, v8
	v_or_b32_sdwa v7, v7, v8 dst_sel:WORD_1 dst_unused:UNUSED_PAD src0_sel:DWORD src1_sel:DWORD
	s_mov_b32 s14, 0xffff
	v_and_or_b32 v5, v5, s14, v7
.LBB144_321:
	s_or_b64 exec, exec, s[10:11]
	v_or_b32_e32 v7, 0x400, v0
	v_cmp_gt_i32_e32 vcc, s8, v7
	s_and_saveexec_b64 s[10:11], vcc
	s_cbranch_execz .LBB144_336
; %bb.322:
	s_cmp_lt_i32 s9, 1
	s_mov_b64 s[14:15], 0
	s_cbranch_scc1 .LBB144_327
; %bb.323:
	s_cmp_gt_i32 s9, 1
	s_cbranch_scc0 .LBB144_328
; %bb.324:
	s_cmp_eq_u32 s9, 2
	s_cbranch_scc0 .LBB144_538
; %bb.325:
	s_xor_b64 s[40:41], s[38:39], -1
	s_or_b64 s[40:41], s[6:7], s[40:41]
	s_mov_b64 s[42:43], 0
	s_branch .LBB144_330
.LBB144_326:
	s_xor_b64 s[14:15], s[40:41], -1
	s_and_b64 s[44:45], s[6:7], s[14:15]
	s_andn2_b64 s[42:43], s[42:43], exec
	s_and_b64 s[44:45], s[44:45], exec
	s_or_b64 s[42:43], s[42:43], s[44:45]
	s_cbranch_execz .LBB144_319
	s_branch .LBB144_320
.LBB144_327:
                                        ; implicit-def: $sgpr40_sgpr41
	s_mov_b64 s[42:43], 0
	s_cbranch_execnz .LBB144_331
	s_branch .LBB144_332
.LBB144_328:
	s_mov_b64 s[42:43], 0
                                        ; implicit-def: $sgpr40_sgpr41
	s_cbranch_execz .LBB144_330
; %bb.329:
	s_and_b64 s[44:45], s[38:39], s[4:5]
	s_andn2_b64 s[40:41], s[40:41], exec
	s_and_b64 s[44:45], s[44:45], exec
	s_or_b64 s[40:41], s[40:41], s[44:45]
.LBB144_330:
	s_branch .LBB144_332
.LBB144_331:
	s_cmp_lg_u32 s9, 0
	s_mov_b64 s[14:15], -1
	s_cselect_b64 s[42:43], -1, 0
.LBB144_332:
	s_andn2_b64 vcc, exec, s[42:43]
	s_cbranch_vccz .LBB144_341
; %bb.333:
	s_andn2_b64 vcc, exec, s[14:15]
	s_cbranch_vccnz .LBB144_335
.LBB144_334:
	s_or_b64 s[14:15], s[38:39], s[4:5]
	s_andn2_b64 s[38:39], s[40:41], exec
	s_and_b64 s[14:15], s[14:15], exec
	s_or_b64 s[40:41], s[38:39], s[14:15]
.LBB144_335:
	v_and_b32_e32 v7, 0xffffff00, v4
	v_cndmask_b32_e64 v8, 0, 1, s[40:41]
	v_or_b32_e32 v7, v8, v7
	v_and_b32_e32 v7, 0xffff, v7
	s_mov_b32 s14, 0xffff0000
	v_and_or_b32 v4, v4, s14, v7
.LBB144_336:
	s_or_b64 exec, exec, s[10:11]
	v_or_b32_e32 v7, 0x500, v0
	v_cmp_gt_i32_e32 vcc, s8, v7
	s_and_saveexec_b64 s[10:11], vcc
	s_cbranch_execz .LBB144_351
; %bb.337:
	s_cmp_lt_i32 s9, 1
	s_mov_b64 s[14:15], 0
	s_cbranch_scc1 .LBB144_342
; %bb.338:
	s_cmp_gt_i32 s9, 1
	s_cbranch_scc0 .LBB144_343
; %bb.339:
	s_cmp_eq_u32 s9, 2
	s_cbranch_scc0 .LBB144_539
; %bb.340:
	s_xor_b64 s[38:39], s[36:37], -1
	s_or_b64 s[38:39], s[6:7], s[38:39]
	s_mov_b64 s[40:41], 0
	s_branch .LBB144_345
.LBB144_341:
	s_xor_b64 s[14:15], s[38:39], -1
	s_and_b64 s[42:43], s[6:7], s[14:15]
	s_andn2_b64 s[40:41], s[40:41], exec
	s_and_b64 s[42:43], s[42:43], exec
	s_or_b64 s[40:41], s[40:41], s[42:43]
	s_cbranch_execz .LBB144_334
	s_branch .LBB144_335
.LBB144_342:
                                        ; implicit-def: $sgpr38_sgpr39
	s_mov_b64 s[40:41], 0
	s_cbranch_execnz .LBB144_346
	s_branch .LBB144_347
.LBB144_343:
	s_mov_b64 s[40:41], 0
                                        ; implicit-def: $sgpr38_sgpr39
	s_cbranch_execz .LBB144_345
; %bb.344:
	s_and_b64 s[42:43], s[36:37], s[4:5]
	s_andn2_b64 s[38:39], s[38:39], exec
	s_and_b64 s[42:43], s[42:43], exec
	s_or_b64 s[38:39], s[38:39], s[42:43]
.LBB144_345:
	s_branch .LBB144_347
.LBB144_346:
	s_cmp_lg_u32 s9, 0
	s_mov_b64 s[14:15], -1
	s_cselect_b64 s[40:41], -1, 0
.LBB144_347:
	s_andn2_b64 vcc, exec, s[40:41]
	s_cbranch_vccz .LBB144_356
; %bb.348:
	s_andn2_b64 vcc, exec, s[14:15]
	s_cbranch_vccnz .LBB144_350
.LBB144_349:
	s_or_b64 s[14:15], s[36:37], s[4:5]
	s_andn2_b64 s[36:37], s[38:39], exec
	s_and_b64 s[14:15], s[14:15], exec
	s_or_b64 s[38:39], s[36:37], s[14:15]
.LBB144_350:
	v_cndmask_b32_e64 v7, 0, 1, s[38:39]
	v_lshlrev_b16_e32 v7, 8, v7
	v_or_b32_sdwa v7, v4, v7 dst_sel:DWORD dst_unused:UNUSED_PAD src0_sel:BYTE_0 src1_sel:DWORD
	v_and_b32_e32 v7, 0xffff, v7
	s_mov_b32 s14, 0xffff0000
	v_and_or_b32 v4, v4, s14, v7
.LBB144_351:
	s_or_b64 exec, exec, s[10:11]
	v_or_b32_e32 v7, 0x600, v0
	v_cmp_gt_i32_e32 vcc, s8, v7
	s_and_saveexec_b64 s[10:11], vcc
	s_cbranch_execz .LBB144_366
; %bb.352:
	s_cmp_lt_i32 s9, 1
	s_mov_b64 s[14:15], 0
	s_cbranch_scc1 .LBB144_357
; %bb.353:
	s_cmp_gt_i32 s9, 1
	s_cbranch_scc0 .LBB144_358
; %bb.354:
	s_cmp_eq_u32 s9, 2
	s_cbranch_scc0 .LBB144_540
; %bb.355:
	s_xor_b64 s[36:37], s[34:35], -1
	s_or_b64 s[36:37], s[6:7], s[36:37]
	s_mov_b64 s[38:39], 0
	s_branch .LBB144_360
.LBB144_356:
	s_xor_b64 s[14:15], s[36:37], -1
	s_and_b64 s[40:41], s[6:7], s[14:15]
	s_andn2_b64 s[38:39], s[38:39], exec
	s_and_b64 s[40:41], s[40:41], exec
	s_or_b64 s[38:39], s[38:39], s[40:41]
	s_cbranch_execz .LBB144_349
	s_branch .LBB144_350
.LBB144_357:
                                        ; implicit-def: $sgpr36_sgpr37
	s_mov_b64 s[38:39], 0
	s_cbranch_execnz .LBB144_361
	s_branch .LBB144_362
.LBB144_358:
	s_mov_b64 s[38:39], 0
                                        ; implicit-def: $sgpr36_sgpr37
	s_cbranch_execz .LBB144_360
; %bb.359:
	s_and_b64 s[40:41], s[34:35], s[4:5]
	s_andn2_b64 s[36:37], s[36:37], exec
	s_and_b64 s[40:41], s[40:41], exec
	s_or_b64 s[36:37], s[36:37], s[40:41]
.LBB144_360:
	s_branch .LBB144_362
.LBB144_361:
	s_cmp_lg_u32 s9, 0
	s_mov_b64 s[14:15], -1
	s_cselect_b64 s[38:39], -1, 0
.LBB144_362:
	s_andn2_b64 vcc, exec, s[38:39]
	s_cbranch_vccz .LBB144_371
; %bb.363:
	s_andn2_b64 vcc, exec, s[14:15]
	s_cbranch_vccnz .LBB144_365
.LBB144_364:
	s_or_b64 s[14:15], s[34:35], s[4:5]
	s_andn2_b64 s[34:35], s[36:37], exec
	s_and_b64 s[14:15], s[14:15], exec
	s_or_b64 s[36:37], s[34:35], s[14:15]
.LBB144_365:
	s_movk_i32 s14, 0xff00
	v_and_b32_sdwa v7, v4, s14 dst_sel:DWORD dst_unused:UNUSED_PAD src0_sel:WORD_1 src1_sel:DWORD
	v_cndmask_b32_e64 v8, 0, 1, s[36:37]
	v_or_b32_sdwa v7, v8, v7 dst_sel:WORD_1 dst_unused:UNUSED_PAD src0_sel:DWORD src1_sel:DWORD
	s_mov_b32 s14, 0xffff
	v_and_or_b32 v4, v4, s14, v7
.LBB144_366:
	s_or_b64 exec, exec, s[10:11]
	v_or_b32_e32 v7, 0x700, v0
	v_cmp_gt_i32_e32 vcc, s8, v7
	s_and_saveexec_b64 s[10:11], vcc
	s_cbranch_execz .LBB144_381
; %bb.367:
	s_cmp_lt_i32 s9, 1
	s_mov_b64 s[14:15], 0
	s_cbranch_scc1 .LBB144_372
; %bb.368:
	s_cmp_gt_i32 s9, 1
	s_cbranch_scc0 .LBB144_373
; %bb.369:
	s_cmp_eq_u32 s9, 2
	s_cbranch_scc0 .LBB144_541
; %bb.370:
	s_xor_b64 s[34:35], s[30:31], -1
	s_or_b64 s[34:35], s[6:7], s[34:35]
	s_mov_b64 s[36:37], 0
	s_branch .LBB144_375
.LBB144_371:
	s_xor_b64 s[14:15], s[34:35], -1
	s_and_b64 s[38:39], s[6:7], s[14:15]
	s_andn2_b64 s[36:37], s[36:37], exec
	s_and_b64 s[38:39], s[38:39], exec
	s_or_b64 s[36:37], s[36:37], s[38:39]
	s_cbranch_execz .LBB144_364
	s_branch .LBB144_365
.LBB144_372:
                                        ; implicit-def: $sgpr34_sgpr35
	s_mov_b64 s[36:37], 0
	s_cbranch_execnz .LBB144_376
	s_branch .LBB144_377
.LBB144_373:
	s_mov_b64 s[36:37], 0
                                        ; implicit-def: $sgpr34_sgpr35
	s_cbranch_execz .LBB144_375
; %bb.374:
	s_and_b64 s[38:39], s[30:31], s[4:5]
	s_andn2_b64 s[34:35], s[34:35], exec
	s_and_b64 s[38:39], s[38:39], exec
	s_or_b64 s[34:35], s[34:35], s[38:39]
.LBB144_375:
	s_branch .LBB144_377
.LBB144_376:
	s_cmp_lg_u32 s9, 0
	s_mov_b64 s[14:15], -1
	s_cselect_b64 s[36:37], -1, 0
.LBB144_377:
	s_andn2_b64 vcc, exec, s[36:37]
	s_cbranch_vccz .LBB144_386
; %bb.378:
	s_andn2_b64 vcc, exec, s[14:15]
	s_cbranch_vccnz .LBB144_380
.LBB144_379:
	s_or_b64 s[14:15], s[30:31], s[4:5]
	s_andn2_b64 s[30:31], s[34:35], exec
	s_and_b64 s[14:15], s[14:15], exec
	s_or_b64 s[34:35], s[30:31], s[14:15]
.LBB144_380:
	s_movk_i32 s14, 0xff
	v_cndmask_b32_e64 v8, 0, 1, s[34:35]
	v_and_b32_sdwa v7, v4, s14 dst_sel:DWORD dst_unused:UNUSED_PAD src0_sel:WORD_1 src1_sel:DWORD
	v_lshlrev_b16_e32 v8, 8, v8
	v_or_b32_sdwa v7, v7, v8 dst_sel:WORD_1 dst_unused:UNUSED_PAD src0_sel:DWORD src1_sel:DWORD
	s_mov_b32 s14, 0xffff
	v_and_or_b32 v4, v4, s14, v7
.LBB144_381:
	s_or_b64 exec, exec, s[10:11]
	v_or_b32_e32 v7, 0x800, v0
	v_cmp_gt_i32_e32 vcc, s8, v7
	s_and_saveexec_b64 s[10:11], vcc
	s_cbranch_execz .LBB144_396
; %bb.382:
	s_cmp_lt_i32 s9, 1
	s_mov_b64 s[14:15], 0
	s_cbranch_scc1 .LBB144_387
; %bb.383:
	s_cmp_gt_i32 s9, 1
	s_cbranch_scc0 .LBB144_388
; %bb.384:
	s_cmp_eq_u32 s9, 2
	s_cbranch_scc0 .LBB144_542
; %bb.385:
	s_xor_b64 s[30:31], s[28:29], -1
	s_or_b64 s[30:31], s[6:7], s[30:31]
	s_mov_b64 s[34:35], 0
	s_branch .LBB144_390
.LBB144_386:
	s_xor_b64 s[14:15], s[30:31], -1
	s_and_b64 s[36:37], s[6:7], s[14:15]
	s_andn2_b64 s[34:35], s[34:35], exec
	s_and_b64 s[36:37], s[36:37], exec
	s_or_b64 s[34:35], s[34:35], s[36:37]
	s_cbranch_execz .LBB144_379
	s_branch .LBB144_380
.LBB144_387:
                                        ; implicit-def: $sgpr30_sgpr31
	s_mov_b64 s[34:35], 0
	s_cbranch_execnz .LBB144_391
	s_branch .LBB144_392
.LBB144_388:
	s_mov_b64 s[34:35], 0
                                        ; implicit-def: $sgpr30_sgpr31
	s_cbranch_execz .LBB144_390
; %bb.389:
	s_and_b64 s[36:37], s[28:29], s[4:5]
	s_andn2_b64 s[30:31], s[30:31], exec
	s_and_b64 s[36:37], s[36:37], exec
	s_or_b64 s[30:31], s[30:31], s[36:37]
.LBB144_390:
	s_branch .LBB144_392
.LBB144_391:
	s_cmp_lg_u32 s9, 0
	s_mov_b64 s[14:15], -1
	s_cselect_b64 s[34:35], -1, 0
.LBB144_392:
	s_andn2_b64 vcc, exec, s[34:35]
	s_cbranch_vccz .LBB144_401
; %bb.393:
	s_andn2_b64 vcc, exec, s[14:15]
	s_cbranch_vccnz .LBB144_395
.LBB144_394:
	s_or_b64 s[14:15], s[28:29], s[4:5]
	s_andn2_b64 s[28:29], s[30:31], exec
	s_and_b64 s[14:15], s[14:15], exec
	s_or_b64 s[30:31], s[28:29], s[14:15]
.LBB144_395:
	v_and_b32_e32 v7, 0xffffff00, v3
	v_cndmask_b32_e64 v8, 0, 1, s[30:31]
	v_or_b32_e32 v7, v8, v7
	v_and_b32_e32 v7, 0xffff, v7
	s_mov_b32 s14, 0xffff0000
	v_and_or_b32 v3, v3, s14, v7
.LBB144_396:
	s_or_b64 exec, exec, s[10:11]
	v_or_b32_e32 v7, 0x900, v0
	v_cmp_gt_i32_e32 vcc, s8, v7
	s_and_saveexec_b64 s[10:11], vcc
	s_cbranch_execz .LBB144_411
; %bb.397:
	s_cmp_lt_i32 s9, 1
	s_mov_b64 s[14:15], 0
	s_cbranch_scc1 .LBB144_402
; %bb.398:
	s_cmp_gt_i32 s9, 1
	s_cbranch_scc0 .LBB144_403
; %bb.399:
	s_cmp_eq_u32 s9, 2
	s_cbranch_scc0 .LBB144_543
; %bb.400:
	s_xor_b64 s[28:29], s[26:27], -1
	s_or_b64 s[28:29], s[6:7], s[28:29]
	s_mov_b64 s[30:31], 0
	s_branch .LBB144_405
.LBB144_401:
	s_xor_b64 s[14:15], s[28:29], -1
	s_and_b64 s[34:35], s[6:7], s[14:15]
	s_andn2_b64 s[30:31], s[30:31], exec
	s_and_b64 s[34:35], s[34:35], exec
	s_or_b64 s[30:31], s[30:31], s[34:35]
	s_cbranch_execz .LBB144_394
	s_branch .LBB144_395
.LBB144_402:
                                        ; implicit-def: $sgpr28_sgpr29
	s_mov_b64 s[30:31], 0
	s_cbranch_execnz .LBB144_406
	s_branch .LBB144_407
.LBB144_403:
	s_mov_b64 s[30:31], 0
                                        ; implicit-def: $sgpr28_sgpr29
	s_cbranch_execz .LBB144_405
; %bb.404:
	s_and_b64 s[34:35], s[26:27], s[4:5]
	s_andn2_b64 s[28:29], s[28:29], exec
	s_and_b64 s[34:35], s[34:35], exec
	s_or_b64 s[28:29], s[28:29], s[34:35]
.LBB144_405:
	s_branch .LBB144_407
.LBB144_406:
	s_cmp_lg_u32 s9, 0
	s_mov_b64 s[14:15], -1
	s_cselect_b64 s[30:31], -1, 0
.LBB144_407:
	s_andn2_b64 vcc, exec, s[30:31]
	s_cbranch_vccz .LBB144_416
; %bb.408:
	s_andn2_b64 vcc, exec, s[14:15]
	s_cbranch_vccnz .LBB144_410
.LBB144_409:
	s_or_b64 s[14:15], s[26:27], s[4:5]
	s_andn2_b64 s[26:27], s[28:29], exec
	s_and_b64 s[14:15], s[14:15], exec
	s_or_b64 s[28:29], s[26:27], s[14:15]
.LBB144_410:
	v_cndmask_b32_e64 v7, 0, 1, s[28:29]
	v_lshlrev_b16_e32 v7, 8, v7
	v_or_b32_sdwa v7, v3, v7 dst_sel:DWORD dst_unused:UNUSED_PAD src0_sel:BYTE_0 src1_sel:DWORD
	v_and_b32_e32 v7, 0xffff, v7
	s_mov_b32 s14, 0xffff0000
	v_and_or_b32 v3, v3, s14, v7
.LBB144_411:
	s_or_b64 exec, exec, s[10:11]
	v_or_b32_e32 v7, 0xa00, v0
	v_cmp_gt_i32_e32 vcc, s8, v7
	s_and_saveexec_b64 s[10:11], vcc
	s_cbranch_execz .LBB144_426
; %bb.412:
	s_cmp_lt_i32 s9, 1
	s_mov_b64 s[14:15], 0
	s_cbranch_scc1 .LBB144_417
; %bb.413:
	s_cmp_gt_i32 s9, 1
	s_cbranch_scc0 .LBB144_418
; %bb.414:
	s_cmp_eq_u32 s9, 2
	s_cbranch_scc0 .LBB144_544
; %bb.415:
	s_xor_b64 s[26:27], s[24:25], -1
	s_or_b64 s[26:27], s[6:7], s[26:27]
	s_mov_b64 s[28:29], 0
	s_branch .LBB144_420
.LBB144_416:
	s_xor_b64 s[14:15], s[26:27], -1
	s_and_b64 s[30:31], s[6:7], s[14:15]
	s_andn2_b64 s[28:29], s[28:29], exec
	s_and_b64 s[30:31], s[30:31], exec
	s_or_b64 s[28:29], s[28:29], s[30:31]
	s_cbranch_execz .LBB144_409
	s_branch .LBB144_410
.LBB144_417:
                                        ; implicit-def: $sgpr26_sgpr27
	s_mov_b64 s[28:29], 0
	s_cbranch_execnz .LBB144_421
	s_branch .LBB144_422
.LBB144_418:
	s_mov_b64 s[28:29], 0
                                        ; implicit-def: $sgpr26_sgpr27
	s_cbranch_execz .LBB144_420
; %bb.419:
	s_and_b64 s[30:31], s[24:25], s[4:5]
	s_andn2_b64 s[26:27], s[26:27], exec
	s_and_b64 s[30:31], s[30:31], exec
	s_or_b64 s[26:27], s[26:27], s[30:31]
.LBB144_420:
	s_branch .LBB144_422
.LBB144_421:
	s_cmp_lg_u32 s9, 0
	s_mov_b64 s[14:15], -1
	s_cselect_b64 s[28:29], -1, 0
.LBB144_422:
	s_andn2_b64 vcc, exec, s[28:29]
	s_cbranch_vccz .LBB144_431
; %bb.423:
	s_andn2_b64 vcc, exec, s[14:15]
	s_cbranch_vccnz .LBB144_425
.LBB144_424:
	s_or_b64 s[14:15], s[24:25], s[4:5]
	s_andn2_b64 s[24:25], s[26:27], exec
	s_and_b64 s[14:15], s[14:15], exec
	s_or_b64 s[26:27], s[24:25], s[14:15]
.LBB144_425:
	s_movk_i32 s14, 0xff00
	v_and_b32_sdwa v7, v3, s14 dst_sel:DWORD dst_unused:UNUSED_PAD src0_sel:WORD_1 src1_sel:DWORD
	v_cndmask_b32_e64 v8, 0, 1, s[26:27]
	v_or_b32_sdwa v7, v8, v7 dst_sel:WORD_1 dst_unused:UNUSED_PAD src0_sel:DWORD src1_sel:DWORD
	s_mov_b32 s14, 0xffff
	v_and_or_b32 v3, v3, s14, v7
.LBB144_426:
	s_or_b64 exec, exec, s[10:11]
	v_or_b32_e32 v7, 0xb00, v0
	v_cmp_gt_i32_e32 vcc, s8, v7
	s_and_saveexec_b64 s[10:11], vcc
	s_cbranch_execz .LBB144_441
; %bb.427:
	s_cmp_lt_i32 s9, 1
	s_mov_b64 s[14:15], 0
	s_cbranch_scc1 .LBB144_432
; %bb.428:
	s_cmp_gt_i32 s9, 1
	s_cbranch_scc0 .LBB144_433
; %bb.429:
	s_cmp_eq_u32 s9, 2
	s_cbranch_scc0 .LBB144_545
; %bb.430:
	s_xor_b64 s[24:25], s[22:23], -1
	s_or_b64 s[24:25], s[6:7], s[24:25]
	s_mov_b64 s[26:27], 0
	s_branch .LBB144_435
.LBB144_431:
	s_xor_b64 s[14:15], s[24:25], -1
	s_and_b64 s[28:29], s[6:7], s[14:15]
	s_andn2_b64 s[26:27], s[26:27], exec
	s_and_b64 s[28:29], s[28:29], exec
	s_or_b64 s[26:27], s[26:27], s[28:29]
	s_cbranch_execz .LBB144_424
	s_branch .LBB144_425
.LBB144_432:
                                        ; implicit-def: $sgpr24_sgpr25
	s_mov_b64 s[26:27], 0
	s_cbranch_execnz .LBB144_436
	s_branch .LBB144_437
.LBB144_433:
	s_mov_b64 s[26:27], 0
                                        ; implicit-def: $sgpr24_sgpr25
	s_cbranch_execz .LBB144_435
; %bb.434:
	s_and_b64 s[28:29], s[22:23], s[4:5]
	s_andn2_b64 s[24:25], s[24:25], exec
	s_and_b64 s[28:29], s[28:29], exec
	s_or_b64 s[24:25], s[24:25], s[28:29]
.LBB144_435:
	s_branch .LBB144_437
.LBB144_436:
	s_cmp_lg_u32 s9, 0
	s_mov_b64 s[14:15], -1
	s_cselect_b64 s[26:27], -1, 0
.LBB144_437:
	s_andn2_b64 vcc, exec, s[26:27]
	s_cbranch_vccz .LBB144_446
; %bb.438:
	s_andn2_b64 vcc, exec, s[14:15]
	s_cbranch_vccnz .LBB144_440
.LBB144_439:
	s_or_b64 s[14:15], s[22:23], s[4:5]
	s_andn2_b64 s[22:23], s[24:25], exec
	s_and_b64 s[14:15], s[14:15], exec
	s_or_b64 s[24:25], s[22:23], s[14:15]
.LBB144_440:
	s_movk_i32 s14, 0xff
	v_cndmask_b32_e64 v8, 0, 1, s[24:25]
	v_and_b32_sdwa v7, v3, s14 dst_sel:DWORD dst_unused:UNUSED_PAD src0_sel:WORD_1 src1_sel:DWORD
	v_lshlrev_b16_e32 v8, 8, v8
	v_or_b32_sdwa v7, v7, v8 dst_sel:WORD_1 dst_unused:UNUSED_PAD src0_sel:DWORD src1_sel:DWORD
	s_mov_b32 s14, 0xffff
	v_and_or_b32 v3, v3, s14, v7
.LBB144_441:
	s_or_b64 exec, exec, s[10:11]
	v_or_b32_e32 v7, 0xc00, v0
	v_cmp_gt_i32_e32 vcc, s8, v7
	s_and_saveexec_b64 s[10:11], vcc
	s_cbranch_execz .LBB144_456
; %bb.442:
	s_cmp_lt_i32 s9, 1
	s_mov_b64 s[14:15], 0
	s_cbranch_scc1 .LBB144_447
; %bb.443:
	s_cmp_gt_i32 s9, 1
	s_cbranch_scc0 .LBB144_448
; %bb.444:
	s_cmp_eq_u32 s9, 2
	s_cbranch_scc0 .LBB144_546
; %bb.445:
	s_xor_b64 s[22:23], s[20:21], -1
	s_or_b64 s[22:23], s[6:7], s[22:23]
	s_mov_b64 s[24:25], 0
	s_branch .LBB144_450
.LBB144_446:
	s_xor_b64 s[14:15], s[22:23], -1
	s_and_b64 s[26:27], s[6:7], s[14:15]
	s_andn2_b64 s[24:25], s[24:25], exec
	s_and_b64 s[26:27], s[26:27], exec
	s_or_b64 s[24:25], s[24:25], s[26:27]
	s_cbranch_execz .LBB144_439
	s_branch .LBB144_440
.LBB144_447:
                                        ; implicit-def: $sgpr22_sgpr23
	s_mov_b64 s[24:25], 0
	s_cbranch_execnz .LBB144_451
	s_branch .LBB144_452
.LBB144_448:
	s_mov_b64 s[24:25], 0
                                        ; implicit-def: $sgpr22_sgpr23
	s_cbranch_execz .LBB144_450
; %bb.449:
	s_and_b64 s[26:27], s[20:21], s[4:5]
	s_andn2_b64 s[22:23], s[22:23], exec
	s_and_b64 s[26:27], s[26:27], exec
	s_or_b64 s[22:23], s[22:23], s[26:27]
.LBB144_450:
	s_branch .LBB144_452
.LBB144_451:
	s_cmp_lg_u32 s9, 0
	s_mov_b64 s[14:15], -1
	s_cselect_b64 s[24:25], -1, 0
.LBB144_452:
	s_andn2_b64 vcc, exec, s[24:25]
	s_cbranch_vccz .LBB144_461
; %bb.453:
	s_andn2_b64 vcc, exec, s[14:15]
	s_cbranch_vccnz .LBB144_455
.LBB144_454:
	s_or_b64 s[14:15], s[20:21], s[4:5]
	s_andn2_b64 s[20:21], s[22:23], exec
	s_and_b64 s[14:15], s[14:15], exec
	s_or_b64 s[22:23], s[20:21], s[14:15]
.LBB144_455:
	v_and_b32_e32 v7, 0xffffff00, v2
	v_cndmask_b32_e64 v8, 0, 1, s[22:23]
	v_or_b32_e32 v7, v8, v7
	v_and_b32_e32 v7, 0xffff, v7
	s_mov_b32 s14, 0xffff0000
	v_and_or_b32 v2, v2, s14, v7
.LBB144_456:
	s_or_b64 exec, exec, s[10:11]
	v_or_b32_e32 v7, 0xd00, v0
	v_cmp_gt_i32_e32 vcc, s8, v7
	s_and_saveexec_b64 s[10:11], vcc
	s_cbranch_execz .LBB144_471
; %bb.457:
	s_cmp_lt_i32 s9, 1
	s_mov_b64 s[14:15], 0
	s_cbranch_scc1 .LBB144_462
; %bb.458:
	s_cmp_gt_i32 s9, 1
	s_cbranch_scc0 .LBB144_463
; %bb.459:
	s_cmp_eq_u32 s9, 2
	s_cbranch_scc0 .LBB144_547
; %bb.460:
	s_xor_b64 s[20:21], s[18:19], -1
	s_or_b64 s[20:21], s[6:7], s[20:21]
	s_mov_b64 s[22:23], 0
	s_branch .LBB144_465
.LBB144_461:
	s_xor_b64 s[14:15], s[20:21], -1
	s_and_b64 s[24:25], s[6:7], s[14:15]
	s_andn2_b64 s[22:23], s[22:23], exec
	s_and_b64 s[24:25], s[24:25], exec
	s_or_b64 s[22:23], s[22:23], s[24:25]
	s_cbranch_execz .LBB144_454
	s_branch .LBB144_455
.LBB144_462:
                                        ; implicit-def: $sgpr20_sgpr21
	s_mov_b64 s[22:23], 0
	s_cbranch_execnz .LBB144_466
	s_branch .LBB144_467
.LBB144_463:
	s_mov_b64 s[22:23], 0
                                        ; implicit-def: $sgpr20_sgpr21
	s_cbranch_execz .LBB144_465
; %bb.464:
	s_and_b64 s[24:25], s[18:19], s[4:5]
	s_andn2_b64 s[20:21], s[20:21], exec
	s_and_b64 s[24:25], s[24:25], exec
	s_or_b64 s[20:21], s[20:21], s[24:25]
.LBB144_465:
	s_branch .LBB144_467
.LBB144_466:
	s_cmp_lg_u32 s9, 0
	s_mov_b64 s[14:15], -1
	s_cselect_b64 s[22:23], -1, 0
.LBB144_467:
	s_andn2_b64 vcc, exec, s[22:23]
	s_cbranch_vccz .LBB144_476
; %bb.468:
	s_andn2_b64 vcc, exec, s[14:15]
	s_cbranch_vccnz .LBB144_470
.LBB144_469:
	s_or_b64 s[14:15], s[18:19], s[4:5]
	s_andn2_b64 s[18:19], s[20:21], exec
	s_and_b64 s[14:15], s[14:15], exec
	s_or_b64 s[20:21], s[18:19], s[14:15]
.LBB144_470:
	v_cndmask_b32_e64 v7, 0, 1, s[20:21]
	v_lshlrev_b16_e32 v7, 8, v7
	v_or_b32_sdwa v7, v2, v7 dst_sel:DWORD dst_unused:UNUSED_PAD src0_sel:BYTE_0 src1_sel:DWORD
	v_and_b32_e32 v7, 0xffff, v7
	s_mov_b32 s14, 0xffff0000
	v_and_or_b32 v2, v2, s14, v7
.LBB144_471:
	s_or_b64 exec, exec, s[10:11]
	v_or_b32_e32 v7, 0xe00, v0
	v_cmp_gt_i32_e32 vcc, s8, v7
	s_and_saveexec_b64 s[10:11], vcc
	s_cbranch_execz .LBB144_486
; %bb.472:
	s_cmp_lt_i32 s9, 1
	s_mov_b64 s[14:15], 0
	s_cbranch_scc1 .LBB144_477
; %bb.473:
	s_cmp_gt_i32 s9, 1
	s_cbranch_scc0 .LBB144_478
; %bb.474:
	s_cmp_eq_u32 s9, 2
	s_cbranch_scc0 .LBB144_548
; %bb.475:
	s_xor_b64 s[18:19], s[16:17], -1
	s_or_b64 s[18:19], s[6:7], s[18:19]
	s_mov_b64 s[20:21], 0
	s_branch .LBB144_480
.LBB144_476:
	s_xor_b64 s[14:15], s[18:19], -1
	s_and_b64 s[22:23], s[6:7], s[14:15]
	s_andn2_b64 s[20:21], s[20:21], exec
	s_and_b64 s[22:23], s[22:23], exec
	s_or_b64 s[20:21], s[20:21], s[22:23]
	s_cbranch_execz .LBB144_469
	s_branch .LBB144_470
.LBB144_477:
                                        ; implicit-def: $sgpr18_sgpr19
	s_mov_b64 s[20:21], 0
	s_cbranch_execnz .LBB144_481
	s_branch .LBB144_482
.LBB144_478:
	s_mov_b64 s[20:21], 0
                                        ; implicit-def: $sgpr18_sgpr19
	s_cbranch_execz .LBB144_480
; %bb.479:
	s_and_b64 s[22:23], s[16:17], s[4:5]
	s_andn2_b64 s[18:19], s[18:19], exec
	s_and_b64 s[22:23], s[22:23], exec
	s_or_b64 s[18:19], s[18:19], s[22:23]
.LBB144_480:
	s_branch .LBB144_482
.LBB144_481:
	s_cmp_lg_u32 s9, 0
	s_mov_b64 s[14:15], -1
	s_cselect_b64 s[20:21], -1, 0
.LBB144_482:
	s_andn2_b64 vcc, exec, s[20:21]
	s_cbranch_vccz .LBB144_491
; %bb.483:
	s_andn2_b64 vcc, exec, s[14:15]
	s_cbranch_vccnz .LBB144_485
.LBB144_484:
	s_or_b64 s[14:15], s[16:17], s[4:5]
	s_andn2_b64 s[16:17], s[18:19], exec
	s_and_b64 s[14:15], s[14:15], exec
	s_or_b64 s[18:19], s[16:17], s[14:15]
.LBB144_485:
	s_movk_i32 s14, 0xff00
	v_and_b32_sdwa v7, v2, s14 dst_sel:DWORD dst_unused:UNUSED_PAD src0_sel:WORD_1 src1_sel:DWORD
	v_cndmask_b32_e64 v8, 0, 1, s[18:19]
	v_or_b32_sdwa v7, v8, v7 dst_sel:WORD_1 dst_unused:UNUSED_PAD src0_sel:DWORD src1_sel:DWORD
	s_mov_b32 s14, 0xffff
	v_and_or_b32 v2, v2, s14, v7
.LBB144_486:
	s_or_b64 exec, exec, s[10:11]
	v_or_b32_e32 v7, 0xf00, v0
	v_cmp_gt_i32_e32 vcc, s8, v7
	s_and_saveexec_b64 s[10:11], vcc
	s_cbranch_execz .LBB144_501
; %bb.487:
	s_cmp_lt_i32 s9, 1
	s_mov_b64 s[14:15], 0
	s_cbranch_scc1 .LBB144_492
; %bb.488:
	s_cmp_gt_i32 s9, 1
	s_cbranch_scc0 .LBB144_493
; %bb.489:
	s_cmp_eq_u32 s9, 2
	s_cbranch_scc0 .LBB144_549
; %bb.490:
	s_xor_b64 s[16:17], s[2:3], -1
	s_or_b64 s[16:17], s[6:7], s[16:17]
	s_mov_b64 s[18:19], 0
	s_branch .LBB144_495
.LBB144_491:
	s_xor_b64 s[14:15], s[16:17], -1
	s_and_b64 s[20:21], s[6:7], s[14:15]
	s_andn2_b64 s[18:19], s[18:19], exec
	s_and_b64 s[20:21], s[20:21], exec
	s_or_b64 s[18:19], s[18:19], s[20:21]
	s_cbranch_execz .LBB144_484
	s_branch .LBB144_485
.LBB144_492:
                                        ; implicit-def: $sgpr16_sgpr17
	s_mov_b64 s[18:19], 0
	s_cbranch_execnz .LBB144_496
	s_branch .LBB144_497
.LBB144_493:
	s_mov_b64 s[18:19], 0
                                        ; implicit-def: $sgpr16_sgpr17
	s_cbranch_execz .LBB144_495
; %bb.494:
	s_and_b64 s[20:21], s[2:3], s[4:5]
	s_andn2_b64 s[16:17], s[16:17], exec
	s_and_b64 s[20:21], s[20:21], exec
	s_or_b64 s[16:17], s[16:17], s[20:21]
.LBB144_495:
	s_branch .LBB144_497
.LBB144_496:
	s_cmp_lg_u32 s9, 0
	s_mov_b64 s[14:15], -1
	s_cselect_b64 s[18:19], -1, 0
.LBB144_497:
	s_andn2_b64 vcc, exec, s[18:19]
	s_cbranch_vccz .LBB144_534
; %bb.498:
	s_andn2_b64 vcc, exec, s[14:15]
	s_cbranch_vccnz .LBB144_500
.LBB144_499:
	s_or_b64 s[2:3], s[2:3], s[4:5]
	s_andn2_b64 s[4:5], s[16:17], exec
	s_and_b64 s[2:3], s[2:3], exec
	s_or_b64 s[16:17], s[4:5], s[2:3]
.LBB144_500:
	s_movk_i32 s2, 0xff
	v_cndmask_b32_e64 v8, 0, 1, s[16:17]
	v_and_b32_sdwa v7, v2, s2 dst_sel:DWORD dst_unused:UNUSED_PAD src0_sel:WORD_1 src1_sel:DWORD
	v_lshlrev_b16_e32 v8, 8, v8
	v_or_b32_sdwa v7, v7, v8 dst_sel:WORD_1 dst_unused:UNUSED_PAD src0_sel:DWORD src1_sel:DWORD
	s_mov_b32 s2, 0xffff
	v_and_or_b32 v2, v2, s2, v7
.LBB144_501:
	s_or_b64 exec, exec, s[10:11]
	s_and_saveexec_b64 s[2:3], s[0:1]
	s_xor_b64 s[0:1], exec, s[2:3]
	s_cbranch_execz .LBB144_503
; %bb.502:
	v_mov_b32_e32 v0, v6
	global_store_byte v1, v5, s[12:13]
.LBB144_503:
	s_or_b64 exec, exec, s[0:1]
	v_cmp_gt_i32_e32 vcc, s8, v0
	s_and_saveexec_b64 s[0:1], vcc
	s_cbranch_execnz .LBB144_520
; %bb.504:
	s_or_b64 exec, exec, s[0:1]
	v_cmp_gt_i32_e32 vcc, s8, v0
	s_and_saveexec_b64 s[0:1], vcc
	s_cbranch_execnz .LBB144_521
.LBB144_505:
	s_or_b64 exec, exec, s[0:1]
	v_cmp_gt_i32_e32 vcc, s8, v0
	s_and_saveexec_b64 s[0:1], vcc
	s_cbranch_execnz .LBB144_522
.LBB144_506:
	s_or_b64 exec, exec, s[0:1]
	v_cmp_gt_i32_e32 vcc, s8, v0
	s_and_saveexec_b64 s[0:1], vcc
	s_cbranch_execnz .LBB144_523
.LBB144_507:
	s_or_b64 exec, exec, s[0:1]
	v_cmp_gt_i32_e32 vcc, s8, v0
	s_and_saveexec_b64 s[0:1], vcc
	s_cbranch_execnz .LBB144_524
.LBB144_508:
	s_or_b64 exec, exec, s[0:1]
	v_cmp_gt_i32_e32 vcc, s8, v0
	s_and_saveexec_b64 s[0:1], vcc
	s_cbranch_execnz .LBB144_525
.LBB144_509:
	s_or_b64 exec, exec, s[0:1]
	v_cmp_gt_i32_e32 vcc, s8, v0
	s_and_saveexec_b64 s[0:1], vcc
	s_cbranch_execnz .LBB144_526
.LBB144_510:
	s_or_b64 exec, exec, s[0:1]
	v_cmp_gt_i32_e32 vcc, s8, v0
	s_and_saveexec_b64 s[0:1], vcc
	s_cbranch_execnz .LBB144_527
.LBB144_511:
	s_or_b64 exec, exec, s[0:1]
	v_cmp_gt_i32_e32 vcc, s8, v0
	s_and_saveexec_b64 s[0:1], vcc
	s_cbranch_execnz .LBB144_528
.LBB144_512:
	s_or_b64 exec, exec, s[0:1]
	v_cmp_gt_i32_e32 vcc, s8, v0
	s_and_saveexec_b64 s[0:1], vcc
	s_cbranch_execnz .LBB144_529
.LBB144_513:
	s_or_b64 exec, exec, s[0:1]
	v_cmp_gt_i32_e32 vcc, s8, v0
	s_and_saveexec_b64 s[0:1], vcc
	s_cbranch_execnz .LBB144_530
.LBB144_514:
	s_or_b64 exec, exec, s[0:1]
	v_cmp_gt_i32_e32 vcc, s8, v0
	s_and_saveexec_b64 s[0:1], vcc
	s_cbranch_execnz .LBB144_531
.LBB144_515:
	s_or_b64 exec, exec, s[0:1]
	v_cmp_gt_i32_e32 vcc, s8, v0
	s_and_saveexec_b64 s[0:1], vcc
	s_cbranch_execnz .LBB144_532
.LBB144_516:
	s_or_b64 exec, exec, s[0:1]
	v_cmp_gt_i32_e32 vcc, s8, v0
	s_and_saveexec_b64 s[0:1], vcc
	s_cbranch_execnz .LBB144_533
.LBB144_517:
	s_or_b64 exec, exec, s[0:1]
	v_cmp_gt_i32_e32 vcc, s8, v0
	s_and_saveexec_b64 s[0:1], vcc
	s_cbranch_execz .LBB144_519
.LBB144_518:
	v_lshrrev_b32_e32 v1, 24, v2
	v_add_u32_e32 v0, s33, v0
	global_store_byte v0, v1, s[12:13]
.LBB144_519:
	s_endpgm
.LBB144_520:
	v_lshrrev_b32_e32 v1, 8, v5
	v_add_u32_e32 v6, s33, v0
	v_add_u32_e32 v0, 0x100, v0
	global_store_byte v6, v1, s[12:13]
	s_or_b64 exec, exec, s[0:1]
	v_cmp_gt_i32_e32 vcc, s8, v0
	s_and_saveexec_b64 s[0:1], vcc
	s_cbranch_execz .LBB144_505
.LBB144_521:
	v_add_u32_e32 v1, s33, v0
	v_add_u32_e32 v0, 0x100, v0
	global_store_byte_d16_hi v1, v5, s[12:13]
	s_or_b64 exec, exec, s[0:1]
	v_cmp_gt_i32_e32 vcc, s8, v0
	s_and_saveexec_b64 s[0:1], vcc
	s_cbranch_execz .LBB144_506
.LBB144_522:
	v_lshrrev_b32_e32 v1, 24, v5
	v_add_u32_e32 v5, s33, v0
	v_add_u32_e32 v0, 0x100, v0
	global_store_byte v5, v1, s[12:13]
	s_or_b64 exec, exec, s[0:1]
	v_cmp_gt_i32_e32 vcc, s8, v0
	s_and_saveexec_b64 s[0:1], vcc
	s_cbranch_execz .LBB144_507
.LBB144_523:
	v_add_u32_e32 v1, s33, v0
	v_add_u32_e32 v0, 0x100, v0
	global_store_byte v1, v4, s[12:13]
	s_or_b64 exec, exec, s[0:1]
	v_cmp_gt_i32_e32 vcc, s8, v0
	s_and_saveexec_b64 s[0:1], vcc
	s_cbranch_execz .LBB144_508
.LBB144_524:
	v_lshrrev_b32_e32 v1, 8, v4
	v_add_u32_e32 v5, s33, v0
	v_add_u32_e32 v0, 0x100, v0
	global_store_byte v5, v1, s[12:13]
	s_or_b64 exec, exec, s[0:1]
	v_cmp_gt_i32_e32 vcc, s8, v0
	s_and_saveexec_b64 s[0:1], vcc
	s_cbranch_execz .LBB144_509
.LBB144_525:
	v_add_u32_e32 v1, s33, v0
	v_add_u32_e32 v0, 0x100, v0
	global_store_byte_d16_hi v1, v4, s[12:13]
	s_or_b64 exec, exec, s[0:1]
	v_cmp_gt_i32_e32 vcc, s8, v0
	s_and_saveexec_b64 s[0:1], vcc
	s_cbranch_execz .LBB144_510
.LBB144_526:
	v_lshrrev_b32_e32 v1, 24, v4
	v_add_u32_e32 v4, s33, v0
	v_add_u32_e32 v0, 0x100, v0
	global_store_byte v4, v1, s[12:13]
	s_or_b64 exec, exec, s[0:1]
	v_cmp_gt_i32_e32 vcc, s8, v0
	s_and_saveexec_b64 s[0:1], vcc
	s_cbranch_execz .LBB144_511
.LBB144_527:
	v_add_u32_e32 v1, s33, v0
	v_add_u32_e32 v0, 0x100, v0
	global_store_byte v1, v3, s[12:13]
	s_or_b64 exec, exec, s[0:1]
	v_cmp_gt_i32_e32 vcc, s8, v0
	s_and_saveexec_b64 s[0:1], vcc
	s_cbranch_execz .LBB144_512
.LBB144_528:
	v_lshrrev_b32_e32 v1, 8, v3
	v_add_u32_e32 v4, s33, v0
	v_add_u32_e32 v0, 0x100, v0
	global_store_byte v4, v1, s[12:13]
	s_or_b64 exec, exec, s[0:1]
	v_cmp_gt_i32_e32 vcc, s8, v0
	s_and_saveexec_b64 s[0:1], vcc
	s_cbranch_execz .LBB144_513
.LBB144_529:
	v_add_u32_e32 v1, s33, v0
	v_add_u32_e32 v0, 0x100, v0
	global_store_byte_d16_hi v1, v3, s[12:13]
	s_or_b64 exec, exec, s[0:1]
	v_cmp_gt_i32_e32 vcc, s8, v0
	s_and_saveexec_b64 s[0:1], vcc
	s_cbranch_execz .LBB144_514
.LBB144_530:
	v_lshrrev_b32_e32 v1, 24, v3
	v_add_u32_e32 v3, s33, v0
	v_add_u32_e32 v0, 0x100, v0
	global_store_byte v3, v1, s[12:13]
	s_or_b64 exec, exec, s[0:1]
	v_cmp_gt_i32_e32 vcc, s8, v0
	s_and_saveexec_b64 s[0:1], vcc
	s_cbranch_execz .LBB144_515
.LBB144_531:
	v_add_u32_e32 v1, s33, v0
	v_add_u32_e32 v0, 0x100, v0
	global_store_byte v1, v2, s[12:13]
	s_or_b64 exec, exec, s[0:1]
	v_cmp_gt_i32_e32 vcc, s8, v0
	s_and_saveexec_b64 s[0:1], vcc
	s_cbranch_execz .LBB144_516
.LBB144_532:
	v_lshrrev_b32_e32 v1, 8, v2
	v_add_u32_e32 v3, s33, v0
	v_add_u32_e32 v0, 0x100, v0
	global_store_byte v3, v1, s[12:13]
	s_or_b64 exec, exec, s[0:1]
	v_cmp_gt_i32_e32 vcc, s8, v0
	s_and_saveexec_b64 s[0:1], vcc
	s_cbranch_execz .LBB144_517
.LBB144_533:
	v_add_u32_e32 v1, s33, v0
	v_add_u32_e32 v0, 0x100, v0
	global_store_byte_d16_hi v1, v2, s[12:13]
	s_or_b64 exec, exec, s[0:1]
	v_cmp_gt_i32_e32 vcc, s8, v0
	s_and_saveexec_b64 s[0:1], vcc
	s_cbranch_execnz .LBB144_518
	s_branch .LBB144_519
.LBB144_534:
	s_xor_b64 s[14:15], s[2:3], -1
	s_and_b64 s[6:7], s[6:7], s[14:15]
	s_andn2_b64 s[16:17], s[16:17], exec
	s_and_b64 s[6:7], s[6:7], exec
	s_or_b64 s[16:17], s[16:17], s[6:7]
	s_cbranch_execz .LBB144_499
	s_branch .LBB144_500
.LBB144_535:
	s_mov_b64 s[48:49], -1
                                        ; implicit-def: $sgpr46_sgpr47
	s_branch .LBB144_285
.LBB144_536:
	s_mov_b64 s[46:47], -1
                                        ; implicit-def: $sgpr44_sgpr45
	s_branch .LBB144_300
.LBB144_537:
	s_mov_b64 s[44:45], -1
                                        ; implicit-def: $sgpr42_sgpr43
	s_branch .LBB144_315
.LBB144_538:
	s_mov_b64 s[42:43], -1
                                        ; implicit-def: $sgpr40_sgpr41
	s_branch .LBB144_330
.LBB144_539:
	s_mov_b64 s[40:41], -1
                                        ; implicit-def: $sgpr38_sgpr39
	s_branch .LBB144_345
.LBB144_540:
	s_mov_b64 s[38:39], -1
                                        ; implicit-def: $sgpr36_sgpr37
	s_branch .LBB144_360
.LBB144_541:
	s_mov_b64 s[36:37], -1
                                        ; implicit-def: $sgpr34_sgpr35
	s_branch .LBB144_375
.LBB144_542:
	s_mov_b64 s[34:35], -1
                                        ; implicit-def: $sgpr30_sgpr31
	s_branch .LBB144_390
.LBB144_543:
	s_mov_b64 s[30:31], -1
                                        ; implicit-def: $sgpr28_sgpr29
	s_branch .LBB144_405
.LBB144_544:
	s_mov_b64 s[28:29], -1
                                        ; implicit-def: $sgpr26_sgpr27
	s_branch .LBB144_420
.LBB144_545:
	s_mov_b64 s[26:27], -1
                                        ; implicit-def: $sgpr24_sgpr25
	s_branch .LBB144_435
.LBB144_546:
	s_mov_b64 s[24:25], -1
                                        ; implicit-def: $sgpr22_sgpr23
	s_branch .LBB144_450
.LBB144_547:
	s_mov_b64 s[22:23], -1
                                        ; implicit-def: $sgpr20_sgpr21
	s_branch .LBB144_465
.LBB144_548:
	s_mov_b64 s[20:21], -1
                                        ; implicit-def: $sgpr18_sgpr19
	s_branch .LBB144_480
.LBB144_549:
	s_mov_b64 s[18:19], -1
                                        ; implicit-def: $sgpr16_sgpr17
	s_branch .LBB144_495
	.section	.rodata,"a",@progbits
	.p2align	6, 0x0
	.amdhsa_kernel _ZN2at6native29vectorized_elementwise_kernelILi16EZNS0_21compare_scalar_kernelIbEEvRNS_18TensorIteratorBaseENS0_12_GLOBAL__N_16OpTypeET_EUlbE_St5arrayIPcLm2EEEEviT0_T1_
		.amdhsa_group_segment_fixed_size 0
		.amdhsa_private_segment_fixed_size 0
		.amdhsa_kernarg_size 32
		.amdhsa_user_sgpr_count 6
		.amdhsa_user_sgpr_private_segment_buffer 1
		.amdhsa_user_sgpr_dispatch_ptr 0
		.amdhsa_user_sgpr_queue_ptr 0
		.amdhsa_user_sgpr_kernarg_segment_ptr 1
		.amdhsa_user_sgpr_dispatch_id 0
		.amdhsa_user_sgpr_flat_scratch_init 0
		.amdhsa_user_sgpr_private_segment_size 0
		.amdhsa_uses_dynamic_stack 0
		.amdhsa_system_sgpr_private_segment_wavefront_offset 0
		.amdhsa_system_sgpr_workgroup_id_x 1
		.amdhsa_system_sgpr_workgroup_id_y 0
		.amdhsa_system_sgpr_workgroup_id_z 0
		.amdhsa_system_sgpr_workgroup_info 0
		.amdhsa_system_vgpr_workitem_id 0
		.amdhsa_next_free_vgpr 11
		.amdhsa_next_free_sgpr 54
		.amdhsa_reserve_vcc 1
		.amdhsa_reserve_flat_scratch 0
		.amdhsa_float_round_mode_32 0
		.amdhsa_float_round_mode_16_64 0
		.amdhsa_float_denorm_mode_32 3
		.amdhsa_float_denorm_mode_16_64 3
		.amdhsa_dx10_clamp 1
		.amdhsa_ieee_mode 1
		.amdhsa_fp16_overflow 0
		.amdhsa_exception_fp_ieee_invalid_op 0
		.amdhsa_exception_fp_denorm_src 0
		.amdhsa_exception_fp_ieee_div_zero 0
		.amdhsa_exception_fp_ieee_overflow 0
		.amdhsa_exception_fp_ieee_underflow 0
		.amdhsa_exception_fp_ieee_inexact 0
		.amdhsa_exception_int_div_zero 0
	.end_amdhsa_kernel
	.section	.text._ZN2at6native29vectorized_elementwise_kernelILi16EZNS0_21compare_scalar_kernelIbEEvRNS_18TensorIteratorBaseENS0_12_GLOBAL__N_16OpTypeET_EUlbE_St5arrayIPcLm2EEEEviT0_T1_,"axG",@progbits,_ZN2at6native29vectorized_elementwise_kernelILi16EZNS0_21compare_scalar_kernelIbEEvRNS_18TensorIteratorBaseENS0_12_GLOBAL__N_16OpTypeET_EUlbE_St5arrayIPcLm2EEEEviT0_T1_,comdat
.Lfunc_end144:
	.size	_ZN2at6native29vectorized_elementwise_kernelILi16EZNS0_21compare_scalar_kernelIbEEvRNS_18TensorIteratorBaseENS0_12_GLOBAL__N_16OpTypeET_EUlbE_St5arrayIPcLm2EEEEviT0_T1_, .Lfunc_end144-_ZN2at6native29vectorized_elementwise_kernelILi16EZNS0_21compare_scalar_kernelIbEEvRNS_18TensorIteratorBaseENS0_12_GLOBAL__N_16OpTypeET_EUlbE_St5arrayIPcLm2EEEEviT0_T1_
                                        ; -- End function
	.set _ZN2at6native29vectorized_elementwise_kernelILi16EZNS0_21compare_scalar_kernelIbEEvRNS_18TensorIteratorBaseENS0_12_GLOBAL__N_16OpTypeET_EUlbE_St5arrayIPcLm2EEEEviT0_T1_.num_vgpr, 11
	.set _ZN2at6native29vectorized_elementwise_kernelILi16EZNS0_21compare_scalar_kernelIbEEvRNS_18TensorIteratorBaseENS0_12_GLOBAL__N_16OpTypeET_EUlbE_St5arrayIPcLm2EEEEviT0_T1_.num_agpr, 0
	.set _ZN2at6native29vectorized_elementwise_kernelILi16EZNS0_21compare_scalar_kernelIbEEvRNS_18TensorIteratorBaseENS0_12_GLOBAL__N_16OpTypeET_EUlbE_St5arrayIPcLm2EEEEviT0_T1_.numbered_sgpr, 54
	.set _ZN2at6native29vectorized_elementwise_kernelILi16EZNS0_21compare_scalar_kernelIbEEvRNS_18TensorIteratorBaseENS0_12_GLOBAL__N_16OpTypeET_EUlbE_St5arrayIPcLm2EEEEviT0_T1_.num_named_barrier, 0
	.set _ZN2at6native29vectorized_elementwise_kernelILi16EZNS0_21compare_scalar_kernelIbEEvRNS_18TensorIteratorBaseENS0_12_GLOBAL__N_16OpTypeET_EUlbE_St5arrayIPcLm2EEEEviT0_T1_.private_seg_size, 0
	.set _ZN2at6native29vectorized_elementwise_kernelILi16EZNS0_21compare_scalar_kernelIbEEvRNS_18TensorIteratorBaseENS0_12_GLOBAL__N_16OpTypeET_EUlbE_St5arrayIPcLm2EEEEviT0_T1_.uses_vcc, 1
	.set _ZN2at6native29vectorized_elementwise_kernelILi16EZNS0_21compare_scalar_kernelIbEEvRNS_18TensorIteratorBaseENS0_12_GLOBAL__N_16OpTypeET_EUlbE_St5arrayIPcLm2EEEEviT0_T1_.uses_flat_scratch, 0
	.set _ZN2at6native29vectorized_elementwise_kernelILi16EZNS0_21compare_scalar_kernelIbEEvRNS_18TensorIteratorBaseENS0_12_GLOBAL__N_16OpTypeET_EUlbE_St5arrayIPcLm2EEEEviT0_T1_.has_dyn_sized_stack, 0
	.set _ZN2at6native29vectorized_elementwise_kernelILi16EZNS0_21compare_scalar_kernelIbEEvRNS_18TensorIteratorBaseENS0_12_GLOBAL__N_16OpTypeET_EUlbE_St5arrayIPcLm2EEEEviT0_T1_.has_recursion, 0
	.set _ZN2at6native29vectorized_elementwise_kernelILi16EZNS0_21compare_scalar_kernelIbEEvRNS_18TensorIteratorBaseENS0_12_GLOBAL__N_16OpTypeET_EUlbE_St5arrayIPcLm2EEEEviT0_T1_.has_indirect_call, 0
	.section	.AMDGPU.csdata,"",@progbits
; Kernel info:
; codeLenInByte = 8600
; TotalNumSgprs: 58
; NumVgprs: 11
; ScratchSize: 0
; MemoryBound: 0
; FloatMode: 240
; IeeeMode: 1
; LDSByteSize: 0 bytes/workgroup (compile time only)
; SGPRBlocks: 7
; VGPRBlocks: 2
; NumSGPRsForWavesPerEU: 58
; NumVGPRsForWavesPerEU: 11
; Occupancy: 10
; WaveLimiterHint : 0
; COMPUTE_PGM_RSRC2:SCRATCH_EN: 0
; COMPUTE_PGM_RSRC2:USER_SGPR: 6
; COMPUTE_PGM_RSRC2:TRAP_HANDLER: 0
; COMPUTE_PGM_RSRC2:TGID_X_EN: 1
; COMPUTE_PGM_RSRC2:TGID_Y_EN: 0
; COMPUTE_PGM_RSRC2:TGID_Z_EN: 0
; COMPUTE_PGM_RSRC2:TIDIG_COMP_CNT: 0
	.section	.text._ZN2at6native29vectorized_elementwise_kernelILi8EZNS0_21compare_scalar_kernelIbEEvRNS_18TensorIteratorBaseENS0_12_GLOBAL__N_16OpTypeET_EUlbE_St5arrayIPcLm2EEEEviT0_T1_,"axG",@progbits,_ZN2at6native29vectorized_elementwise_kernelILi8EZNS0_21compare_scalar_kernelIbEEvRNS_18TensorIteratorBaseENS0_12_GLOBAL__N_16OpTypeET_EUlbE_St5arrayIPcLm2EEEEviT0_T1_,comdat
	.globl	_ZN2at6native29vectorized_elementwise_kernelILi8EZNS0_21compare_scalar_kernelIbEEvRNS_18TensorIteratorBaseENS0_12_GLOBAL__N_16OpTypeET_EUlbE_St5arrayIPcLm2EEEEviT0_T1_ ; -- Begin function _ZN2at6native29vectorized_elementwise_kernelILi8EZNS0_21compare_scalar_kernelIbEEvRNS_18TensorIteratorBaseENS0_12_GLOBAL__N_16OpTypeET_EUlbE_St5arrayIPcLm2EEEEviT0_T1_
	.p2align	8
	.type	_ZN2at6native29vectorized_elementwise_kernelILi8EZNS0_21compare_scalar_kernelIbEEvRNS_18TensorIteratorBaseENS0_12_GLOBAL__N_16OpTypeET_EUlbE_St5arrayIPcLm2EEEEviT0_T1_,@function
_ZN2at6native29vectorized_elementwise_kernelILi8EZNS0_21compare_scalar_kernelIbEEvRNS_18TensorIteratorBaseENS0_12_GLOBAL__N_16OpTypeET_EUlbE_St5arrayIPcLm2EEEEviT0_T1_: ; @_ZN2at6native29vectorized_elementwise_kernelILi8EZNS0_21compare_scalar_kernelIbEEvRNS_18TensorIteratorBaseENS0_12_GLOBAL__N_16OpTypeET_EUlbE_St5arrayIPcLm2EEEEviT0_T1_
; %bb.0:
	s_load_dwordx8 s[8:15], s[4:5], 0x0
	s_lshl_b32 s33, s6, 12
	s_mov_b64 s[0:1], -1
	s_waitcnt lgkmcnt(0)
	s_sub_i32 s8, s8, s33
	s_cmpk_gt_i32 s8, 0xfff
	s_cbranch_scc0 .LBB145_205
; %bb.1:
	s_ashr_i32 s11, s33, 31
	s_add_u32 s0, s14, s33
	s_addc_u32 s1, s15, s11
	v_lshlrev_b32_e32 v5, 3, v0
	global_load_dwordx2 v[3:4], v5, s[0:1]
	global_load_dwordx2 v[1:2], v5, s[0:1] offset:2048
	s_bitcmp1_b32 s10, 0
	s_cselect_b64 s[6:7], -1, 0
	v_mov_b32_e32 v6, 0
	s_xor_b64 s[2:3], s[6:7], -1
	s_mov_b64 s[20:21], -1
	s_mov_b64 s[16:17], 0
	s_cmp_lt_i32 s9, 1
	s_mov_b64 s[18:19], 0
                                        ; implicit-def: $sgpr4_sgpr5
	s_waitcnt vmcnt(1)
	v_cmp_ne_u32_sdwa s[0:1], v3, v6 src0_sel:BYTE_0 src1_sel:DWORD
	s_cbranch_scc0 .LBB145_10
; %bb.2:
	s_and_b64 vcc, exec, s[20:21]
	s_cbranch_vccnz .LBB145_250
.LBB145_3:
	s_andn2_b64 vcc, exec, s[18:19]
	s_cbranch_vccz .LBB145_251
.LBB145_4:
	s_andn2_b64 vcc, exec, s[16:17]
	s_cbranch_vccnz .LBB145_6
.LBB145_5:
	s_or_b64 s[0:1], s[0:1], s[2:3]
	s_andn2_b64 s[4:5], s[4:5], exec
	s_and_b64 s[0:1], s[0:1], exec
	s_or_b64 s[4:5], s[4:5], s[0:1]
.LBB145_6:
	v_and_b32_e32 v6, 0xff00, v3
	v_cmp_ne_u32_e64 s[0:1], 0, v6
	s_cmp_lt_i32 s9, 1
	s_mov_b64 s[18:19], 0
	s_cbranch_scc1 .LBB145_13
; %bb.7:
	s_cmp_gt_i32 s9, 1
	s_cbranch_scc0 .LBB145_14
; %bb.8:
	s_cmp_eq_u32 s9, 2
	s_cbranch_scc0 .LBB145_245
; %bb.9:
	s_xor_b64 s[16:17], s[0:1], -1
	s_or_b64 s[16:17], s[6:7], s[16:17]
	s_mov_b64 s[20:21], 0
	s_branch .LBB145_16
.LBB145_10:
	s_cmp_gt_i32 s9, 1
	s_cbranch_scc0 .LBB145_27
; %bb.11:
	s_cmp_eq_u32 s9, 2
	s_cbranch_scc0 .LBB145_246
; %bb.12:
	s_xor_b64 s[4:5], s[0:1], -1
	s_or_b64 s[4:5], s[6:7], s[4:5]
	s_branch .LBB145_247
.LBB145_13:
                                        ; implicit-def: $sgpr16_sgpr17
	s_mov_b64 s[20:21], 0
	s_cbranch_execnz .LBB145_17
	s_branch .LBB145_18
.LBB145_14:
	s_mov_b64 s[20:21], 0
                                        ; implicit-def: $sgpr16_sgpr17
	s_cbranch_execz .LBB145_16
; %bb.15:
	s_and_b64 s[22:23], s[0:1], s[2:3]
	s_andn2_b64 s[16:17], s[16:17], exec
	s_and_b64 s[22:23], s[22:23], exec
	s_or_b64 s[16:17], s[16:17], s[22:23]
.LBB145_16:
	s_branch .LBB145_18
.LBB145_17:
	s_cmp_lg_u32 s9, 0
	s_mov_b64 s[18:19], -1
	s_cselect_b64 s[20:21], -1, 0
.LBB145_18:
	s_andn2_b64 vcc, exec, s[20:21]
	s_cbranch_vccz .LBB145_25
; %bb.19:
	s_andn2_b64 vcc, exec, s[18:19]
	s_cbranch_vccnz .LBB145_21
.LBB145_20:
	s_or_b64 s[0:1], s[0:1], s[2:3]
	s_andn2_b64 s[16:17], s[16:17], exec
	s_and_b64 s[0:1], s[0:1], exec
	s_or_b64 s[16:17], s[16:17], s[0:1]
.LBB145_21:
	v_and_b32_e32 v6, 0xff0000, v3
	v_cmp_ne_u32_e64 s[0:1], 0, v6
	s_cmp_lt_i32 s9, 1
	s_mov_b64 s[20:21], 0
	s_cbranch_scc1 .LBB145_26
; %bb.22:
	s_cmp_gt_i32 s9, 1
	s_cbranch_scc0 .LBB145_28
; %bb.23:
	s_cmp_eq_u32 s9, 2
	s_cbranch_scc0 .LBB145_252
; %bb.24:
	s_xor_b64 s[18:19], s[0:1], -1
	s_or_b64 s[18:19], s[6:7], s[18:19]
	s_mov_b64 s[22:23], 0
	s_branch .LBB145_30
.LBB145_25:
	s_xor_b64 s[18:19], s[0:1], -1
	s_and_b64 s[20:21], s[6:7], s[18:19]
	s_andn2_b64 s[16:17], s[16:17], exec
	s_and_b64 s[20:21], s[20:21], exec
	s_or_b64 s[16:17], s[16:17], s[20:21]
	s_cbranch_execz .LBB145_20
	s_branch .LBB145_21
.LBB145_26:
                                        ; implicit-def: $sgpr18_sgpr19
	s_mov_b64 s[22:23], 0
	s_cbranch_execnz .LBB145_31
	s_branch .LBB145_32
.LBB145_27:
                                        ; implicit-def: $sgpr4_sgpr5
	s_and_b64 vcc, exec, s[20:21]
	s_cbranch_vccnz .LBB145_248
	s_branch .LBB145_249
.LBB145_28:
	s_mov_b64 s[22:23], 0
                                        ; implicit-def: $sgpr18_sgpr19
	s_cbranch_execz .LBB145_30
; %bb.29:
	s_and_b64 s[24:25], s[0:1], s[2:3]
	s_andn2_b64 s[18:19], s[18:19], exec
	s_and_b64 s[24:25], s[24:25], exec
	s_or_b64 s[18:19], s[18:19], s[24:25]
.LBB145_30:
	s_branch .LBB145_32
.LBB145_31:
	s_cmp_lg_u32 s9, 0
	s_mov_b64 s[20:21], -1
	s_cselect_b64 s[22:23], -1, 0
.LBB145_32:
	s_andn2_b64 vcc, exec, s[22:23]
	s_cbranch_vccz .LBB145_39
; %bb.33:
	s_andn2_b64 vcc, exec, s[20:21]
	s_cbranch_vccnz .LBB145_35
.LBB145_34:
	s_or_b64 s[0:1], s[0:1], s[2:3]
	s_andn2_b64 s[18:19], s[18:19], exec
	s_and_b64 s[0:1], s[0:1], exec
	s_or_b64 s[18:19], s[18:19], s[0:1]
.LBB145_35:
	s_mov_b32 s0, 0xffffff
	v_cmp_lt_u32_e64 s[0:1], s0, v3
	s_cmp_lt_i32 s9, 1
	s_mov_b64 s[22:23], 0
	s_cbranch_scc1 .LBB145_40
; %bb.36:
	s_cmp_gt_i32 s9, 1
	s_cbranch_scc0 .LBB145_41
; %bb.37:
	s_cmp_eq_u32 s9, 2
	s_cbranch_scc0 .LBB145_253
; %bb.38:
	s_xor_b64 s[20:21], s[0:1], -1
	s_or_b64 s[20:21], s[6:7], s[20:21]
	s_mov_b64 s[24:25], 0
	s_branch .LBB145_43
.LBB145_39:
	s_xor_b64 s[20:21], s[0:1], -1
	s_and_b64 s[22:23], s[6:7], s[20:21]
	s_andn2_b64 s[18:19], s[18:19], exec
	s_and_b64 s[22:23], s[22:23], exec
	s_or_b64 s[18:19], s[18:19], s[22:23]
	s_cbranch_execz .LBB145_34
	s_branch .LBB145_35
.LBB145_40:
                                        ; implicit-def: $sgpr20_sgpr21
	s_mov_b64 s[24:25], 0
	s_cbranch_execnz .LBB145_44
	s_branch .LBB145_45
.LBB145_41:
	s_mov_b64 s[24:25], 0
                                        ; implicit-def: $sgpr20_sgpr21
	s_cbranch_execz .LBB145_43
; %bb.42:
	s_and_b64 s[26:27], s[0:1], s[2:3]
	s_andn2_b64 s[20:21], s[20:21], exec
	s_and_b64 s[26:27], s[26:27], exec
	s_or_b64 s[20:21], s[20:21], s[26:27]
.LBB145_43:
	s_branch .LBB145_45
.LBB145_44:
	s_cmp_lg_u32 s9, 0
	s_mov_b64 s[22:23], -1
	s_cselect_b64 s[24:25], -1, 0
.LBB145_45:
	s_andn2_b64 vcc, exec, s[24:25]
	s_cbranch_vccz .LBB145_52
; %bb.46:
	s_andn2_b64 vcc, exec, s[22:23]
	s_cbranch_vccnz .LBB145_48
.LBB145_47:
	s_or_b64 s[0:1], s[0:1], s[2:3]
	s_andn2_b64 s[20:21], s[20:21], exec
	s_and_b64 s[0:1], s[0:1], exec
	s_or_b64 s[20:21], s[20:21], s[0:1]
.LBB145_48:
	v_mov_b32_e32 v3, 0
	v_cmp_ne_u32_sdwa s[0:1], v4, v3 src0_sel:BYTE_0 src1_sel:DWORD
	s_cmp_lt_i32 s9, 1
	s_mov_b64 s[24:25], 0
	s_cbranch_scc1 .LBB145_53
; %bb.49:
	s_cmp_gt_i32 s9, 1
	s_cbranch_scc0 .LBB145_54
; %bb.50:
	s_cmp_eq_u32 s9, 2
	s_cbranch_scc0 .LBB145_254
; %bb.51:
	s_xor_b64 s[22:23], s[0:1], -1
	s_or_b64 s[22:23], s[6:7], s[22:23]
	s_mov_b64 s[26:27], 0
	s_branch .LBB145_56
.LBB145_52:
	s_xor_b64 s[22:23], s[0:1], -1
	s_and_b64 s[24:25], s[6:7], s[22:23]
	s_andn2_b64 s[20:21], s[20:21], exec
	s_and_b64 s[24:25], s[24:25], exec
	s_or_b64 s[20:21], s[20:21], s[24:25]
	s_cbranch_execz .LBB145_47
	s_branch .LBB145_48
.LBB145_53:
                                        ; implicit-def: $sgpr22_sgpr23
	s_mov_b64 s[26:27], 0
	s_cbranch_execnz .LBB145_57
	s_branch .LBB145_58
.LBB145_54:
	s_mov_b64 s[26:27], 0
                                        ; implicit-def: $sgpr22_sgpr23
	s_cbranch_execz .LBB145_56
; %bb.55:
	s_and_b64 s[28:29], s[0:1], s[2:3]
	s_andn2_b64 s[22:23], s[22:23], exec
	s_and_b64 s[28:29], s[28:29], exec
	s_or_b64 s[22:23], s[22:23], s[28:29]
.LBB145_56:
	s_branch .LBB145_58
.LBB145_57:
	s_cmp_lg_u32 s9, 0
	s_mov_b64 s[24:25], -1
	s_cselect_b64 s[26:27], -1, 0
.LBB145_58:
	s_andn2_b64 vcc, exec, s[26:27]
	s_cbranch_vccz .LBB145_65
; %bb.59:
	s_andn2_b64 vcc, exec, s[24:25]
	s_cbranch_vccnz .LBB145_61
.LBB145_60:
	s_or_b64 s[0:1], s[0:1], s[2:3]
	s_andn2_b64 s[22:23], s[22:23], exec
	s_and_b64 s[0:1], s[0:1], exec
	s_or_b64 s[22:23], s[22:23], s[0:1]
.LBB145_61:
	v_and_b32_e32 v3, 0xff00, v4
	v_cmp_ne_u32_e64 s[0:1], 0, v3
	s_cmp_lt_i32 s9, 1
	s_mov_b64 s[26:27], 0
	s_cbranch_scc1 .LBB145_66
; %bb.62:
	s_cmp_gt_i32 s9, 1
	s_cbranch_scc0 .LBB145_67
; %bb.63:
	s_cmp_eq_u32 s9, 2
	s_cbranch_scc0 .LBB145_255
; %bb.64:
	s_xor_b64 s[24:25], s[0:1], -1
	s_or_b64 s[24:25], s[6:7], s[24:25]
	s_mov_b64 s[28:29], 0
	s_branch .LBB145_69
.LBB145_65:
	s_xor_b64 s[24:25], s[0:1], -1
	s_and_b64 s[26:27], s[6:7], s[24:25]
	s_andn2_b64 s[22:23], s[22:23], exec
	s_and_b64 s[26:27], s[26:27], exec
	s_or_b64 s[22:23], s[22:23], s[26:27]
	s_cbranch_execz .LBB145_60
	s_branch .LBB145_61
.LBB145_66:
                                        ; implicit-def: $sgpr24_sgpr25
	s_mov_b64 s[28:29], 0
	s_cbranch_execnz .LBB145_70
	s_branch .LBB145_71
.LBB145_67:
	s_mov_b64 s[28:29], 0
                                        ; implicit-def: $sgpr24_sgpr25
	s_cbranch_execz .LBB145_69
; %bb.68:
	s_and_b64 s[30:31], s[0:1], s[2:3]
	s_andn2_b64 s[24:25], s[24:25], exec
	s_and_b64 s[30:31], s[30:31], exec
	s_or_b64 s[24:25], s[24:25], s[30:31]
.LBB145_69:
	s_branch .LBB145_71
.LBB145_70:
	s_cmp_lg_u32 s9, 0
	s_mov_b64 s[26:27], -1
	s_cselect_b64 s[28:29], -1, 0
.LBB145_71:
	s_andn2_b64 vcc, exec, s[28:29]
	s_cbranch_vccz .LBB145_78
; %bb.72:
	s_andn2_b64 vcc, exec, s[26:27]
	s_cbranch_vccnz .LBB145_74
.LBB145_73:
	s_or_b64 s[0:1], s[0:1], s[2:3]
	s_andn2_b64 s[24:25], s[24:25], exec
	s_and_b64 s[0:1], s[0:1], exec
	s_or_b64 s[24:25], s[24:25], s[0:1]
.LBB145_74:
	v_and_b32_e32 v3, 0xff0000, v4
	v_cmp_ne_u32_e64 s[0:1], 0, v3
	s_cmp_lt_i32 s9, 1
	s_mov_b64 s[28:29], 0
	s_cbranch_scc1 .LBB145_79
; %bb.75:
	s_cmp_gt_i32 s9, 1
	s_cbranch_scc0 .LBB145_80
; %bb.76:
	s_cmp_eq_u32 s9, 2
	s_cbranch_scc0 .LBB145_256
; %bb.77:
	s_xor_b64 s[26:27], s[0:1], -1
	s_or_b64 s[26:27], s[6:7], s[26:27]
	s_mov_b64 s[30:31], 0
	s_branch .LBB145_82
.LBB145_78:
	s_xor_b64 s[26:27], s[0:1], -1
	s_and_b64 s[28:29], s[6:7], s[26:27]
	s_andn2_b64 s[24:25], s[24:25], exec
	s_and_b64 s[28:29], s[28:29], exec
	s_or_b64 s[24:25], s[24:25], s[28:29]
	s_cbranch_execz .LBB145_73
	s_branch .LBB145_74
.LBB145_79:
                                        ; implicit-def: $sgpr26_sgpr27
	s_mov_b64 s[30:31], 0
	s_cbranch_execnz .LBB145_83
	s_branch .LBB145_84
.LBB145_80:
	s_mov_b64 s[30:31], 0
                                        ; implicit-def: $sgpr26_sgpr27
	s_cbranch_execz .LBB145_82
; %bb.81:
	s_and_b64 s[34:35], s[0:1], s[2:3]
	s_andn2_b64 s[26:27], s[26:27], exec
	s_and_b64 s[34:35], s[34:35], exec
	s_or_b64 s[26:27], s[26:27], s[34:35]
.LBB145_82:
	s_branch .LBB145_84
.LBB145_83:
	s_cmp_lg_u32 s9, 0
	s_mov_b64 s[28:29], -1
	s_cselect_b64 s[30:31], -1, 0
.LBB145_84:
	s_andn2_b64 vcc, exec, s[30:31]
	s_cbranch_vccz .LBB145_91
; %bb.85:
	s_andn2_b64 vcc, exec, s[28:29]
	s_cbranch_vccnz .LBB145_87
.LBB145_86:
	s_or_b64 s[0:1], s[0:1], s[2:3]
	s_andn2_b64 s[26:27], s[26:27], exec
	s_and_b64 s[0:1], s[0:1], exec
	s_or_b64 s[26:27], s[26:27], s[0:1]
.LBB145_87:
	s_mov_b32 s0, 0xffffff
	v_cmp_lt_u32_e64 s[0:1], s0, v4
	s_cmp_lt_i32 s9, 1
	s_mov_b64 s[30:31], 0
	s_cbranch_scc1 .LBB145_92
; %bb.88:
	s_cmp_gt_i32 s9, 1
	s_cbranch_scc0 .LBB145_93
; %bb.89:
	s_cmp_eq_u32 s9, 2
	s_cbranch_scc0 .LBB145_257
; %bb.90:
	s_xor_b64 s[28:29], s[0:1], -1
	s_or_b64 s[28:29], s[6:7], s[28:29]
	s_mov_b64 s[34:35], 0
	s_branch .LBB145_95
.LBB145_91:
	s_xor_b64 s[28:29], s[0:1], -1
	s_and_b64 s[30:31], s[6:7], s[28:29]
	s_andn2_b64 s[26:27], s[26:27], exec
	s_and_b64 s[30:31], s[30:31], exec
	s_or_b64 s[26:27], s[26:27], s[30:31]
	s_cbranch_execz .LBB145_86
	s_branch .LBB145_87
.LBB145_92:
                                        ; implicit-def: $sgpr28_sgpr29
	s_mov_b64 s[34:35], 0
	s_cbranch_execnz .LBB145_96
	s_branch .LBB145_97
.LBB145_93:
	s_mov_b64 s[34:35], 0
                                        ; implicit-def: $sgpr28_sgpr29
	s_cbranch_execz .LBB145_95
; %bb.94:
	s_and_b64 s[36:37], s[0:1], s[2:3]
	s_andn2_b64 s[28:29], s[28:29], exec
	s_and_b64 s[36:37], s[36:37], exec
	s_or_b64 s[28:29], s[28:29], s[36:37]
.LBB145_95:
	s_branch .LBB145_97
.LBB145_96:
	s_cmp_lg_u32 s9, 0
	s_mov_b64 s[30:31], -1
	s_cselect_b64 s[34:35], -1, 0
.LBB145_97:
	s_andn2_b64 vcc, exec, s[34:35]
	s_cbranch_vccz .LBB145_104
; %bb.98:
	s_andn2_b64 vcc, exec, s[30:31]
	s_cbranch_vccnz .LBB145_100
.LBB145_99:
	s_or_b64 s[0:1], s[0:1], s[2:3]
	s_andn2_b64 s[28:29], s[28:29], exec
	s_and_b64 s[0:1], s[0:1], exec
	s_or_b64 s[28:29], s[28:29], s[0:1]
.LBB145_100:
	v_mov_b32_e32 v3, 0
	s_waitcnt vmcnt(0)
	v_cmp_ne_u32_sdwa s[0:1], v1, v3 src0_sel:BYTE_0 src1_sel:DWORD
	s_cmp_lt_i32 s9, 1
	s_mov_b64 s[34:35], 0
	s_cbranch_scc1 .LBB145_105
; %bb.101:
	s_cmp_gt_i32 s9, 1
	s_cbranch_scc0 .LBB145_106
; %bb.102:
	s_cmp_eq_u32 s9, 2
	s_cbranch_scc0 .LBB145_258
; %bb.103:
	s_xor_b64 s[30:31], s[0:1], -1
	s_or_b64 s[30:31], s[6:7], s[30:31]
	s_mov_b64 s[36:37], 0
	s_branch .LBB145_108
.LBB145_104:
	s_xor_b64 s[30:31], s[0:1], -1
	s_and_b64 s[34:35], s[6:7], s[30:31]
	s_andn2_b64 s[28:29], s[28:29], exec
	s_and_b64 s[34:35], s[34:35], exec
	s_or_b64 s[28:29], s[28:29], s[34:35]
	s_cbranch_execz .LBB145_99
	s_branch .LBB145_100
.LBB145_105:
                                        ; implicit-def: $sgpr30_sgpr31
	s_mov_b64 s[36:37], 0
	s_cbranch_execnz .LBB145_109
	s_branch .LBB145_110
.LBB145_106:
	s_mov_b64 s[36:37], 0
                                        ; implicit-def: $sgpr30_sgpr31
	s_cbranch_execz .LBB145_108
; %bb.107:
	s_and_b64 s[38:39], s[0:1], s[2:3]
	s_andn2_b64 s[30:31], s[30:31], exec
	s_and_b64 s[38:39], s[38:39], exec
	s_or_b64 s[30:31], s[30:31], s[38:39]
.LBB145_108:
	s_branch .LBB145_110
.LBB145_109:
	s_cmp_lg_u32 s9, 0
	s_mov_b64 s[34:35], -1
	s_cselect_b64 s[36:37], -1, 0
.LBB145_110:
	s_andn2_b64 vcc, exec, s[36:37]
	s_cbranch_vccz .LBB145_117
; %bb.111:
	s_andn2_b64 vcc, exec, s[34:35]
	s_cbranch_vccnz .LBB145_113
.LBB145_112:
	s_or_b64 s[0:1], s[0:1], s[2:3]
	s_andn2_b64 s[30:31], s[30:31], exec
	s_and_b64 s[0:1], s[0:1], exec
	s_or_b64 s[30:31], s[30:31], s[0:1]
.LBB145_113:
	v_and_b32_e32 v3, 0xff00, v1
	v_cmp_ne_u32_e64 s[0:1], 0, v3
	s_cmp_lt_i32 s9, 1
	s_mov_b64 s[36:37], 0
	s_cbranch_scc1 .LBB145_118
; %bb.114:
	s_cmp_gt_i32 s9, 1
	s_cbranch_scc0 .LBB145_119
; %bb.115:
	s_cmp_eq_u32 s9, 2
	s_cbranch_scc0 .LBB145_259
; %bb.116:
	s_xor_b64 s[34:35], s[0:1], -1
	s_or_b64 s[34:35], s[6:7], s[34:35]
	s_mov_b64 s[38:39], 0
	s_branch .LBB145_121
.LBB145_117:
	s_xor_b64 s[34:35], s[0:1], -1
	s_and_b64 s[36:37], s[6:7], s[34:35]
	s_andn2_b64 s[30:31], s[30:31], exec
	s_and_b64 s[36:37], s[36:37], exec
	s_or_b64 s[30:31], s[30:31], s[36:37]
	s_cbranch_execz .LBB145_112
	s_branch .LBB145_113
.LBB145_118:
                                        ; implicit-def: $sgpr34_sgpr35
	s_mov_b64 s[38:39], 0
	s_cbranch_execnz .LBB145_122
	s_branch .LBB145_123
.LBB145_119:
	s_mov_b64 s[38:39], 0
                                        ; implicit-def: $sgpr34_sgpr35
	s_cbranch_execz .LBB145_121
; %bb.120:
	s_and_b64 s[40:41], s[0:1], s[2:3]
	s_andn2_b64 s[34:35], s[34:35], exec
	s_and_b64 s[40:41], s[40:41], exec
	s_or_b64 s[34:35], s[34:35], s[40:41]
.LBB145_121:
	s_branch .LBB145_123
.LBB145_122:
	s_cmp_lg_u32 s9, 0
	s_mov_b64 s[36:37], -1
	s_cselect_b64 s[38:39], -1, 0
.LBB145_123:
	s_andn2_b64 vcc, exec, s[38:39]
	s_cbranch_vccz .LBB145_130
; %bb.124:
	s_andn2_b64 vcc, exec, s[36:37]
	s_cbranch_vccnz .LBB145_126
.LBB145_125:
	s_or_b64 s[0:1], s[0:1], s[2:3]
	s_andn2_b64 s[34:35], s[34:35], exec
	s_and_b64 s[0:1], s[0:1], exec
	s_or_b64 s[34:35], s[34:35], s[0:1]
.LBB145_126:
	v_and_b32_e32 v3, 0xff0000, v1
	v_cmp_ne_u32_e64 s[0:1], 0, v3
	s_cmp_lt_i32 s9, 1
	s_mov_b64 s[38:39], 0
	s_cbranch_scc1 .LBB145_131
; %bb.127:
	s_cmp_gt_i32 s9, 1
	s_cbranch_scc0 .LBB145_132
; %bb.128:
	s_cmp_eq_u32 s9, 2
	s_cbranch_scc0 .LBB145_260
; %bb.129:
	s_xor_b64 s[36:37], s[0:1], -1
	s_or_b64 s[36:37], s[6:7], s[36:37]
	s_mov_b64 s[40:41], 0
	s_branch .LBB145_134
.LBB145_130:
	s_xor_b64 s[36:37], s[0:1], -1
	s_and_b64 s[38:39], s[6:7], s[36:37]
	s_andn2_b64 s[34:35], s[34:35], exec
	s_and_b64 s[38:39], s[38:39], exec
	s_or_b64 s[34:35], s[34:35], s[38:39]
	s_cbranch_execz .LBB145_125
	s_branch .LBB145_126
.LBB145_131:
                                        ; implicit-def: $sgpr36_sgpr37
	s_mov_b64 s[40:41], 0
	s_cbranch_execnz .LBB145_135
	s_branch .LBB145_136
.LBB145_132:
	s_mov_b64 s[40:41], 0
                                        ; implicit-def: $sgpr36_sgpr37
	s_cbranch_execz .LBB145_134
; %bb.133:
	s_and_b64 s[42:43], s[0:1], s[2:3]
	s_andn2_b64 s[36:37], s[36:37], exec
	s_and_b64 s[42:43], s[42:43], exec
	s_or_b64 s[36:37], s[36:37], s[42:43]
.LBB145_134:
	s_branch .LBB145_136
.LBB145_135:
	s_cmp_lg_u32 s9, 0
	s_mov_b64 s[38:39], -1
	s_cselect_b64 s[40:41], -1, 0
.LBB145_136:
	s_andn2_b64 vcc, exec, s[40:41]
	s_cbranch_vccz .LBB145_143
; %bb.137:
	s_andn2_b64 vcc, exec, s[38:39]
	s_cbranch_vccnz .LBB145_139
.LBB145_138:
	s_or_b64 s[0:1], s[0:1], s[2:3]
	s_andn2_b64 s[36:37], s[36:37], exec
	s_and_b64 s[0:1], s[0:1], exec
	s_or_b64 s[36:37], s[36:37], s[0:1]
.LBB145_139:
	s_mov_b32 s0, 0xffffff
	v_cmp_lt_u32_e64 s[0:1], s0, v1
	s_cmp_lt_i32 s9, 1
	s_mov_b64 s[40:41], 0
	s_cbranch_scc1 .LBB145_144
; %bb.140:
	s_cmp_gt_i32 s9, 1
	s_cbranch_scc0 .LBB145_145
; %bb.141:
	s_cmp_eq_u32 s9, 2
	s_cbranch_scc0 .LBB145_261
; %bb.142:
	s_xor_b64 s[38:39], s[0:1], -1
	s_or_b64 s[38:39], s[6:7], s[38:39]
	s_mov_b64 s[42:43], 0
	s_branch .LBB145_147
.LBB145_143:
	s_xor_b64 s[38:39], s[0:1], -1
	s_and_b64 s[40:41], s[6:7], s[38:39]
	s_andn2_b64 s[36:37], s[36:37], exec
	s_and_b64 s[40:41], s[40:41], exec
	s_or_b64 s[36:37], s[36:37], s[40:41]
	s_cbranch_execz .LBB145_138
	s_branch .LBB145_139
.LBB145_144:
                                        ; implicit-def: $sgpr38_sgpr39
	s_mov_b64 s[42:43], 0
	s_cbranch_execnz .LBB145_148
	s_branch .LBB145_149
.LBB145_145:
	s_mov_b64 s[42:43], 0
                                        ; implicit-def: $sgpr38_sgpr39
	s_cbranch_execz .LBB145_147
; %bb.146:
	s_and_b64 s[44:45], s[0:1], s[2:3]
	s_andn2_b64 s[38:39], s[38:39], exec
	s_and_b64 s[44:45], s[44:45], exec
	s_or_b64 s[38:39], s[38:39], s[44:45]
.LBB145_147:
	s_branch .LBB145_149
.LBB145_148:
	s_cmp_lg_u32 s9, 0
	s_mov_b64 s[40:41], -1
	s_cselect_b64 s[42:43], -1, 0
.LBB145_149:
	s_andn2_b64 vcc, exec, s[42:43]
	s_cbranch_vccz .LBB145_156
; %bb.150:
	s_andn2_b64 vcc, exec, s[40:41]
	s_cbranch_vccnz .LBB145_152
.LBB145_151:
	s_or_b64 s[0:1], s[0:1], s[2:3]
	s_andn2_b64 s[38:39], s[38:39], exec
	s_and_b64 s[0:1], s[0:1], exec
	s_or_b64 s[38:39], s[38:39], s[0:1]
.LBB145_152:
	v_mov_b32_e32 v1, 0
	v_cmp_ne_u32_sdwa s[0:1], v2, v1 src0_sel:BYTE_0 src1_sel:DWORD
	s_cmp_lt_i32 s9, 1
	s_mov_b64 s[42:43], 0
	s_cbranch_scc1 .LBB145_157
; %bb.153:
	s_cmp_gt_i32 s9, 1
	s_cbranch_scc0 .LBB145_158
; %bb.154:
	s_cmp_eq_u32 s9, 2
	s_cbranch_scc0 .LBB145_262
; %bb.155:
	s_xor_b64 s[40:41], s[0:1], -1
	s_or_b64 s[40:41], s[6:7], s[40:41]
	s_mov_b64 s[44:45], 0
	s_branch .LBB145_160
.LBB145_156:
	s_xor_b64 s[40:41], s[0:1], -1
	s_and_b64 s[42:43], s[6:7], s[40:41]
	s_andn2_b64 s[38:39], s[38:39], exec
	s_and_b64 s[42:43], s[42:43], exec
	s_or_b64 s[38:39], s[38:39], s[42:43]
	s_cbranch_execz .LBB145_151
	s_branch .LBB145_152
.LBB145_157:
                                        ; implicit-def: $sgpr40_sgpr41
	s_mov_b64 s[44:45], 0
	s_cbranch_execnz .LBB145_161
	s_branch .LBB145_162
.LBB145_158:
	s_mov_b64 s[44:45], 0
                                        ; implicit-def: $sgpr40_sgpr41
	s_cbranch_execz .LBB145_160
; %bb.159:
	s_and_b64 s[46:47], s[0:1], s[2:3]
	s_andn2_b64 s[40:41], s[40:41], exec
	s_and_b64 s[46:47], s[46:47], exec
	s_or_b64 s[40:41], s[40:41], s[46:47]
.LBB145_160:
	s_branch .LBB145_162
.LBB145_161:
	s_cmp_lg_u32 s9, 0
	s_mov_b64 s[42:43], -1
	s_cselect_b64 s[44:45], -1, 0
.LBB145_162:
	s_andn2_b64 vcc, exec, s[44:45]
	s_cbranch_vccz .LBB145_169
; %bb.163:
	s_andn2_b64 vcc, exec, s[42:43]
	s_cbranch_vccnz .LBB145_165
.LBB145_164:
	s_or_b64 s[0:1], s[0:1], s[2:3]
	s_andn2_b64 s[40:41], s[40:41], exec
	s_and_b64 s[0:1], s[0:1], exec
	s_or_b64 s[40:41], s[40:41], s[0:1]
.LBB145_165:
	v_and_b32_e32 v1, 0xff00, v2
	v_cmp_ne_u32_e64 s[0:1], 0, v1
	s_cmp_lt_i32 s9, 1
	s_mov_b64 s[44:45], 0
	s_cbranch_scc1 .LBB145_170
; %bb.166:
	s_cmp_gt_i32 s9, 1
	s_cbranch_scc0 .LBB145_171
; %bb.167:
	s_cmp_eq_u32 s9, 2
	s_cbranch_scc0 .LBB145_263
; %bb.168:
	s_xor_b64 s[42:43], s[0:1], -1
	s_or_b64 s[42:43], s[6:7], s[42:43]
	s_mov_b64 s[46:47], 0
	s_branch .LBB145_173
.LBB145_169:
	s_xor_b64 s[42:43], s[0:1], -1
	s_and_b64 s[44:45], s[6:7], s[42:43]
	s_andn2_b64 s[40:41], s[40:41], exec
	s_and_b64 s[44:45], s[44:45], exec
	s_or_b64 s[40:41], s[40:41], s[44:45]
	s_cbranch_execz .LBB145_164
	s_branch .LBB145_165
.LBB145_170:
                                        ; implicit-def: $sgpr42_sgpr43
	s_mov_b64 s[46:47], 0
	s_cbranch_execnz .LBB145_174
	s_branch .LBB145_175
.LBB145_171:
	s_mov_b64 s[46:47], 0
                                        ; implicit-def: $sgpr42_sgpr43
	s_cbranch_execz .LBB145_173
; %bb.172:
	s_and_b64 s[48:49], s[0:1], s[2:3]
	s_andn2_b64 s[42:43], s[42:43], exec
	s_and_b64 s[48:49], s[48:49], exec
	s_or_b64 s[42:43], s[42:43], s[48:49]
.LBB145_173:
	s_branch .LBB145_175
.LBB145_174:
	s_cmp_lg_u32 s9, 0
	s_mov_b64 s[44:45], -1
	s_cselect_b64 s[46:47], -1, 0
.LBB145_175:
	s_andn2_b64 vcc, exec, s[46:47]
	s_cbranch_vccz .LBB145_182
; %bb.176:
	s_andn2_b64 vcc, exec, s[44:45]
	s_cbranch_vccnz .LBB145_178
.LBB145_177:
	s_or_b64 s[0:1], s[0:1], s[2:3]
	s_andn2_b64 s[42:43], s[42:43], exec
	s_and_b64 s[0:1], s[0:1], exec
	s_or_b64 s[42:43], s[42:43], s[0:1]
.LBB145_178:
	v_and_b32_e32 v1, 0xff0000, v2
	v_cmp_ne_u32_e64 s[0:1], 0, v1
	s_cmp_lt_i32 s9, 1
	s_mov_b64 s[46:47], 0
	s_cbranch_scc1 .LBB145_183
; %bb.179:
	s_cmp_gt_i32 s9, 1
	s_cbranch_scc0 .LBB145_184
; %bb.180:
	s_cmp_eq_u32 s9, 2
	s_cbranch_scc0 .LBB145_264
; %bb.181:
	s_xor_b64 s[44:45], s[0:1], -1
	s_or_b64 s[44:45], s[6:7], s[44:45]
	s_mov_b64 s[48:49], 0
	s_branch .LBB145_186
.LBB145_182:
	s_xor_b64 s[44:45], s[0:1], -1
	s_and_b64 s[46:47], s[6:7], s[44:45]
	s_andn2_b64 s[42:43], s[42:43], exec
	s_and_b64 s[46:47], s[46:47], exec
	s_or_b64 s[42:43], s[42:43], s[46:47]
	s_cbranch_execz .LBB145_177
	s_branch .LBB145_178
.LBB145_183:
                                        ; implicit-def: $sgpr44_sgpr45
	s_mov_b64 s[48:49], 0
	s_cbranch_execnz .LBB145_187
	s_branch .LBB145_188
.LBB145_184:
	s_mov_b64 s[48:49], 0
                                        ; implicit-def: $sgpr44_sgpr45
	s_cbranch_execz .LBB145_186
; %bb.185:
	s_and_b64 s[50:51], s[0:1], s[2:3]
	s_andn2_b64 s[44:45], s[44:45], exec
	s_and_b64 s[50:51], s[50:51], exec
	s_or_b64 s[44:45], s[44:45], s[50:51]
.LBB145_186:
	s_branch .LBB145_188
.LBB145_187:
	s_cmp_lg_u32 s9, 0
	s_mov_b64 s[46:47], -1
	s_cselect_b64 s[48:49], -1, 0
.LBB145_188:
	s_andn2_b64 vcc, exec, s[48:49]
	s_cbranch_vccz .LBB145_195
; %bb.189:
	s_andn2_b64 vcc, exec, s[46:47]
	s_cbranch_vccnz .LBB145_191
.LBB145_190:
	s_or_b64 s[0:1], s[0:1], s[2:3]
	s_andn2_b64 s[44:45], s[44:45], exec
	s_and_b64 s[0:1], s[0:1], exec
	s_or_b64 s[44:45], s[44:45], s[0:1]
.LBB145_191:
	s_mov_b32 s0, 0xffffff
	v_cmp_lt_u32_e64 s[0:1], s0, v2
	s_cmp_lt_i32 s9, 1
	s_mov_b64 s[48:49], 0
	s_cbranch_scc1 .LBB145_196
; %bb.192:
	s_cmp_gt_i32 s9, 1
	s_cbranch_scc0 .LBB145_197
; %bb.193:
	s_cmp_eq_u32 s9, 2
	s_cbranch_scc0 .LBB145_265
; %bb.194:
	s_xor_b64 s[46:47], s[0:1], -1
	s_or_b64 s[46:47], s[6:7], s[46:47]
	s_mov_b64 s[50:51], 0
	s_branch .LBB145_199
.LBB145_195:
	s_xor_b64 s[46:47], s[0:1], -1
	s_and_b64 s[48:49], s[6:7], s[46:47]
	s_andn2_b64 s[44:45], s[44:45], exec
	s_and_b64 s[48:49], s[48:49], exec
	s_or_b64 s[44:45], s[44:45], s[48:49]
	s_cbranch_execz .LBB145_190
	s_branch .LBB145_191
.LBB145_196:
                                        ; implicit-def: $sgpr46_sgpr47
	s_mov_b64 s[50:51], 0
	s_cbranch_execnz .LBB145_200
	s_branch .LBB145_201
.LBB145_197:
	s_mov_b64 s[50:51], 0
                                        ; implicit-def: $sgpr46_sgpr47
	s_cbranch_execz .LBB145_199
; %bb.198:
	s_and_b64 s[52:53], s[0:1], s[2:3]
	s_andn2_b64 s[46:47], s[46:47], exec
	s_and_b64 s[52:53], s[52:53], exec
	s_or_b64 s[46:47], s[46:47], s[52:53]
.LBB145_199:
	s_branch .LBB145_201
.LBB145_200:
	s_cmp_lg_u32 s9, 0
	s_mov_b64 s[48:49], -1
	s_cselect_b64 s[50:51], -1, 0
.LBB145_201:
	s_andn2_b64 vcc, exec, s[50:51]
	s_cbranch_vccz .LBB145_243
; %bb.202:
	s_andn2_b64 vcc, exec, s[48:49]
	s_cbranch_vccnz .LBB145_204
.LBB145_203:
	s_or_b64 s[0:1], s[0:1], s[2:3]
	s_andn2_b64 s[2:3], s[46:47], exec
	s_and_b64 s[0:1], s[0:1], exec
	s_or_b64 s[46:47], s[2:3], s[0:1]
.LBB145_204:
	v_cndmask_b32_e64 v1, 0, 1, s[16:17]
	v_lshlrev_b16_e32 v1, 8, v1
	v_cndmask_b32_e64 v2, 0, 1, s[4:5]
	v_or_b32_e32 v1, v2, v1
	v_cndmask_b32_e64 v2, 0, 1, s[20:21]
	v_lshlrev_b16_e32 v2, 8, v2
	v_cndmask_b32_e64 v3, 0, 1, s[18:19]
	v_or_b32_sdwa v2, v3, v2 dst_sel:WORD_1 dst_unused:UNUSED_PAD src0_sel:DWORD src1_sel:DWORD
	v_or_b32_sdwa v1, v1, v2 dst_sel:DWORD dst_unused:UNUSED_PAD src0_sel:WORD_0 src1_sel:DWORD
	v_cndmask_b32_e64 v2, 0, 1, s[24:25]
	v_lshlrev_b16_e32 v2, 8, v2
	v_cndmask_b32_e64 v3, 0, 1, s[22:23]
	v_or_b32_e32 v2, v3, v2
	v_cndmask_b32_e64 v3, 0, 1, s[28:29]
	v_lshlrev_b16_e32 v3, 8, v3
	v_cndmask_b32_e64 v4, 0, 1, s[26:27]
	v_or_b32_sdwa v3, v4, v3 dst_sel:WORD_1 dst_unused:UNUSED_PAD src0_sel:DWORD src1_sel:DWORD
	v_or_b32_sdwa v2, v2, v3 dst_sel:DWORD dst_unused:UNUSED_PAD src0_sel:WORD_0 src1_sel:DWORD
	;; [unrolled: 9-line block ×3, first 2 shown]
	v_cndmask_b32_e64 v4, 0, 1, s[42:43]
	v_lshlrev_b16_e32 v4, 8, v4
	v_cndmask_b32_e64 v6, 0, 1, s[40:41]
	v_or_b32_e32 v4, v6, v4
	v_cndmask_b32_e64 v6, 0, 1, s[46:47]
	v_lshlrev_b16_e32 v6, 8, v6
	v_cndmask_b32_e64 v7, 0, 1, s[44:45]
	s_add_u32 s0, s12, s33
	v_or_b32_sdwa v6, v7, v6 dst_sel:WORD_1 dst_unused:UNUSED_PAD src0_sel:DWORD src1_sel:DWORD
	s_addc_u32 s1, s13, s11
	v_or_b32_sdwa v4, v4, v6 dst_sel:DWORD dst_unused:UNUSED_PAD src0_sel:WORD_0 src1_sel:DWORD
	global_store_dwordx2 v5, v[1:2], s[0:1]
	global_store_dwordx2 v5, v[3:4], s[0:1] offset:2048
	s_mov_b64 s[0:1], 0
.LBB145_205:
	s_and_b64 vcc, exec, s[0:1]
	s_cbranch_vccz .LBB145_519
; %bb.206:
	v_cmp_gt_i32_e64 s[0:1], s8, v0
	s_mov_b64 s[44:45], 0
	v_or_b32_e32 v1, s33, v0
	s_mov_b64 s[46:47], 0
	v_mov_b32_e32 v2, v0
	s_and_saveexec_b64 s[2:3], s[0:1]
	s_cbranch_execz .LBB145_208
; %bb.207:
	global_load_ubyte v3, v1, s[14:15]
	v_or_b32_e32 v2, 0x100, v0
	s_waitcnt vmcnt(0)
	v_cmp_ne_u16_e32 vcc, 0, v3
	s_and_b64 s[46:47], vcc, exec
.LBB145_208:
	s_or_b64 exec, exec, s[2:3]
	v_cmp_gt_i32_e32 vcc, s8, v2
	s_and_saveexec_b64 s[2:3], vcc
	s_cbranch_execz .LBB145_210
; %bb.209:
	v_add_u32_e32 v3, s33, v2
	global_load_ubyte v3, v3, s[14:15]
	v_add_u32_e32 v2, 0x100, v2
	s_waitcnt vmcnt(0)
	v_cmp_ne_u16_e32 vcc, 0, v3
	s_and_b64 s[44:45], vcc, exec
.LBB145_210:
	s_or_b64 exec, exec, s[2:3]
	v_cmp_gt_i32_e32 vcc, s8, v2
	s_mov_b64 s[40:41], 0
	s_mov_b64 s[42:43], 0
	s_and_saveexec_b64 s[2:3], vcc
	s_cbranch_execz .LBB145_212
; %bb.211:
	v_add_u32_e32 v3, s33, v2
	global_load_ubyte v3, v3, s[14:15]
	v_add_u32_e32 v2, 0x100, v2
	s_waitcnt vmcnt(0)
	v_cmp_ne_u16_e32 vcc, 0, v3
	s_and_b64 s[42:43], vcc, exec
.LBB145_212:
	s_or_b64 exec, exec, s[2:3]
	v_cmp_gt_i32_e32 vcc, s8, v2
	s_and_saveexec_b64 s[2:3], vcc
	s_cbranch_execz .LBB145_214
; %bb.213:
	v_add_u32_e32 v3, s33, v2
	global_load_ubyte v3, v3, s[14:15]
	v_add_u32_e32 v2, 0x100, v2
	s_waitcnt vmcnt(0)
	v_cmp_ne_u16_e32 vcc, 0, v3
	s_and_b64 s[40:41], vcc, exec
.LBB145_214:
	s_or_b64 exec, exec, s[2:3]
	v_cmp_gt_i32_e32 vcc, s8, v2
	s_mov_b64 s[36:37], 0
	s_mov_b64 s[38:39], 0
	s_and_saveexec_b64 s[2:3], vcc
	s_cbranch_execz .LBB145_216
; %bb.215:
	v_add_u32_e32 v3, s33, v2
	global_load_ubyte v3, v3, s[14:15]
	v_add_u32_e32 v2, 0x100, v2
	s_waitcnt vmcnt(0)
	v_cmp_ne_u16_e32 vcc, 0, v3
	s_and_b64 s[38:39], vcc, exec
.LBB145_216:
	;; [unrolled: 26-line block ×7, first 2 shown]
	s_or_b64 exec, exec, s[4:5]
	v_cmp_gt_i32_e32 vcc, s8, v2
	s_and_saveexec_b64 s[4:5], vcc
	s_cbranch_execz .LBB145_238
; %bb.237:
	v_add_u32_e32 v2, s33, v2
	global_load_ubyte v2, v2, s[14:15]
	s_waitcnt vmcnt(0)
	v_cmp_ne_u16_e32 vcc, 0, v2
	s_and_b64 s[2:3], vcc, exec
.LBB145_238:
	s_or_b64 exec, exec, s[4:5]
	s_bitcmp1_b32 s10, 0
	s_cselect_b64 s[6:7], -1, 0
	v_mov_b32_e32 v5, 0
	s_xor_b64 s[4:5], s[6:7], -1
	v_mov_b32_e32 v4, v5
	v_mov_b32_e32 v3, v5
	;; [unrolled: 1-line block ×3, first 2 shown]
	s_and_saveexec_b64 s[10:11], s[0:1]
	s_cbranch_execz .LBB145_276
; %bb.239:
	s_cmp_lt_i32 s9, 1
	s_mov_b64 s[14:15], 0
	s_cbranch_scc1 .LBB145_244
; %bb.240:
	s_cmp_gt_i32 s9, 1
	s_cbranch_scc0 .LBB145_266
; %bb.241:
	s_cmp_eq_u32 s9, 2
	s_cbranch_scc0 .LBB145_267
; %bb.242:
	s_xor_b64 s[48:49], s[46:47], -1
	s_or_b64 s[48:49], s[6:7], s[48:49]
	s_mov_b64 s[50:51], 0
	s_branch .LBB145_268
.LBB145_243:
	s_xor_b64 s[48:49], s[0:1], -1
	s_and_b64 s[6:7], s[6:7], s[48:49]
	s_andn2_b64 s[46:47], s[46:47], exec
	s_and_b64 s[6:7], s[6:7], exec
	s_or_b64 s[46:47], s[46:47], s[6:7]
	s_cbranch_execz .LBB145_203
	s_branch .LBB145_204
.LBB145_244:
                                        ; implicit-def: $sgpr48_sgpr49
	s_mov_b64 s[50:51], 0
	s_cbranch_execnz .LBB145_271
	s_branch .LBB145_272
.LBB145_245:
	s_mov_b64 s[20:21], -1
                                        ; implicit-def: $sgpr16_sgpr17
	s_branch .LBB145_16
.LBB145_246:
	s_mov_b64 s[18:19], -1
                                        ; implicit-def: $sgpr4_sgpr5
.LBB145_247:
	s_branch .LBB145_249
.LBB145_248:
	s_and_b64 s[20:21], s[0:1], s[2:3]
	s_andn2_b64 s[4:5], s[4:5], exec
	s_and_b64 s[20:21], s[20:21], exec
	s_or_b64 s[4:5], s[4:5], s[20:21]
.LBB145_249:
	s_branch .LBB145_3
.LBB145_250:
	s_cmp_lg_u32 s9, 0
	s_mov_b64 s[16:17], -1
	s_cselect_b64 s[18:19], -1, 0
	s_andn2_b64 vcc, exec, s[18:19]
	s_cbranch_vccnz .LBB145_4
.LBB145_251:
	s_xor_b64 s[16:17], s[0:1], -1
	s_and_b64 s[18:19], s[6:7], s[16:17]
	s_andn2_b64 s[4:5], s[4:5], exec
	s_and_b64 s[18:19], s[18:19], exec
	s_or_b64 s[4:5], s[4:5], s[18:19]
	s_cbranch_execz .LBB145_5
	s_branch .LBB145_6
.LBB145_252:
	s_mov_b64 s[22:23], -1
                                        ; implicit-def: $sgpr18_sgpr19
	s_branch .LBB145_30
.LBB145_253:
	s_mov_b64 s[24:25], -1
                                        ; implicit-def: $sgpr20_sgpr21
	s_branch .LBB145_43
.LBB145_254:
	s_mov_b64 s[26:27], -1
                                        ; implicit-def: $sgpr22_sgpr23
	s_branch .LBB145_56
.LBB145_255:
	s_mov_b64 s[28:29], -1
                                        ; implicit-def: $sgpr24_sgpr25
	s_branch .LBB145_69
.LBB145_256:
	s_mov_b64 s[30:31], -1
                                        ; implicit-def: $sgpr26_sgpr27
	s_branch .LBB145_82
.LBB145_257:
	s_mov_b64 s[34:35], -1
                                        ; implicit-def: $sgpr28_sgpr29
	s_branch .LBB145_95
.LBB145_258:
	s_mov_b64 s[36:37], -1
                                        ; implicit-def: $sgpr30_sgpr31
	s_branch .LBB145_108
.LBB145_259:
	s_mov_b64 s[38:39], -1
                                        ; implicit-def: $sgpr34_sgpr35
	s_branch .LBB145_121
.LBB145_260:
	s_mov_b64 s[40:41], -1
                                        ; implicit-def: $sgpr36_sgpr37
	s_branch .LBB145_134
.LBB145_261:
	s_mov_b64 s[42:43], -1
                                        ; implicit-def: $sgpr38_sgpr39
	s_branch .LBB145_147
.LBB145_262:
	s_mov_b64 s[44:45], -1
                                        ; implicit-def: $sgpr40_sgpr41
	s_branch .LBB145_160
.LBB145_263:
	s_mov_b64 s[46:47], -1
                                        ; implicit-def: $sgpr42_sgpr43
	s_branch .LBB145_173
.LBB145_264:
	s_mov_b64 s[48:49], -1
                                        ; implicit-def: $sgpr44_sgpr45
	s_branch .LBB145_186
.LBB145_265:
	s_mov_b64 s[50:51], -1
                                        ; implicit-def: $sgpr46_sgpr47
	s_branch .LBB145_199
.LBB145_266:
	s_mov_b64 s[50:51], 0
                                        ; implicit-def: $sgpr48_sgpr49
	s_cbranch_execnz .LBB145_269
	s_branch .LBB145_270
.LBB145_267:
	s_mov_b64 s[50:51], -1
                                        ; implicit-def: $sgpr48_sgpr49
.LBB145_268:
	s_branch .LBB145_270
.LBB145_269:
	s_and_b64 s[52:53], s[46:47], s[4:5]
	s_andn2_b64 s[48:49], s[48:49], exec
	s_and_b64 s[52:53], s[52:53], exec
	s_or_b64 s[48:49], s[48:49], s[52:53]
.LBB145_270:
	s_branch .LBB145_272
.LBB145_271:
	s_cmp_lg_u32 s9, 0
	s_mov_b64 s[14:15], -1
	s_cselect_b64 s[50:51], -1, 0
.LBB145_272:
	s_andn2_b64 vcc, exec, s[50:51]
	s_cbranch_vccz .LBB145_281
; %bb.273:
	s_andn2_b64 vcc, exec, s[14:15]
	s_cbranch_vccnz .LBB145_275
.LBB145_274:
	s_or_b64 s[14:15], s[46:47], s[4:5]
	s_andn2_b64 s[46:47], s[48:49], exec
	s_and_b64 s[14:15], s[14:15], exec
	s_or_b64 s[48:49], s[46:47], s[14:15]
.LBB145_275:
	v_cndmask_b32_e64 v2, 0, 1, s[48:49]
	v_mov_b32_e32 v4, 0
	v_and_b32_e32 v5, 0xffff, v2
	v_mov_b32_e32 v3, v4
	v_mov_b32_e32 v2, v4
.LBB145_276:
	s_or_b64 exec, exec, s[10:11]
	v_or_b32_e32 v6, 0x100, v0
	v_cmp_gt_i32_e32 vcc, s8, v6
	s_and_saveexec_b64 s[10:11], vcc
	s_cbranch_execz .LBB145_291
; %bb.277:
	s_cmp_lt_i32 s9, 1
	s_mov_b64 s[14:15], 0
	s_cbranch_scc1 .LBB145_282
; %bb.278:
	s_cmp_gt_i32 s9, 1
	s_cbranch_scc0 .LBB145_283
; %bb.279:
	s_cmp_eq_u32 s9, 2
	s_cbranch_scc0 .LBB145_535
; %bb.280:
	s_xor_b64 s[46:47], s[44:45], -1
	s_or_b64 s[46:47], s[6:7], s[46:47]
	s_mov_b64 s[48:49], 0
	s_branch .LBB145_285
.LBB145_281:
	s_xor_b64 s[14:15], s[46:47], -1
	s_and_b64 s[50:51], s[6:7], s[14:15]
	s_andn2_b64 s[48:49], s[48:49], exec
	s_and_b64 s[50:51], s[50:51], exec
	s_or_b64 s[48:49], s[48:49], s[50:51]
	s_cbranch_execz .LBB145_274
	s_branch .LBB145_275
.LBB145_282:
                                        ; implicit-def: $sgpr46_sgpr47
	s_mov_b64 s[48:49], 0
	s_cbranch_execnz .LBB145_286
	s_branch .LBB145_287
.LBB145_283:
	s_mov_b64 s[48:49], 0
                                        ; implicit-def: $sgpr46_sgpr47
	s_cbranch_execz .LBB145_285
; %bb.284:
	s_and_b64 s[50:51], s[44:45], s[4:5]
	s_andn2_b64 s[46:47], s[46:47], exec
	s_and_b64 s[50:51], s[50:51], exec
	s_or_b64 s[46:47], s[46:47], s[50:51]
.LBB145_285:
	s_branch .LBB145_287
.LBB145_286:
	s_cmp_lg_u32 s9, 0
	s_mov_b64 s[14:15], -1
	s_cselect_b64 s[48:49], -1, 0
.LBB145_287:
	s_andn2_b64 vcc, exec, s[48:49]
	s_cbranch_vccz .LBB145_296
; %bb.288:
	s_andn2_b64 vcc, exec, s[14:15]
	s_cbranch_vccnz .LBB145_290
.LBB145_289:
	s_or_b64 s[14:15], s[44:45], s[4:5]
	s_andn2_b64 s[44:45], s[46:47], exec
	s_and_b64 s[14:15], s[14:15], exec
	s_or_b64 s[46:47], s[44:45], s[14:15]
.LBB145_290:
	v_cndmask_b32_e64 v7, 0, 1, s[46:47]
	v_lshlrev_b16_e32 v7, 8, v7
	v_or_b32_sdwa v7, v5, v7 dst_sel:DWORD dst_unused:UNUSED_PAD src0_sel:BYTE_0 src1_sel:DWORD
	v_and_b32_e32 v7, 0xffff, v7
	s_mov_b32 s14, 0xffff0000
	v_and_or_b32 v5, v5, s14, v7
.LBB145_291:
	s_or_b64 exec, exec, s[10:11]
	v_or_b32_e32 v7, 0x200, v0
	v_cmp_gt_i32_e32 vcc, s8, v7
	s_and_saveexec_b64 s[10:11], vcc
	s_cbranch_execz .LBB145_306
; %bb.292:
	s_cmp_lt_i32 s9, 1
	s_mov_b64 s[14:15], 0
	s_cbranch_scc1 .LBB145_297
; %bb.293:
	s_cmp_gt_i32 s9, 1
	s_cbranch_scc0 .LBB145_298
; %bb.294:
	s_cmp_eq_u32 s9, 2
	s_cbranch_scc0 .LBB145_536
; %bb.295:
	s_xor_b64 s[44:45], s[42:43], -1
	s_or_b64 s[44:45], s[6:7], s[44:45]
	s_mov_b64 s[46:47], 0
	s_branch .LBB145_300
.LBB145_296:
	s_xor_b64 s[14:15], s[44:45], -1
	s_and_b64 s[48:49], s[6:7], s[14:15]
	s_andn2_b64 s[46:47], s[46:47], exec
	s_and_b64 s[48:49], s[48:49], exec
	s_or_b64 s[46:47], s[46:47], s[48:49]
	s_cbranch_execz .LBB145_289
	s_branch .LBB145_290
.LBB145_297:
                                        ; implicit-def: $sgpr44_sgpr45
	s_mov_b64 s[46:47], 0
	s_cbranch_execnz .LBB145_301
	s_branch .LBB145_302
.LBB145_298:
	s_mov_b64 s[46:47], 0
                                        ; implicit-def: $sgpr44_sgpr45
	s_cbranch_execz .LBB145_300
; %bb.299:
	s_and_b64 s[48:49], s[42:43], s[4:5]
	s_andn2_b64 s[44:45], s[44:45], exec
	s_and_b64 s[48:49], s[48:49], exec
	s_or_b64 s[44:45], s[44:45], s[48:49]
.LBB145_300:
	s_branch .LBB145_302
.LBB145_301:
	s_cmp_lg_u32 s9, 0
	s_mov_b64 s[14:15], -1
	s_cselect_b64 s[46:47], -1, 0
.LBB145_302:
	s_andn2_b64 vcc, exec, s[46:47]
	s_cbranch_vccz .LBB145_311
; %bb.303:
	s_andn2_b64 vcc, exec, s[14:15]
	s_cbranch_vccnz .LBB145_305
.LBB145_304:
	s_or_b64 s[14:15], s[42:43], s[4:5]
	s_andn2_b64 s[42:43], s[44:45], exec
	s_and_b64 s[14:15], s[14:15], exec
	s_or_b64 s[44:45], s[42:43], s[14:15]
.LBB145_305:
	s_movk_i32 s14, 0xff00
	v_and_b32_sdwa v7, v5, s14 dst_sel:DWORD dst_unused:UNUSED_PAD src0_sel:WORD_1 src1_sel:DWORD
	v_cndmask_b32_e64 v8, 0, 1, s[44:45]
	v_or_b32_sdwa v7, v8, v7 dst_sel:WORD_1 dst_unused:UNUSED_PAD src0_sel:DWORD src1_sel:DWORD
	s_mov_b32 s14, 0xffff
	v_and_or_b32 v5, v5, s14, v7
.LBB145_306:
	s_or_b64 exec, exec, s[10:11]
	v_or_b32_e32 v7, 0x300, v0
	v_cmp_gt_i32_e32 vcc, s8, v7
	s_and_saveexec_b64 s[10:11], vcc
	s_cbranch_execz .LBB145_321
; %bb.307:
	s_cmp_lt_i32 s9, 1
	s_mov_b64 s[14:15], 0
	s_cbranch_scc1 .LBB145_312
; %bb.308:
	s_cmp_gt_i32 s9, 1
	s_cbranch_scc0 .LBB145_313
; %bb.309:
	s_cmp_eq_u32 s9, 2
	s_cbranch_scc0 .LBB145_537
; %bb.310:
	s_xor_b64 s[42:43], s[40:41], -1
	s_or_b64 s[42:43], s[6:7], s[42:43]
	s_mov_b64 s[44:45], 0
	s_branch .LBB145_315
.LBB145_311:
	s_xor_b64 s[14:15], s[42:43], -1
	s_and_b64 s[46:47], s[6:7], s[14:15]
	s_andn2_b64 s[44:45], s[44:45], exec
	s_and_b64 s[46:47], s[46:47], exec
	s_or_b64 s[44:45], s[44:45], s[46:47]
	s_cbranch_execz .LBB145_304
	s_branch .LBB145_305
.LBB145_312:
                                        ; implicit-def: $sgpr42_sgpr43
	s_mov_b64 s[44:45], 0
	s_cbranch_execnz .LBB145_316
	s_branch .LBB145_317
.LBB145_313:
	s_mov_b64 s[44:45], 0
                                        ; implicit-def: $sgpr42_sgpr43
	s_cbranch_execz .LBB145_315
; %bb.314:
	s_and_b64 s[46:47], s[40:41], s[4:5]
	s_andn2_b64 s[42:43], s[42:43], exec
	s_and_b64 s[46:47], s[46:47], exec
	s_or_b64 s[42:43], s[42:43], s[46:47]
.LBB145_315:
	s_branch .LBB145_317
.LBB145_316:
	s_cmp_lg_u32 s9, 0
	s_mov_b64 s[14:15], -1
	s_cselect_b64 s[44:45], -1, 0
.LBB145_317:
	s_andn2_b64 vcc, exec, s[44:45]
	s_cbranch_vccz .LBB145_326
; %bb.318:
	s_andn2_b64 vcc, exec, s[14:15]
	s_cbranch_vccnz .LBB145_320
.LBB145_319:
	s_or_b64 s[14:15], s[40:41], s[4:5]
	s_andn2_b64 s[40:41], s[42:43], exec
	s_and_b64 s[14:15], s[14:15], exec
	s_or_b64 s[42:43], s[40:41], s[14:15]
.LBB145_320:
	s_movk_i32 s14, 0xff
	v_cndmask_b32_e64 v8, 0, 1, s[42:43]
	v_and_b32_sdwa v7, v5, s14 dst_sel:DWORD dst_unused:UNUSED_PAD src0_sel:WORD_1 src1_sel:DWORD
	v_lshlrev_b16_e32 v8, 8, v8
	v_or_b32_sdwa v7, v7, v8 dst_sel:WORD_1 dst_unused:UNUSED_PAD src0_sel:DWORD src1_sel:DWORD
	s_mov_b32 s14, 0xffff
	v_and_or_b32 v5, v5, s14, v7
.LBB145_321:
	s_or_b64 exec, exec, s[10:11]
	v_or_b32_e32 v7, 0x400, v0
	v_cmp_gt_i32_e32 vcc, s8, v7
	s_and_saveexec_b64 s[10:11], vcc
	s_cbranch_execz .LBB145_336
; %bb.322:
	s_cmp_lt_i32 s9, 1
	s_mov_b64 s[14:15], 0
	s_cbranch_scc1 .LBB145_327
; %bb.323:
	s_cmp_gt_i32 s9, 1
	s_cbranch_scc0 .LBB145_328
; %bb.324:
	s_cmp_eq_u32 s9, 2
	s_cbranch_scc0 .LBB145_538
; %bb.325:
	s_xor_b64 s[40:41], s[38:39], -1
	s_or_b64 s[40:41], s[6:7], s[40:41]
	s_mov_b64 s[42:43], 0
	s_branch .LBB145_330
.LBB145_326:
	s_xor_b64 s[14:15], s[40:41], -1
	s_and_b64 s[44:45], s[6:7], s[14:15]
	s_andn2_b64 s[42:43], s[42:43], exec
	s_and_b64 s[44:45], s[44:45], exec
	s_or_b64 s[42:43], s[42:43], s[44:45]
	s_cbranch_execz .LBB145_319
	s_branch .LBB145_320
.LBB145_327:
                                        ; implicit-def: $sgpr40_sgpr41
	s_mov_b64 s[42:43], 0
	s_cbranch_execnz .LBB145_331
	s_branch .LBB145_332
.LBB145_328:
	s_mov_b64 s[42:43], 0
                                        ; implicit-def: $sgpr40_sgpr41
	s_cbranch_execz .LBB145_330
; %bb.329:
	s_and_b64 s[44:45], s[38:39], s[4:5]
	s_andn2_b64 s[40:41], s[40:41], exec
	s_and_b64 s[44:45], s[44:45], exec
	s_or_b64 s[40:41], s[40:41], s[44:45]
.LBB145_330:
	s_branch .LBB145_332
.LBB145_331:
	s_cmp_lg_u32 s9, 0
	s_mov_b64 s[14:15], -1
	s_cselect_b64 s[42:43], -1, 0
.LBB145_332:
	s_andn2_b64 vcc, exec, s[42:43]
	s_cbranch_vccz .LBB145_341
; %bb.333:
	s_andn2_b64 vcc, exec, s[14:15]
	s_cbranch_vccnz .LBB145_335
.LBB145_334:
	s_or_b64 s[14:15], s[38:39], s[4:5]
	s_andn2_b64 s[38:39], s[40:41], exec
	s_and_b64 s[14:15], s[14:15], exec
	s_or_b64 s[40:41], s[38:39], s[14:15]
.LBB145_335:
	v_and_b32_e32 v7, 0xffffff00, v4
	v_cndmask_b32_e64 v8, 0, 1, s[40:41]
	v_or_b32_e32 v7, v8, v7
	v_and_b32_e32 v7, 0xffff, v7
	s_mov_b32 s14, 0xffff0000
	v_and_or_b32 v4, v4, s14, v7
.LBB145_336:
	s_or_b64 exec, exec, s[10:11]
	v_or_b32_e32 v7, 0x500, v0
	v_cmp_gt_i32_e32 vcc, s8, v7
	s_and_saveexec_b64 s[10:11], vcc
	s_cbranch_execz .LBB145_351
; %bb.337:
	s_cmp_lt_i32 s9, 1
	s_mov_b64 s[14:15], 0
	s_cbranch_scc1 .LBB145_342
; %bb.338:
	s_cmp_gt_i32 s9, 1
	s_cbranch_scc0 .LBB145_343
; %bb.339:
	s_cmp_eq_u32 s9, 2
	s_cbranch_scc0 .LBB145_539
; %bb.340:
	s_xor_b64 s[38:39], s[36:37], -1
	s_or_b64 s[38:39], s[6:7], s[38:39]
	s_mov_b64 s[40:41], 0
	s_branch .LBB145_345
.LBB145_341:
	s_xor_b64 s[14:15], s[38:39], -1
	s_and_b64 s[42:43], s[6:7], s[14:15]
	s_andn2_b64 s[40:41], s[40:41], exec
	s_and_b64 s[42:43], s[42:43], exec
	s_or_b64 s[40:41], s[40:41], s[42:43]
	s_cbranch_execz .LBB145_334
	s_branch .LBB145_335
.LBB145_342:
                                        ; implicit-def: $sgpr38_sgpr39
	s_mov_b64 s[40:41], 0
	s_cbranch_execnz .LBB145_346
	s_branch .LBB145_347
.LBB145_343:
	s_mov_b64 s[40:41], 0
                                        ; implicit-def: $sgpr38_sgpr39
	s_cbranch_execz .LBB145_345
; %bb.344:
	s_and_b64 s[42:43], s[36:37], s[4:5]
	s_andn2_b64 s[38:39], s[38:39], exec
	s_and_b64 s[42:43], s[42:43], exec
	s_or_b64 s[38:39], s[38:39], s[42:43]
.LBB145_345:
	s_branch .LBB145_347
.LBB145_346:
	s_cmp_lg_u32 s9, 0
	s_mov_b64 s[14:15], -1
	s_cselect_b64 s[40:41], -1, 0
.LBB145_347:
	s_andn2_b64 vcc, exec, s[40:41]
	s_cbranch_vccz .LBB145_356
; %bb.348:
	s_andn2_b64 vcc, exec, s[14:15]
	s_cbranch_vccnz .LBB145_350
.LBB145_349:
	s_or_b64 s[14:15], s[36:37], s[4:5]
	s_andn2_b64 s[36:37], s[38:39], exec
	s_and_b64 s[14:15], s[14:15], exec
	s_or_b64 s[38:39], s[36:37], s[14:15]
.LBB145_350:
	v_cndmask_b32_e64 v7, 0, 1, s[38:39]
	v_lshlrev_b16_e32 v7, 8, v7
	v_or_b32_sdwa v7, v4, v7 dst_sel:DWORD dst_unused:UNUSED_PAD src0_sel:BYTE_0 src1_sel:DWORD
	v_and_b32_e32 v7, 0xffff, v7
	s_mov_b32 s14, 0xffff0000
	v_and_or_b32 v4, v4, s14, v7
.LBB145_351:
	s_or_b64 exec, exec, s[10:11]
	v_or_b32_e32 v7, 0x600, v0
	v_cmp_gt_i32_e32 vcc, s8, v7
	s_and_saveexec_b64 s[10:11], vcc
	s_cbranch_execz .LBB145_366
; %bb.352:
	s_cmp_lt_i32 s9, 1
	s_mov_b64 s[14:15], 0
	s_cbranch_scc1 .LBB145_357
; %bb.353:
	s_cmp_gt_i32 s9, 1
	s_cbranch_scc0 .LBB145_358
; %bb.354:
	s_cmp_eq_u32 s9, 2
	s_cbranch_scc0 .LBB145_540
; %bb.355:
	s_xor_b64 s[36:37], s[34:35], -1
	s_or_b64 s[36:37], s[6:7], s[36:37]
	s_mov_b64 s[38:39], 0
	s_branch .LBB145_360
.LBB145_356:
	s_xor_b64 s[14:15], s[36:37], -1
	s_and_b64 s[40:41], s[6:7], s[14:15]
	s_andn2_b64 s[38:39], s[38:39], exec
	s_and_b64 s[40:41], s[40:41], exec
	s_or_b64 s[38:39], s[38:39], s[40:41]
	s_cbranch_execz .LBB145_349
	s_branch .LBB145_350
.LBB145_357:
                                        ; implicit-def: $sgpr36_sgpr37
	s_mov_b64 s[38:39], 0
	s_cbranch_execnz .LBB145_361
	s_branch .LBB145_362
.LBB145_358:
	s_mov_b64 s[38:39], 0
                                        ; implicit-def: $sgpr36_sgpr37
	s_cbranch_execz .LBB145_360
; %bb.359:
	s_and_b64 s[40:41], s[34:35], s[4:5]
	s_andn2_b64 s[36:37], s[36:37], exec
	s_and_b64 s[40:41], s[40:41], exec
	s_or_b64 s[36:37], s[36:37], s[40:41]
.LBB145_360:
	s_branch .LBB145_362
.LBB145_361:
	s_cmp_lg_u32 s9, 0
	s_mov_b64 s[14:15], -1
	s_cselect_b64 s[38:39], -1, 0
.LBB145_362:
	s_andn2_b64 vcc, exec, s[38:39]
	s_cbranch_vccz .LBB145_371
; %bb.363:
	s_andn2_b64 vcc, exec, s[14:15]
	s_cbranch_vccnz .LBB145_365
.LBB145_364:
	s_or_b64 s[14:15], s[34:35], s[4:5]
	s_andn2_b64 s[34:35], s[36:37], exec
	s_and_b64 s[14:15], s[14:15], exec
	s_or_b64 s[36:37], s[34:35], s[14:15]
.LBB145_365:
	s_movk_i32 s14, 0xff00
	v_and_b32_sdwa v7, v4, s14 dst_sel:DWORD dst_unused:UNUSED_PAD src0_sel:WORD_1 src1_sel:DWORD
	v_cndmask_b32_e64 v8, 0, 1, s[36:37]
	v_or_b32_sdwa v7, v8, v7 dst_sel:WORD_1 dst_unused:UNUSED_PAD src0_sel:DWORD src1_sel:DWORD
	s_mov_b32 s14, 0xffff
	v_and_or_b32 v4, v4, s14, v7
.LBB145_366:
	s_or_b64 exec, exec, s[10:11]
	v_or_b32_e32 v7, 0x700, v0
	v_cmp_gt_i32_e32 vcc, s8, v7
	s_and_saveexec_b64 s[10:11], vcc
	s_cbranch_execz .LBB145_381
; %bb.367:
	s_cmp_lt_i32 s9, 1
	s_mov_b64 s[14:15], 0
	s_cbranch_scc1 .LBB145_372
; %bb.368:
	s_cmp_gt_i32 s9, 1
	s_cbranch_scc0 .LBB145_373
; %bb.369:
	s_cmp_eq_u32 s9, 2
	s_cbranch_scc0 .LBB145_541
; %bb.370:
	s_xor_b64 s[34:35], s[30:31], -1
	s_or_b64 s[34:35], s[6:7], s[34:35]
	s_mov_b64 s[36:37], 0
	s_branch .LBB145_375
.LBB145_371:
	s_xor_b64 s[14:15], s[34:35], -1
	s_and_b64 s[38:39], s[6:7], s[14:15]
	s_andn2_b64 s[36:37], s[36:37], exec
	s_and_b64 s[38:39], s[38:39], exec
	s_or_b64 s[36:37], s[36:37], s[38:39]
	s_cbranch_execz .LBB145_364
	s_branch .LBB145_365
.LBB145_372:
                                        ; implicit-def: $sgpr34_sgpr35
	s_mov_b64 s[36:37], 0
	s_cbranch_execnz .LBB145_376
	s_branch .LBB145_377
.LBB145_373:
	s_mov_b64 s[36:37], 0
                                        ; implicit-def: $sgpr34_sgpr35
	s_cbranch_execz .LBB145_375
; %bb.374:
	s_and_b64 s[38:39], s[30:31], s[4:5]
	s_andn2_b64 s[34:35], s[34:35], exec
	s_and_b64 s[38:39], s[38:39], exec
	s_or_b64 s[34:35], s[34:35], s[38:39]
.LBB145_375:
	s_branch .LBB145_377
.LBB145_376:
	s_cmp_lg_u32 s9, 0
	s_mov_b64 s[14:15], -1
	s_cselect_b64 s[36:37], -1, 0
.LBB145_377:
	s_andn2_b64 vcc, exec, s[36:37]
	s_cbranch_vccz .LBB145_386
; %bb.378:
	s_andn2_b64 vcc, exec, s[14:15]
	s_cbranch_vccnz .LBB145_380
.LBB145_379:
	s_or_b64 s[14:15], s[30:31], s[4:5]
	s_andn2_b64 s[30:31], s[34:35], exec
	s_and_b64 s[14:15], s[14:15], exec
	s_or_b64 s[34:35], s[30:31], s[14:15]
.LBB145_380:
	s_movk_i32 s14, 0xff
	v_cndmask_b32_e64 v8, 0, 1, s[34:35]
	v_and_b32_sdwa v7, v4, s14 dst_sel:DWORD dst_unused:UNUSED_PAD src0_sel:WORD_1 src1_sel:DWORD
	v_lshlrev_b16_e32 v8, 8, v8
	v_or_b32_sdwa v7, v7, v8 dst_sel:WORD_1 dst_unused:UNUSED_PAD src0_sel:DWORD src1_sel:DWORD
	s_mov_b32 s14, 0xffff
	v_and_or_b32 v4, v4, s14, v7
.LBB145_381:
	s_or_b64 exec, exec, s[10:11]
	v_or_b32_e32 v7, 0x800, v0
	v_cmp_gt_i32_e32 vcc, s8, v7
	s_and_saveexec_b64 s[10:11], vcc
	s_cbranch_execz .LBB145_396
; %bb.382:
	s_cmp_lt_i32 s9, 1
	s_mov_b64 s[14:15], 0
	s_cbranch_scc1 .LBB145_387
; %bb.383:
	s_cmp_gt_i32 s9, 1
	s_cbranch_scc0 .LBB145_388
; %bb.384:
	s_cmp_eq_u32 s9, 2
	s_cbranch_scc0 .LBB145_542
; %bb.385:
	s_xor_b64 s[30:31], s[28:29], -1
	s_or_b64 s[30:31], s[6:7], s[30:31]
	s_mov_b64 s[34:35], 0
	s_branch .LBB145_390
.LBB145_386:
	s_xor_b64 s[14:15], s[30:31], -1
	s_and_b64 s[36:37], s[6:7], s[14:15]
	s_andn2_b64 s[34:35], s[34:35], exec
	s_and_b64 s[36:37], s[36:37], exec
	s_or_b64 s[34:35], s[34:35], s[36:37]
	s_cbranch_execz .LBB145_379
	s_branch .LBB145_380
.LBB145_387:
                                        ; implicit-def: $sgpr30_sgpr31
	s_mov_b64 s[34:35], 0
	s_cbranch_execnz .LBB145_391
	s_branch .LBB145_392
.LBB145_388:
	s_mov_b64 s[34:35], 0
                                        ; implicit-def: $sgpr30_sgpr31
	s_cbranch_execz .LBB145_390
; %bb.389:
	s_and_b64 s[36:37], s[28:29], s[4:5]
	s_andn2_b64 s[30:31], s[30:31], exec
	s_and_b64 s[36:37], s[36:37], exec
	s_or_b64 s[30:31], s[30:31], s[36:37]
.LBB145_390:
	s_branch .LBB145_392
.LBB145_391:
	s_cmp_lg_u32 s9, 0
	s_mov_b64 s[14:15], -1
	s_cselect_b64 s[34:35], -1, 0
.LBB145_392:
	s_andn2_b64 vcc, exec, s[34:35]
	s_cbranch_vccz .LBB145_401
; %bb.393:
	s_andn2_b64 vcc, exec, s[14:15]
	s_cbranch_vccnz .LBB145_395
.LBB145_394:
	s_or_b64 s[14:15], s[28:29], s[4:5]
	s_andn2_b64 s[28:29], s[30:31], exec
	s_and_b64 s[14:15], s[14:15], exec
	s_or_b64 s[30:31], s[28:29], s[14:15]
.LBB145_395:
	v_and_b32_e32 v7, 0xffffff00, v3
	v_cndmask_b32_e64 v8, 0, 1, s[30:31]
	v_or_b32_e32 v7, v8, v7
	v_and_b32_e32 v7, 0xffff, v7
	s_mov_b32 s14, 0xffff0000
	v_and_or_b32 v3, v3, s14, v7
.LBB145_396:
	s_or_b64 exec, exec, s[10:11]
	v_or_b32_e32 v7, 0x900, v0
	v_cmp_gt_i32_e32 vcc, s8, v7
	s_and_saveexec_b64 s[10:11], vcc
	s_cbranch_execz .LBB145_411
; %bb.397:
	s_cmp_lt_i32 s9, 1
	s_mov_b64 s[14:15], 0
	s_cbranch_scc1 .LBB145_402
; %bb.398:
	s_cmp_gt_i32 s9, 1
	s_cbranch_scc0 .LBB145_403
; %bb.399:
	s_cmp_eq_u32 s9, 2
	s_cbranch_scc0 .LBB145_543
; %bb.400:
	s_xor_b64 s[28:29], s[26:27], -1
	s_or_b64 s[28:29], s[6:7], s[28:29]
	s_mov_b64 s[30:31], 0
	s_branch .LBB145_405
.LBB145_401:
	s_xor_b64 s[14:15], s[28:29], -1
	s_and_b64 s[34:35], s[6:7], s[14:15]
	s_andn2_b64 s[30:31], s[30:31], exec
	s_and_b64 s[34:35], s[34:35], exec
	s_or_b64 s[30:31], s[30:31], s[34:35]
	s_cbranch_execz .LBB145_394
	s_branch .LBB145_395
.LBB145_402:
                                        ; implicit-def: $sgpr28_sgpr29
	s_mov_b64 s[30:31], 0
	s_cbranch_execnz .LBB145_406
	s_branch .LBB145_407
.LBB145_403:
	s_mov_b64 s[30:31], 0
                                        ; implicit-def: $sgpr28_sgpr29
	s_cbranch_execz .LBB145_405
; %bb.404:
	s_and_b64 s[34:35], s[26:27], s[4:5]
	s_andn2_b64 s[28:29], s[28:29], exec
	s_and_b64 s[34:35], s[34:35], exec
	s_or_b64 s[28:29], s[28:29], s[34:35]
.LBB145_405:
	s_branch .LBB145_407
.LBB145_406:
	s_cmp_lg_u32 s9, 0
	s_mov_b64 s[14:15], -1
	s_cselect_b64 s[30:31], -1, 0
.LBB145_407:
	s_andn2_b64 vcc, exec, s[30:31]
	s_cbranch_vccz .LBB145_416
; %bb.408:
	s_andn2_b64 vcc, exec, s[14:15]
	s_cbranch_vccnz .LBB145_410
.LBB145_409:
	s_or_b64 s[14:15], s[26:27], s[4:5]
	s_andn2_b64 s[26:27], s[28:29], exec
	s_and_b64 s[14:15], s[14:15], exec
	s_or_b64 s[28:29], s[26:27], s[14:15]
.LBB145_410:
	v_cndmask_b32_e64 v7, 0, 1, s[28:29]
	v_lshlrev_b16_e32 v7, 8, v7
	v_or_b32_sdwa v7, v3, v7 dst_sel:DWORD dst_unused:UNUSED_PAD src0_sel:BYTE_0 src1_sel:DWORD
	v_and_b32_e32 v7, 0xffff, v7
	s_mov_b32 s14, 0xffff0000
	v_and_or_b32 v3, v3, s14, v7
.LBB145_411:
	s_or_b64 exec, exec, s[10:11]
	v_or_b32_e32 v7, 0xa00, v0
	v_cmp_gt_i32_e32 vcc, s8, v7
	s_and_saveexec_b64 s[10:11], vcc
	s_cbranch_execz .LBB145_426
; %bb.412:
	s_cmp_lt_i32 s9, 1
	s_mov_b64 s[14:15], 0
	s_cbranch_scc1 .LBB145_417
; %bb.413:
	s_cmp_gt_i32 s9, 1
	s_cbranch_scc0 .LBB145_418
; %bb.414:
	s_cmp_eq_u32 s9, 2
	s_cbranch_scc0 .LBB145_544
; %bb.415:
	s_xor_b64 s[26:27], s[24:25], -1
	s_or_b64 s[26:27], s[6:7], s[26:27]
	s_mov_b64 s[28:29], 0
	s_branch .LBB145_420
.LBB145_416:
	s_xor_b64 s[14:15], s[26:27], -1
	s_and_b64 s[30:31], s[6:7], s[14:15]
	s_andn2_b64 s[28:29], s[28:29], exec
	s_and_b64 s[30:31], s[30:31], exec
	s_or_b64 s[28:29], s[28:29], s[30:31]
	s_cbranch_execz .LBB145_409
	s_branch .LBB145_410
.LBB145_417:
                                        ; implicit-def: $sgpr26_sgpr27
	s_mov_b64 s[28:29], 0
	s_cbranch_execnz .LBB145_421
	s_branch .LBB145_422
.LBB145_418:
	s_mov_b64 s[28:29], 0
                                        ; implicit-def: $sgpr26_sgpr27
	s_cbranch_execz .LBB145_420
; %bb.419:
	s_and_b64 s[30:31], s[24:25], s[4:5]
	s_andn2_b64 s[26:27], s[26:27], exec
	s_and_b64 s[30:31], s[30:31], exec
	s_or_b64 s[26:27], s[26:27], s[30:31]
.LBB145_420:
	s_branch .LBB145_422
.LBB145_421:
	s_cmp_lg_u32 s9, 0
	s_mov_b64 s[14:15], -1
	s_cselect_b64 s[28:29], -1, 0
.LBB145_422:
	s_andn2_b64 vcc, exec, s[28:29]
	s_cbranch_vccz .LBB145_431
; %bb.423:
	s_andn2_b64 vcc, exec, s[14:15]
	s_cbranch_vccnz .LBB145_425
.LBB145_424:
	s_or_b64 s[14:15], s[24:25], s[4:5]
	s_andn2_b64 s[24:25], s[26:27], exec
	s_and_b64 s[14:15], s[14:15], exec
	s_or_b64 s[26:27], s[24:25], s[14:15]
.LBB145_425:
	s_movk_i32 s14, 0xff00
	v_and_b32_sdwa v7, v3, s14 dst_sel:DWORD dst_unused:UNUSED_PAD src0_sel:WORD_1 src1_sel:DWORD
	v_cndmask_b32_e64 v8, 0, 1, s[26:27]
	v_or_b32_sdwa v7, v8, v7 dst_sel:WORD_1 dst_unused:UNUSED_PAD src0_sel:DWORD src1_sel:DWORD
	s_mov_b32 s14, 0xffff
	v_and_or_b32 v3, v3, s14, v7
.LBB145_426:
	s_or_b64 exec, exec, s[10:11]
	v_or_b32_e32 v7, 0xb00, v0
	v_cmp_gt_i32_e32 vcc, s8, v7
	s_and_saveexec_b64 s[10:11], vcc
	s_cbranch_execz .LBB145_441
; %bb.427:
	s_cmp_lt_i32 s9, 1
	s_mov_b64 s[14:15], 0
	s_cbranch_scc1 .LBB145_432
; %bb.428:
	s_cmp_gt_i32 s9, 1
	s_cbranch_scc0 .LBB145_433
; %bb.429:
	s_cmp_eq_u32 s9, 2
	s_cbranch_scc0 .LBB145_545
; %bb.430:
	s_xor_b64 s[24:25], s[22:23], -1
	s_or_b64 s[24:25], s[6:7], s[24:25]
	s_mov_b64 s[26:27], 0
	s_branch .LBB145_435
.LBB145_431:
	s_xor_b64 s[14:15], s[24:25], -1
	s_and_b64 s[28:29], s[6:7], s[14:15]
	s_andn2_b64 s[26:27], s[26:27], exec
	s_and_b64 s[28:29], s[28:29], exec
	s_or_b64 s[26:27], s[26:27], s[28:29]
	s_cbranch_execz .LBB145_424
	s_branch .LBB145_425
.LBB145_432:
                                        ; implicit-def: $sgpr24_sgpr25
	s_mov_b64 s[26:27], 0
	s_cbranch_execnz .LBB145_436
	s_branch .LBB145_437
.LBB145_433:
	s_mov_b64 s[26:27], 0
                                        ; implicit-def: $sgpr24_sgpr25
	s_cbranch_execz .LBB145_435
; %bb.434:
	s_and_b64 s[28:29], s[22:23], s[4:5]
	s_andn2_b64 s[24:25], s[24:25], exec
	s_and_b64 s[28:29], s[28:29], exec
	s_or_b64 s[24:25], s[24:25], s[28:29]
.LBB145_435:
	s_branch .LBB145_437
.LBB145_436:
	s_cmp_lg_u32 s9, 0
	s_mov_b64 s[14:15], -1
	s_cselect_b64 s[26:27], -1, 0
.LBB145_437:
	s_andn2_b64 vcc, exec, s[26:27]
	s_cbranch_vccz .LBB145_446
; %bb.438:
	s_andn2_b64 vcc, exec, s[14:15]
	s_cbranch_vccnz .LBB145_440
.LBB145_439:
	s_or_b64 s[14:15], s[22:23], s[4:5]
	s_andn2_b64 s[22:23], s[24:25], exec
	s_and_b64 s[14:15], s[14:15], exec
	s_or_b64 s[24:25], s[22:23], s[14:15]
.LBB145_440:
	s_movk_i32 s14, 0xff
	v_cndmask_b32_e64 v8, 0, 1, s[24:25]
	v_and_b32_sdwa v7, v3, s14 dst_sel:DWORD dst_unused:UNUSED_PAD src0_sel:WORD_1 src1_sel:DWORD
	v_lshlrev_b16_e32 v8, 8, v8
	v_or_b32_sdwa v7, v7, v8 dst_sel:WORD_1 dst_unused:UNUSED_PAD src0_sel:DWORD src1_sel:DWORD
	s_mov_b32 s14, 0xffff
	v_and_or_b32 v3, v3, s14, v7
.LBB145_441:
	s_or_b64 exec, exec, s[10:11]
	v_or_b32_e32 v7, 0xc00, v0
	v_cmp_gt_i32_e32 vcc, s8, v7
	s_and_saveexec_b64 s[10:11], vcc
	s_cbranch_execz .LBB145_456
; %bb.442:
	s_cmp_lt_i32 s9, 1
	s_mov_b64 s[14:15], 0
	s_cbranch_scc1 .LBB145_447
; %bb.443:
	s_cmp_gt_i32 s9, 1
	s_cbranch_scc0 .LBB145_448
; %bb.444:
	s_cmp_eq_u32 s9, 2
	s_cbranch_scc0 .LBB145_546
; %bb.445:
	s_xor_b64 s[22:23], s[20:21], -1
	s_or_b64 s[22:23], s[6:7], s[22:23]
	s_mov_b64 s[24:25], 0
	s_branch .LBB145_450
.LBB145_446:
	s_xor_b64 s[14:15], s[22:23], -1
	s_and_b64 s[26:27], s[6:7], s[14:15]
	s_andn2_b64 s[24:25], s[24:25], exec
	s_and_b64 s[26:27], s[26:27], exec
	s_or_b64 s[24:25], s[24:25], s[26:27]
	s_cbranch_execz .LBB145_439
	s_branch .LBB145_440
.LBB145_447:
                                        ; implicit-def: $sgpr22_sgpr23
	s_mov_b64 s[24:25], 0
	s_cbranch_execnz .LBB145_451
	s_branch .LBB145_452
.LBB145_448:
	s_mov_b64 s[24:25], 0
                                        ; implicit-def: $sgpr22_sgpr23
	s_cbranch_execz .LBB145_450
; %bb.449:
	s_and_b64 s[26:27], s[20:21], s[4:5]
	s_andn2_b64 s[22:23], s[22:23], exec
	s_and_b64 s[26:27], s[26:27], exec
	s_or_b64 s[22:23], s[22:23], s[26:27]
.LBB145_450:
	s_branch .LBB145_452
.LBB145_451:
	s_cmp_lg_u32 s9, 0
	s_mov_b64 s[14:15], -1
	s_cselect_b64 s[24:25], -1, 0
.LBB145_452:
	s_andn2_b64 vcc, exec, s[24:25]
	s_cbranch_vccz .LBB145_461
; %bb.453:
	s_andn2_b64 vcc, exec, s[14:15]
	s_cbranch_vccnz .LBB145_455
.LBB145_454:
	s_or_b64 s[14:15], s[20:21], s[4:5]
	s_andn2_b64 s[20:21], s[22:23], exec
	s_and_b64 s[14:15], s[14:15], exec
	s_or_b64 s[22:23], s[20:21], s[14:15]
.LBB145_455:
	v_and_b32_e32 v7, 0xffffff00, v2
	v_cndmask_b32_e64 v8, 0, 1, s[22:23]
	v_or_b32_e32 v7, v8, v7
	v_and_b32_e32 v7, 0xffff, v7
	s_mov_b32 s14, 0xffff0000
	v_and_or_b32 v2, v2, s14, v7
.LBB145_456:
	s_or_b64 exec, exec, s[10:11]
	v_or_b32_e32 v7, 0xd00, v0
	v_cmp_gt_i32_e32 vcc, s8, v7
	s_and_saveexec_b64 s[10:11], vcc
	s_cbranch_execz .LBB145_471
; %bb.457:
	s_cmp_lt_i32 s9, 1
	s_mov_b64 s[14:15], 0
	s_cbranch_scc1 .LBB145_462
; %bb.458:
	s_cmp_gt_i32 s9, 1
	s_cbranch_scc0 .LBB145_463
; %bb.459:
	s_cmp_eq_u32 s9, 2
	s_cbranch_scc0 .LBB145_547
; %bb.460:
	s_xor_b64 s[20:21], s[18:19], -1
	s_or_b64 s[20:21], s[6:7], s[20:21]
	s_mov_b64 s[22:23], 0
	s_branch .LBB145_465
.LBB145_461:
	s_xor_b64 s[14:15], s[20:21], -1
	s_and_b64 s[24:25], s[6:7], s[14:15]
	s_andn2_b64 s[22:23], s[22:23], exec
	s_and_b64 s[24:25], s[24:25], exec
	s_or_b64 s[22:23], s[22:23], s[24:25]
	s_cbranch_execz .LBB145_454
	s_branch .LBB145_455
.LBB145_462:
                                        ; implicit-def: $sgpr20_sgpr21
	s_mov_b64 s[22:23], 0
	s_cbranch_execnz .LBB145_466
	s_branch .LBB145_467
.LBB145_463:
	s_mov_b64 s[22:23], 0
                                        ; implicit-def: $sgpr20_sgpr21
	s_cbranch_execz .LBB145_465
; %bb.464:
	s_and_b64 s[24:25], s[18:19], s[4:5]
	s_andn2_b64 s[20:21], s[20:21], exec
	s_and_b64 s[24:25], s[24:25], exec
	s_or_b64 s[20:21], s[20:21], s[24:25]
.LBB145_465:
	s_branch .LBB145_467
.LBB145_466:
	s_cmp_lg_u32 s9, 0
	s_mov_b64 s[14:15], -1
	s_cselect_b64 s[22:23], -1, 0
.LBB145_467:
	s_andn2_b64 vcc, exec, s[22:23]
	s_cbranch_vccz .LBB145_476
; %bb.468:
	s_andn2_b64 vcc, exec, s[14:15]
	s_cbranch_vccnz .LBB145_470
.LBB145_469:
	s_or_b64 s[14:15], s[18:19], s[4:5]
	s_andn2_b64 s[18:19], s[20:21], exec
	s_and_b64 s[14:15], s[14:15], exec
	s_or_b64 s[20:21], s[18:19], s[14:15]
.LBB145_470:
	v_cndmask_b32_e64 v7, 0, 1, s[20:21]
	v_lshlrev_b16_e32 v7, 8, v7
	v_or_b32_sdwa v7, v2, v7 dst_sel:DWORD dst_unused:UNUSED_PAD src0_sel:BYTE_0 src1_sel:DWORD
	v_and_b32_e32 v7, 0xffff, v7
	s_mov_b32 s14, 0xffff0000
	v_and_or_b32 v2, v2, s14, v7
.LBB145_471:
	s_or_b64 exec, exec, s[10:11]
	v_or_b32_e32 v7, 0xe00, v0
	v_cmp_gt_i32_e32 vcc, s8, v7
	s_and_saveexec_b64 s[10:11], vcc
	s_cbranch_execz .LBB145_486
; %bb.472:
	s_cmp_lt_i32 s9, 1
	s_mov_b64 s[14:15], 0
	s_cbranch_scc1 .LBB145_477
; %bb.473:
	s_cmp_gt_i32 s9, 1
	s_cbranch_scc0 .LBB145_478
; %bb.474:
	s_cmp_eq_u32 s9, 2
	s_cbranch_scc0 .LBB145_548
; %bb.475:
	s_xor_b64 s[18:19], s[16:17], -1
	s_or_b64 s[18:19], s[6:7], s[18:19]
	s_mov_b64 s[20:21], 0
	s_branch .LBB145_480
.LBB145_476:
	s_xor_b64 s[14:15], s[18:19], -1
	s_and_b64 s[22:23], s[6:7], s[14:15]
	s_andn2_b64 s[20:21], s[20:21], exec
	s_and_b64 s[22:23], s[22:23], exec
	s_or_b64 s[20:21], s[20:21], s[22:23]
	s_cbranch_execz .LBB145_469
	s_branch .LBB145_470
.LBB145_477:
                                        ; implicit-def: $sgpr18_sgpr19
	s_mov_b64 s[20:21], 0
	s_cbranch_execnz .LBB145_481
	s_branch .LBB145_482
.LBB145_478:
	s_mov_b64 s[20:21], 0
                                        ; implicit-def: $sgpr18_sgpr19
	s_cbranch_execz .LBB145_480
; %bb.479:
	s_and_b64 s[22:23], s[16:17], s[4:5]
	s_andn2_b64 s[18:19], s[18:19], exec
	s_and_b64 s[22:23], s[22:23], exec
	s_or_b64 s[18:19], s[18:19], s[22:23]
.LBB145_480:
	s_branch .LBB145_482
.LBB145_481:
	s_cmp_lg_u32 s9, 0
	s_mov_b64 s[14:15], -1
	s_cselect_b64 s[20:21], -1, 0
.LBB145_482:
	s_andn2_b64 vcc, exec, s[20:21]
	s_cbranch_vccz .LBB145_491
; %bb.483:
	s_andn2_b64 vcc, exec, s[14:15]
	s_cbranch_vccnz .LBB145_485
.LBB145_484:
	s_or_b64 s[14:15], s[16:17], s[4:5]
	s_andn2_b64 s[16:17], s[18:19], exec
	s_and_b64 s[14:15], s[14:15], exec
	s_or_b64 s[18:19], s[16:17], s[14:15]
.LBB145_485:
	s_movk_i32 s14, 0xff00
	v_and_b32_sdwa v7, v2, s14 dst_sel:DWORD dst_unused:UNUSED_PAD src0_sel:WORD_1 src1_sel:DWORD
	v_cndmask_b32_e64 v8, 0, 1, s[18:19]
	v_or_b32_sdwa v7, v8, v7 dst_sel:WORD_1 dst_unused:UNUSED_PAD src0_sel:DWORD src1_sel:DWORD
	s_mov_b32 s14, 0xffff
	v_and_or_b32 v2, v2, s14, v7
.LBB145_486:
	s_or_b64 exec, exec, s[10:11]
	v_or_b32_e32 v7, 0xf00, v0
	v_cmp_gt_i32_e32 vcc, s8, v7
	s_and_saveexec_b64 s[10:11], vcc
	s_cbranch_execz .LBB145_501
; %bb.487:
	s_cmp_lt_i32 s9, 1
	s_mov_b64 s[14:15], 0
	s_cbranch_scc1 .LBB145_492
; %bb.488:
	s_cmp_gt_i32 s9, 1
	s_cbranch_scc0 .LBB145_493
; %bb.489:
	s_cmp_eq_u32 s9, 2
	s_cbranch_scc0 .LBB145_549
; %bb.490:
	s_xor_b64 s[16:17], s[2:3], -1
	s_or_b64 s[16:17], s[6:7], s[16:17]
	s_mov_b64 s[18:19], 0
	s_branch .LBB145_495
.LBB145_491:
	s_xor_b64 s[14:15], s[16:17], -1
	s_and_b64 s[20:21], s[6:7], s[14:15]
	s_andn2_b64 s[18:19], s[18:19], exec
	s_and_b64 s[20:21], s[20:21], exec
	s_or_b64 s[18:19], s[18:19], s[20:21]
	s_cbranch_execz .LBB145_484
	s_branch .LBB145_485
.LBB145_492:
                                        ; implicit-def: $sgpr16_sgpr17
	s_mov_b64 s[18:19], 0
	s_cbranch_execnz .LBB145_496
	s_branch .LBB145_497
.LBB145_493:
	s_mov_b64 s[18:19], 0
                                        ; implicit-def: $sgpr16_sgpr17
	s_cbranch_execz .LBB145_495
; %bb.494:
	s_and_b64 s[20:21], s[2:3], s[4:5]
	s_andn2_b64 s[16:17], s[16:17], exec
	s_and_b64 s[20:21], s[20:21], exec
	s_or_b64 s[16:17], s[16:17], s[20:21]
.LBB145_495:
	s_branch .LBB145_497
.LBB145_496:
	s_cmp_lg_u32 s9, 0
	s_mov_b64 s[14:15], -1
	s_cselect_b64 s[18:19], -1, 0
.LBB145_497:
	s_andn2_b64 vcc, exec, s[18:19]
	s_cbranch_vccz .LBB145_534
; %bb.498:
	s_andn2_b64 vcc, exec, s[14:15]
	s_cbranch_vccnz .LBB145_500
.LBB145_499:
	s_or_b64 s[2:3], s[2:3], s[4:5]
	s_andn2_b64 s[4:5], s[16:17], exec
	s_and_b64 s[2:3], s[2:3], exec
	s_or_b64 s[16:17], s[4:5], s[2:3]
.LBB145_500:
	s_movk_i32 s2, 0xff
	v_cndmask_b32_e64 v8, 0, 1, s[16:17]
	v_and_b32_sdwa v7, v2, s2 dst_sel:DWORD dst_unused:UNUSED_PAD src0_sel:WORD_1 src1_sel:DWORD
	v_lshlrev_b16_e32 v8, 8, v8
	v_or_b32_sdwa v7, v7, v8 dst_sel:WORD_1 dst_unused:UNUSED_PAD src0_sel:DWORD src1_sel:DWORD
	s_mov_b32 s2, 0xffff
	v_and_or_b32 v2, v2, s2, v7
.LBB145_501:
	s_or_b64 exec, exec, s[10:11]
	s_and_saveexec_b64 s[2:3], s[0:1]
	s_xor_b64 s[0:1], exec, s[2:3]
	s_cbranch_execz .LBB145_503
; %bb.502:
	v_mov_b32_e32 v0, v6
	global_store_byte v1, v5, s[12:13]
.LBB145_503:
	s_or_b64 exec, exec, s[0:1]
	v_cmp_gt_i32_e32 vcc, s8, v0
	s_and_saveexec_b64 s[0:1], vcc
	s_cbranch_execnz .LBB145_520
; %bb.504:
	s_or_b64 exec, exec, s[0:1]
	v_cmp_gt_i32_e32 vcc, s8, v0
	s_and_saveexec_b64 s[0:1], vcc
	s_cbranch_execnz .LBB145_521
.LBB145_505:
	s_or_b64 exec, exec, s[0:1]
	v_cmp_gt_i32_e32 vcc, s8, v0
	s_and_saveexec_b64 s[0:1], vcc
	s_cbranch_execnz .LBB145_522
.LBB145_506:
	s_or_b64 exec, exec, s[0:1]
	v_cmp_gt_i32_e32 vcc, s8, v0
	s_and_saveexec_b64 s[0:1], vcc
	s_cbranch_execnz .LBB145_523
.LBB145_507:
	s_or_b64 exec, exec, s[0:1]
	v_cmp_gt_i32_e32 vcc, s8, v0
	s_and_saveexec_b64 s[0:1], vcc
	s_cbranch_execnz .LBB145_524
.LBB145_508:
	s_or_b64 exec, exec, s[0:1]
	v_cmp_gt_i32_e32 vcc, s8, v0
	s_and_saveexec_b64 s[0:1], vcc
	s_cbranch_execnz .LBB145_525
.LBB145_509:
	s_or_b64 exec, exec, s[0:1]
	v_cmp_gt_i32_e32 vcc, s8, v0
	s_and_saveexec_b64 s[0:1], vcc
	s_cbranch_execnz .LBB145_526
.LBB145_510:
	s_or_b64 exec, exec, s[0:1]
	v_cmp_gt_i32_e32 vcc, s8, v0
	s_and_saveexec_b64 s[0:1], vcc
	s_cbranch_execnz .LBB145_527
.LBB145_511:
	s_or_b64 exec, exec, s[0:1]
	v_cmp_gt_i32_e32 vcc, s8, v0
	s_and_saveexec_b64 s[0:1], vcc
	s_cbranch_execnz .LBB145_528
.LBB145_512:
	s_or_b64 exec, exec, s[0:1]
	v_cmp_gt_i32_e32 vcc, s8, v0
	s_and_saveexec_b64 s[0:1], vcc
	s_cbranch_execnz .LBB145_529
.LBB145_513:
	s_or_b64 exec, exec, s[0:1]
	v_cmp_gt_i32_e32 vcc, s8, v0
	s_and_saveexec_b64 s[0:1], vcc
	s_cbranch_execnz .LBB145_530
.LBB145_514:
	s_or_b64 exec, exec, s[0:1]
	v_cmp_gt_i32_e32 vcc, s8, v0
	s_and_saveexec_b64 s[0:1], vcc
	s_cbranch_execnz .LBB145_531
.LBB145_515:
	s_or_b64 exec, exec, s[0:1]
	v_cmp_gt_i32_e32 vcc, s8, v0
	s_and_saveexec_b64 s[0:1], vcc
	s_cbranch_execnz .LBB145_532
.LBB145_516:
	s_or_b64 exec, exec, s[0:1]
	v_cmp_gt_i32_e32 vcc, s8, v0
	s_and_saveexec_b64 s[0:1], vcc
	s_cbranch_execnz .LBB145_533
.LBB145_517:
	s_or_b64 exec, exec, s[0:1]
	v_cmp_gt_i32_e32 vcc, s8, v0
	s_and_saveexec_b64 s[0:1], vcc
	s_cbranch_execz .LBB145_519
.LBB145_518:
	v_lshrrev_b32_e32 v1, 24, v2
	v_add_u32_e32 v0, s33, v0
	global_store_byte v0, v1, s[12:13]
.LBB145_519:
	s_endpgm
.LBB145_520:
	v_lshrrev_b32_e32 v1, 8, v5
	v_add_u32_e32 v6, s33, v0
	v_add_u32_e32 v0, 0x100, v0
	global_store_byte v6, v1, s[12:13]
	s_or_b64 exec, exec, s[0:1]
	v_cmp_gt_i32_e32 vcc, s8, v0
	s_and_saveexec_b64 s[0:1], vcc
	s_cbranch_execz .LBB145_505
.LBB145_521:
	v_add_u32_e32 v1, s33, v0
	v_add_u32_e32 v0, 0x100, v0
	global_store_byte_d16_hi v1, v5, s[12:13]
	s_or_b64 exec, exec, s[0:1]
	v_cmp_gt_i32_e32 vcc, s8, v0
	s_and_saveexec_b64 s[0:1], vcc
	s_cbranch_execz .LBB145_506
.LBB145_522:
	v_lshrrev_b32_e32 v1, 24, v5
	v_add_u32_e32 v5, s33, v0
	v_add_u32_e32 v0, 0x100, v0
	global_store_byte v5, v1, s[12:13]
	s_or_b64 exec, exec, s[0:1]
	v_cmp_gt_i32_e32 vcc, s8, v0
	s_and_saveexec_b64 s[0:1], vcc
	s_cbranch_execz .LBB145_507
.LBB145_523:
	v_add_u32_e32 v1, s33, v0
	v_add_u32_e32 v0, 0x100, v0
	global_store_byte v1, v4, s[12:13]
	s_or_b64 exec, exec, s[0:1]
	v_cmp_gt_i32_e32 vcc, s8, v0
	s_and_saveexec_b64 s[0:1], vcc
	s_cbranch_execz .LBB145_508
.LBB145_524:
	v_lshrrev_b32_e32 v1, 8, v4
	v_add_u32_e32 v5, s33, v0
	v_add_u32_e32 v0, 0x100, v0
	global_store_byte v5, v1, s[12:13]
	s_or_b64 exec, exec, s[0:1]
	v_cmp_gt_i32_e32 vcc, s8, v0
	s_and_saveexec_b64 s[0:1], vcc
	s_cbranch_execz .LBB145_509
.LBB145_525:
	v_add_u32_e32 v1, s33, v0
	v_add_u32_e32 v0, 0x100, v0
	global_store_byte_d16_hi v1, v4, s[12:13]
	s_or_b64 exec, exec, s[0:1]
	v_cmp_gt_i32_e32 vcc, s8, v0
	s_and_saveexec_b64 s[0:1], vcc
	s_cbranch_execz .LBB145_510
.LBB145_526:
	v_lshrrev_b32_e32 v1, 24, v4
	v_add_u32_e32 v4, s33, v0
	v_add_u32_e32 v0, 0x100, v0
	global_store_byte v4, v1, s[12:13]
	s_or_b64 exec, exec, s[0:1]
	v_cmp_gt_i32_e32 vcc, s8, v0
	s_and_saveexec_b64 s[0:1], vcc
	s_cbranch_execz .LBB145_511
.LBB145_527:
	v_add_u32_e32 v1, s33, v0
	v_add_u32_e32 v0, 0x100, v0
	global_store_byte v1, v3, s[12:13]
	s_or_b64 exec, exec, s[0:1]
	v_cmp_gt_i32_e32 vcc, s8, v0
	s_and_saveexec_b64 s[0:1], vcc
	s_cbranch_execz .LBB145_512
.LBB145_528:
	v_lshrrev_b32_e32 v1, 8, v3
	v_add_u32_e32 v4, s33, v0
	v_add_u32_e32 v0, 0x100, v0
	global_store_byte v4, v1, s[12:13]
	s_or_b64 exec, exec, s[0:1]
	v_cmp_gt_i32_e32 vcc, s8, v0
	s_and_saveexec_b64 s[0:1], vcc
	s_cbranch_execz .LBB145_513
.LBB145_529:
	v_add_u32_e32 v1, s33, v0
	v_add_u32_e32 v0, 0x100, v0
	global_store_byte_d16_hi v1, v3, s[12:13]
	s_or_b64 exec, exec, s[0:1]
	v_cmp_gt_i32_e32 vcc, s8, v0
	s_and_saveexec_b64 s[0:1], vcc
	s_cbranch_execz .LBB145_514
.LBB145_530:
	v_lshrrev_b32_e32 v1, 24, v3
	v_add_u32_e32 v3, s33, v0
	v_add_u32_e32 v0, 0x100, v0
	global_store_byte v3, v1, s[12:13]
	s_or_b64 exec, exec, s[0:1]
	v_cmp_gt_i32_e32 vcc, s8, v0
	s_and_saveexec_b64 s[0:1], vcc
	s_cbranch_execz .LBB145_515
.LBB145_531:
	v_add_u32_e32 v1, s33, v0
	v_add_u32_e32 v0, 0x100, v0
	global_store_byte v1, v2, s[12:13]
	s_or_b64 exec, exec, s[0:1]
	v_cmp_gt_i32_e32 vcc, s8, v0
	s_and_saveexec_b64 s[0:1], vcc
	s_cbranch_execz .LBB145_516
.LBB145_532:
	v_lshrrev_b32_e32 v1, 8, v2
	v_add_u32_e32 v3, s33, v0
	v_add_u32_e32 v0, 0x100, v0
	global_store_byte v3, v1, s[12:13]
	s_or_b64 exec, exec, s[0:1]
	v_cmp_gt_i32_e32 vcc, s8, v0
	s_and_saveexec_b64 s[0:1], vcc
	s_cbranch_execz .LBB145_517
.LBB145_533:
	v_add_u32_e32 v1, s33, v0
	v_add_u32_e32 v0, 0x100, v0
	global_store_byte_d16_hi v1, v2, s[12:13]
	s_or_b64 exec, exec, s[0:1]
	v_cmp_gt_i32_e32 vcc, s8, v0
	s_and_saveexec_b64 s[0:1], vcc
	s_cbranch_execnz .LBB145_518
	s_branch .LBB145_519
.LBB145_534:
	s_xor_b64 s[14:15], s[2:3], -1
	s_and_b64 s[6:7], s[6:7], s[14:15]
	s_andn2_b64 s[16:17], s[16:17], exec
	s_and_b64 s[6:7], s[6:7], exec
	s_or_b64 s[16:17], s[16:17], s[6:7]
	s_cbranch_execz .LBB145_499
	s_branch .LBB145_500
.LBB145_535:
	s_mov_b64 s[48:49], -1
                                        ; implicit-def: $sgpr46_sgpr47
	s_branch .LBB145_285
.LBB145_536:
	s_mov_b64 s[46:47], -1
                                        ; implicit-def: $sgpr44_sgpr45
	s_branch .LBB145_300
.LBB145_537:
	s_mov_b64 s[44:45], -1
                                        ; implicit-def: $sgpr42_sgpr43
	s_branch .LBB145_315
.LBB145_538:
	s_mov_b64 s[42:43], -1
                                        ; implicit-def: $sgpr40_sgpr41
	s_branch .LBB145_330
.LBB145_539:
	s_mov_b64 s[40:41], -1
                                        ; implicit-def: $sgpr38_sgpr39
	s_branch .LBB145_345
.LBB145_540:
	s_mov_b64 s[38:39], -1
                                        ; implicit-def: $sgpr36_sgpr37
	s_branch .LBB145_360
.LBB145_541:
	s_mov_b64 s[36:37], -1
                                        ; implicit-def: $sgpr34_sgpr35
	s_branch .LBB145_375
.LBB145_542:
	s_mov_b64 s[34:35], -1
                                        ; implicit-def: $sgpr30_sgpr31
	s_branch .LBB145_390
.LBB145_543:
	s_mov_b64 s[30:31], -1
                                        ; implicit-def: $sgpr28_sgpr29
	s_branch .LBB145_405
.LBB145_544:
	s_mov_b64 s[28:29], -1
                                        ; implicit-def: $sgpr26_sgpr27
	s_branch .LBB145_420
.LBB145_545:
	s_mov_b64 s[26:27], -1
                                        ; implicit-def: $sgpr24_sgpr25
	s_branch .LBB145_435
.LBB145_546:
	s_mov_b64 s[24:25], -1
                                        ; implicit-def: $sgpr22_sgpr23
	s_branch .LBB145_450
.LBB145_547:
	s_mov_b64 s[22:23], -1
                                        ; implicit-def: $sgpr20_sgpr21
	s_branch .LBB145_465
.LBB145_548:
	s_mov_b64 s[20:21], -1
                                        ; implicit-def: $sgpr18_sgpr19
	s_branch .LBB145_480
.LBB145_549:
	s_mov_b64 s[18:19], -1
                                        ; implicit-def: $sgpr16_sgpr17
	s_branch .LBB145_495
	.section	.rodata,"a",@progbits
	.p2align	6, 0x0
	.amdhsa_kernel _ZN2at6native29vectorized_elementwise_kernelILi8EZNS0_21compare_scalar_kernelIbEEvRNS_18TensorIteratorBaseENS0_12_GLOBAL__N_16OpTypeET_EUlbE_St5arrayIPcLm2EEEEviT0_T1_
		.amdhsa_group_segment_fixed_size 0
		.amdhsa_private_segment_fixed_size 0
		.amdhsa_kernarg_size 32
		.amdhsa_user_sgpr_count 6
		.amdhsa_user_sgpr_private_segment_buffer 1
		.amdhsa_user_sgpr_dispatch_ptr 0
		.amdhsa_user_sgpr_queue_ptr 0
		.amdhsa_user_sgpr_kernarg_segment_ptr 1
		.amdhsa_user_sgpr_dispatch_id 0
		.amdhsa_user_sgpr_flat_scratch_init 0
		.amdhsa_user_sgpr_private_segment_size 0
		.amdhsa_uses_dynamic_stack 0
		.amdhsa_system_sgpr_private_segment_wavefront_offset 0
		.amdhsa_system_sgpr_workgroup_id_x 1
		.amdhsa_system_sgpr_workgroup_id_y 0
		.amdhsa_system_sgpr_workgroup_id_z 0
		.amdhsa_system_sgpr_workgroup_info 0
		.amdhsa_system_vgpr_workitem_id 0
		.amdhsa_next_free_vgpr 9
		.amdhsa_next_free_sgpr 54
		.amdhsa_reserve_vcc 1
		.amdhsa_reserve_flat_scratch 0
		.amdhsa_float_round_mode_32 0
		.amdhsa_float_round_mode_16_64 0
		.amdhsa_float_denorm_mode_32 3
		.amdhsa_float_denorm_mode_16_64 3
		.amdhsa_dx10_clamp 1
		.amdhsa_ieee_mode 1
		.amdhsa_fp16_overflow 0
		.amdhsa_exception_fp_ieee_invalid_op 0
		.amdhsa_exception_fp_denorm_src 0
		.amdhsa_exception_fp_ieee_div_zero 0
		.amdhsa_exception_fp_ieee_overflow 0
		.amdhsa_exception_fp_ieee_underflow 0
		.amdhsa_exception_fp_ieee_inexact 0
		.amdhsa_exception_int_div_zero 0
	.end_amdhsa_kernel
	.section	.text._ZN2at6native29vectorized_elementwise_kernelILi8EZNS0_21compare_scalar_kernelIbEEvRNS_18TensorIteratorBaseENS0_12_GLOBAL__N_16OpTypeET_EUlbE_St5arrayIPcLm2EEEEviT0_T1_,"axG",@progbits,_ZN2at6native29vectorized_elementwise_kernelILi8EZNS0_21compare_scalar_kernelIbEEvRNS_18TensorIteratorBaseENS0_12_GLOBAL__N_16OpTypeET_EUlbE_St5arrayIPcLm2EEEEviT0_T1_,comdat
.Lfunc_end145:
	.size	_ZN2at6native29vectorized_elementwise_kernelILi8EZNS0_21compare_scalar_kernelIbEEvRNS_18TensorIteratorBaseENS0_12_GLOBAL__N_16OpTypeET_EUlbE_St5arrayIPcLm2EEEEviT0_T1_, .Lfunc_end145-_ZN2at6native29vectorized_elementwise_kernelILi8EZNS0_21compare_scalar_kernelIbEEvRNS_18TensorIteratorBaseENS0_12_GLOBAL__N_16OpTypeET_EUlbE_St5arrayIPcLm2EEEEviT0_T1_
                                        ; -- End function
	.set _ZN2at6native29vectorized_elementwise_kernelILi8EZNS0_21compare_scalar_kernelIbEEvRNS_18TensorIteratorBaseENS0_12_GLOBAL__N_16OpTypeET_EUlbE_St5arrayIPcLm2EEEEviT0_T1_.num_vgpr, 9
	.set _ZN2at6native29vectorized_elementwise_kernelILi8EZNS0_21compare_scalar_kernelIbEEvRNS_18TensorIteratorBaseENS0_12_GLOBAL__N_16OpTypeET_EUlbE_St5arrayIPcLm2EEEEviT0_T1_.num_agpr, 0
	.set _ZN2at6native29vectorized_elementwise_kernelILi8EZNS0_21compare_scalar_kernelIbEEvRNS_18TensorIteratorBaseENS0_12_GLOBAL__N_16OpTypeET_EUlbE_St5arrayIPcLm2EEEEviT0_T1_.numbered_sgpr, 54
	.set _ZN2at6native29vectorized_elementwise_kernelILi8EZNS0_21compare_scalar_kernelIbEEvRNS_18TensorIteratorBaseENS0_12_GLOBAL__N_16OpTypeET_EUlbE_St5arrayIPcLm2EEEEviT0_T1_.num_named_barrier, 0
	.set _ZN2at6native29vectorized_elementwise_kernelILi8EZNS0_21compare_scalar_kernelIbEEvRNS_18TensorIteratorBaseENS0_12_GLOBAL__N_16OpTypeET_EUlbE_St5arrayIPcLm2EEEEviT0_T1_.private_seg_size, 0
	.set _ZN2at6native29vectorized_elementwise_kernelILi8EZNS0_21compare_scalar_kernelIbEEvRNS_18TensorIteratorBaseENS0_12_GLOBAL__N_16OpTypeET_EUlbE_St5arrayIPcLm2EEEEviT0_T1_.uses_vcc, 1
	.set _ZN2at6native29vectorized_elementwise_kernelILi8EZNS0_21compare_scalar_kernelIbEEvRNS_18TensorIteratorBaseENS0_12_GLOBAL__N_16OpTypeET_EUlbE_St5arrayIPcLm2EEEEviT0_T1_.uses_flat_scratch, 0
	.set _ZN2at6native29vectorized_elementwise_kernelILi8EZNS0_21compare_scalar_kernelIbEEvRNS_18TensorIteratorBaseENS0_12_GLOBAL__N_16OpTypeET_EUlbE_St5arrayIPcLm2EEEEviT0_T1_.has_dyn_sized_stack, 0
	.set _ZN2at6native29vectorized_elementwise_kernelILi8EZNS0_21compare_scalar_kernelIbEEvRNS_18TensorIteratorBaseENS0_12_GLOBAL__N_16OpTypeET_EUlbE_St5arrayIPcLm2EEEEviT0_T1_.has_recursion, 0
	.set _ZN2at6native29vectorized_elementwise_kernelILi8EZNS0_21compare_scalar_kernelIbEEvRNS_18TensorIteratorBaseENS0_12_GLOBAL__N_16OpTypeET_EUlbE_St5arrayIPcLm2EEEEviT0_T1_.has_indirect_call, 0
	.section	.AMDGPU.csdata,"",@progbits
; Kernel info:
; codeLenInByte = 8620
; TotalNumSgprs: 58
; NumVgprs: 9
; ScratchSize: 0
; MemoryBound: 0
; FloatMode: 240
; IeeeMode: 1
; LDSByteSize: 0 bytes/workgroup (compile time only)
; SGPRBlocks: 7
; VGPRBlocks: 2
; NumSGPRsForWavesPerEU: 58
; NumVGPRsForWavesPerEU: 9
; Occupancy: 10
; WaveLimiterHint : 1
; COMPUTE_PGM_RSRC2:SCRATCH_EN: 0
; COMPUTE_PGM_RSRC2:USER_SGPR: 6
; COMPUTE_PGM_RSRC2:TRAP_HANDLER: 0
; COMPUTE_PGM_RSRC2:TGID_X_EN: 1
; COMPUTE_PGM_RSRC2:TGID_Y_EN: 0
; COMPUTE_PGM_RSRC2:TGID_Z_EN: 0
; COMPUTE_PGM_RSRC2:TIDIG_COMP_CNT: 0
	.section	.text._ZN2at6native29vectorized_elementwise_kernelILi4EZNS0_21compare_scalar_kernelIbEEvRNS_18TensorIteratorBaseENS0_12_GLOBAL__N_16OpTypeET_EUlbE_St5arrayIPcLm2EEEEviT0_T1_,"axG",@progbits,_ZN2at6native29vectorized_elementwise_kernelILi4EZNS0_21compare_scalar_kernelIbEEvRNS_18TensorIteratorBaseENS0_12_GLOBAL__N_16OpTypeET_EUlbE_St5arrayIPcLm2EEEEviT0_T1_,comdat
	.globl	_ZN2at6native29vectorized_elementwise_kernelILi4EZNS0_21compare_scalar_kernelIbEEvRNS_18TensorIteratorBaseENS0_12_GLOBAL__N_16OpTypeET_EUlbE_St5arrayIPcLm2EEEEviT0_T1_ ; -- Begin function _ZN2at6native29vectorized_elementwise_kernelILi4EZNS0_21compare_scalar_kernelIbEEvRNS_18TensorIteratorBaseENS0_12_GLOBAL__N_16OpTypeET_EUlbE_St5arrayIPcLm2EEEEviT0_T1_
	.p2align	8
	.type	_ZN2at6native29vectorized_elementwise_kernelILi4EZNS0_21compare_scalar_kernelIbEEvRNS_18TensorIteratorBaseENS0_12_GLOBAL__N_16OpTypeET_EUlbE_St5arrayIPcLm2EEEEviT0_T1_,@function
_ZN2at6native29vectorized_elementwise_kernelILi4EZNS0_21compare_scalar_kernelIbEEvRNS_18TensorIteratorBaseENS0_12_GLOBAL__N_16OpTypeET_EUlbE_St5arrayIPcLm2EEEEviT0_T1_: ; @_ZN2at6native29vectorized_elementwise_kernelILi4EZNS0_21compare_scalar_kernelIbEEvRNS_18TensorIteratorBaseENS0_12_GLOBAL__N_16OpTypeET_EUlbE_St5arrayIPcLm2EEEEviT0_T1_
; %bb.0:
	s_load_dwordx8 s[8:15], s[4:5], 0x0
	s_lshl_b32 s33, s6, 12
	s_mov_b64 s[0:1], -1
	s_waitcnt lgkmcnt(0)
	s_sub_i32 s8, s8, s33
	s_cmpk_gt_i32 s8, 0xfff
	s_cbranch_scc0 .LBB146_205
; %bb.1:
	s_ashr_i32 s11, s33, 31
	s_add_u32 s0, s14, s33
	s_addc_u32 s1, s15, s11
	v_lshlrev_b32_e32 v1, 2, v0
	global_load_dword v5, v1, s[0:1]
	global_load_dword v4, v1, s[0:1] offset:1024
	global_load_dword v3, v1, s[0:1] offset:2048
	;; [unrolled: 1-line block ×3, first 2 shown]
	s_bitcmp1_b32 s10, 0
	s_cselect_b64 s[6:7], -1, 0
	v_mov_b32_e32 v6, 0
	s_xor_b64 s[2:3], s[6:7], -1
	s_mov_b64 s[20:21], -1
	s_mov_b64 s[16:17], 0
	s_cmp_lt_i32 s9, 1
	s_mov_b64 s[18:19], 0
                                        ; implicit-def: $sgpr4_sgpr5
	s_waitcnt vmcnt(3)
	v_cmp_ne_u32_sdwa s[0:1], v5, v6 src0_sel:BYTE_0 src1_sel:DWORD
	s_cbranch_scc0 .LBB146_10
; %bb.2:
	s_and_b64 vcc, exec, s[20:21]
	s_cbranch_vccnz .LBB146_250
.LBB146_3:
	s_andn2_b64 vcc, exec, s[18:19]
	s_cbranch_vccz .LBB146_251
.LBB146_4:
	s_andn2_b64 vcc, exec, s[16:17]
	s_cbranch_vccnz .LBB146_6
.LBB146_5:
	s_or_b64 s[0:1], s[0:1], s[2:3]
	s_andn2_b64 s[4:5], s[4:5], exec
	s_and_b64 s[0:1], s[0:1], exec
	s_or_b64 s[4:5], s[4:5], s[0:1]
.LBB146_6:
	v_and_b32_e32 v6, 0xff00, v5
	v_cmp_ne_u32_e64 s[0:1], 0, v6
	s_cmp_lt_i32 s9, 1
	s_mov_b64 s[18:19], 0
	s_cbranch_scc1 .LBB146_13
; %bb.7:
	s_cmp_gt_i32 s9, 1
	s_cbranch_scc0 .LBB146_14
; %bb.8:
	s_cmp_eq_u32 s9, 2
	s_cbranch_scc0 .LBB146_245
; %bb.9:
	s_xor_b64 s[16:17], s[0:1], -1
	s_or_b64 s[16:17], s[6:7], s[16:17]
	s_mov_b64 s[20:21], 0
	s_branch .LBB146_16
.LBB146_10:
	s_cmp_gt_i32 s9, 1
	s_cbranch_scc0 .LBB146_27
; %bb.11:
	s_cmp_eq_u32 s9, 2
	s_cbranch_scc0 .LBB146_246
; %bb.12:
	s_xor_b64 s[4:5], s[0:1], -1
	s_or_b64 s[4:5], s[6:7], s[4:5]
	s_branch .LBB146_247
.LBB146_13:
                                        ; implicit-def: $sgpr16_sgpr17
	s_mov_b64 s[20:21], 0
	s_cbranch_execnz .LBB146_17
	s_branch .LBB146_18
.LBB146_14:
	s_mov_b64 s[20:21], 0
                                        ; implicit-def: $sgpr16_sgpr17
	s_cbranch_execz .LBB146_16
; %bb.15:
	s_and_b64 s[22:23], s[0:1], s[2:3]
	s_andn2_b64 s[16:17], s[16:17], exec
	s_and_b64 s[22:23], s[22:23], exec
	s_or_b64 s[16:17], s[16:17], s[22:23]
.LBB146_16:
	s_branch .LBB146_18
.LBB146_17:
	s_cmp_lg_u32 s9, 0
	s_mov_b64 s[18:19], -1
	s_cselect_b64 s[20:21], -1, 0
.LBB146_18:
	s_andn2_b64 vcc, exec, s[20:21]
	s_cbranch_vccz .LBB146_25
; %bb.19:
	s_andn2_b64 vcc, exec, s[18:19]
	s_cbranch_vccnz .LBB146_21
.LBB146_20:
	s_or_b64 s[0:1], s[0:1], s[2:3]
	s_andn2_b64 s[16:17], s[16:17], exec
	s_and_b64 s[0:1], s[0:1], exec
	s_or_b64 s[16:17], s[16:17], s[0:1]
.LBB146_21:
	v_and_b32_e32 v6, 0xff0000, v5
	v_cmp_ne_u32_e64 s[0:1], 0, v6
	s_cmp_lt_i32 s9, 1
	s_mov_b64 s[20:21], 0
	s_cbranch_scc1 .LBB146_26
; %bb.22:
	s_cmp_gt_i32 s9, 1
	s_cbranch_scc0 .LBB146_28
; %bb.23:
	s_cmp_eq_u32 s9, 2
	s_cbranch_scc0 .LBB146_252
; %bb.24:
	s_xor_b64 s[18:19], s[0:1], -1
	s_or_b64 s[18:19], s[6:7], s[18:19]
	s_mov_b64 s[22:23], 0
	s_branch .LBB146_30
.LBB146_25:
	s_xor_b64 s[18:19], s[0:1], -1
	s_and_b64 s[20:21], s[6:7], s[18:19]
	s_andn2_b64 s[16:17], s[16:17], exec
	s_and_b64 s[20:21], s[20:21], exec
	s_or_b64 s[16:17], s[16:17], s[20:21]
	s_cbranch_execz .LBB146_20
	s_branch .LBB146_21
.LBB146_26:
                                        ; implicit-def: $sgpr18_sgpr19
	s_mov_b64 s[22:23], 0
	s_cbranch_execnz .LBB146_31
	s_branch .LBB146_32
.LBB146_27:
                                        ; implicit-def: $sgpr4_sgpr5
	s_and_b64 vcc, exec, s[20:21]
	s_cbranch_vccnz .LBB146_248
	s_branch .LBB146_249
.LBB146_28:
	s_mov_b64 s[22:23], 0
                                        ; implicit-def: $sgpr18_sgpr19
	s_cbranch_execz .LBB146_30
; %bb.29:
	s_and_b64 s[24:25], s[0:1], s[2:3]
	s_andn2_b64 s[18:19], s[18:19], exec
	s_and_b64 s[24:25], s[24:25], exec
	s_or_b64 s[18:19], s[18:19], s[24:25]
.LBB146_30:
	s_branch .LBB146_32
.LBB146_31:
	s_cmp_lg_u32 s9, 0
	s_mov_b64 s[20:21], -1
	s_cselect_b64 s[22:23], -1, 0
.LBB146_32:
	s_andn2_b64 vcc, exec, s[22:23]
	s_cbranch_vccz .LBB146_39
; %bb.33:
	s_andn2_b64 vcc, exec, s[20:21]
	s_cbranch_vccnz .LBB146_35
.LBB146_34:
	s_or_b64 s[0:1], s[0:1], s[2:3]
	s_andn2_b64 s[18:19], s[18:19], exec
	s_and_b64 s[0:1], s[0:1], exec
	s_or_b64 s[18:19], s[18:19], s[0:1]
.LBB146_35:
	s_mov_b32 s0, 0xffffff
	v_cmp_lt_u32_e64 s[0:1], s0, v5
	s_cmp_lt_i32 s9, 1
	s_mov_b64 s[22:23], 0
	s_cbranch_scc1 .LBB146_40
; %bb.36:
	s_cmp_gt_i32 s9, 1
	s_cbranch_scc0 .LBB146_41
; %bb.37:
	s_cmp_eq_u32 s9, 2
	s_cbranch_scc0 .LBB146_253
; %bb.38:
	s_xor_b64 s[20:21], s[0:1], -1
	s_or_b64 s[20:21], s[6:7], s[20:21]
	s_mov_b64 s[24:25], 0
	s_branch .LBB146_43
.LBB146_39:
	s_xor_b64 s[20:21], s[0:1], -1
	s_and_b64 s[22:23], s[6:7], s[20:21]
	s_andn2_b64 s[18:19], s[18:19], exec
	s_and_b64 s[22:23], s[22:23], exec
	s_or_b64 s[18:19], s[18:19], s[22:23]
	s_cbranch_execz .LBB146_34
	s_branch .LBB146_35
.LBB146_40:
                                        ; implicit-def: $sgpr20_sgpr21
	s_mov_b64 s[24:25], 0
	s_cbranch_execnz .LBB146_44
	s_branch .LBB146_45
.LBB146_41:
	s_mov_b64 s[24:25], 0
                                        ; implicit-def: $sgpr20_sgpr21
	s_cbranch_execz .LBB146_43
; %bb.42:
	s_and_b64 s[26:27], s[0:1], s[2:3]
	s_andn2_b64 s[20:21], s[20:21], exec
	s_and_b64 s[26:27], s[26:27], exec
	s_or_b64 s[20:21], s[20:21], s[26:27]
.LBB146_43:
	s_branch .LBB146_45
.LBB146_44:
	s_cmp_lg_u32 s9, 0
	s_mov_b64 s[22:23], -1
	s_cselect_b64 s[24:25], -1, 0
.LBB146_45:
	s_andn2_b64 vcc, exec, s[24:25]
	s_cbranch_vccz .LBB146_52
; %bb.46:
	s_andn2_b64 vcc, exec, s[22:23]
	s_cbranch_vccnz .LBB146_48
.LBB146_47:
	s_or_b64 s[0:1], s[0:1], s[2:3]
	s_andn2_b64 s[20:21], s[20:21], exec
	s_and_b64 s[0:1], s[0:1], exec
	s_or_b64 s[20:21], s[20:21], s[0:1]
.LBB146_48:
	v_mov_b32_e32 v5, 0
	s_waitcnt vmcnt(2)
	v_cmp_ne_u32_sdwa s[0:1], v4, v5 src0_sel:BYTE_0 src1_sel:DWORD
	s_cmp_lt_i32 s9, 1
	s_mov_b64 s[24:25], 0
	s_cbranch_scc1 .LBB146_53
; %bb.49:
	s_cmp_gt_i32 s9, 1
	s_cbranch_scc0 .LBB146_54
; %bb.50:
	s_cmp_eq_u32 s9, 2
	s_cbranch_scc0 .LBB146_254
; %bb.51:
	s_xor_b64 s[22:23], s[0:1], -1
	s_or_b64 s[22:23], s[6:7], s[22:23]
	s_mov_b64 s[26:27], 0
	s_branch .LBB146_56
.LBB146_52:
	s_xor_b64 s[22:23], s[0:1], -1
	s_and_b64 s[24:25], s[6:7], s[22:23]
	s_andn2_b64 s[20:21], s[20:21], exec
	s_and_b64 s[24:25], s[24:25], exec
	s_or_b64 s[20:21], s[20:21], s[24:25]
	s_cbranch_execz .LBB146_47
	s_branch .LBB146_48
.LBB146_53:
                                        ; implicit-def: $sgpr22_sgpr23
	s_mov_b64 s[26:27], 0
	s_cbranch_execnz .LBB146_57
	s_branch .LBB146_58
.LBB146_54:
	s_mov_b64 s[26:27], 0
                                        ; implicit-def: $sgpr22_sgpr23
	s_cbranch_execz .LBB146_56
; %bb.55:
	s_and_b64 s[28:29], s[0:1], s[2:3]
	s_andn2_b64 s[22:23], s[22:23], exec
	s_and_b64 s[28:29], s[28:29], exec
	s_or_b64 s[22:23], s[22:23], s[28:29]
.LBB146_56:
	s_branch .LBB146_58
.LBB146_57:
	s_cmp_lg_u32 s9, 0
	s_mov_b64 s[24:25], -1
	s_cselect_b64 s[26:27], -1, 0
.LBB146_58:
	s_andn2_b64 vcc, exec, s[26:27]
	s_cbranch_vccz .LBB146_65
; %bb.59:
	s_andn2_b64 vcc, exec, s[24:25]
	s_cbranch_vccnz .LBB146_61
.LBB146_60:
	s_or_b64 s[0:1], s[0:1], s[2:3]
	s_andn2_b64 s[22:23], s[22:23], exec
	s_and_b64 s[0:1], s[0:1], exec
	s_or_b64 s[22:23], s[22:23], s[0:1]
.LBB146_61:
	v_and_b32_e32 v5, 0xff00, v4
	v_cmp_ne_u32_e64 s[0:1], 0, v5
	s_cmp_lt_i32 s9, 1
	s_mov_b64 s[26:27], 0
	s_cbranch_scc1 .LBB146_66
; %bb.62:
	s_cmp_gt_i32 s9, 1
	s_cbranch_scc0 .LBB146_67
; %bb.63:
	s_cmp_eq_u32 s9, 2
	s_cbranch_scc0 .LBB146_255
; %bb.64:
	s_xor_b64 s[24:25], s[0:1], -1
	s_or_b64 s[24:25], s[6:7], s[24:25]
	s_mov_b64 s[28:29], 0
	s_branch .LBB146_69
.LBB146_65:
	s_xor_b64 s[24:25], s[0:1], -1
	s_and_b64 s[26:27], s[6:7], s[24:25]
	s_andn2_b64 s[22:23], s[22:23], exec
	s_and_b64 s[26:27], s[26:27], exec
	s_or_b64 s[22:23], s[22:23], s[26:27]
	s_cbranch_execz .LBB146_60
	s_branch .LBB146_61
.LBB146_66:
                                        ; implicit-def: $sgpr24_sgpr25
	s_mov_b64 s[28:29], 0
	s_cbranch_execnz .LBB146_70
	s_branch .LBB146_71
.LBB146_67:
	s_mov_b64 s[28:29], 0
                                        ; implicit-def: $sgpr24_sgpr25
	s_cbranch_execz .LBB146_69
; %bb.68:
	s_and_b64 s[30:31], s[0:1], s[2:3]
	s_andn2_b64 s[24:25], s[24:25], exec
	s_and_b64 s[30:31], s[30:31], exec
	s_or_b64 s[24:25], s[24:25], s[30:31]
.LBB146_69:
	s_branch .LBB146_71
.LBB146_70:
	s_cmp_lg_u32 s9, 0
	s_mov_b64 s[26:27], -1
	s_cselect_b64 s[28:29], -1, 0
.LBB146_71:
	s_andn2_b64 vcc, exec, s[28:29]
	s_cbranch_vccz .LBB146_78
; %bb.72:
	s_andn2_b64 vcc, exec, s[26:27]
	s_cbranch_vccnz .LBB146_74
.LBB146_73:
	s_or_b64 s[0:1], s[0:1], s[2:3]
	s_andn2_b64 s[24:25], s[24:25], exec
	s_and_b64 s[0:1], s[0:1], exec
	s_or_b64 s[24:25], s[24:25], s[0:1]
.LBB146_74:
	v_and_b32_e32 v5, 0xff0000, v4
	v_cmp_ne_u32_e64 s[0:1], 0, v5
	s_cmp_lt_i32 s9, 1
	s_mov_b64 s[28:29], 0
	s_cbranch_scc1 .LBB146_79
; %bb.75:
	s_cmp_gt_i32 s9, 1
	s_cbranch_scc0 .LBB146_80
; %bb.76:
	s_cmp_eq_u32 s9, 2
	s_cbranch_scc0 .LBB146_256
; %bb.77:
	s_xor_b64 s[26:27], s[0:1], -1
	s_or_b64 s[26:27], s[6:7], s[26:27]
	s_mov_b64 s[30:31], 0
	s_branch .LBB146_82
.LBB146_78:
	s_xor_b64 s[26:27], s[0:1], -1
	s_and_b64 s[28:29], s[6:7], s[26:27]
	s_andn2_b64 s[24:25], s[24:25], exec
	s_and_b64 s[28:29], s[28:29], exec
	s_or_b64 s[24:25], s[24:25], s[28:29]
	s_cbranch_execz .LBB146_73
	s_branch .LBB146_74
.LBB146_79:
                                        ; implicit-def: $sgpr26_sgpr27
	s_mov_b64 s[30:31], 0
	s_cbranch_execnz .LBB146_83
	s_branch .LBB146_84
.LBB146_80:
	s_mov_b64 s[30:31], 0
                                        ; implicit-def: $sgpr26_sgpr27
	s_cbranch_execz .LBB146_82
; %bb.81:
	s_and_b64 s[34:35], s[0:1], s[2:3]
	s_andn2_b64 s[26:27], s[26:27], exec
	s_and_b64 s[34:35], s[34:35], exec
	s_or_b64 s[26:27], s[26:27], s[34:35]
.LBB146_82:
	s_branch .LBB146_84
.LBB146_83:
	s_cmp_lg_u32 s9, 0
	s_mov_b64 s[28:29], -1
	s_cselect_b64 s[30:31], -1, 0
.LBB146_84:
	s_andn2_b64 vcc, exec, s[30:31]
	s_cbranch_vccz .LBB146_91
; %bb.85:
	s_andn2_b64 vcc, exec, s[28:29]
	s_cbranch_vccnz .LBB146_87
.LBB146_86:
	s_or_b64 s[0:1], s[0:1], s[2:3]
	s_andn2_b64 s[26:27], s[26:27], exec
	s_and_b64 s[0:1], s[0:1], exec
	s_or_b64 s[26:27], s[26:27], s[0:1]
.LBB146_87:
	s_mov_b32 s0, 0xffffff
	v_cmp_lt_u32_e64 s[0:1], s0, v4
	s_cmp_lt_i32 s9, 1
	s_mov_b64 s[30:31], 0
	s_cbranch_scc1 .LBB146_92
; %bb.88:
	s_cmp_gt_i32 s9, 1
	s_cbranch_scc0 .LBB146_93
; %bb.89:
	s_cmp_eq_u32 s9, 2
	s_cbranch_scc0 .LBB146_257
; %bb.90:
	s_xor_b64 s[28:29], s[0:1], -1
	s_or_b64 s[28:29], s[6:7], s[28:29]
	s_mov_b64 s[34:35], 0
	s_branch .LBB146_95
.LBB146_91:
	s_xor_b64 s[28:29], s[0:1], -1
	s_and_b64 s[30:31], s[6:7], s[28:29]
	s_andn2_b64 s[26:27], s[26:27], exec
	s_and_b64 s[30:31], s[30:31], exec
	s_or_b64 s[26:27], s[26:27], s[30:31]
	s_cbranch_execz .LBB146_86
	s_branch .LBB146_87
.LBB146_92:
                                        ; implicit-def: $sgpr28_sgpr29
	s_mov_b64 s[34:35], 0
	s_cbranch_execnz .LBB146_96
	s_branch .LBB146_97
.LBB146_93:
	s_mov_b64 s[34:35], 0
                                        ; implicit-def: $sgpr28_sgpr29
	s_cbranch_execz .LBB146_95
; %bb.94:
	s_and_b64 s[36:37], s[0:1], s[2:3]
	s_andn2_b64 s[28:29], s[28:29], exec
	s_and_b64 s[36:37], s[36:37], exec
	s_or_b64 s[28:29], s[28:29], s[36:37]
.LBB146_95:
	s_branch .LBB146_97
.LBB146_96:
	s_cmp_lg_u32 s9, 0
	s_mov_b64 s[30:31], -1
	s_cselect_b64 s[34:35], -1, 0
.LBB146_97:
	s_andn2_b64 vcc, exec, s[34:35]
	s_cbranch_vccz .LBB146_104
; %bb.98:
	s_andn2_b64 vcc, exec, s[30:31]
	s_cbranch_vccnz .LBB146_100
.LBB146_99:
	s_or_b64 s[0:1], s[0:1], s[2:3]
	s_andn2_b64 s[28:29], s[28:29], exec
	s_and_b64 s[0:1], s[0:1], exec
	s_or_b64 s[28:29], s[28:29], s[0:1]
.LBB146_100:
	v_mov_b32_e32 v4, 0
	s_waitcnt vmcnt(1)
	v_cmp_ne_u32_sdwa s[0:1], v3, v4 src0_sel:BYTE_0 src1_sel:DWORD
	s_cmp_lt_i32 s9, 1
	s_mov_b64 s[34:35], 0
	s_cbranch_scc1 .LBB146_105
; %bb.101:
	s_cmp_gt_i32 s9, 1
	s_cbranch_scc0 .LBB146_106
; %bb.102:
	s_cmp_eq_u32 s9, 2
	s_cbranch_scc0 .LBB146_258
; %bb.103:
	s_xor_b64 s[30:31], s[0:1], -1
	s_or_b64 s[30:31], s[6:7], s[30:31]
	s_mov_b64 s[36:37], 0
	s_branch .LBB146_108
.LBB146_104:
	s_xor_b64 s[30:31], s[0:1], -1
	s_and_b64 s[34:35], s[6:7], s[30:31]
	s_andn2_b64 s[28:29], s[28:29], exec
	s_and_b64 s[34:35], s[34:35], exec
	s_or_b64 s[28:29], s[28:29], s[34:35]
	s_cbranch_execz .LBB146_99
	s_branch .LBB146_100
.LBB146_105:
                                        ; implicit-def: $sgpr30_sgpr31
	s_mov_b64 s[36:37], 0
	s_cbranch_execnz .LBB146_109
	s_branch .LBB146_110
.LBB146_106:
	s_mov_b64 s[36:37], 0
                                        ; implicit-def: $sgpr30_sgpr31
	s_cbranch_execz .LBB146_108
; %bb.107:
	s_and_b64 s[38:39], s[0:1], s[2:3]
	s_andn2_b64 s[30:31], s[30:31], exec
	s_and_b64 s[38:39], s[38:39], exec
	s_or_b64 s[30:31], s[30:31], s[38:39]
.LBB146_108:
	s_branch .LBB146_110
.LBB146_109:
	s_cmp_lg_u32 s9, 0
	s_mov_b64 s[34:35], -1
	s_cselect_b64 s[36:37], -1, 0
.LBB146_110:
	s_andn2_b64 vcc, exec, s[36:37]
	s_cbranch_vccz .LBB146_117
; %bb.111:
	s_andn2_b64 vcc, exec, s[34:35]
	s_cbranch_vccnz .LBB146_113
.LBB146_112:
	s_or_b64 s[0:1], s[0:1], s[2:3]
	s_andn2_b64 s[30:31], s[30:31], exec
	s_and_b64 s[0:1], s[0:1], exec
	s_or_b64 s[30:31], s[30:31], s[0:1]
.LBB146_113:
	v_and_b32_e32 v4, 0xff00, v3
	v_cmp_ne_u32_e64 s[0:1], 0, v4
	s_cmp_lt_i32 s9, 1
	s_mov_b64 s[36:37], 0
	s_cbranch_scc1 .LBB146_118
; %bb.114:
	s_cmp_gt_i32 s9, 1
	s_cbranch_scc0 .LBB146_119
; %bb.115:
	s_cmp_eq_u32 s9, 2
	s_cbranch_scc0 .LBB146_259
; %bb.116:
	s_xor_b64 s[34:35], s[0:1], -1
	s_or_b64 s[34:35], s[6:7], s[34:35]
	s_mov_b64 s[38:39], 0
	s_branch .LBB146_121
.LBB146_117:
	s_xor_b64 s[34:35], s[0:1], -1
	s_and_b64 s[36:37], s[6:7], s[34:35]
	s_andn2_b64 s[30:31], s[30:31], exec
	s_and_b64 s[36:37], s[36:37], exec
	s_or_b64 s[30:31], s[30:31], s[36:37]
	s_cbranch_execz .LBB146_112
	s_branch .LBB146_113
.LBB146_118:
                                        ; implicit-def: $sgpr34_sgpr35
	s_mov_b64 s[38:39], 0
	s_cbranch_execnz .LBB146_122
	s_branch .LBB146_123
.LBB146_119:
	s_mov_b64 s[38:39], 0
                                        ; implicit-def: $sgpr34_sgpr35
	s_cbranch_execz .LBB146_121
; %bb.120:
	s_and_b64 s[40:41], s[0:1], s[2:3]
	s_andn2_b64 s[34:35], s[34:35], exec
	s_and_b64 s[40:41], s[40:41], exec
	s_or_b64 s[34:35], s[34:35], s[40:41]
.LBB146_121:
	s_branch .LBB146_123
.LBB146_122:
	s_cmp_lg_u32 s9, 0
	s_mov_b64 s[36:37], -1
	s_cselect_b64 s[38:39], -1, 0
.LBB146_123:
	s_andn2_b64 vcc, exec, s[38:39]
	s_cbranch_vccz .LBB146_130
; %bb.124:
	s_andn2_b64 vcc, exec, s[36:37]
	s_cbranch_vccnz .LBB146_126
.LBB146_125:
	s_or_b64 s[0:1], s[0:1], s[2:3]
	s_andn2_b64 s[34:35], s[34:35], exec
	s_and_b64 s[0:1], s[0:1], exec
	s_or_b64 s[34:35], s[34:35], s[0:1]
.LBB146_126:
	v_and_b32_e32 v4, 0xff0000, v3
	v_cmp_ne_u32_e64 s[0:1], 0, v4
	s_cmp_lt_i32 s9, 1
	s_mov_b64 s[38:39], 0
	s_cbranch_scc1 .LBB146_131
; %bb.127:
	s_cmp_gt_i32 s9, 1
	s_cbranch_scc0 .LBB146_132
; %bb.128:
	s_cmp_eq_u32 s9, 2
	s_cbranch_scc0 .LBB146_260
; %bb.129:
	s_xor_b64 s[36:37], s[0:1], -1
	s_or_b64 s[36:37], s[6:7], s[36:37]
	s_mov_b64 s[40:41], 0
	s_branch .LBB146_134
.LBB146_130:
	s_xor_b64 s[36:37], s[0:1], -1
	s_and_b64 s[38:39], s[6:7], s[36:37]
	s_andn2_b64 s[34:35], s[34:35], exec
	s_and_b64 s[38:39], s[38:39], exec
	s_or_b64 s[34:35], s[34:35], s[38:39]
	s_cbranch_execz .LBB146_125
	s_branch .LBB146_126
.LBB146_131:
                                        ; implicit-def: $sgpr36_sgpr37
	s_mov_b64 s[40:41], 0
	s_cbranch_execnz .LBB146_135
	s_branch .LBB146_136
.LBB146_132:
	s_mov_b64 s[40:41], 0
                                        ; implicit-def: $sgpr36_sgpr37
	s_cbranch_execz .LBB146_134
; %bb.133:
	s_and_b64 s[42:43], s[0:1], s[2:3]
	s_andn2_b64 s[36:37], s[36:37], exec
	s_and_b64 s[42:43], s[42:43], exec
	s_or_b64 s[36:37], s[36:37], s[42:43]
.LBB146_134:
	s_branch .LBB146_136
.LBB146_135:
	s_cmp_lg_u32 s9, 0
	s_mov_b64 s[38:39], -1
	s_cselect_b64 s[40:41], -1, 0
.LBB146_136:
	s_andn2_b64 vcc, exec, s[40:41]
	s_cbranch_vccz .LBB146_143
; %bb.137:
	s_andn2_b64 vcc, exec, s[38:39]
	s_cbranch_vccnz .LBB146_139
.LBB146_138:
	s_or_b64 s[0:1], s[0:1], s[2:3]
	s_andn2_b64 s[36:37], s[36:37], exec
	s_and_b64 s[0:1], s[0:1], exec
	s_or_b64 s[36:37], s[36:37], s[0:1]
.LBB146_139:
	s_mov_b32 s0, 0xffffff
	v_cmp_lt_u32_e64 s[0:1], s0, v3
	s_cmp_lt_i32 s9, 1
	s_mov_b64 s[40:41], 0
	s_cbranch_scc1 .LBB146_144
; %bb.140:
	s_cmp_gt_i32 s9, 1
	s_cbranch_scc0 .LBB146_145
; %bb.141:
	s_cmp_eq_u32 s9, 2
	s_cbranch_scc0 .LBB146_261
; %bb.142:
	s_xor_b64 s[38:39], s[0:1], -1
	s_or_b64 s[38:39], s[6:7], s[38:39]
	s_mov_b64 s[42:43], 0
	s_branch .LBB146_147
.LBB146_143:
	s_xor_b64 s[38:39], s[0:1], -1
	s_and_b64 s[40:41], s[6:7], s[38:39]
	s_andn2_b64 s[36:37], s[36:37], exec
	s_and_b64 s[40:41], s[40:41], exec
	s_or_b64 s[36:37], s[36:37], s[40:41]
	s_cbranch_execz .LBB146_138
	s_branch .LBB146_139
.LBB146_144:
                                        ; implicit-def: $sgpr38_sgpr39
	s_mov_b64 s[42:43], 0
	s_cbranch_execnz .LBB146_148
	s_branch .LBB146_149
.LBB146_145:
	s_mov_b64 s[42:43], 0
                                        ; implicit-def: $sgpr38_sgpr39
	s_cbranch_execz .LBB146_147
; %bb.146:
	s_and_b64 s[44:45], s[0:1], s[2:3]
	s_andn2_b64 s[38:39], s[38:39], exec
	s_and_b64 s[44:45], s[44:45], exec
	s_or_b64 s[38:39], s[38:39], s[44:45]
.LBB146_147:
	s_branch .LBB146_149
.LBB146_148:
	s_cmp_lg_u32 s9, 0
	s_mov_b64 s[40:41], -1
	s_cselect_b64 s[42:43], -1, 0
.LBB146_149:
	s_andn2_b64 vcc, exec, s[42:43]
	s_cbranch_vccz .LBB146_156
; %bb.150:
	s_andn2_b64 vcc, exec, s[40:41]
	s_cbranch_vccnz .LBB146_152
.LBB146_151:
	s_or_b64 s[0:1], s[0:1], s[2:3]
	s_andn2_b64 s[38:39], s[38:39], exec
	s_and_b64 s[0:1], s[0:1], exec
	s_or_b64 s[38:39], s[38:39], s[0:1]
.LBB146_152:
	v_mov_b32_e32 v3, 0
	s_waitcnt vmcnt(0)
	v_cmp_ne_u32_sdwa s[0:1], v2, v3 src0_sel:BYTE_0 src1_sel:DWORD
	s_cmp_lt_i32 s9, 1
	s_mov_b64 s[42:43], 0
	s_cbranch_scc1 .LBB146_157
; %bb.153:
	s_cmp_gt_i32 s9, 1
	s_cbranch_scc0 .LBB146_158
; %bb.154:
	s_cmp_eq_u32 s9, 2
	s_cbranch_scc0 .LBB146_262
; %bb.155:
	s_xor_b64 s[40:41], s[0:1], -1
	s_or_b64 s[40:41], s[6:7], s[40:41]
	s_mov_b64 s[44:45], 0
	s_branch .LBB146_160
.LBB146_156:
	s_xor_b64 s[40:41], s[0:1], -1
	s_and_b64 s[42:43], s[6:7], s[40:41]
	s_andn2_b64 s[38:39], s[38:39], exec
	s_and_b64 s[42:43], s[42:43], exec
	s_or_b64 s[38:39], s[38:39], s[42:43]
	s_cbranch_execz .LBB146_151
	s_branch .LBB146_152
.LBB146_157:
                                        ; implicit-def: $sgpr40_sgpr41
	s_mov_b64 s[44:45], 0
	s_cbranch_execnz .LBB146_161
	s_branch .LBB146_162
.LBB146_158:
	s_mov_b64 s[44:45], 0
                                        ; implicit-def: $sgpr40_sgpr41
	s_cbranch_execz .LBB146_160
; %bb.159:
	s_and_b64 s[46:47], s[0:1], s[2:3]
	s_andn2_b64 s[40:41], s[40:41], exec
	s_and_b64 s[46:47], s[46:47], exec
	s_or_b64 s[40:41], s[40:41], s[46:47]
.LBB146_160:
	s_branch .LBB146_162
.LBB146_161:
	s_cmp_lg_u32 s9, 0
	s_mov_b64 s[42:43], -1
	s_cselect_b64 s[44:45], -1, 0
.LBB146_162:
	s_andn2_b64 vcc, exec, s[44:45]
	s_cbranch_vccz .LBB146_169
; %bb.163:
	s_andn2_b64 vcc, exec, s[42:43]
	s_cbranch_vccnz .LBB146_165
.LBB146_164:
	s_or_b64 s[0:1], s[0:1], s[2:3]
	s_andn2_b64 s[40:41], s[40:41], exec
	s_and_b64 s[0:1], s[0:1], exec
	s_or_b64 s[40:41], s[40:41], s[0:1]
.LBB146_165:
	v_and_b32_e32 v3, 0xff00, v2
	v_cmp_ne_u32_e64 s[0:1], 0, v3
	s_cmp_lt_i32 s9, 1
	s_mov_b64 s[44:45], 0
	s_cbranch_scc1 .LBB146_170
; %bb.166:
	s_cmp_gt_i32 s9, 1
	s_cbranch_scc0 .LBB146_171
; %bb.167:
	s_cmp_eq_u32 s9, 2
	s_cbranch_scc0 .LBB146_263
; %bb.168:
	s_xor_b64 s[42:43], s[0:1], -1
	s_or_b64 s[42:43], s[6:7], s[42:43]
	s_mov_b64 s[46:47], 0
	s_branch .LBB146_173
.LBB146_169:
	s_xor_b64 s[42:43], s[0:1], -1
	s_and_b64 s[44:45], s[6:7], s[42:43]
	s_andn2_b64 s[40:41], s[40:41], exec
	s_and_b64 s[44:45], s[44:45], exec
	s_or_b64 s[40:41], s[40:41], s[44:45]
	s_cbranch_execz .LBB146_164
	s_branch .LBB146_165
.LBB146_170:
                                        ; implicit-def: $sgpr42_sgpr43
	s_mov_b64 s[46:47], 0
	s_cbranch_execnz .LBB146_174
	s_branch .LBB146_175
.LBB146_171:
	s_mov_b64 s[46:47], 0
                                        ; implicit-def: $sgpr42_sgpr43
	s_cbranch_execz .LBB146_173
; %bb.172:
	s_and_b64 s[48:49], s[0:1], s[2:3]
	s_andn2_b64 s[42:43], s[42:43], exec
	s_and_b64 s[48:49], s[48:49], exec
	s_or_b64 s[42:43], s[42:43], s[48:49]
.LBB146_173:
	s_branch .LBB146_175
.LBB146_174:
	s_cmp_lg_u32 s9, 0
	s_mov_b64 s[44:45], -1
	s_cselect_b64 s[46:47], -1, 0
.LBB146_175:
	s_andn2_b64 vcc, exec, s[46:47]
	s_cbranch_vccz .LBB146_182
; %bb.176:
	s_andn2_b64 vcc, exec, s[44:45]
	s_cbranch_vccnz .LBB146_178
.LBB146_177:
	s_or_b64 s[0:1], s[0:1], s[2:3]
	s_andn2_b64 s[42:43], s[42:43], exec
	s_and_b64 s[0:1], s[0:1], exec
	s_or_b64 s[42:43], s[42:43], s[0:1]
.LBB146_178:
	v_and_b32_e32 v3, 0xff0000, v2
	v_cmp_ne_u32_e64 s[0:1], 0, v3
	s_cmp_lt_i32 s9, 1
	s_mov_b64 s[46:47], 0
	s_cbranch_scc1 .LBB146_183
; %bb.179:
	s_cmp_gt_i32 s9, 1
	s_cbranch_scc0 .LBB146_184
; %bb.180:
	s_cmp_eq_u32 s9, 2
	s_cbranch_scc0 .LBB146_264
; %bb.181:
	s_xor_b64 s[44:45], s[0:1], -1
	s_or_b64 s[44:45], s[6:7], s[44:45]
	s_mov_b64 s[48:49], 0
	s_branch .LBB146_186
.LBB146_182:
	s_xor_b64 s[44:45], s[0:1], -1
	s_and_b64 s[46:47], s[6:7], s[44:45]
	s_andn2_b64 s[42:43], s[42:43], exec
	s_and_b64 s[46:47], s[46:47], exec
	s_or_b64 s[42:43], s[42:43], s[46:47]
	s_cbranch_execz .LBB146_177
	s_branch .LBB146_178
.LBB146_183:
                                        ; implicit-def: $sgpr44_sgpr45
	s_mov_b64 s[48:49], 0
	s_cbranch_execnz .LBB146_187
	s_branch .LBB146_188
.LBB146_184:
	s_mov_b64 s[48:49], 0
                                        ; implicit-def: $sgpr44_sgpr45
	s_cbranch_execz .LBB146_186
; %bb.185:
	s_and_b64 s[50:51], s[0:1], s[2:3]
	s_andn2_b64 s[44:45], s[44:45], exec
	s_and_b64 s[50:51], s[50:51], exec
	s_or_b64 s[44:45], s[44:45], s[50:51]
.LBB146_186:
	s_branch .LBB146_188
.LBB146_187:
	s_cmp_lg_u32 s9, 0
	s_mov_b64 s[46:47], -1
	s_cselect_b64 s[48:49], -1, 0
.LBB146_188:
	s_andn2_b64 vcc, exec, s[48:49]
	s_cbranch_vccz .LBB146_195
; %bb.189:
	s_andn2_b64 vcc, exec, s[46:47]
	s_cbranch_vccnz .LBB146_191
.LBB146_190:
	s_or_b64 s[0:1], s[0:1], s[2:3]
	s_andn2_b64 s[44:45], s[44:45], exec
	s_and_b64 s[0:1], s[0:1], exec
	s_or_b64 s[44:45], s[44:45], s[0:1]
.LBB146_191:
	s_mov_b32 s0, 0xffffff
	v_cmp_lt_u32_e64 s[0:1], s0, v2
	s_cmp_lt_i32 s9, 1
	s_mov_b64 s[48:49], 0
	s_cbranch_scc1 .LBB146_196
; %bb.192:
	s_cmp_gt_i32 s9, 1
	s_cbranch_scc0 .LBB146_197
; %bb.193:
	s_cmp_eq_u32 s9, 2
	s_cbranch_scc0 .LBB146_265
; %bb.194:
	s_xor_b64 s[46:47], s[0:1], -1
	s_or_b64 s[46:47], s[6:7], s[46:47]
	s_mov_b64 s[50:51], 0
	s_branch .LBB146_199
.LBB146_195:
	s_xor_b64 s[46:47], s[0:1], -1
	s_and_b64 s[48:49], s[6:7], s[46:47]
	s_andn2_b64 s[44:45], s[44:45], exec
	s_and_b64 s[48:49], s[48:49], exec
	s_or_b64 s[44:45], s[44:45], s[48:49]
	s_cbranch_execz .LBB146_190
	s_branch .LBB146_191
.LBB146_196:
                                        ; implicit-def: $sgpr46_sgpr47
	s_mov_b64 s[50:51], 0
	s_cbranch_execnz .LBB146_200
	s_branch .LBB146_201
.LBB146_197:
	s_mov_b64 s[50:51], 0
                                        ; implicit-def: $sgpr46_sgpr47
	s_cbranch_execz .LBB146_199
; %bb.198:
	s_and_b64 s[52:53], s[0:1], s[2:3]
	s_andn2_b64 s[46:47], s[46:47], exec
	s_and_b64 s[52:53], s[52:53], exec
	s_or_b64 s[46:47], s[46:47], s[52:53]
.LBB146_199:
	s_branch .LBB146_201
.LBB146_200:
	s_cmp_lg_u32 s9, 0
	s_mov_b64 s[48:49], -1
	s_cselect_b64 s[50:51], -1, 0
.LBB146_201:
	s_andn2_b64 vcc, exec, s[50:51]
	s_cbranch_vccz .LBB146_243
; %bb.202:
	s_andn2_b64 vcc, exec, s[48:49]
	s_cbranch_vccnz .LBB146_204
.LBB146_203:
	s_or_b64 s[0:1], s[0:1], s[2:3]
	s_andn2_b64 s[2:3], s[46:47], exec
	s_and_b64 s[0:1], s[0:1], exec
	s_or_b64 s[46:47], s[2:3], s[0:1]
.LBB146_204:
	v_cndmask_b32_e64 v2, 0, 1, s[16:17]
	v_lshlrev_b16_e32 v2, 8, v2
	v_cndmask_b32_e64 v3, 0, 1, s[4:5]
	v_or_b32_e32 v2, v3, v2
	v_cndmask_b32_e64 v3, 0, 1, s[20:21]
	v_lshlrev_b16_e32 v3, 8, v3
	v_cndmask_b32_e64 v4, 0, 1, s[18:19]
	v_or_b32_sdwa v3, v4, v3 dst_sel:WORD_1 dst_unused:UNUSED_PAD src0_sel:DWORD src1_sel:DWORD
	v_or_b32_sdwa v2, v2, v3 dst_sel:DWORD dst_unused:UNUSED_PAD src0_sel:WORD_0 src1_sel:DWORD
	v_cndmask_b32_e64 v3, 0, 1, s[24:25]
	v_lshlrev_b16_e32 v3, 8, v3
	v_cndmask_b32_e64 v4, 0, 1, s[22:23]
	v_or_b32_e32 v3, v4, v3
	v_cndmask_b32_e64 v4, 0, 1, s[28:29]
	v_lshlrev_b16_e32 v4, 8, v4
	v_cndmask_b32_e64 v5, 0, 1, s[26:27]
	v_or_b32_sdwa v4, v5, v4 dst_sel:WORD_1 dst_unused:UNUSED_PAD src0_sel:DWORD src1_sel:DWORD
	v_or_b32_sdwa v3, v3, v4 dst_sel:DWORD dst_unused:UNUSED_PAD src0_sel:WORD_0 src1_sel:DWORD
	;; [unrolled: 9-line block ×3, first 2 shown]
	v_cndmask_b32_e64 v5, 0, 1, s[42:43]
	v_lshlrev_b16_e32 v5, 8, v5
	v_cndmask_b32_e64 v6, 0, 1, s[40:41]
	v_or_b32_e32 v5, v6, v5
	v_cndmask_b32_e64 v6, 0, 1, s[46:47]
	v_lshlrev_b16_e32 v6, 8, v6
	v_cndmask_b32_e64 v7, 0, 1, s[44:45]
	s_add_u32 s0, s12, s33
	v_or_b32_sdwa v6, v7, v6 dst_sel:WORD_1 dst_unused:UNUSED_PAD src0_sel:DWORD src1_sel:DWORD
	s_addc_u32 s1, s13, s11
	v_or_b32_sdwa v5, v5, v6 dst_sel:DWORD dst_unused:UNUSED_PAD src0_sel:WORD_0 src1_sel:DWORD
	global_store_dword v1, v2, s[0:1]
	global_store_dword v1, v3, s[0:1] offset:1024
	global_store_dword v1, v4, s[0:1] offset:2048
	;; [unrolled: 1-line block ×3, first 2 shown]
	s_mov_b64 s[0:1], 0
.LBB146_205:
	s_and_b64 vcc, exec, s[0:1]
	s_cbranch_vccz .LBB146_519
; %bb.206:
	v_cmp_gt_i32_e64 s[0:1], s8, v0
	s_mov_b64 s[44:45], 0
	v_or_b32_e32 v1, s33, v0
	s_mov_b64 s[46:47], 0
	v_mov_b32_e32 v2, v0
	s_and_saveexec_b64 s[2:3], s[0:1]
	s_cbranch_execz .LBB146_208
; %bb.207:
	global_load_ubyte v3, v1, s[14:15]
	v_or_b32_e32 v2, 0x100, v0
	s_waitcnt vmcnt(0)
	v_cmp_ne_u16_e32 vcc, 0, v3
	s_and_b64 s[46:47], vcc, exec
.LBB146_208:
	s_or_b64 exec, exec, s[2:3]
	v_cmp_gt_i32_e32 vcc, s8, v2
	s_and_saveexec_b64 s[2:3], vcc
	s_cbranch_execz .LBB146_210
; %bb.209:
	v_add_u32_e32 v3, s33, v2
	global_load_ubyte v3, v3, s[14:15]
	v_add_u32_e32 v2, 0x100, v2
	s_waitcnt vmcnt(0)
	v_cmp_ne_u16_e32 vcc, 0, v3
	s_and_b64 s[44:45], vcc, exec
.LBB146_210:
	s_or_b64 exec, exec, s[2:3]
	v_cmp_gt_i32_e32 vcc, s8, v2
	s_mov_b64 s[40:41], 0
	s_mov_b64 s[42:43], 0
	s_and_saveexec_b64 s[2:3], vcc
	s_cbranch_execz .LBB146_212
; %bb.211:
	v_add_u32_e32 v3, s33, v2
	global_load_ubyte v3, v3, s[14:15]
	v_add_u32_e32 v2, 0x100, v2
	s_waitcnt vmcnt(0)
	v_cmp_ne_u16_e32 vcc, 0, v3
	s_and_b64 s[42:43], vcc, exec
.LBB146_212:
	s_or_b64 exec, exec, s[2:3]
	v_cmp_gt_i32_e32 vcc, s8, v2
	s_and_saveexec_b64 s[2:3], vcc
	s_cbranch_execz .LBB146_214
; %bb.213:
	v_add_u32_e32 v3, s33, v2
	global_load_ubyte v3, v3, s[14:15]
	v_add_u32_e32 v2, 0x100, v2
	s_waitcnt vmcnt(0)
	v_cmp_ne_u16_e32 vcc, 0, v3
	s_and_b64 s[40:41], vcc, exec
.LBB146_214:
	s_or_b64 exec, exec, s[2:3]
	v_cmp_gt_i32_e32 vcc, s8, v2
	s_mov_b64 s[36:37], 0
	s_mov_b64 s[38:39], 0
	s_and_saveexec_b64 s[2:3], vcc
	s_cbranch_execz .LBB146_216
; %bb.215:
	v_add_u32_e32 v3, s33, v2
	global_load_ubyte v3, v3, s[14:15]
	v_add_u32_e32 v2, 0x100, v2
	s_waitcnt vmcnt(0)
	v_cmp_ne_u16_e32 vcc, 0, v3
	s_and_b64 s[38:39], vcc, exec
.LBB146_216:
	;; [unrolled: 26-line block ×7, first 2 shown]
	s_or_b64 exec, exec, s[4:5]
	v_cmp_gt_i32_e32 vcc, s8, v2
	s_and_saveexec_b64 s[4:5], vcc
	s_cbranch_execz .LBB146_238
; %bb.237:
	v_add_u32_e32 v2, s33, v2
	global_load_ubyte v2, v2, s[14:15]
	s_waitcnt vmcnt(0)
	v_cmp_ne_u16_e32 vcc, 0, v2
	s_and_b64 s[2:3], vcc, exec
.LBB146_238:
	s_or_b64 exec, exec, s[4:5]
	s_bitcmp1_b32 s10, 0
	s_cselect_b64 s[6:7], -1, 0
	v_mov_b32_e32 v5, 0
	s_xor_b64 s[4:5], s[6:7], -1
	v_mov_b32_e32 v4, v5
	v_mov_b32_e32 v3, v5
	;; [unrolled: 1-line block ×3, first 2 shown]
	s_and_saveexec_b64 s[10:11], s[0:1]
	s_cbranch_execz .LBB146_276
; %bb.239:
	s_cmp_lt_i32 s9, 1
	s_mov_b64 s[14:15], 0
	s_cbranch_scc1 .LBB146_244
; %bb.240:
	s_cmp_gt_i32 s9, 1
	s_cbranch_scc0 .LBB146_266
; %bb.241:
	s_cmp_eq_u32 s9, 2
	s_cbranch_scc0 .LBB146_267
; %bb.242:
	s_xor_b64 s[48:49], s[46:47], -1
	s_or_b64 s[48:49], s[6:7], s[48:49]
	s_mov_b64 s[50:51], 0
	s_branch .LBB146_268
.LBB146_243:
	s_xor_b64 s[48:49], s[0:1], -1
	s_and_b64 s[6:7], s[6:7], s[48:49]
	s_andn2_b64 s[46:47], s[46:47], exec
	s_and_b64 s[6:7], s[6:7], exec
	s_or_b64 s[46:47], s[46:47], s[6:7]
	s_cbranch_execz .LBB146_203
	s_branch .LBB146_204
.LBB146_244:
                                        ; implicit-def: $sgpr48_sgpr49
	s_mov_b64 s[50:51], 0
	s_cbranch_execnz .LBB146_271
	s_branch .LBB146_272
.LBB146_245:
	s_mov_b64 s[20:21], -1
                                        ; implicit-def: $sgpr16_sgpr17
	s_branch .LBB146_16
.LBB146_246:
	s_mov_b64 s[18:19], -1
                                        ; implicit-def: $sgpr4_sgpr5
.LBB146_247:
	s_branch .LBB146_249
.LBB146_248:
	s_and_b64 s[20:21], s[0:1], s[2:3]
	s_andn2_b64 s[4:5], s[4:5], exec
	s_and_b64 s[20:21], s[20:21], exec
	s_or_b64 s[4:5], s[4:5], s[20:21]
.LBB146_249:
	s_branch .LBB146_3
.LBB146_250:
	s_cmp_lg_u32 s9, 0
	s_mov_b64 s[16:17], -1
	s_cselect_b64 s[18:19], -1, 0
	s_andn2_b64 vcc, exec, s[18:19]
	s_cbranch_vccnz .LBB146_4
.LBB146_251:
	s_xor_b64 s[16:17], s[0:1], -1
	s_and_b64 s[18:19], s[6:7], s[16:17]
	s_andn2_b64 s[4:5], s[4:5], exec
	s_and_b64 s[18:19], s[18:19], exec
	s_or_b64 s[4:5], s[4:5], s[18:19]
	s_cbranch_execz .LBB146_5
	s_branch .LBB146_6
.LBB146_252:
	s_mov_b64 s[22:23], -1
                                        ; implicit-def: $sgpr18_sgpr19
	s_branch .LBB146_30
.LBB146_253:
	s_mov_b64 s[24:25], -1
                                        ; implicit-def: $sgpr20_sgpr21
	s_branch .LBB146_43
.LBB146_254:
	s_mov_b64 s[26:27], -1
                                        ; implicit-def: $sgpr22_sgpr23
	s_branch .LBB146_56
.LBB146_255:
	s_mov_b64 s[28:29], -1
                                        ; implicit-def: $sgpr24_sgpr25
	s_branch .LBB146_69
.LBB146_256:
	s_mov_b64 s[30:31], -1
                                        ; implicit-def: $sgpr26_sgpr27
	s_branch .LBB146_82
.LBB146_257:
	s_mov_b64 s[34:35], -1
                                        ; implicit-def: $sgpr28_sgpr29
	s_branch .LBB146_95
.LBB146_258:
	s_mov_b64 s[36:37], -1
                                        ; implicit-def: $sgpr30_sgpr31
	s_branch .LBB146_108
.LBB146_259:
	s_mov_b64 s[38:39], -1
                                        ; implicit-def: $sgpr34_sgpr35
	s_branch .LBB146_121
.LBB146_260:
	s_mov_b64 s[40:41], -1
                                        ; implicit-def: $sgpr36_sgpr37
	s_branch .LBB146_134
.LBB146_261:
	s_mov_b64 s[42:43], -1
                                        ; implicit-def: $sgpr38_sgpr39
	s_branch .LBB146_147
.LBB146_262:
	s_mov_b64 s[44:45], -1
                                        ; implicit-def: $sgpr40_sgpr41
	s_branch .LBB146_160
.LBB146_263:
	s_mov_b64 s[46:47], -1
                                        ; implicit-def: $sgpr42_sgpr43
	s_branch .LBB146_173
.LBB146_264:
	s_mov_b64 s[48:49], -1
                                        ; implicit-def: $sgpr44_sgpr45
	s_branch .LBB146_186
.LBB146_265:
	s_mov_b64 s[50:51], -1
                                        ; implicit-def: $sgpr46_sgpr47
	s_branch .LBB146_199
.LBB146_266:
	s_mov_b64 s[50:51], 0
                                        ; implicit-def: $sgpr48_sgpr49
	s_cbranch_execnz .LBB146_269
	s_branch .LBB146_270
.LBB146_267:
	s_mov_b64 s[50:51], -1
                                        ; implicit-def: $sgpr48_sgpr49
.LBB146_268:
	s_branch .LBB146_270
.LBB146_269:
	s_and_b64 s[52:53], s[46:47], s[4:5]
	s_andn2_b64 s[48:49], s[48:49], exec
	s_and_b64 s[52:53], s[52:53], exec
	s_or_b64 s[48:49], s[48:49], s[52:53]
.LBB146_270:
	s_branch .LBB146_272
.LBB146_271:
	s_cmp_lg_u32 s9, 0
	s_mov_b64 s[14:15], -1
	s_cselect_b64 s[50:51], -1, 0
.LBB146_272:
	s_andn2_b64 vcc, exec, s[50:51]
	s_cbranch_vccz .LBB146_281
; %bb.273:
	s_andn2_b64 vcc, exec, s[14:15]
	s_cbranch_vccnz .LBB146_275
.LBB146_274:
	s_or_b64 s[14:15], s[46:47], s[4:5]
	s_andn2_b64 s[46:47], s[48:49], exec
	s_and_b64 s[14:15], s[14:15], exec
	s_or_b64 s[48:49], s[46:47], s[14:15]
.LBB146_275:
	v_cndmask_b32_e64 v2, 0, 1, s[48:49]
	v_mov_b32_e32 v4, 0
	v_and_b32_e32 v5, 0xffff, v2
	v_mov_b32_e32 v3, v4
	v_mov_b32_e32 v2, v4
.LBB146_276:
	s_or_b64 exec, exec, s[10:11]
	v_or_b32_e32 v6, 0x100, v0
	v_cmp_gt_i32_e32 vcc, s8, v6
	s_and_saveexec_b64 s[10:11], vcc
	s_cbranch_execz .LBB146_291
; %bb.277:
	s_cmp_lt_i32 s9, 1
	s_mov_b64 s[14:15], 0
	s_cbranch_scc1 .LBB146_282
; %bb.278:
	s_cmp_gt_i32 s9, 1
	s_cbranch_scc0 .LBB146_283
; %bb.279:
	s_cmp_eq_u32 s9, 2
	s_cbranch_scc0 .LBB146_535
; %bb.280:
	s_xor_b64 s[46:47], s[44:45], -1
	s_or_b64 s[46:47], s[6:7], s[46:47]
	s_mov_b64 s[48:49], 0
	s_branch .LBB146_285
.LBB146_281:
	s_xor_b64 s[14:15], s[46:47], -1
	s_and_b64 s[50:51], s[6:7], s[14:15]
	s_andn2_b64 s[48:49], s[48:49], exec
	s_and_b64 s[50:51], s[50:51], exec
	s_or_b64 s[48:49], s[48:49], s[50:51]
	s_cbranch_execz .LBB146_274
	s_branch .LBB146_275
.LBB146_282:
                                        ; implicit-def: $sgpr46_sgpr47
	s_mov_b64 s[48:49], 0
	s_cbranch_execnz .LBB146_286
	s_branch .LBB146_287
.LBB146_283:
	s_mov_b64 s[48:49], 0
                                        ; implicit-def: $sgpr46_sgpr47
	s_cbranch_execz .LBB146_285
; %bb.284:
	s_and_b64 s[50:51], s[44:45], s[4:5]
	s_andn2_b64 s[46:47], s[46:47], exec
	s_and_b64 s[50:51], s[50:51], exec
	s_or_b64 s[46:47], s[46:47], s[50:51]
.LBB146_285:
	s_branch .LBB146_287
.LBB146_286:
	s_cmp_lg_u32 s9, 0
	s_mov_b64 s[14:15], -1
	s_cselect_b64 s[48:49], -1, 0
.LBB146_287:
	s_andn2_b64 vcc, exec, s[48:49]
	s_cbranch_vccz .LBB146_296
; %bb.288:
	s_andn2_b64 vcc, exec, s[14:15]
	s_cbranch_vccnz .LBB146_290
.LBB146_289:
	s_or_b64 s[14:15], s[44:45], s[4:5]
	s_andn2_b64 s[44:45], s[46:47], exec
	s_and_b64 s[14:15], s[14:15], exec
	s_or_b64 s[46:47], s[44:45], s[14:15]
.LBB146_290:
	v_cndmask_b32_e64 v7, 0, 1, s[46:47]
	v_lshlrev_b16_e32 v7, 8, v7
	v_or_b32_sdwa v7, v5, v7 dst_sel:DWORD dst_unused:UNUSED_PAD src0_sel:BYTE_0 src1_sel:DWORD
	v_and_b32_e32 v7, 0xffff, v7
	s_mov_b32 s14, 0xffff0000
	v_and_or_b32 v5, v5, s14, v7
.LBB146_291:
	s_or_b64 exec, exec, s[10:11]
	v_or_b32_e32 v7, 0x200, v0
	v_cmp_gt_i32_e32 vcc, s8, v7
	s_and_saveexec_b64 s[10:11], vcc
	s_cbranch_execz .LBB146_306
; %bb.292:
	s_cmp_lt_i32 s9, 1
	s_mov_b64 s[14:15], 0
	s_cbranch_scc1 .LBB146_297
; %bb.293:
	s_cmp_gt_i32 s9, 1
	s_cbranch_scc0 .LBB146_298
; %bb.294:
	s_cmp_eq_u32 s9, 2
	s_cbranch_scc0 .LBB146_536
; %bb.295:
	s_xor_b64 s[44:45], s[42:43], -1
	s_or_b64 s[44:45], s[6:7], s[44:45]
	s_mov_b64 s[46:47], 0
	s_branch .LBB146_300
.LBB146_296:
	s_xor_b64 s[14:15], s[44:45], -1
	s_and_b64 s[48:49], s[6:7], s[14:15]
	s_andn2_b64 s[46:47], s[46:47], exec
	s_and_b64 s[48:49], s[48:49], exec
	s_or_b64 s[46:47], s[46:47], s[48:49]
	s_cbranch_execz .LBB146_289
	s_branch .LBB146_290
.LBB146_297:
                                        ; implicit-def: $sgpr44_sgpr45
	s_mov_b64 s[46:47], 0
	s_cbranch_execnz .LBB146_301
	s_branch .LBB146_302
.LBB146_298:
	s_mov_b64 s[46:47], 0
                                        ; implicit-def: $sgpr44_sgpr45
	s_cbranch_execz .LBB146_300
; %bb.299:
	s_and_b64 s[48:49], s[42:43], s[4:5]
	s_andn2_b64 s[44:45], s[44:45], exec
	s_and_b64 s[48:49], s[48:49], exec
	s_or_b64 s[44:45], s[44:45], s[48:49]
.LBB146_300:
	s_branch .LBB146_302
.LBB146_301:
	s_cmp_lg_u32 s9, 0
	s_mov_b64 s[14:15], -1
	s_cselect_b64 s[46:47], -1, 0
.LBB146_302:
	s_andn2_b64 vcc, exec, s[46:47]
	s_cbranch_vccz .LBB146_311
; %bb.303:
	s_andn2_b64 vcc, exec, s[14:15]
	s_cbranch_vccnz .LBB146_305
.LBB146_304:
	s_or_b64 s[14:15], s[42:43], s[4:5]
	s_andn2_b64 s[42:43], s[44:45], exec
	s_and_b64 s[14:15], s[14:15], exec
	s_or_b64 s[44:45], s[42:43], s[14:15]
.LBB146_305:
	s_movk_i32 s14, 0xff00
	v_and_b32_sdwa v7, v5, s14 dst_sel:DWORD dst_unused:UNUSED_PAD src0_sel:WORD_1 src1_sel:DWORD
	v_cndmask_b32_e64 v8, 0, 1, s[44:45]
	v_or_b32_sdwa v7, v8, v7 dst_sel:WORD_1 dst_unused:UNUSED_PAD src0_sel:DWORD src1_sel:DWORD
	s_mov_b32 s14, 0xffff
	v_and_or_b32 v5, v5, s14, v7
.LBB146_306:
	s_or_b64 exec, exec, s[10:11]
	v_or_b32_e32 v7, 0x300, v0
	v_cmp_gt_i32_e32 vcc, s8, v7
	s_and_saveexec_b64 s[10:11], vcc
	s_cbranch_execz .LBB146_321
; %bb.307:
	s_cmp_lt_i32 s9, 1
	s_mov_b64 s[14:15], 0
	s_cbranch_scc1 .LBB146_312
; %bb.308:
	s_cmp_gt_i32 s9, 1
	s_cbranch_scc0 .LBB146_313
; %bb.309:
	s_cmp_eq_u32 s9, 2
	s_cbranch_scc0 .LBB146_537
; %bb.310:
	s_xor_b64 s[42:43], s[40:41], -1
	s_or_b64 s[42:43], s[6:7], s[42:43]
	s_mov_b64 s[44:45], 0
	s_branch .LBB146_315
.LBB146_311:
	s_xor_b64 s[14:15], s[42:43], -1
	s_and_b64 s[46:47], s[6:7], s[14:15]
	s_andn2_b64 s[44:45], s[44:45], exec
	s_and_b64 s[46:47], s[46:47], exec
	s_or_b64 s[44:45], s[44:45], s[46:47]
	s_cbranch_execz .LBB146_304
	s_branch .LBB146_305
.LBB146_312:
                                        ; implicit-def: $sgpr42_sgpr43
	s_mov_b64 s[44:45], 0
	s_cbranch_execnz .LBB146_316
	s_branch .LBB146_317
.LBB146_313:
	s_mov_b64 s[44:45], 0
                                        ; implicit-def: $sgpr42_sgpr43
	s_cbranch_execz .LBB146_315
; %bb.314:
	s_and_b64 s[46:47], s[40:41], s[4:5]
	s_andn2_b64 s[42:43], s[42:43], exec
	s_and_b64 s[46:47], s[46:47], exec
	s_or_b64 s[42:43], s[42:43], s[46:47]
.LBB146_315:
	s_branch .LBB146_317
.LBB146_316:
	s_cmp_lg_u32 s9, 0
	s_mov_b64 s[14:15], -1
	s_cselect_b64 s[44:45], -1, 0
.LBB146_317:
	s_andn2_b64 vcc, exec, s[44:45]
	s_cbranch_vccz .LBB146_326
; %bb.318:
	s_andn2_b64 vcc, exec, s[14:15]
	s_cbranch_vccnz .LBB146_320
.LBB146_319:
	s_or_b64 s[14:15], s[40:41], s[4:5]
	s_andn2_b64 s[40:41], s[42:43], exec
	s_and_b64 s[14:15], s[14:15], exec
	s_or_b64 s[42:43], s[40:41], s[14:15]
.LBB146_320:
	s_movk_i32 s14, 0xff
	v_cndmask_b32_e64 v8, 0, 1, s[42:43]
	v_and_b32_sdwa v7, v5, s14 dst_sel:DWORD dst_unused:UNUSED_PAD src0_sel:WORD_1 src1_sel:DWORD
	v_lshlrev_b16_e32 v8, 8, v8
	v_or_b32_sdwa v7, v7, v8 dst_sel:WORD_1 dst_unused:UNUSED_PAD src0_sel:DWORD src1_sel:DWORD
	s_mov_b32 s14, 0xffff
	v_and_or_b32 v5, v5, s14, v7
.LBB146_321:
	s_or_b64 exec, exec, s[10:11]
	v_or_b32_e32 v7, 0x400, v0
	v_cmp_gt_i32_e32 vcc, s8, v7
	s_and_saveexec_b64 s[10:11], vcc
	s_cbranch_execz .LBB146_336
; %bb.322:
	s_cmp_lt_i32 s9, 1
	s_mov_b64 s[14:15], 0
	s_cbranch_scc1 .LBB146_327
; %bb.323:
	s_cmp_gt_i32 s9, 1
	s_cbranch_scc0 .LBB146_328
; %bb.324:
	s_cmp_eq_u32 s9, 2
	s_cbranch_scc0 .LBB146_538
; %bb.325:
	s_xor_b64 s[40:41], s[38:39], -1
	s_or_b64 s[40:41], s[6:7], s[40:41]
	s_mov_b64 s[42:43], 0
	s_branch .LBB146_330
.LBB146_326:
	s_xor_b64 s[14:15], s[40:41], -1
	s_and_b64 s[44:45], s[6:7], s[14:15]
	s_andn2_b64 s[42:43], s[42:43], exec
	s_and_b64 s[44:45], s[44:45], exec
	s_or_b64 s[42:43], s[42:43], s[44:45]
	s_cbranch_execz .LBB146_319
	s_branch .LBB146_320
.LBB146_327:
                                        ; implicit-def: $sgpr40_sgpr41
	s_mov_b64 s[42:43], 0
	s_cbranch_execnz .LBB146_331
	s_branch .LBB146_332
.LBB146_328:
	s_mov_b64 s[42:43], 0
                                        ; implicit-def: $sgpr40_sgpr41
	s_cbranch_execz .LBB146_330
; %bb.329:
	s_and_b64 s[44:45], s[38:39], s[4:5]
	s_andn2_b64 s[40:41], s[40:41], exec
	s_and_b64 s[44:45], s[44:45], exec
	s_or_b64 s[40:41], s[40:41], s[44:45]
.LBB146_330:
	s_branch .LBB146_332
.LBB146_331:
	s_cmp_lg_u32 s9, 0
	s_mov_b64 s[14:15], -1
	s_cselect_b64 s[42:43], -1, 0
.LBB146_332:
	s_andn2_b64 vcc, exec, s[42:43]
	s_cbranch_vccz .LBB146_341
; %bb.333:
	s_andn2_b64 vcc, exec, s[14:15]
	s_cbranch_vccnz .LBB146_335
.LBB146_334:
	s_or_b64 s[14:15], s[38:39], s[4:5]
	s_andn2_b64 s[38:39], s[40:41], exec
	s_and_b64 s[14:15], s[14:15], exec
	s_or_b64 s[40:41], s[38:39], s[14:15]
.LBB146_335:
	v_and_b32_e32 v7, 0xffffff00, v4
	v_cndmask_b32_e64 v8, 0, 1, s[40:41]
	v_or_b32_e32 v7, v8, v7
	v_and_b32_e32 v7, 0xffff, v7
	s_mov_b32 s14, 0xffff0000
	v_and_or_b32 v4, v4, s14, v7
.LBB146_336:
	s_or_b64 exec, exec, s[10:11]
	v_or_b32_e32 v7, 0x500, v0
	v_cmp_gt_i32_e32 vcc, s8, v7
	s_and_saveexec_b64 s[10:11], vcc
	s_cbranch_execz .LBB146_351
; %bb.337:
	s_cmp_lt_i32 s9, 1
	s_mov_b64 s[14:15], 0
	s_cbranch_scc1 .LBB146_342
; %bb.338:
	s_cmp_gt_i32 s9, 1
	s_cbranch_scc0 .LBB146_343
; %bb.339:
	s_cmp_eq_u32 s9, 2
	s_cbranch_scc0 .LBB146_539
; %bb.340:
	s_xor_b64 s[38:39], s[36:37], -1
	s_or_b64 s[38:39], s[6:7], s[38:39]
	s_mov_b64 s[40:41], 0
	s_branch .LBB146_345
.LBB146_341:
	s_xor_b64 s[14:15], s[38:39], -1
	s_and_b64 s[42:43], s[6:7], s[14:15]
	s_andn2_b64 s[40:41], s[40:41], exec
	s_and_b64 s[42:43], s[42:43], exec
	s_or_b64 s[40:41], s[40:41], s[42:43]
	s_cbranch_execz .LBB146_334
	s_branch .LBB146_335
.LBB146_342:
                                        ; implicit-def: $sgpr38_sgpr39
	s_mov_b64 s[40:41], 0
	s_cbranch_execnz .LBB146_346
	s_branch .LBB146_347
.LBB146_343:
	s_mov_b64 s[40:41], 0
                                        ; implicit-def: $sgpr38_sgpr39
	s_cbranch_execz .LBB146_345
; %bb.344:
	s_and_b64 s[42:43], s[36:37], s[4:5]
	s_andn2_b64 s[38:39], s[38:39], exec
	s_and_b64 s[42:43], s[42:43], exec
	s_or_b64 s[38:39], s[38:39], s[42:43]
.LBB146_345:
	s_branch .LBB146_347
.LBB146_346:
	s_cmp_lg_u32 s9, 0
	s_mov_b64 s[14:15], -1
	s_cselect_b64 s[40:41], -1, 0
.LBB146_347:
	s_andn2_b64 vcc, exec, s[40:41]
	s_cbranch_vccz .LBB146_356
; %bb.348:
	s_andn2_b64 vcc, exec, s[14:15]
	s_cbranch_vccnz .LBB146_350
.LBB146_349:
	s_or_b64 s[14:15], s[36:37], s[4:5]
	s_andn2_b64 s[36:37], s[38:39], exec
	s_and_b64 s[14:15], s[14:15], exec
	s_or_b64 s[38:39], s[36:37], s[14:15]
.LBB146_350:
	v_cndmask_b32_e64 v7, 0, 1, s[38:39]
	v_lshlrev_b16_e32 v7, 8, v7
	v_or_b32_sdwa v7, v4, v7 dst_sel:DWORD dst_unused:UNUSED_PAD src0_sel:BYTE_0 src1_sel:DWORD
	v_and_b32_e32 v7, 0xffff, v7
	s_mov_b32 s14, 0xffff0000
	v_and_or_b32 v4, v4, s14, v7
.LBB146_351:
	s_or_b64 exec, exec, s[10:11]
	v_or_b32_e32 v7, 0x600, v0
	v_cmp_gt_i32_e32 vcc, s8, v7
	s_and_saveexec_b64 s[10:11], vcc
	s_cbranch_execz .LBB146_366
; %bb.352:
	s_cmp_lt_i32 s9, 1
	s_mov_b64 s[14:15], 0
	s_cbranch_scc1 .LBB146_357
; %bb.353:
	s_cmp_gt_i32 s9, 1
	s_cbranch_scc0 .LBB146_358
; %bb.354:
	s_cmp_eq_u32 s9, 2
	s_cbranch_scc0 .LBB146_540
; %bb.355:
	s_xor_b64 s[36:37], s[34:35], -1
	s_or_b64 s[36:37], s[6:7], s[36:37]
	s_mov_b64 s[38:39], 0
	s_branch .LBB146_360
.LBB146_356:
	s_xor_b64 s[14:15], s[36:37], -1
	s_and_b64 s[40:41], s[6:7], s[14:15]
	s_andn2_b64 s[38:39], s[38:39], exec
	s_and_b64 s[40:41], s[40:41], exec
	s_or_b64 s[38:39], s[38:39], s[40:41]
	s_cbranch_execz .LBB146_349
	s_branch .LBB146_350
.LBB146_357:
                                        ; implicit-def: $sgpr36_sgpr37
	s_mov_b64 s[38:39], 0
	s_cbranch_execnz .LBB146_361
	s_branch .LBB146_362
.LBB146_358:
	s_mov_b64 s[38:39], 0
                                        ; implicit-def: $sgpr36_sgpr37
	s_cbranch_execz .LBB146_360
; %bb.359:
	s_and_b64 s[40:41], s[34:35], s[4:5]
	s_andn2_b64 s[36:37], s[36:37], exec
	s_and_b64 s[40:41], s[40:41], exec
	s_or_b64 s[36:37], s[36:37], s[40:41]
.LBB146_360:
	s_branch .LBB146_362
.LBB146_361:
	s_cmp_lg_u32 s9, 0
	s_mov_b64 s[14:15], -1
	s_cselect_b64 s[38:39], -1, 0
.LBB146_362:
	s_andn2_b64 vcc, exec, s[38:39]
	s_cbranch_vccz .LBB146_371
; %bb.363:
	s_andn2_b64 vcc, exec, s[14:15]
	s_cbranch_vccnz .LBB146_365
.LBB146_364:
	s_or_b64 s[14:15], s[34:35], s[4:5]
	s_andn2_b64 s[34:35], s[36:37], exec
	s_and_b64 s[14:15], s[14:15], exec
	s_or_b64 s[36:37], s[34:35], s[14:15]
.LBB146_365:
	s_movk_i32 s14, 0xff00
	v_and_b32_sdwa v7, v4, s14 dst_sel:DWORD dst_unused:UNUSED_PAD src0_sel:WORD_1 src1_sel:DWORD
	v_cndmask_b32_e64 v8, 0, 1, s[36:37]
	v_or_b32_sdwa v7, v8, v7 dst_sel:WORD_1 dst_unused:UNUSED_PAD src0_sel:DWORD src1_sel:DWORD
	s_mov_b32 s14, 0xffff
	v_and_or_b32 v4, v4, s14, v7
.LBB146_366:
	s_or_b64 exec, exec, s[10:11]
	v_or_b32_e32 v7, 0x700, v0
	v_cmp_gt_i32_e32 vcc, s8, v7
	s_and_saveexec_b64 s[10:11], vcc
	s_cbranch_execz .LBB146_381
; %bb.367:
	s_cmp_lt_i32 s9, 1
	s_mov_b64 s[14:15], 0
	s_cbranch_scc1 .LBB146_372
; %bb.368:
	s_cmp_gt_i32 s9, 1
	s_cbranch_scc0 .LBB146_373
; %bb.369:
	s_cmp_eq_u32 s9, 2
	s_cbranch_scc0 .LBB146_541
; %bb.370:
	s_xor_b64 s[34:35], s[30:31], -1
	s_or_b64 s[34:35], s[6:7], s[34:35]
	s_mov_b64 s[36:37], 0
	s_branch .LBB146_375
.LBB146_371:
	s_xor_b64 s[14:15], s[34:35], -1
	s_and_b64 s[38:39], s[6:7], s[14:15]
	s_andn2_b64 s[36:37], s[36:37], exec
	s_and_b64 s[38:39], s[38:39], exec
	s_or_b64 s[36:37], s[36:37], s[38:39]
	s_cbranch_execz .LBB146_364
	s_branch .LBB146_365
.LBB146_372:
                                        ; implicit-def: $sgpr34_sgpr35
	s_mov_b64 s[36:37], 0
	s_cbranch_execnz .LBB146_376
	s_branch .LBB146_377
.LBB146_373:
	s_mov_b64 s[36:37], 0
                                        ; implicit-def: $sgpr34_sgpr35
	s_cbranch_execz .LBB146_375
; %bb.374:
	s_and_b64 s[38:39], s[30:31], s[4:5]
	s_andn2_b64 s[34:35], s[34:35], exec
	s_and_b64 s[38:39], s[38:39], exec
	s_or_b64 s[34:35], s[34:35], s[38:39]
.LBB146_375:
	s_branch .LBB146_377
.LBB146_376:
	s_cmp_lg_u32 s9, 0
	s_mov_b64 s[14:15], -1
	s_cselect_b64 s[36:37], -1, 0
.LBB146_377:
	s_andn2_b64 vcc, exec, s[36:37]
	s_cbranch_vccz .LBB146_386
; %bb.378:
	s_andn2_b64 vcc, exec, s[14:15]
	s_cbranch_vccnz .LBB146_380
.LBB146_379:
	s_or_b64 s[14:15], s[30:31], s[4:5]
	s_andn2_b64 s[30:31], s[34:35], exec
	s_and_b64 s[14:15], s[14:15], exec
	s_or_b64 s[34:35], s[30:31], s[14:15]
.LBB146_380:
	s_movk_i32 s14, 0xff
	v_cndmask_b32_e64 v8, 0, 1, s[34:35]
	v_and_b32_sdwa v7, v4, s14 dst_sel:DWORD dst_unused:UNUSED_PAD src0_sel:WORD_1 src1_sel:DWORD
	v_lshlrev_b16_e32 v8, 8, v8
	v_or_b32_sdwa v7, v7, v8 dst_sel:WORD_1 dst_unused:UNUSED_PAD src0_sel:DWORD src1_sel:DWORD
	s_mov_b32 s14, 0xffff
	v_and_or_b32 v4, v4, s14, v7
.LBB146_381:
	s_or_b64 exec, exec, s[10:11]
	v_or_b32_e32 v7, 0x800, v0
	v_cmp_gt_i32_e32 vcc, s8, v7
	s_and_saveexec_b64 s[10:11], vcc
	s_cbranch_execz .LBB146_396
; %bb.382:
	s_cmp_lt_i32 s9, 1
	s_mov_b64 s[14:15], 0
	s_cbranch_scc1 .LBB146_387
; %bb.383:
	s_cmp_gt_i32 s9, 1
	s_cbranch_scc0 .LBB146_388
; %bb.384:
	s_cmp_eq_u32 s9, 2
	s_cbranch_scc0 .LBB146_542
; %bb.385:
	s_xor_b64 s[30:31], s[28:29], -1
	s_or_b64 s[30:31], s[6:7], s[30:31]
	s_mov_b64 s[34:35], 0
	s_branch .LBB146_390
.LBB146_386:
	s_xor_b64 s[14:15], s[30:31], -1
	s_and_b64 s[36:37], s[6:7], s[14:15]
	s_andn2_b64 s[34:35], s[34:35], exec
	s_and_b64 s[36:37], s[36:37], exec
	s_or_b64 s[34:35], s[34:35], s[36:37]
	s_cbranch_execz .LBB146_379
	s_branch .LBB146_380
.LBB146_387:
                                        ; implicit-def: $sgpr30_sgpr31
	s_mov_b64 s[34:35], 0
	s_cbranch_execnz .LBB146_391
	s_branch .LBB146_392
.LBB146_388:
	s_mov_b64 s[34:35], 0
                                        ; implicit-def: $sgpr30_sgpr31
	s_cbranch_execz .LBB146_390
; %bb.389:
	s_and_b64 s[36:37], s[28:29], s[4:5]
	s_andn2_b64 s[30:31], s[30:31], exec
	s_and_b64 s[36:37], s[36:37], exec
	s_or_b64 s[30:31], s[30:31], s[36:37]
.LBB146_390:
	s_branch .LBB146_392
.LBB146_391:
	s_cmp_lg_u32 s9, 0
	s_mov_b64 s[14:15], -1
	s_cselect_b64 s[34:35], -1, 0
.LBB146_392:
	s_andn2_b64 vcc, exec, s[34:35]
	s_cbranch_vccz .LBB146_401
; %bb.393:
	s_andn2_b64 vcc, exec, s[14:15]
	s_cbranch_vccnz .LBB146_395
.LBB146_394:
	s_or_b64 s[14:15], s[28:29], s[4:5]
	s_andn2_b64 s[28:29], s[30:31], exec
	s_and_b64 s[14:15], s[14:15], exec
	s_or_b64 s[30:31], s[28:29], s[14:15]
.LBB146_395:
	v_and_b32_e32 v7, 0xffffff00, v3
	v_cndmask_b32_e64 v8, 0, 1, s[30:31]
	v_or_b32_e32 v7, v8, v7
	v_and_b32_e32 v7, 0xffff, v7
	s_mov_b32 s14, 0xffff0000
	v_and_or_b32 v3, v3, s14, v7
.LBB146_396:
	s_or_b64 exec, exec, s[10:11]
	v_or_b32_e32 v7, 0x900, v0
	v_cmp_gt_i32_e32 vcc, s8, v7
	s_and_saveexec_b64 s[10:11], vcc
	s_cbranch_execz .LBB146_411
; %bb.397:
	s_cmp_lt_i32 s9, 1
	s_mov_b64 s[14:15], 0
	s_cbranch_scc1 .LBB146_402
; %bb.398:
	s_cmp_gt_i32 s9, 1
	s_cbranch_scc0 .LBB146_403
; %bb.399:
	s_cmp_eq_u32 s9, 2
	s_cbranch_scc0 .LBB146_543
; %bb.400:
	s_xor_b64 s[28:29], s[26:27], -1
	s_or_b64 s[28:29], s[6:7], s[28:29]
	s_mov_b64 s[30:31], 0
	s_branch .LBB146_405
.LBB146_401:
	s_xor_b64 s[14:15], s[28:29], -1
	s_and_b64 s[34:35], s[6:7], s[14:15]
	s_andn2_b64 s[30:31], s[30:31], exec
	s_and_b64 s[34:35], s[34:35], exec
	s_or_b64 s[30:31], s[30:31], s[34:35]
	s_cbranch_execz .LBB146_394
	s_branch .LBB146_395
.LBB146_402:
                                        ; implicit-def: $sgpr28_sgpr29
	s_mov_b64 s[30:31], 0
	s_cbranch_execnz .LBB146_406
	s_branch .LBB146_407
.LBB146_403:
	s_mov_b64 s[30:31], 0
                                        ; implicit-def: $sgpr28_sgpr29
	s_cbranch_execz .LBB146_405
; %bb.404:
	s_and_b64 s[34:35], s[26:27], s[4:5]
	s_andn2_b64 s[28:29], s[28:29], exec
	s_and_b64 s[34:35], s[34:35], exec
	s_or_b64 s[28:29], s[28:29], s[34:35]
.LBB146_405:
	s_branch .LBB146_407
.LBB146_406:
	s_cmp_lg_u32 s9, 0
	s_mov_b64 s[14:15], -1
	s_cselect_b64 s[30:31], -1, 0
.LBB146_407:
	s_andn2_b64 vcc, exec, s[30:31]
	s_cbranch_vccz .LBB146_416
; %bb.408:
	s_andn2_b64 vcc, exec, s[14:15]
	s_cbranch_vccnz .LBB146_410
.LBB146_409:
	s_or_b64 s[14:15], s[26:27], s[4:5]
	s_andn2_b64 s[26:27], s[28:29], exec
	s_and_b64 s[14:15], s[14:15], exec
	s_or_b64 s[28:29], s[26:27], s[14:15]
.LBB146_410:
	v_cndmask_b32_e64 v7, 0, 1, s[28:29]
	v_lshlrev_b16_e32 v7, 8, v7
	v_or_b32_sdwa v7, v3, v7 dst_sel:DWORD dst_unused:UNUSED_PAD src0_sel:BYTE_0 src1_sel:DWORD
	v_and_b32_e32 v7, 0xffff, v7
	s_mov_b32 s14, 0xffff0000
	v_and_or_b32 v3, v3, s14, v7
.LBB146_411:
	s_or_b64 exec, exec, s[10:11]
	v_or_b32_e32 v7, 0xa00, v0
	v_cmp_gt_i32_e32 vcc, s8, v7
	s_and_saveexec_b64 s[10:11], vcc
	s_cbranch_execz .LBB146_426
; %bb.412:
	s_cmp_lt_i32 s9, 1
	s_mov_b64 s[14:15], 0
	s_cbranch_scc1 .LBB146_417
; %bb.413:
	s_cmp_gt_i32 s9, 1
	s_cbranch_scc0 .LBB146_418
; %bb.414:
	s_cmp_eq_u32 s9, 2
	s_cbranch_scc0 .LBB146_544
; %bb.415:
	s_xor_b64 s[26:27], s[24:25], -1
	s_or_b64 s[26:27], s[6:7], s[26:27]
	s_mov_b64 s[28:29], 0
	s_branch .LBB146_420
.LBB146_416:
	s_xor_b64 s[14:15], s[26:27], -1
	s_and_b64 s[30:31], s[6:7], s[14:15]
	s_andn2_b64 s[28:29], s[28:29], exec
	s_and_b64 s[30:31], s[30:31], exec
	s_or_b64 s[28:29], s[28:29], s[30:31]
	s_cbranch_execz .LBB146_409
	s_branch .LBB146_410
.LBB146_417:
                                        ; implicit-def: $sgpr26_sgpr27
	s_mov_b64 s[28:29], 0
	s_cbranch_execnz .LBB146_421
	s_branch .LBB146_422
.LBB146_418:
	s_mov_b64 s[28:29], 0
                                        ; implicit-def: $sgpr26_sgpr27
	s_cbranch_execz .LBB146_420
; %bb.419:
	s_and_b64 s[30:31], s[24:25], s[4:5]
	s_andn2_b64 s[26:27], s[26:27], exec
	s_and_b64 s[30:31], s[30:31], exec
	s_or_b64 s[26:27], s[26:27], s[30:31]
.LBB146_420:
	s_branch .LBB146_422
.LBB146_421:
	s_cmp_lg_u32 s9, 0
	s_mov_b64 s[14:15], -1
	s_cselect_b64 s[28:29], -1, 0
.LBB146_422:
	s_andn2_b64 vcc, exec, s[28:29]
	s_cbranch_vccz .LBB146_431
; %bb.423:
	s_andn2_b64 vcc, exec, s[14:15]
	s_cbranch_vccnz .LBB146_425
.LBB146_424:
	s_or_b64 s[14:15], s[24:25], s[4:5]
	s_andn2_b64 s[24:25], s[26:27], exec
	s_and_b64 s[14:15], s[14:15], exec
	s_or_b64 s[26:27], s[24:25], s[14:15]
.LBB146_425:
	s_movk_i32 s14, 0xff00
	v_and_b32_sdwa v7, v3, s14 dst_sel:DWORD dst_unused:UNUSED_PAD src0_sel:WORD_1 src1_sel:DWORD
	v_cndmask_b32_e64 v8, 0, 1, s[26:27]
	v_or_b32_sdwa v7, v8, v7 dst_sel:WORD_1 dst_unused:UNUSED_PAD src0_sel:DWORD src1_sel:DWORD
	s_mov_b32 s14, 0xffff
	v_and_or_b32 v3, v3, s14, v7
.LBB146_426:
	s_or_b64 exec, exec, s[10:11]
	v_or_b32_e32 v7, 0xb00, v0
	v_cmp_gt_i32_e32 vcc, s8, v7
	s_and_saveexec_b64 s[10:11], vcc
	s_cbranch_execz .LBB146_441
; %bb.427:
	s_cmp_lt_i32 s9, 1
	s_mov_b64 s[14:15], 0
	s_cbranch_scc1 .LBB146_432
; %bb.428:
	s_cmp_gt_i32 s9, 1
	s_cbranch_scc0 .LBB146_433
; %bb.429:
	s_cmp_eq_u32 s9, 2
	s_cbranch_scc0 .LBB146_545
; %bb.430:
	s_xor_b64 s[24:25], s[22:23], -1
	s_or_b64 s[24:25], s[6:7], s[24:25]
	s_mov_b64 s[26:27], 0
	s_branch .LBB146_435
.LBB146_431:
	s_xor_b64 s[14:15], s[24:25], -1
	s_and_b64 s[28:29], s[6:7], s[14:15]
	s_andn2_b64 s[26:27], s[26:27], exec
	s_and_b64 s[28:29], s[28:29], exec
	s_or_b64 s[26:27], s[26:27], s[28:29]
	s_cbranch_execz .LBB146_424
	s_branch .LBB146_425
.LBB146_432:
                                        ; implicit-def: $sgpr24_sgpr25
	s_mov_b64 s[26:27], 0
	s_cbranch_execnz .LBB146_436
	s_branch .LBB146_437
.LBB146_433:
	s_mov_b64 s[26:27], 0
                                        ; implicit-def: $sgpr24_sgpr25
	s_cbranch_execz .LBB146_435
; %bb.434:
	s_and_b64 s[28:29], s[22:23], s[4:5]
	s_andn2_b64 s[24:25], s[24:25], exec
	s_and_b64 s[28:29], s[28:29], exec
	s_or_b64 s[24:25], s[24:25], s[28:29]
.LBB146_435:
	s_branch .LBB146_437
.LBB146_436:
	s_cmp_lg_u32 s9, 0
	s_mov_b64 s[14:15], -1
	s_cselect_b64 s[26:27], -1, 0
.LBB146_437:
	s_andn2_b64 vcc, exec, s[26:27]
	s_cbranch_vccz .LBB146_446
; %bb.438:
	s_andn2_b64 vcc, exec, s[14:15]
	s_cbranch_vccnz .LBB146_440
.LBB146_439:
	s_or_b64 s[14:15], s[22:23], s[4:5]
	s_andn2_b64 s[22:23], s[24:25], exec
	s_and_b64 s[14:15], s[14:15], exec
	s_or_b64 s[24:25], s[22:23], s[14:15]
.LBB146_440:
	s_movk_i32 s14, 0xff
	v_cndmask_b32_e64 v8, 0, 1, s[24:25]
	v_and_b32_sdwa v7, v3, s14 dst_sel:DWORD dst_unused:UNUSED_PAD src0_sel:WORD_1 src1_sel:DWORD
	v_lshlrev_b16_e32 v8, 8, v8
	v_or_b32_sdwa v7, v7, v8 dst_sel:WORD_1 dst_unused:UNUSED_PAD src0_sel:DWORD src1_sel:DWORD
	s_mov_b32 s14, 0xffff
	v_and_or_b32 v3, v3, s14, v7
.LBB146_441:
	s_or_b64 exec, exec, s[10:11]
	v_or_b32_e32 v7, 0xc00, v0
	v_cmp_gt_i32_e32 vcc, s8, v7
	s_and_saveexec_b64 s[10:11], vcc
	s_cbranch_execz .LBB146_456
; %bb.442:
	s_cmp_lt_i32 s9, 1
	s_mov_b64 s[14:15], 0
	s_cbranch_scc1 .LBB146_447
; %bb.443:
	s_cmp_gt_i32 s9, 1
	s_cbranch_scc0 .LBB146_448
; %bb.444:
	s_cmp_eq_u32 s9, 2
	s_cbranch_scc0 .LBB146_546
; %bb.445:
	s_xor_b64 s[22:23], s[20:21], -1
	s_or_b64 s[22:23], s[6:7], s[22:23]
	s_mov_b64 s[24:25], 0
	s_branch .LBB146_450
.LBB146_446:
	s_xor_b64 s[14:15], s[22:23], -1
	s_and_b64 s[26:27], s[6:7], s[14:15]
	s_andn2_b64 s[24:25], s[24:25], exec
	s_and_b64 s[26:27], s[26:27], exec
	s_or_b64 s[24:25], s[24:25], s[26:27]
	s_cbranch_execz .LBB146_439
	s_branch .LBB146_440
.LBB146_447:
                                        ; implicit-def: $sgpr22_sgpr23
	s_mov_b64 s[24:25], 0
	s_cbranch_execnz .LBB146_451
	s_branch .LBB146_452
.LBB146_448:
	s_mov_b64 s[24:25], 0
                                        ; implicit-def: $sgpr22_sgpr23
	s_cbranch_execz .LBB146_450
; %bb.449:
	s_and_b64 s[26:27], s[20:21], s[4:5]
	s_andn2_b64 s[22:23], s[22:23], exec
	s_and_b64 s[26:27], s[26:27], exec
	s_or_b64 s[22:23], s[22:23], s[26:27]
.LBB146_450:
	s_branch .LBB146_452
.LBB146_451:
	s_cmp_lg_u32 s9, 0
	s_mov_b64 s[14:15], -1
	s_cselect_b64 s[24:25], -1, 0
.LBB146_452:
	s_andn2_b64 vcc, exec, s[24:25]
	s_cbranch_vccz .LBB146_461
; %bb.453:
	s_andn2_b64 vcc, exec, s[14:15]
	s_cbranch_vccnz .LBB146_455
.LBB146_454:
	s_or_b64 s[14:15], s[20:21], s[4:5]
	s_andn2_b64 s[20:21], s[22:23], exec
	s_and_b64 s[14:15], s[14:15], exec
	s_or_b64 s[22:23], s[20:21], s[14:15]
.LBB146_455:
	v_and_b32_e32 v7, 0xffffff00, v2
	v_cndmask_b32_e64 v8, 0, 1, s[22:23]
	v_or_b32_e32 v7, v8, v7
	v_and_b32_e32 v7, 0xffff, v7
	s_mov_b32 s14, 0xffff0000
	v_and_or_b32 v2, v2, s14, v7
.LBB146_456:
	s_or_b64 exec, exec, s[10:11]
	v_or_b32_e32 v7, 0xd00, v0
	v_cmp_gt_i32_e32 vcc, s8, v7
	s_and_saveexec_b64 s[10:11], vcc
	s_cbranch_execz .LBB146_471
; %bb.457:
	s_cmp_lt_i32 s9, 1
	s_mov_b64 s[14:15], 0
	s_cbranch_scc1 .LBB146_462
; %bb.458:
	s_cmp_gt_i32 s9, 1
	s_cbranch_scc0 .LBB146_463
; %bb.459:
	s_cmp_eq_u32 s9, 2
	s_cbranch_scc0 .LBB146_547
; %bb.460:
	s_xor_b64 s[20:21], s[18:19], -1
	s_or_b64 s[20:21], s[6:7], s[20:21]
	s_mov_b64 s[22:23], 0
	s_branch .LBB146_465
.LBB146_461:
	s_xor_b64 s[14:15], s[20:21], -1
	s_and_b64 s[24:25], s[6:7], s[14:15]
	s_andn2_b64 s[22:23], s[22:23], exec
	s_and_b64 s[24:25], s[24:25], exec
	s_or_b64 s[22:23], s[22:23], s[24:25]
	s_cbranch_execz .LBB146_454
	s_branch .LBB146_455
.LBB146_462:
                                        ; implicit-def: $sgpr20_sgpr21
	s_mov_b64 s[22:23], 0
	s_cbranch_execnz .LBB146_466
	s_branch .LBB146_467
.LBB146_463:
	s_mov_b64 s[22:23], 0
                                        ; implicit-def: $sgpr20_sgpr21
	s_cbranch_execz .LBB146_465
; %bb.464:
	s_and_b64 s[24:25], s[18:19], s[4:5]
	s_andn2_b64 s[20:21], s[20:21], exec
	s_and_b64 s[24:25], s[24:25], exec
	s_or_b64 s[20:21], s[20:21], s[24:25]
.LBB146_465:
	s_branch .LBB146_467
.LBB146_466:
	s_cmp_lg_u32 s9, 0
	s_mov_b64 s[14:15], -1
	s_cselect_b64 s[22:23], -1, 0
.LBB146_467:
	s_andn2_b64 vcc, exec, s[22:23]
	s_cbranch_vccz .LBB146_476
; %bb.468:
	s_andn2_b64 vcc, exec, s[14:15]
	s_cbranch_vccnz .LBB146_470
.LBB146_469:
	s_or_b64 s[14:15], s[18:19], s[4:5]
	s_andn2_b64 s[18:19], s[20:21], exec
	s_and_b64 s[14:15], s[14:15], exec
	s_or_b64 s[20:21], s[18:19], s[14:15]
.LBB146_470:
	v_cndmask_b32_e64 v7, 0, 1, s[20:21]
	v_lshlrev_b16_e32 v7, 8, v7
	v_or_b32_sdwa v7, v2, v7 dst_sel:DWORD dst_unused:UNUSED_PAD src0_sel:BYTE_0 src1_sel:DWORD
	v_and_b32_e32 v7, 0xffff, v7
	s_mov_b32 s14, 0xffff0000
	v_and_or_b32 v2, v2, s14, v7
.LBB146_471:
	s_or_b64 exec, exec, s[10:11]
	v_or_b32_e32 v7, 0xe00, v0
	v_cmp_gt_i32_e32 vcc, s8, v7
	s_and_saveexec_b64 s[10:11], vcc
	s_cbranch_execz .LBB146_486
; %bb.472:
	s_cmp_lt_i32 s9, 1
	s_mov_b64 s[14:15], 0
	s_cbranch_scc1 .LBB146_477
; %bb.473:
	s_cmp_gt_i32 s9, 1
	s_cbranch_scc0 .LBB146_478
; %bb.474:
	s_cmp_eq_u32 s9, 2
	s_cbranch_scc0 .LBB146_548
; %bb.475:
	s_xor_b64 s[18:19], s[16:17], -1
	s_or_b64 s[18:19], s[6:7], s[18:19]
	s_mov_b64 s[20:21], 0
	s_branch .LBB146_480
.LBB146_476:
	s_xor_b64 s[14:15], s[18:19], -1
	s_and_b64 s[22:23], s[6:7], s[14:15]
	s_andn2_b64 s[20:21], s[20:21], exec
	s_and_b64 s[22:23], s[22:23], exec
	s_or_b64 s[20:21], s[20:21], s[22:23]
	s_cbranch_execz .LBB146_469
	s_branch .LBB146_470
.LBB146_477:
                                        ; implicit-def: $sgpr18_sgpr19
	s_mov_b64 s[20:21], 0
	s_cbranch_execnz .LBB146_481
	s_branch .LBB146_482
.LBB146_478:
	s_mov_b64 s[20:21], 0
                                        ; implicit-def: $sgpr18_sgpr19
	s_cbranch_execz .LBB146_480
; %bb.479:
	s_and_b64 s[22:23], s[16:17], s[4:5]
	s_andn2_b64 s[18:19], s[18:19], exec
	s_and_b64 s[22:23], s[22:23], exec
	s_or_b64 s[18:19], s[18:19], s[22:23]
.LBB146_480:
	s_branch .LBB146_482
.LBB146_481:
	s_cmp_lg_u32 s9, 0
	s_mov_b64 s[14:15], -1
	s_cselect_b64 s[20:21], -1, 0
.LBB146_482:
	s_andn2_b64 vcc, exec, s[20:21]
	s_cbranch_vccz .LBB146_491
; %bb.483:
	s_andn2_b64 vcc, exec, s[14:15]
	s_cbranch_vccnz .LBB146_485
.LBB146_484:
	s_or_b64 s[14:15], s[16:17], s[4:5]
	s_andn2_b64 s[16:17], s[18:19], exec
	s_and_b64 s[14:15], s[14:15], exec
	s_or_b64 s[18:19], s[16:17], s[14:15]
.LBB146_485:
	s_movk_i32 s14, 0xff00
	v_and_b32_sdwa v7, v2, s14 dst_sel:DWORD dst_unused:UNUSED_PAD src0_sel:WORD_1 src1_sel:DWORD
	v_cndmask_b32_e64 v8, 0, 1, s[18:19]
	v_or_b32_sdwa v7, v8, v7 dst_sel:WORD_1 dst_unused:UNUSED_PAD src0_sel:DWORD src1_sel:DWORD
	s_mov_b32 s14, 0xffff
	v_and_or_b32 v2, v2, s14, v7
.LBB146_486:
	s_or_b64 exec, exec, s[10:11]
	v_or_b32_e32 v7, 0xf00, v0
	v_cmp_gt_i32_e32 vcc, s8, v7
	s_and_saveexec_b64 s[10:11], vcc
	s_cbranch_execz .LBB146_501
; %bb.487:
	s_cmp_lt_i32 s9, 1
	s_mov_b64 s[14:15], 0
	s_cbranch_scc1 .LBB146_492
; %bb.488:
	s_cmp_gt_i32 s9, 1
	s_cbranch_scc0 .LBB146_493
; %bb.489:
	s_cmp_eq_u32 s9, 2
	s_cbranch_scc0 .LBB146_549
; %bb.490:
	s_xor_b64 s[16:17], s[2:3], -1
	s_or_b64 s[16:17], s[6:7], s[16:17]
	s_mov_b64 s[18:19], 0
	s_branch .LBB146_495
.LBB146_491:
	s_xor_b64 s[14:15], s[16:17], -1
	s_and_b64 s[20:21], s[6:7], s[14:15]
	s_andn2_b64 s[18:19], s[18:19], exec
	s_and_b64 s[20:21], s[20:21], exec
	s_or_b64 s[18:19], s[18:19], s[20:21]
	s_cbranch_execz .LBB146_484
	s_branch .LBB146_485
.LBB146_492:
                                        ; implicit-def: $sgpr16_sgpr17
	s_mov_b64 s[18:19], 0
	s_cbranch_execnz .LBB146_496
	s_branch .LBB146_497
.LBB146_493:
	s_mov_b64 s[18:19], 0
                                        ; implicit-def: $sgpr16_sgpr17
	s_cbranch_execz .LBB146_495
; %bb.494:
	s_and_b64 s[20:21], s[2:3], s[4:5]
	s_andn2_b64 s[16:17], s[16:17], exec
	s_and_b64 s[20:21], s[20:21], exec
	s_or_b64 s[16:17], s[16:17], s[20:21]
.LBB146_495:
	s_branch .LBB146_497
.LBB146_496:
	s_cmp_lg_u32 s9, 0
	s_mov_b64 s[14:15], -1
	s_cselect_b64 s[18:19], -1, 0
.LBB146_497:
	s_andn2_b64 vcc, exec, s[18:19]
	s_cbranch_vccz .LBB146_534
; %bb.498:
	s_andn2_b64 vcc, exec, s[14:15]
	s_cbranch_vccnz .LBB146_500
.LBB146_499:
	s_or_b64 s[2:3], s[2:3], s[4:5]
	s_andn2_b64 s[4:5], s[16:17], exec
	s_and_b64 s[2:3], s[2:3], exec
	s_or_b64 s[16:17], s[4:5], s[2:3]
.LBB146_500:
	s_movk_i32 s2, 0xff
	v_cndmask_b32_e64 v8, 0, 1, s[16:17]
	v_and_b32_sdwa v7, v2, s2 dst_sel:DWORD dst_unused:UNUSED_PAD src0_sel:WORD_1 src1_sel:DWORD
	v_lshlrev_b16_e32 v8, 8, v8
	v_or_b32_sdwa v7, v7, v8 dst_sel:WORD_1 dst_unused:UNUSED_PAD src0_sel:DWORD src1_sel:DWORD
	s_mov_b32 s2, 0xffff
	v_and_or_b32 v2, v2, s2, v7
.LBB146_501:
	s_or_b64 exec, exec, s[10:11]
	s_and_saveexec_b64 s[2:3], s[0:1]
	s_xor_b64 s[0:1], exec, s[2:3]
	s_cbranch_execz .LBB146_503
; %bb.502:
	v_mov_b32_e32 v0, v6
	global_store_byte v1, v5, s[12:13]
.LBB146_503:
	s_or_b64 exec, exec, s[0:1]
	v_cmp_gt_i32_e32 vcc, s8, v0
	s_and_saveexec_b64 s[0:1], vcc
	s_cbranch_execnz .LBB146_520
; %bb.504:
	s_or_b64 exec, exec, s[0:1]
	v_cmp_gt_i32_e32 vcc, s8, v0
	s_and_saveexec_b64 s[0:1], vcc
	s_cbranch_execnz .LBB146_521
.LBB146_505:
	s_or_b64 exec, exec, s[0:1]
	v_cmp_gt_i32_e32 vcc, s8, v0
	s_and_saveexec_b64 s[0:1], vcc
	s_cbranch_execnz .LBB146_522
.LBB146_506:
	s_or_b64 exec, exec, s[0:1]
	v_cmp_gt_i32_e32 vcc, s8, v0
	s_and_saveexec_b64 s[0:1], vcc
	s_cbranch_execnz .LBB146_523
.LBB146_507:
	s_or_b64 exec, exec, s[0:1]
	v_cmp_gt_i32_e32 vcc, s8, v0
	s_and_saveexec_b64 s[0:1], vcc
	s_cbranch_execnz .LBB146_524
.LBB146_508:
	s_or_b64 exec, exec, s[0:1]
	v_cmp_gt_i32_e32 vcc, s8, v0
	s_and_saveexec_b64 s[0:1], vcc
	s_cbranch_execnz .LBB146_525
.LBB146_509:
	s_or_b64 exec, exec, s[0:1]
	v_cmp_gt_i32_e32 vcc, s8, v0
	s_and_saveexec_b64 s[0:1], vcc
	s_cbranch_execnz .LBB146_526
.LBB146_510:
	s_or_b64 exec, exec, s[0:1]
	v_cmp_gt_i32_e32 vcc, s8, v0
	s_and_saveexec_b64 s[0:1], vcc
	s_cbranch_execnz .LBB146_527
.LBB146_511:
	s_or_b64 exec, exec, s[0:1]
	v_cmp_gt_i32_e32 vcc, s8, v0
	s_and_saveexec_b64 s[0:1], vcc
	s_cbranch_execnz .LBB146_528
.LBB146_512:
	s_or_b64 exec, exec, s[0:1]
	v_cmp_gt_i32_e32 vcc, s8, v0
	s_and_saveexec_b64 s[0:1], vcc
	s_cbranch_execnz .LBB146_529
.LBB146_513:
	s_or_b64 exec, exec, s[0:1]
	v_cmp_gt_i32_e32 vcc, s8, v0
	s_and_saveexec_b64 s[0:1], vcc
	s_cbranch_execnz .LBB146_530
.LBB146_514:
	s_or_b64 exec, exec, s[0:1]
	v_cmp_gt_i32_e32 vcc, s8, v0
	s_and_saveexec_b64 s[0:1], vcc
	s_cbranch_execnz .LBB146_531
.LBB146_515:
	s_or_b64 exec, exec, s[0:1]
	v_cmp_gt_i32_e32 vcc, s8, v0
	s_and_saveexec_b64 s[0:1], vcc
	s_cbranch_execnz .LBB146_532
.LBB146_516:
	s_or_b64 exec, exec, s[0:1]
	v_cmp_gt_i32_e32 vcc, s8, v0
	s_and_saveexec_b64 s[0:1], vcc
	s_cbranch_execnz .LBB146_533
.LBB146_517:
	s_or_b64 exec, exec, s[0:1]
	v_cmp_gt_i32_e32 vcc, s8, v0
	s_and_saveexec_b64 s[0:1], vcc
	s_cbranch_execz .LBB146_519
.LBB146_518:
	v_lshrrev_b32_e32 v1, 24, v2
	v_add_u32_e32 v0, s33, v0
	global_store_byte v0, v1, s[12:13]
.LBB146_519:
	s_endpgm
.LBB146_520:
	v_lshrrev_b32_e32 v1, 8, v5
	v_add_u32_e32 v6, s33, v0
	v_add_u32_e32 v0, 0x100, v0
	global_store_byte v6, v1, s[12:13]
	s_or_b64 exec, exec, s[0:1]
	v_cmp_gt_i32_e32 vcc, s8, v0
	s_and_saveexec_b64 s[0:1], vcc
	s_cbranch_execz .LBB146_505
.LBB146_521:
	v_add_u32_e32 v1, s33, v0
	v_add_u32_e32 v0, 0x100, v0
	global_store_byte_d16_hi v1, v5, s[12:13]
	s_or_b64 exec, exec, s[0:1]
	v_cmp_gt_i32_e32 vcc, s8, v0
	s_and_saveexec_b64 s[0:1], vcc
	s_cbranch_execz .LBB146_506
.LBB146_522:
	v_lshrrev_b32_e32 v1, 24, v5
	v_add_u32_e32 v5, s33, v0
	v_add_u32_e32 v0, 0x100, v0
	global_store_byte v5, v1, s[12:13]
	s_or_b64 exec, exec, s[0:1]
	v_cmp_gt_i32_e32 vcc, s8, v0
	s_and_saveexec_b64 s[0:1], vcc
	s_cbranch_execz .LBB146_507
.LBB146_523:
	v_add_u32_e32 v1, s33, v0
	v_add_u32_e32 v0, 0x100, v0
	global_store_byte v1, v4, s[12:13]
	s_or_b64 exec, exec, s[0:1]
	v_cmp_gt_i32_e32 vcc, s8, v0
	s_and_saveexec_b64 s[0:1], vcc
	s_cbranch_execz .LBB146_508
.LBB146_524:
	v_lshrrev_b32_e32 v1, 8, v4
	v_add_u32_e32 v5, s33, v0
	v_add_u32_e32 v0, 0x100, v0
	global_store_byte v5, v1, s[12:13]
	s_or_b64 exec, exec, s[0:1]
	v_cmp_gt_i32_e32 vcc, s8, v0
	s_and_saveexec_b64 s[0:1], vcc
	s_cbranch_execz .LBB146_509
.LBB146_525:
	v_add_u32_e32 v1, s33, v0
	v_add_u32_e32 v0, 0x100, v0
	global_store_byte_d16_hi v1, v4, s[12:13]
	s_or_b64 exec, exec, s[0:1]
	v_cmp_gt_i32_e32 vcc, s8, v0
	s_and_saveexec_b64 s[0:1], vcc
	s_cbranch_execz .LBB146_510
.LBB146_526:
	v_lshrrev_b32_e32 v1, 24, v4
	v_add_u32_e32 v4, s33, v0
	v_add_u32_e32 v0, 0x100, v0
	global_store_byte v4, v1, s[12:13]
	s_or_b64 exec, exec, s[0:1]
	v_cmp_gt_i32_e32 vcc, s8, v0
	s_and_saveexec_b64 s[0:1], vcc
	s_cbranch_execz .LBB146_511
.LBB146_527:
	v_add_u32_e32 v1, s33, v0
	v_add_u32_e32 v0, 0x100, v0
	global_store_byte v1, v3, s[12:13]
	s_or_b64 exec, exec, s[0:1]
	v_cmp_gt_i32_e32 vcc, s8, v0
	s_and_saveexec_b64 s[0:1], vcc
	s_cbranch_execz .LBB146_512
.LBB146_528:
	v_lshrrev_b32_e32 v1, 8, v3
	v_add_u32_e32 v4, s33, v0
	v_add_u32_e32 v0, 0x100, v0
	global_store_byte v4, v1, s[12:13]
	s_or_b64 exec, exec, s[0:1]
	v_cmp_gt_i32_e32 vcc, s8, v0
	s_and_saveexec_b64 s[0:1], vcc
	s_cbranch_execz .LBB146_513
.LBB146_529:
	v_add_u32_e32 v1, s33, v0
	v_add_u32_e32 v0, 0x100, v0
	global_store_byte_d16_hi v1, v3, s[12:13]
	s_or_b64 exec, exec, s[0:1]
	v_cmp_gt_i32_e32 vcc, s8, v0
	s_and_saveexec_b64 s[0:1], vcc
	s_cbranch_execz .LBB146_514
.LBB146_530:
	v_lshrrev_b32_e32 v1, 24, v3
	v_add_u32_e32 v3, s33, v0
	v_add_u32_e32 v0, 0x100, v0
	global_store_byte v3, v1, s[12:13]
	s_or_b64 exec, exec, s[0:1]
	v_cmp_gt_i32_e32 vcc, s8, v0
	s_and_saveexec_b64 s[0:1], vcc
	s_cbranch_execz .LBB146_515
.LBB146_531:
	v_add_u32_e32 v1, s33, v0
	v_add_u32_e32 v0, 0x100, v0
	global_store_byte v1, v2, s[12:13]
	s_or_b64 exec, exec, s[0:1]
	v_cmp_gt_i32_e32 vcc, s8, v0
	s_and_saveexec_b64 s[0:1], vcc
	s_cbranch_execz .LBB146_516
.LBB146_532:
	v_lshrrev_b32_e32 v1, 8, v2
	v_add_u32_e32 v3, s33, v0
	v_add_u32_e32 v0, 0x100, v0
	global_store_byte v3, v1, s[12:13]
	s_or_b64 exec, exec, s[0:1]
	v_cmp_gt_i32_e32 vcc, s8, v0
	s_and_saveexec_b64 s[0:1], vcc
	s_cbranch_execz .LBB146_517
.LBB146_533:
	v_add_u32_e32 v1, s33, v0
	v_add_u32_e32 v0, 0x100, v0
	global_store_byte_d16_hi v1, v2, s[12:13]
	s_or_b64 exec, exec, s[0:1]
	v_cmp_gt_i32_e32 vcc, s8, v0
	s_and_saveexec_b64 s[0:1], vcc
	s_cbranch_execnz .LBB146_518
	s_branch .LBB146_519
.LBB146_534:
	s_xor_b64 s[14:15], s[2:3], -1
	s_and_b64 s[6:7], s[6:7], s[14:15]
	s_andn2_b64 s[16:17], s[16:17], exec
	s_and_b64 s[6:7], s[6:7], exec
	s_or_b64 s[16:17], s[16:17], s[6:7]
	s_cbranch_execz .LBB146_499
	s_branch .LBB146_500
.LBB146_535:
	s_mov_b64 s[48:49], -1
                                        ; implicit-def: $sgpr46_sgpr47
	s_branch .LBB146_285
.LBB146_536:
	s_mov_b64 s[46:47], -1
                                        ; implicit-def: $sgpr44_sgpr45
	s_branch .LBB146_300
.LBB146_537:
	s_mov_b64 s[44:45], -1
                                        ; implicit-def: $sgpr42_sgpr43
	s_branch .LBB146_315
.LBB146_538:
	s_mov_b64 s[42:43], -1
                                        ; implicit-def: $sgpr40_sgpr41
	s_branch .LBB146_330
.LBB146_539:
	s_mov_b64 s[40:41], -1
                                        ; implicit-def: $sgpr38_sgpr39
	s_branch .LBB146_345
.LBB146_540:
	s_mov_b64 s[38:39], -1
                                        ; implicit-def: $sgpr36_sgpr37
	s_branch .LBB146_360
.LBB146_541:
	s_mov_b64 s[36:37], -1
                                        ; implicit-def: $sgpr34_sgpr35
	s_branch .LBB146_375
.LBB146_542:
	s_mov_b64 s[34:35], -1
                                        ; implicit-def: $sgpr30_sgpr31
	s_branch .LBB146_390
.LBB146_543:
	s_mov_b64 s[30:31], -1
                                        ; implicit-def: $sgpr28_sgpr29
	s_branch .LBB146_405
.LBB146_544:
	s_mov_b64 s[28:29], -1
                                        ; implicit-def: $sgpr26_sgpr27
	s_branch .LBB146_420
.LBB146_545:
	s_mov_b64 s[26:27], -1
                                        ; implicit-def: $sgpr24_sgpr25
	s_branch .LBB146_435
.LBB146_546:
	s_mov_b64 s[24:25], -1
                                        ; implicit-def: $sgpr22_sgpr23
	s_branch .LBB146_450
.LBB146_547:
	s_mov_b64 s[22:23], -1
                                        ; implicit-def: $sgpr20_sgpr21
	s_branch .LBB146_465
.LBB146_548:
	s_mov_b64 s[20:21], -1
                                        ; implicit-def: $sgpr18_sgpr19
	s_branch .LBB146_480
.LBB146_549:
	s_mov_b64 s[18:19], -1
                                        ; implicit-def: $sgpr16_sgpr17
	s_branch .LBB146_495
	.section	.rodata,"a",@progbits
	.p2align	6, 0x0
	.amdhsa_kernel _ZN2at6native29vectorized_elementwise_kernelILi4EZNS0_21compare_scalar_kernelIbEEvRNS_18TensorIteratorBaseENS0_12_GLOBAL__N_16OpTypeET_EUlbE_St5arrayIPcLm2EEEEviT0_T1_
		.amdhsa_group_segment_fixed_size 0
		.amdhsa_private_segment_fixed_size 0
		.amdhsa_kernarg_size 32
		.amdhsa_user_sgpr_count 6
		.amdhsa_user_sgpr_private_segment_buffer 1
		.amdhsa_user_sgpr_dispatch_ptr 0
		.amdhsa_user_sgpr_queue_ptr 0
		.amdhsa_user_sgpr_kernarg_segment_ptr 1
		.amdhsa_user_sgpr_dispatch_id 0
		.amdhsa_user_sgpr_flat_scratch_init 0
		.amdhsa_user_sgpr_private_segment_size 0
		.amdhsa_uses_dynamic_stack 0
		.amdhsa_system_sgpr_private_segment_wavefront_offset 0
		.amdhsa_system_sgpr_workgroup_id_x 1
		.amdhsa_system_sgpr_workgroup_id_y 0
		.amdhsa_system_sgpr_workgroup_id_z 0
		.amdhsa_system_sgpr_workgroup_info 0
		.amdhsa_system_vgpr_workitem_id 0
		.amdhsa_next_free_vgpr 9
		.amdhsa_next_free_sgpr 54
		.amdhsa_reserve_vcc 1
		.amdhsa_reserve_flat_scratch 0
		.amdhsa_float_round_mode_32 0
		.amdhsa_float_round_mode_16_64 0
		.amdhsa_float_denorm_mode_32 3
		.amdhsa_float_denorm_mode_16_64 3
		.amdhsa_dx10_clamp 1
		.amdhsa_ieee_mode 1
		.amdhsa_fp16_overflow 0
		.amdhsa_exception_fp_ieee_invalid_op 0
		.amdhsa_exception_fp_denorm_src 0
		.amdhsa_exception_fp_ieee_div_zero 0
		.amdhsa_exception_fp_ieee_overflow 0
		.amdhsa_exception_fp_ieee_underflow 0
		.amdhsa_exception_fp_ieee_inexact 0
		.amdhsa_exception_int_div_zero 0
	.end_amdhsa_kernel
	.section	.text._ZN2at6native29vectorized_elementwise_kernelILi4EZNS0_21compare_scalar_kernelIbEEvRNS_18TensorIteratorBaseENS0_12_GLOBAL__N_16OpTypeET_EUlbE_St5arrayIPcLm2EEEEviT0_T1_,"axG",@progbits,_ZN2at6native29vectorized_elementwise_kernelILi4EZNS0_21compare_scalar_kernelIbEEvRNS_18TensorIteratorBaseENS0_12_GLOBAL__N_16OpTypeET_EUlbE_St5arrayIPcLm2EEEEviT0_T1_,comdat
.Lfunc_end146:
	.size	_ZN2at6native29vectorized_elementwise_kernelILi4EZNS0_21compare_scalar_kernelIbEEvRNS_18TensorIteratorBaseENS0_12_GLOBAL__N_16OpTypeET_EUlbE_St5arrayIPcLm2EEEEviT0_T1_, .Lfunc_end146-_ZN2at6native29vectorized_elementwise_kernelILi4EZNS0_21compare_scalar_kernelIbEEvRNS_18TensorIteratorBaseENS0_12_GLOBAL__N_16OpTypeET_EUlbE_St5arrayIPcLm2EEEEviT0_T1_
                                        ; -- End function
	.set _ZN2at6native29vectorized_elementwise_kernelILi4EZNS0_21compare_scalar_kernelIbEEvRNS_18TensorIteratorBaseENS0_12_GLOBAL__N_16OpTypeET_EUlbE_St5arrayIPcLm2EEEEviT0_T1_.num_vgpr, 9
	.set _ZN2at6native29vectorized_elementwise_kernelILi4EZNS0_21compare_scalar_kernelIbEEvRNS_18TensorIteratorBaseENS0_12_GLOBAL__N_16OpTypeET_EUlbE_St5arrayIPcLm2EEEEviT0_T1_.num_agpr, 0
	.set _ZN2at6native29vectorized_elementwise_kernelILi4EZNS0_21compare_scalar_kernelIbEEvRNS_18TensorIteratorBaseENS0_12_GLOBAL__N_16OpTypeET_EUlbE_St5arrayIPcLm2EEEEviT0_T1_.numbered_sgpr, 54
	.set _ZN2at6native29vectorized_elementwise_kernelILi4EZNS0_21compare_scalar_kernelIbEEvRNS_18TensorIteratorBaseENS0_12_GLOBAL__N_16OpTypeET_EUlbE_St5arrayIPcLm2EEEEviT0_T1_.num_named_barrier, 0
	.set _ZN2at6native29vectorized_elementwise_kernelILi4EZNS0_21compare_scalar_kernelIbEEvRNS_18TensorIteratorBaseENS0_12_GLOBAL__N_16OpTypeET_EUlbE_St5arrayIPcLm2EEEEviT0_T1_.private_seg_size, 0
	.set _ZN2at6native29vectorized_elementwise_kernelILi4EZNS0_21compare_scalar_kernelIbEEvRNS_18TensorIteratorBaseENS0_12_GLOBAL__N_16OpTypeET_EUlbE_St5arrayIPcLm2EEEEviT0_T1_.uses_vcc, 1
	.set _ZN2at6native29vectorized_elementwise_kernelILi4EZNS0_21compare_scalar_kernelIbEEvRNS_18TensorIteratorBaseENS0_12_GLOBAL__N_16OpTypeET_EUlbE_St5arrayIPcLm2EEEEviT0_T1_.uses_flat_scratch, 0
	.set _ZN2at6native29vectorized_elementwise_kernelILi4EZNS0_21compare_scalar_kernelIbEEvRNS_18TensorIteratorBaseENS0_12_GLOBAL__N_16OpTypeET_EUlbE_St5arrayIPcLm2EEEEviT0_T1_.has_dyn_sized_stack, 0
	.set _ZN2at6native29vectorized_elementwise_kernelILi4EZNS0_21compare_scalar_kernelIbEEvRNS_18TensorIteratorBaseENS0_12_GLOBAL__N_16OpTypeET_EUlbE_St5arrayIPcLm2EEEEviT0_T1_.has_recursion, 0
	.set _ZN2at6native29vectorized_elementwise_kernelILi4EZNS0_21compare_scalar_kernelIbEEvRNS_18TensorIteratorBaseENS0_12_GLOBAL__N_16OpTypeET_EUlbE_St5arrayIPcLm2EEEEviT0_T1_.has_indirect_call, 0
	.section	.AMDGPU.csdata,"",@progbits
; Kernel info:
; codeLenInByte = 8660
; TotalNumSgprs: 58
; NumVgprs: 9
; ScratchSize: 0
; MemoryBound: 0
; FloatMode: 240
; IeeeMode: 1
; LDSByteSize: 0 bytes/workgroup (compile time only)
; SGPRBlocks: 7
; VGPRBlocks: 2
; NumSGPRsForWavesPerEU: 58
; NumVGPRsForWavesPerEU: 9
; Occupancy: 10
; WaveLimiterHint : 1
; COMPUTE_PGM_RSRC2:SCRATCH_EN: 0
; COMPUTE_PGM_RSRC2:USER_SGPR: 6
; COMPUTE_PGM_RSRC2:TRAP_HANDLER: 0
; COMPUTE_PGM_RSRC2:TGID_X_EN: 1
; COMPUTE_PGM_RSRC2:TGID_Y_EN: 0
; COMPUTE_PGM_RSRC2:TGID_Z_EN: 0
; COMPUTE_PGM_RSRC2:TIDIG_COMP_CNT: 0
	.section	.text._ZN2at6native29vectorized_elementwise_kernelILi2EZNS0_21compare_scalar_kernelIbEEvRNS_18TensorIteratorBaseENS0_12_GLOBAL__N_16OpTypeET_EUlbE_St5arrayIPcLm2EEEEviT0_T1_,"axG",@progbits,_ZN2at6native29vectorized_elementwise_kernelILi2EZNS0_21compare_scalar_kernelIbEEvRNS_18TensorIteratorBaseENS0_12_GLOBAL__N_16OpTypeET_EUlbE_St5arrayIPcLm2EEEEviT0_T1_,comdat
	.globl	_ZN2at6native29vectorized_elementwise_kernelILi2EZNS0_21compare_scalar_kernelIbEEvRNS_18TensorIteratorBaseENS0_12_GLOBAL__N_16OpTypeET_EUlbE_St5arrayIPcLm2EEEEviT0_T1_ ; -- Begin function _ZN2at6native29vectorized_elementwise_kernelILi2EZNS0_21compare_scalar_kernelIbEEvRNS_18TensorIteratorBaseENS0_12_GLOBAL__N_16OpTypeET_EUlbE_St5arrayIPcLm2EEEEviT0_T1_
	.p2align	8
	.type	_ZN2at6native29vectorized_elementwise_kernelILi2EZNS0_21compare_scalar_kernelIbEEvRNS_18TensorIteratorBaseENS0_12_GLOBAL__N_16OpTypeET_EUlbE_St5arrayIPcLm2EEEEviT0_T1_,@function
_ZN2at6native29vectorized_elementwise_kernelILi2EZNS0_21compare_scalar_kernelIbEEvRNS_18TensorIteratorBaseENS0_12_GLOBAL__N_16OpTypeET_EUlbE_St5arrayIPcLm2EEEEviT0_T1_: ; @_ZN2at6native29vectorized_elementwise_kernelILi2EZNS0_21compare_scalar_kernelIbEEvRNS_18TensorIteratorBaseENS0_12_GLOBAL__N_16OpTypeET_EUlbE_St5arrayIPcLm2EEEEviT0_T1_
; %bb.0:
	s_load_dwordx8 s[8:15], s[4:5], 0x0
	s_lshl_b32 s33, s6, 12
	s_mov_b64 s[0:1], -1
	s_waitcnt lgkmcnt(0)
	s_sub_i32 s8, s8, s33
	s_cmpk_gt_i32 s8, 0xfff
	s_cbranch_scc0 .LBB147_205
; %bb.1:
	s_ashr_i32 s11, s33, 31
	s_add_u32 s0, s14, s33
	s_addc_u32 s1, s15, s11
	v_lshlrev_b32_e32 v1, 1, v0
	global_load_ushort v9, v1, s[0:1]
	global_load_ushort v8, v1, s[0:1] offset:512
	global_load_ushort v7, v1, s[0:1] offset:1024
	;; [unrolled: 1-line block ×7, first 2 shown]
	s_bitcmp1_b32 s10, 0
	s_cselect_b64 s[6:7], -1, 0
	v_mov_b32_e32 v10, 0
	s_xor_b64 s[2:3], s[6:7], -1
	s_mov_b64 s[20:21], -1
	s_mov_b64 s[16:17], 0
	s_cmp_lt_i32 s9, 1
	s_mov_b64 s[18:19], 0
                                        ; implicit-def: $sgpr4_sgpr5
	s_waitcnt vmcnt(7)
	v_cmp_ne_u16_sdwa s[0:1], v9, v10 src0_sel:BYTE_0 src1_sel:DWORD
	s_cbranch_scc0 .LBB147_10
; %bb.2:
	s_and_b64 vcc, exec, s[20:21]
	s_cbranch_vccnz .LBB147_250
.LBB147_3:
	s_andn2_b64 vcc, exec, s[18:19]
	s_cbranch_vccz .LBB147_251
.LBB147_4:
	s_andn2_b64 vcc, exec, s[16:17]
	s_cbranch_vccnz .LBB147_6
.LBB147_5:
	s_or_b64 s[0:1], s[0:1], s[2:3]
	s_andn2_b64 s[4:5], s[4:5], exec
	s_and_b64 s[0:1], s[0:1], exec
	s_or_b64 s[4:5], s[4:5], s[0:1]
.LBB147_6:
	s_movk_i32 s0, 0xff
	v_cmp_lt_u16_e64 s[0:1], s0, v9
	s_cmp_lt_i32 s9, 1
	s_mov_b64 s[18:19], 0
	s_cbranch_scc1 .LBB147_13
; %bb.7:
	s_cmp_gt_i32 s9, 1
	s_cbranch_scc0 .LBB147_14
; %bb.8:
	s_cmp_eq_u32 s9, 2
	s_cbranch_scc0 .LBB147_245
; %bb.9:
	s_xor_b64 s[16:17], s[0:1], -1
	s_or_b64 s[16:17], s[6:7], s[16:17]
	s_mov_b64 s[20:21], 0
	s_branch .LBB147_16
.LBB147_10:
	s_cmp_gt_i32 s9, 1
	s_cbranch_scc0 .LBB147_27
; %bb.11:
	s_cmp_eq_u32 s9, 2
	s_cbranch_scc0 .LBB147_246
; %bb.12:
	s_xor_b64 s[4:5], s[0:1], -1
	s_or_b64 s[4:5], s[6:7], s[4:5]
	s_branch .LBB147_247
.LBB147_13:
                                        ; implicit-def: $sgpr16_sgpr17
	s_mov_b64 s[20:21], 0
	s_cbranch_execnz .LBB147_17
	s_branch .LBB147_18
.LBB147_14:
	s_mov_b64 s[20:21], 0
                                        ; implicit-def: $sgpr16_sgpr17
	s_cbranch_execz .LBB147_16
; %bb.15:
	s_and_b64 s[22:23], s[0:1], s[2:3]
	s_andn2_b64 s[16:17], s[16:17], exec
	s_and_b64 s[22:23], s[22:23], exec
	s_or_b64 s[16:17], s[16:17], s[22:23]
.LBB147_16:
	s_branch .LBB147_18
.LBB147_17:
	s_cmp_lg_u32 s9, 0
	s_mov_b64 s[18:19], -1
	s_cselect_b64 s[20:21], -1, 0
.LBB147_18:
	s_andn2_b64 vcc, exec, s[20:21]
	s_cbranch_vccz .LBB147_25
; %bb.19:
	s_andn2_b64 vcc, exec, s[18:19]
	s_cbranch_vccnz .LBB147_21
.LBB147_20:
	s_or_b64 s[0:1], s[0:1], s[2:3]
	s_andn2_b64 s[16:17], s[16:17], exec
	s_and_b64 s[0:1], s[0:1], exec
	s_or_b64 s[16:17], s[16:17], s[0:1]
.LBB147_21:
	v_mov_b32_e32 v9, 0
	s_waitcnt vmcnt(6)
	v_cmp_ne_u16_sdwa s[0:1], v8, v9 src0_sel:BYTE_0 src1_sel:DWORD
	s_cmp_lt_i32 s9, 1
	s_mov_b64 s[20:21], 0
	s_cbranch_scc1 .LBB147_26
; %bb.22:
	s_cmp_gt_i32 s9, 1
	s_cbranch_scc0 .LBB147_28
; %bb.23:
	s_cmp_eq_u32 s9, 2
	s_cbranch_scc0 .LBB147_252
; %bb.24:
	s_xor_b64 s[18:19], s[0:1], -1
	s_or_b64 s[18:19], s[6:7], s[18:19]
	s_mov_b64 s[22:23], 0
	s_branch .LBB147_30
.LBB147_25:
	s_xor_b64 s[18:19], s[0:1], -1
	s_and_b64 s[20:21], s[6:7], s[18:19]
	s_andn2_b64 s[16:17], s[16:17], exec
	s_and_b64 s[20:21], s[20:21], exec
	s_or_b64 s[16:17], s[16:17], s[20:21]
	s_cbranch_execz .LBB147_20
	s_branch .LBB147_21
.LBB147_26:
                                        ; implicit-def: $sgpr18_sgpr19
	s_mov_b64 s[22:23], 0
	s_cbranch_execnz .LBB147_31
	s_branch .LBB147_32
.LBB147_27:
                                        ; implicit-def: $sgpr4_sgpr5
	s_and_b64 vcc, exec, s[20:21]
	s_cbranch_vccnz .LBB147_248
	s_branch .LBB147_249
.LBB147_28:
	s_mov_b64 s[22:23], 0
                                        ; implicit-def: $sgpr18_sgpr19
	s_cbranch_execz .LBB147_30
; %bb.29:
	s_and_b64 s[24:25], s[0:1], s[2:3]
	s_andn2_b64 s[18:19], s[18:19], exec
	s_and_b64 s[24:25], s[24:25], exec
	s_or_b64 s[18:19], s[18:19], s[24:25]
.LBB147_30:
	s_branch .LBB147_32
.LBB147_31:
	s_cmp_lg_u32 s9, 0
	s_mov_b64 s[20:21], -1
	s_cselect_b64 s[22:23], -1, 0
.LBB147_32:
	s_andn2_b64 vcc, exec, s[22:23]
	s_cbranch_vccz .LBB147_39
; %bb.33:
	s_andn2_b64 vcc, exec, s[20:21]
	s_cbranch_vccnz .LBB147_35
.LBB147_34:
	s_or_b64 s[0:1], s[0:1], s[2:3]
	s_andn2_b64 s[18:19], s[18:19], exec
	s_and_b64 s[0:1], s[0:1], exec
	s_or_b64 s[18:19], s[18:19], s[0:1]
.LBB147_35:
	s_movk_i32 s0, 0xff
	v_cmp_lt_u16_e64 s[0:1], s0, v8
	s_cmp_lt_i32 s9, 1
	s_mov_b64 s[22:23], 0
	s_cbranch_scc1 .LBB147_40
; %bb.36:
	s_cmp_gt_i32 s9, 1
	s_cbranch_scc0 .LBB147_41
; %bb.37:
	s_cmp_eq_u32 s9, 2
	s_cbranch_scc0 .LBB147_253
; %bb.38:
	s_xor_b64 s[20:21], s[0:1], -1
	s_or_b64 s[20:21], s[6:7], s[20:21]
	s_mov_b64 s[24:25], 0
	s_branch .LBB147_43
.LBB147_39:
	s_xor_b64 s[20:21], s[0:1], -1
	s_and_b64 s[22:23], s[6:7], s[20:21]
	s_andn2_b64 s[18:19], s[18:19], exec
	s_and_b64 s[22:23], s[22:23], exec
	s_or_b64 s[18:19], s[18:19], s[22:23]
	s_cbranch_execz .LBB147_34
	s_branch .LBB147_35
.LBB147_40:
                                        ; implicit-def: $sgpr20_sgpr21
	s_mov_b64 s[24:25], 0
	s_cbranch_execnz .LBB147_44
	s_branch .LBB147_45
.LBB147_41:
	s_mov_b64 s[24:25], 0
                                        ; implicit-def: $sgpr20_sgpr21
	s_cbranch_execz .LBB147_43
; %bb.42:
	s_and_b64 s[26:27], s[0:1], s[2:3]
	s_andn2_b64 s[20:21], s[20:21], exec
	s_and_b64 s[26:27], s[26:27], exec
	s_or_b64 s[20:21], s[20:21], s[26:27]
.LBB147_43:
	s_branch .LBB147_45
.LBB147_44:
	s_cmp_lg_u32 s9, 0
	s_mov_b64 s[22:23], -1
	s_cselect_b64 s[24:25], -1, 0
.LBB147_45:
	s_andn2_b64 vcc, exec, s[24:25]
	s_cbranch_vccz .LBB147_52
; %bb.46:
	s_andn2_b64 vcc, exec, s[22:23]
	s_cbranch_vccnz .LBB147_48
.LBB147_47:
	s_or_b64 s[0:1], s[0:1], s[2:3]
	s_andn2_b64 s[20:21], s[20:21], exec
	s_and_b64 s[0:1], s[0:1], exec
	s_or_b64 s[20:21], s[20:21], s[0:1]
.LBB147_48:
	v_mov_b32_e32 v8, 0
	s_waitcnt vmcnt(5)
	v_cmp_ne_u16_sdwa s[0:1], v7, v8 src0_sel:BYTE_0 src1_sel:DWORD
	s_cmp_lt_i32 s9, 1
	s_mov_b64 s[24:25], 0
	s_cbranch_scc1 .LBB147_53
; %bb.49:
	s_cmp_gt_i32 s9, 1
	s_cbranch_scc0 .LBB147_54
; %bb.50:
	s_cmp_eq_u32 s9, 2
	s_cbranch_scc0 .LBB147_254
; %bb.51:
	s_xor_b64 s[22:23], s[0:1], -1
	s_or_b64 s[22:23], s[6:7], s[22:23]
	s_mov_b64 s[26:27], 0
	s_branch .LBB147_56
.LBB147_52:
	s_xor_b64 s[22:23], s[0:1], -1
	s_and_b64 s[24:25], s[6:7], s[22:23]
	s_andn2_b64 s[20:21], s[20:21], exec
	s_and_b64 s[24:25], s[24:25], exec
	s_or_b64 s[20:21], s[20:21], s[24:25]
	s_cbranch_execz .LBB147_47
	s_branch .LBB147_48
.LBB147_53:
                                        ; implicit-def: $sgpr22_sgpr23
	s_mov_b64 s[26:27], 0
	s_cbranch_execnz .LBB147_57
	s_branch .LBB147_58
.LBB147_54:
	s_mov_b64 s[26:27], 0
                                        ; implicit-def: $sgpr22_sgpr23
	s_cbranch_execz .LBB147_56
; %bb.55:
	s_and_b64 s[28:29], s[0:1], s[2:3]
	s_andn2_b64 s[22:23], s[22:23], exec
	s_and_b64 s[28:29], s[28:29], exec
	s_or_b64 s[22:23], s[22:23], s[28:29]
.LBB147_56:
	s_branch .LBB147_58
.LBB147_57:
	s_cmp_lg_u32 s9, 0
	s_mov_b64 s[24:25], -1
	s_cselect_b64 s[26:27], -1, 0
.LBB147_58:
	s_andn2_b64 vcc, exec, s[26:27]
	s_cbranch_vccz .LBB147_65
; %bb.59:
	s_andn2_b64 vcc, exec, s[24:25]
	s_cbranch_vccnz .LBB147_61
.LBB147_60:
	s_or_b64 s[0:1], s[0:1], s[2:3]
	s_andn2_b64 s[22:23], s[22:23], exec
	s_and_b64 s[0:1], s[0:1], exec
	s_or_b64 s[22:23], s[22:23], s[0:1]
.LBB147_61:
	s_movk_i32 s0, 0xff
	v_cmp_lt_u16_e64 s[0:1], s0, v7
	s_cmp_lt_i32 s9, 1
	s_mov_b64 s[26:27], 0
	s_cbranch_scc1 .LBB147_66
; %bb.62:
	s_cmp_gt_i32 s9, 1
	s_cbranch_scc0 .LBB147_67
; %bb.63:
	s_cmp_eq_u32 s9, 2
	s_cbranch_scc0 .LBB147_255
; %bb.64:
	s_xor_b64 s[24:25], s[0:1], -1
	s_or_b64 s[24:25], s[6:7], s[24:25]
	s_mov_b64 s[28:29], 0
	s_branch .LBB147_69
.LBB147_65:
	s_xor_b64 s[24:25], s[0:1], -1
	s_and_b64 s[26:27], s[6:7], s[24:25]
	s_andn2_b64 s[22:23], s[22:23], exec
	s_and_b64 s[26:27], s[26:27], exec
	s_or_b64 s[22:23], s[22:23], s[26:27]
	s_cbranch_execz .LBB147_60
	s_branch .LBB147_61
.LBB147_66:
                                        ; implicit-def: $sgpr24_sgpr25
	s_mov_b64 s[28:29], 0
	s_cbranch_execnz .LBB147_70
	s_branch .LBB147_71
.LBB147_67:
	s_mov_b64 s[28:29], 0
                                        ; implicit-def: $sgpr24_sgpr25
	s_cbranch_execz .LBB147_69
; %bb.68:
	s_and_b64 s[30:31], s[0:1], s[2:3]
	s_andn2_b64 s[24:25], s[24:25], exec
	s_and_b64 s[30:31], s[30:31], exec
	s_or_b64 s[24:25], s[24:25], s[30:31]
.LBB147_69:
	s_branch .LBB147_71
.LBB147_70:
	s_cmp_lg_u32 s9, 0
	s_mov_b64 s[26:27], -1
	s_cselect_b64 s[28:29], -1, 0
.LBB147_71:
	s_andn2_b64 vcc, exec, s[28:29]
	s_cbranch_vccz .LBB147_78
; %bb.72:
	s_andn2_b64 vcc, exec, s[26:27]
	s_cbranch_vccnz .LBB147_74
.LBB147_73:
	s_or_b64 s[0:1], s[0:1], s[2:3]
	s_andn2_b64 s[24:25], s[24:25], exec
	s_and_b64 s[0:1], s[0:1], exec
	s_or_b64 s[24:25], s[24:25], s[0:1]
.LBB147_74:
	v_mov_b32_e32 v7, 0
	s_waitcnt vmcnt(4)
	v_cmp_ne_u16_sdwa s[0:1], v6, v7 src0_sel:BYTE_0 src1_sel:DWORD
	s_cmp_lt_i32 s9, 1
	s_mov_b64 s[28:29], 0
	s_cbranch_scc1 .LBB147_79
; %bb.75:
	s_cmp_gt_i32 s9, 1
	s_cbranch_scc0 .LBB147_80
; %bb.76:
	s_cmp_eq_u32 s9, 2
	s_cbranch_scc0 .LBB147_256
; %bb.77:
	s_xor_b64 s[26:27], s[0:1], -1
	s_or_b64 s[26:27], s[6:7], s[26:27]
	s_mov_b64 s[30:31], 0
	s_branch .LBB147_82
.LBB147_78:
	s_xor_b64 s[26:27], s[0:1], -1
	s_and_b64 s[28:29], s[6:7], s[26:27]
	s_andn2_b64 s[24:25], s[24:25], exec
	s_and_b64 s[28:29], s[28:29], exec
	s_or_b64 s[24:25], s[24:25], s[28:29]
	s_cbranch_execz .LBB147_73
	s_branch .LBB147_74
.LBB147_79:
                                        ; implicit-def: $sgpr26_sgpr27
	s_mov_b64 s[30:31], 0
	s_cbranch_execnz .LBB147_83
	s_branch .LBB147_84
.LBB147_80:
	s_mov_b64 s[30:31], 0
                                        ; implicit-def: $sgpr26_sgpr27
	s_cbranch_execz .LBB147_82
; %bb.81:
	s_and_b64 s[34:35], s[0:1], s[2:3]
	s_andn2_b64 s[26:27], s[26:27], exec
	s_and_b64 s[34:35], s[34:35], exec
	s_or_b64 s[26:27], s[26:27], s[34:35]
.LBB147_82:
	s_branch .LBB147_84
.LBB147_83:
	s_cmp_lg_u32 s9, 0
	s_mov_b64 s[28:29], -1
	s_cselect_b64 s[30:31], -1, 0
.LBB147_84:
	s_andn2_b64 vcc, exec, s[30:31]
	s_cbranch_vccz .LBB147_91
; %bb.85:
	s_andn2_b64 vcc, exec, s[28:29]
	s_cbranch_vccnz .LBB147_87
.LBB147_86:
	s_or_b64 s[0:1], s[0:1], s[2:3]
	s_andn2_b64 s[26:27], s[26:27], exec
	s_and_b64 s[0:1], s[0:1], exec
	s_or_b64 s[26:27], s[26:27], s[0:1]
.LBB147_87:
	s_movk_i32 s0, 0xff
	v_cmp_lt_u16_e64 s[0:1], s0, v6
	s_cmp_lt_i32 s9, 1
	s_mov_b64 s[30:31], 0
	s_cbranch_scc1 .LBB147_92
; %bb.88:
	s_cmp_gt_i32 s9, 1
	s_cbranch_scc0 .LBB147_93
; %bb.89:
	s_cmp_eq_u32 s9, 2
	s_cbranch_scc0 .LBB147_257
; %bb.90:
	s_xor_b64 s[28:29], s[0:1], -1
	s_or_b64 s[28:29], s[6:7], s[28:29]
	s_mov_b64 s[34:35], 0
	s_branch .LBB147_95
.LBB147_91:
	s_xor_b64 s[28:29], s[0:1], -1
	s_and_b64 s[30:31], s[6:7], s[28:29]
	s_andn2_b64 s[26:27], s[26:27], exec
	s_and_b64 s[30:31], s[30:31], exec
	s_or_b64 s[26:27], s[26:27], s[30:31]
	s_cbranch_execz .LBB147_86
	s_branch .LBB147_87
.LBB147_92:
                                        ; implicit-def: $sgpr28_sgpr29
	s_mov_b64 s[34:35], 0
	s_cbranch_execnz .LBB147_96
	s_branch .LBB147_97
.LBB147_93:
	s_mov_b64 s[34:35], 0
                                        ; implicit-def: $sgpr28_sgpr29
	s_cbranch_execz .LBB147_95
; %bb.94:
	s_and_b64 s[36:37], s[0:1], s[2:3]
	s_andn2_b64 s[28:29], s[28:29], exec
	s_and_b64 s[36:37], s[36:37], exec
	s_or_b64 s[28:29], s[28:29], s[36:37]
.LBB147_95:
	s_branch .LBB147_97
.LBB147_96:
	s_cmp_lg_u32 s9, 0
	s_mov_b64 s[30:31], -1
	s_cselect_b64 s[34:35], -1, 0
.LBB147_97:
	s_andn2_b64 vcc, exec, s[34:35]
	s_cbranch_vccz .LBB147_104
; %bb.98:
	s_andn2_b64 vcc, exec, s[30:31]
	s_cbranch_vccnz .LBB147_100
.LBB147_99:
	s_or_b64 s[0:1], s[0:1], s[2:3]
	s_andn2_b64 s[28:29], s[28:29], exec
	s_and_b64 s[0:1], s[0:1], exec
	s_or_b64 s[28:29], s[28:29], s[0:1]
.LBB147_100:
	v_mov_b32_e32 v6, 0
	s_waitcnt vmcnt(3)
	v_cmp_ne_u16_sdwa s[0:1], v5, v6 src0_sel:BYTE_0 src1_sel:DWORD
	s_cmp_lt_i32 s9, 1
	s_mov_b64 s[34:35], 0
	s_cbranch_scc1 .LBB147_105
; %bb.101:
	s_cmp_gt_i32 s9, 1
	s_cbranch_scc0 .LBB147_106
; %bb.102:
	s_cmp_eq_u32 s9, 2
	s_cbranch_scc0 .LBB147_258
; %bb.103:
	s_xor_b64 s[30:31], s[0:1], -1
	s_or_b64 s[30:31], s[6:7], s[30:31]
	s_mov_b64 s[36:37], 0
	s_branch .LBB147_108
.LBB147_104:
	s_xor_b64 s[30:31], s[0:1], -1
	s_and_b64 s[34:35], s[6:7], s[30:31]
	s_andn2_b64 s[28:29], s[28:29], exec
	s_and_b64 s[34:35], s[34:35], exec
	s_or_b64 s[28:29], s[28:29], s[34:35]
	s_cbranch_execz .LBB147_99
	s_branch .LBB147_100
.LBB147_105:
                                        ; implicit-def: $sgpr30_sgpr31
	s_mov_b64 s[36:37], 0
	s_cbranch_execnz .LBB147_109
	s_branch .LBB147_110
.LBB147_106:
	s_mov_b64 s[36:37], 0
                                        ; implicit-def: $sgpr30_sgpr31
	s_cbranch_execz .LBB147_108
; %bb.107:
	s_and_b64 s[38:39], s[0:1], s[2:3]
	s_andn2_b64 s[30:31], s[30:31], exec
	s_and_b64 s[38:39], s[38:39], exec
	s_or_b64 s[30:31], s[30:31], s[38:39]
.LBB147_108:
	s_branch .LBB147_110
.LBB147_109:
	s_cmp_lg_u32 s9, 0
	s_mov_b64 s[34:35], -1
	s_cselect_b64 s[36:37], -1, 0
.LBB147_110:
	s_andn2_b64 vcc, exec, s[36:37]
	s_cbranch_vccz .LBB147_117
; %bb.111:
	s_andn2_b64 vcc, exec, s[34:35]
	s_cbranch_vccnz .LBB147_113
.LBB147_112:
	s_or_b64 s[0:1], s[0:1], s[2:3]
	s_andn2_b64 s[30:31], s[30:31], exec
	s_and_b64 s[0:1], s[0:1], exec
	s_or_b64 s[30:31], s[30:31], s[0:1]
.LBB147_113:
	s_movk_i32 s0, 0xff
	v_cmp_lt_u16_e64 s[0:1], s0, v5
	s_cmp_lt_i32 s9, 1
	s_mov_b64 s[36:37], 0
	s_cbranch_scc1 .LBB147_118
; %bb.114:
	s_cmp_gt_i32 s9, 1
	s_cbranch_scc0 .LBB147_119
; %bb.115:
	s_cmp_eq_u32 s9, 2
	s_cbranch_scc0 .LBB147_259
; %bb.116:
	s_xor_b64 s[34:35], s[0:1], -1
	s_or_b64 s[34:35], s[6:7], s[34:35]
	s_mov_b64 s[38:39], 0
	s_branch .LBB147_121
.LBB147_117:
	s_xor_b64 s[34:35], s[0:1], -1
	s_and_b64 s[36:37], s[6:7], s[34:35]
	s_andn2_b64 s[30:31], s[30:31], exec
	s_and_b64 s[36:37], s[36:37], exec
	s_or_b64 s[30:31], s[30:31], s[36:37]
	s_cbranch_execz .LBB147_112
	s_branch .LBB147_113
.LBB147_118:
                                        ; implicit-def: $sgpr34_sgpr35
	s_mov_b64 s[38:39], 0
	s_cbranch_execnz .LBB147_122
	s_branch .LBB147_123
.LBB147_119:
	s_mov_b64 s[38:39], 0
                                        ; implicit-def: $sgpr34_sgpr35
	s_cbranch_execz .LBB147_121
; %bb.120:
	s_and_b64 s[40:41], s[0:1], s[2:3]
	s_andn2_b64 s[34:35], s[34:35], exec
	s_and_b64 s[40:41], s[40:41], exec
	s_or_b64 s[34:35], s[34:35], s[40:41]
.LBB147_121:
	s_branch .LBB147_123
.LBB147_122:
	s_cmp_lg_u32 s9, 0
	s_mov_b64 s[36:37], -1
	s_cselect_b64 s[38:39], -1, 0
.LBB147_123:
	s_andn2_b64 vcc, exec, s[38:39]
	s_cbranch_vccz .LBB147_130
; %bb.124:
	s_andn2_b64 vcc, exec, s[36:37]
	s_cbranch_vccnz .LBB147_126
.LBB147_125:
	s_or_b64 s[0:1], s[0:1], s[2:3]
	s_andn2_b64 s[34:35], s[34:35], exec
	s_and_b64 s[0:1], s[0:1], exec
	s_or_b64 s[34:35], s[34:35], s[0:1]
.LBB147_126:
	v_mov_b32_e32 v5, 0
	s_waitcnt vmcnt(2)
	v_cmp_ne_u16_sdwa s[0:1], v4, v5 src0_sel:BYTE_0 src1_sel:DWORD
	s_cmp_lt_i32 s9, 1
	s_mov_b64 s[38:39], 0
	s_cbranch_scc1 .LBB147_131
; %bb.127:
	s_cmp_gt_i32 s9, 1
	s_cbranch_scc0 .LBB147_132
; %bb.128:
	s_cmp_eq_u32 s9, 2
	s_cbranch_scc0 .LBB147_260
; %bb.129:
	s_xor_b64 s[36:37], s[0:1], -1
	s_or_b64 s[36:37], s[6:7], s[36:37]
	s_mov_b64 s[40:41], 0
	s_branch .LBB147_134
.LBB147_130:
	s_xor_b64 s[36:37], s[0:1], -1
	s_and_b64 s[38:39], s[6:7], s[36:37]
	s_andn2_b64 s[34:35], s[34:35], exec
	s_and_b64 s[38:39], s[38:39], exec
	s_or_b64 s[34:35], s[34:35], s[38:39]
	s_cbranch_execz .LBB147_125
	s_branch .LBB147_126
.LBB147_131:
                                        ; implicit-def: $sgpr36_sgpr37
	s_mov_b64 s[40:41], 0
	s_cbranch_execnz .LBB147_135
	s_branch .LBB147_136
.LBB147_132:
	s_mov_b64 s[40:41], 0
                                        ; implicit-def: $sgpr36_sgpr37
	s_cbranch_execz .LBB147_134
; %bb.133:
	s_and_b64 s[42:43], s[0:1], s[2:3]
	s_andn2_b64 s[36:37], s[36:37], exec
	s_and_b64 s[42:43], s[42:43], exec
	s_or_b64 s[36:37], s[36:37], s[42:43]
.LBB147_134:
	s_branch .LBB147_136
.LBB147_135:
	s_cmp_lg_u32 s9, 0
	s_mov_b64 s[38:39], -1
	s_cselect_b64 s[40:41], -1, 0
.LBB147_136:
	s_andn2_b64 vcc, exec, s[40:41]
	s_cbranch_vccz .LBB147_143
; %bb.137:
	s_andn2_b64 vcc, exec, s[38:39]
	s_cbranch_vccnz .LBB147_139
.LBB147_138:
	s_or_b64 s[0:1], s[0:1], s[2:3]
	s_andn2_b64 s[36:37], s[36:37], exec
	s_and_b64 s[0:1], s[0:1], exec
	s_or_b64 s[36:37], s[36:37], s[0:1]
.LBB147_139:
	s_movk_i32 s0, 0xff
	v_cmp_lt_u16_e64 s[0:1], s0, v4
	s_cmp_lt_i32 s9, 1
	s_mov_b64 s[40:41], 0
	s_cbranch_scc1 .LBB147_144
; %bb.140:
	s_cmp_gt_i32 s9, 1
	s_cbranch_scc0 .LBB147_145
; %bb.141:
	s_cmp_eq_u32 s9, 2
	s_cbranch_scc0 .LBB147_261
; %bb.142:
	s_xor_b64 s[38:39], s[0:1], -1
	s_or_b64 s[38:39], s[6:7], s[38:39]
	s_mov_b64 s[42:43], 0
	s_branch .LBB147_147
.LBB147_143:
	s_xor_b64 s[38:39], s[0:1], -1
	s_and_b64 s[40:41], s[6:7], s[38:39]
	s_andn2_b64 s[36:37], s[36:37], exec
	s_and_b64 s[40:41], s[40:41], exec
	s_or_b64 s[36:37], s[36:37], s[40:41]
	s_cbranch_execz .LBB147_138
	s_branch .LBB147_139
.LBB147_144:
                                        ; implicit-def: $sgpr38_sgpr39
	s_mov_b64 s[42:43], 0
	s_cbranch_execnz .LBB147_148
	s_branch .LBB147_149
.LBB147_145:
	s_mov_b64 s[42:43], 0
                                        ; implicit-def: $sgpr38_sgpr39
	s_cbranch_execz .LBB147_147
; %bb.146:
	s_and_b64 s[44:45], s[0:1], s[2:3]
	s_andn2_b64 s[38:39], s[38:39], exec
	s_and_b64 s[44:45], s[44:45], exec
	s_or_b64 s[38:39], s[38:39], s[44:45]
.LBB147_147:
	s_branch .LBB147_149
.LBB147_148:
	s_cmp_lg_u32 s9, 0
	s_mov_b64 s[40:41], -1
	s_cselect_b64 s[42:43], -1, 0
.LBB147_149:
	s_andn2_b64 vcc, exec, s[42:43]
	s_cbranch_vccz .LBB147_156
; %bb.150:
	s_andn2_b64 vcc, exec, s[40:41]
	s_cbranch_vccnz .LBB147_152
.LBB147_151:
	s_or_b64 s[0:1], s[0:1], s[2:3]
	s_andn2_b64 s[38:39], s[38:39], exec
	s_and_b64 s[0:1], s[0:1], exec
	s_or_b64 s[38:39], s[38:39], s[0:1]
.LBB147_152:
	v_mov_b32_e32 v4, 0
	s_waitcnt vmcnt(1)
	v_cmp_ne_u16_sdwa s[0:1], v3, v4 src0_sel:BYTE_0 src1_sel:DWORD
	s_cmp_lt_i32 s9, 1
	s_mov_b64 s[42:43], 0
	s_cbranch_scc1 .LBB147_157
; %bb.153:
	s_cmp_gt_i32 s9, 1
	s_cbranch_scc0 .LBB147_158
; %bb.154:
	s_cmp_eq_u32 s9, 2
	s_cbranch_scc0 .LBB147_262
; %bb.155:
	s_xor_b64 s[40:41], s[0:1], -1
	s_or_b64 s[40:41], s[6:7], s[40:41]
	s_mov_b64 s[44:45], 0
	s_branch .LBB147_160
.LBB147_156:
	s_xor_b64 s[40:41], s[0:1], -1
	s_and_b64 s[42:43], s[6:7], s[40:41]
	s_andn2_b64 s[38:39], s[38:39], exec
	s_and_b64 s[42:43], s[42:43], exec
	s_or_b64 s[38:39], s[38:39], s[42:43]
	s_cbranch_execz .LBB147_151
	s_branch .LBB147_152
.LBB147_157:
                                        ; implicit-def: $sgpr40_sgpr41
	s_mov_b64 s[44:45], 0
	s_cbranch_execnz .LBB147_161
	s_branch .LBB147_162
.LBB147_158:
	s_mov_b64 s[44:45], 0
                                        ; implicit-def: $sgpr40_sgpr41
	s_cbranch_execz .LBB147_160
; %bb.159:
	s_and_b64 s[46:47], s[0:1], s[2:3]
	s_andn2_b64 s[40:41], s[40:41], exec
	s_and_b64 s[46:47], s[46:47], exec
	s_or_b64 s[40:41], s[40:41], s[46:47]
.LBB147_160:
	s_branch .LBB147_162
.LBB147_161:
	s_cmp_lg_u32 s9, 0
	s_mov_b64 s[42:43], -1
	s_cselect_b64 s[44:45], -1, 0
.LBB147_162:
	s_andn2_b64 vcc, exec, s[44:45]
	s_cbranch_vccz .LBB147_169
; %bb.163:
	s_andn2_b64 vcc, exec, s[42:43]
	s_cbranch_vccnz .LBB147_165
.LBB147_164:
	s_or_b64 s[0:1], s[0:1], s[2:3]
	s_andn2_b64 s[40:41], s[40:41], exec
	s_and_b64 s[0:1], s[0:1], exec
	s_or_b64 s[40:41], s[40:41], s[0:1]
.LBB147_165:
	s_movk_i32 s0, 0xff
	v_cmp_lt_u16_e64 s[0:1], s0, v3
	s_cmp_lt_i32 s9, 1
	s_mov_b64 s[44:45], 0
	s_cbranch_scc1 .LBB147_170
; %bb.166:
	s_cmp_gt_i32 s9, 1
	s_cbranch_scc0 .LBB147_171
; %bb.167:
	s_cmp_eq_u32 s9, 2
	s_cbranch_scc0 .LBB147_263
; %bb.168:
	s_xor_b64 s[42:43], s[0:1], -1
	s_or_b64 s[42:43], s[6:7], s[42:43]
	s_mov_b64 s[46:47], 0
	s_branch .LBB147_173
.LBB147_169:
	s_xor_b64 s[42:43], s[0:1], -1
	s_and_b64 s[44:45], s[6:7], s[42:43]
	s_andn2_b64 s[40:41], s[40:41], exec
	s_and_b64 s[44:45], s[44:45], exec
	s_or_b64 s[40:41], s[40:41], s[44:45]
	s_cbranch_execz .LBB147_164
	s_branch .LBB147_165
.LBB147_170:
                                        ; implicit-def: $sgpr42_sgpr43
	s_mov_b64 s[46:47], 0
	s_cbranch_execnz .LBB147_174
	s_branch .LBB147_175
.LBB147_171:
	s_mov_b64 s[46:47], 0
                                        ; implicit-def: $sgpr42_sgpr43
	s_cbranch_execz .LBB147_173
; %bb.172:
	s_and_b64 s[48:49], s[0:1], s[2:3]
	s_andn2_b64 s[42:43], s[42:43], exec
	s_and_b64 s[48:49], s[48:49], exec
	s_or_b64 s[42:43], s[42:43], s[48:49]
.LBB147_173:
	s_branch .LBB147_175
.LBB147_174:
	s_cmp_lg_u32 s9, 0
	s_mov_b64 s[44:45], -1
	s_cselect_b64 s[46:47], -1, 0
.LBB147_175:
	s_andn2_b64 vcc, exec, s[46:47]
	s_cbranch_vccz .LBB147_182
; %bb.176:
	s_andn2_b64 vcc, exec, s[44:45]
	s_cbranch_vccnz .LBB147_178
.LBB147_177:
	s_or_b64 s[0:1], s[0:1], s[2:3]
	s_andn2_b64 s[42:43], s[42:43], exec
	s_and_b64 s[0:1], s[0:1], exec
	s_or_b64 s[42:43], s[42:43], s[0:1]
.LBB147_178:
	v_mov_b32_e32 v3, 0
	s_waitcnt vmcnt(0)
	v_cmp_ne_u16_sdwa s[0:1], v2, v3 src0_sel:BYTE_0 src1_sel:DWORD
	s_cmp_lt_i32 s9, 1
	s_mov_b64 s[46:47], 0
	s_cbranch_scc1 .LBB147_183
; %bb.179:
	s_cmp_gt_i32 s9, 1
	s_cbranch_scc0 .LBB147_184
; %bb.180:
	s_cmp_eq_u32 s9, 2
	s_cbranch_scc0 .LBB147_264
; %bb.181:
	s_xor_b64 s[44:45], s[0:1], -1
	s_or_b64 s[44:45], s[6:7], s[44:45]
	s_mov_b64 s[48:49], 0
	s_branch .LBB147_186
.LBB147_182:
	s_xor_b64 s[44:45], s[0:1], -1
	s_and_b64 s[46:47], s[6:7], s[44:45]
	s_andn2_b64 s[42:43], s[42:43], exec
	s_and_b64 s[46:47], s[46:47], exec
	s_or_b64 s[42:43], s[42:43], s[46:47]
	s_cbranch_execz .LBB147_177
	s_branch .LBB147_178
.LBB147_183:
                                        ; implicit-def: $sgpr44_sgpr45
	s_mov_b64 s[48:49], 0
	s_cbranch_execnz .LBB147_187
	s_branch .LBB147_188
.LBB147_184:
	s_mov_b64 s[48:49], 0
                                        ; implicit-def: $sgpr44_sgpr45
	s_cbranch_execz .LBB147_186
; %bb.185:
	s_and_b64 s[50:51], s[0:1], s[2:3]
	s_andn2_b64 s[44:45], s[44:45], exec
	s_and_b64 s[50:51], s[50:51], exec
	s_or_b64 s[44:45], s[44:45], s[50:51]
.LBB147_186:
	s_branch .LBB147_188
.LBB147_187:
	s_cmp_lg_u32 s9, 0
	s_mov_b64 s[46:47], -1
	s_cselect_b64 s[48:49], -1, 0
.LBB147_188:
	s_andn2_b64 vcc, exec, s[48:49]
	s_cbranch_vccz .LBB147_195
; %bb.189:
	s_andn2_b64 vcc, exec, s[46:47]
	s_cbranch_vccnz .LBB147_191
.LBB147_190:
	s_or_b64 s[0:1], s[0:1], s[2:3]
	s_andn2_b64 s[44:45], s[44:45], exec
	s_and_b64 s[0:1], s[0:1], exec
	s_or_b64 s[44:45], s[44:45], s[0:1]
.LBB147_191:
	s_movk_i32 s0, 0xff
	v_cmp_lt_u16_e64 s[0:1], s0, v2
	s_cmp_lt_i32 s9, 1
	s_mov_b64 s[48:49], 0
	s_cbranch_scc1 .LBB147_196
; %bb.192:
	s_cmp_gt_i32 s9, 1
	s_cbranch_scc0 .LBB147_197
; %bb.193:
	s_cmp_eq_u32 s9, 2
	s_cbranch_scc0 .LBB147_265
; %bb.194:
	s_xor_b64 s[46:47], s[0:1], -1
	s_or_b64 s[46:47], s[6:7], s[46:47]
	s_mov_b64 s[50:51], 0
	s_branch .LBB147_199
.LBB147_195:
	s_xor_b64 s[46:47], s[0:1], -1
	s_and_b64 s[48:49], s[6:7], s[46:47]
	s_andn2_b64 s[44:45], s[44:45], exec
	s_and_b64 s[48:49], s[48:49], exec
	s_or_b64 s[44:45], s[44:45], s[48:49]
	s_cbranch_execz .LBB147_190
	s_branch .LBB147_191
.LBB147_196:
                                        ; implicit-def: $sgpr46_sgpr47
	s_mov_b64 s[50:51], 0
	s_cbranch_execnz .LBB147_200
	s_branch .LBB147_201
.LBB147_197:
	s_mov_b64 s[50:51], 0
                                        ; implicit-def: $sgpr46_sgpr47
	s_cbranch_execz .LBB147_199
; %bb.198:
	s_and_b64 s[52:53], s[0:1], s[2:3]
	s_andn2_b64 s[46:47], s[46:47], exec
	s_and_b64 s[52:53], s[52:53], exec
	s_or_b64 s[46:47], s[46:47], s[52:53]
.LBB147_199:
	s_branch .LBB147_201
.LBB147_200:
	s_cmp_lg_u32 s9, 0
	s_mov_b64 s[48:49], -1
	s_cselect_b64 s[50:51], -1, 0
.LBB147_201:
	s_andn2_b64 vcc, exec, s[50:51]
	s_cbranch_vccz .LBB147_243
; %bb.202:
	s_andn2_b64 vcc, exec, s[48:49]
	s_cbranch_vccnz .LBB147_204
.LBB147_203:
	s_or_b64 s[0:1], s[0:1], s[2:3]
	s_andn2_b64 s[2:3], s[46:47], exec
	s_and_b64 s[0:1], s[0:1], exec
	s_or_b64 s[46:47], s[2:3], s[0:1]
.LBB147_204:
	v_cndmask_b32_e64 v2, 0, 1, s[20:21]
	v_lshlrev_b16_e32 v2, 8, v2
	v_cndmask_b32_e64 v3, 0, 1, s[18:19]
	v_or_b32_e32 v2, v3, v2
	v_cndmask_b32_e64 v3, 0, 1, s[16:17]
	v_lshlrev_b16_e32 v3, 8, v3
	v_cndmask_b32_e64 v4, 0, 1, s[4:5]
	v_or_b32_e32 v3, v4, v3
	;; [unrolled: 4-line block ×7, first 2 shown]
	v_cndmask_b32_e64 v9, 0, 1, s[42:43]
	s_add_u32 s0, s12, s33
	v_lshlrev_b16_e32 v9, 8, v9
	v_cndmask_b32_e64 v10, 0, 1, s[40:41]
	s_addc_u32 s1, s13, s11
	v_or_b32_e32 v9, v10, v9
	global_store_short v1, v3, s[0:1]
	global_store_short v1, v2, s[0:1] offset:512
	global_store_short v1, v5, s[0:1] offset:1024
	;; [unrolled: 1-line block ×7, first 2 shown]
	s_mov_b64 s[0:1], 0
.LBB147_205:
	s_and_b64 vcc, exec, s[0:1]
	s_cbranch_vccz .LBB147_519
; %bb.206:
	v_cmp_gt_i32_e64 s[0:1], s8, v0
	s_mov_b64 s[44:45], 0
	v_or_b32_e32 v1, s33, v0
	s_mov_b64 s[46:47], 0
	v_mov_b32_e32 v2, v0
	s_and_saveexec_b64 s[2:3], s[0:1]
	s_cbranch_execz .LBB147_208
; %bb.207:
	global_load_ubyte v3, v1, s[14:15]
	v_or_b32_e32 v2, 0x100, v0
	s_waitcnt vmcnt(0)
	v_cmp_ne_u16_e32 vcc, 0, v3
	s_and_b64 s[46:47], vcc, exec
.LBB147_208:
	s_or_b64 exec, exec, s[2:3]
	v_cmp_gt_i32_e32 vcc, s8, v2
	s_and_saveexec_b64 s[2:3], vcc
	s_cbranch_execz .LBB147_210
; %bb.209:
	v_add_u32_e32 v3, s33, v2
	global_load_ubyte v3, v3, s[14:15]
	v_add_u32_e32 v2, 0x100, v2
	s_waitcnt vmcnt(0)
	v_cmp_ne_u16_e32 vcc, 0, v3
	s_and_b64 s[44:45], vcc, exec
.LBB147_210:
	s_or_b64 exec, exec, s[2:3]
	v_cmp_gt_i32_e32 vcc, s8, v2
	s_mov_b64 s[40:41], 0
	s_mov_b64 s[42:43], 0
	s_and_saveexec_b64 s[2:3], vcc
	s_cbranch_execz .LBB147_212
; %bb.211:
	v_add_u32_e32 v3, s33, v2
	global_load_ubyte v3, v3, s[14:15]
	v_add_u32_e32 v2, 0x100, v2
	s_waitcnt vmcnt(0)
	v_cmp_ne_u16_e32 vcc, 0, v3
	s_and_b64 s[42:43], vcc, exec
.LBB147_212:
	s_or_b64 exec, exec, s[2:3]
	v_cmp_gt_i32_e32 vcc, s8, v2
	s_and_saveexec_b64 s[2:3], vcc
	s_cbranch_execz .LBB147_214
; %bb.213:
	v_add_u32_e32 v3, s33, v2
	global_load_ubyte v3, v3, s[14:15]
	v_add_u32_e32 v2, 0x100, v2
	s_waitcnt vmcnt(0)
	v_cmp_ne_u16_e32 vcc, 0, v3
	s_and_b64 s[40:41], vcc, exec
.LBB147_214:
	s_or_b64 exec, exec, s[2:3]
	v_cmp_gt_i32_e32 vcc, s8, v2
	s_mov_b64 s[36:37], 0
	s_mov_b64 s[38:39], 0
	s_and_saveexec_b64 s[2:3], vcc
	s_cbranch_execz .LBB147_216
; %bb.215:
	v_add_u32_e32 v3, s33, v2
	global_load_ubyte v3, v3, s[14:15]
	v_add_u32_e32 v2, 0x100, v2
	s_waitcnt vmcnt(0)
	v_cmp_ne_u16_e32 vcc, 0, v3
	s_and_b64 s[38:39], vcc, exec
.LBB147_216:
	;; [unrolled: 26-line block ×7, first 2 shown]
	s_or_b64 exec, exec, s[4:5]
	v_cmp_gt_i32_e32 vcc, s8, v2
	s_and_saveexec_b64 s[4:5], vcc
	s_cbranch_execz .LBB147_238
; %bb.237:
	v_add_u32_e32 v2, s33, v2
	global_load_ubyte v2, v2, s[14:15]
	s_waitcnt vmcnt(0)
	v_cmp_ne_u16_e32 vcc, 0, v2
	s_and_b64 s[2:3], vcc, exec
.LBB147_238:
	s_or_b64 exec, exec, s[4:5]
	s_bitcmp1_b32 s10, 0
	s_cselect_b64 s[6:7], -1, 0
	v_mov_b32_e32 v5, 0
	s_xor_b64 s[4:5], s[6:7], -1
	v_mov_b32_e32 v4, v5
	v_mov_b32_e32 v3, v5
	;; [unrolled: 1-line block ×3, first 2 shown]
	s_and_saveexec_b64 s[10:11], s[0:1]
	s_cbranch_execz .LBB147_276
; %bb.239:
	s_cmp_lt_i32 s9, 1
	s_mov_b64 s[14:15], 0
	s_cbranch_scc1 .LBB147_244
; %bb.240:
	s_cmp_gt_i32 s9, 1
	s_cbranch_scc0 .LBB147_266
; %bb.241:
	s_cmp_eq_u32 s9, 2
	s_cbranch_scc0 .LBB147_267
; %bb.242:
	s_xor_b64 s[48:49], s[46:47], -1
	s_or_b64 s[48:49], s[6:7], s[48:49]
	s_mov_b64 s[50:51], 0
	s_branch .LBB147_268
.LBB147_243:
	s_xor_b64 s[48:49], s[0:1], -1
	s_and_b64 s[6:7], s[6:7], s[48:49]
	s_andn2_b64 s[46:47], s[46:47], exec
	s_and_b64 s[6:7], s[6:7], exec
	s_or_b64 s[46:47], s[46:47], s[6:7]
	s_cbranch_execz .LBB147_203
	s_branch .LBB147_204
.LBB147_244:
                                        ; implicit-def: $sgpr48_sgpr49
	s_mov_b64 s[50:51], 0
	s_cbranch_execnz .LBB147_271
	s_branch .LBB147_272
.LBB147_245:
	s_mov_b64 s[20:21], -1
                                        ; implicit-def: $sgpr16_sgpr17
	s_branch .LBB147_16
.LBB147_246:
	s_mov_b64 s[18:19], -1
                                        ; implicit-def: $sgpr4_sgpr5
.LBB147_247:
	s_branch .LBB147_249
.LBB147_248:
	s_and_b64 s[20:21], s[0:1], s[2:3]
	s_andn2_b64 s[4:5], s[4:5], exec
	s_and_b64 s[20:21], s[20:21], exec
	s_or_b64 s[4:5], s[4:5], s[20:21]
.LBB147_249:
	s_branch .LBB147_3
.LBB147_250:
	s_cmp_lg_u32 s9, 0
	s_mov_b64 s[16:17], -1
	s_cselect_b64 s[18:19], -1, 0
	s_andn2_b64 vcc, exec, s[18:19]
	s_cbranch_vccnz .LBB147_4
.LBB147_251:
	s_xor_b64 s[16:17], s[0:1], -1
	s_and_b64 s[18:19], s[6:7], s[16:17]
	s_andn2_b64 s[4:5], s[4:5], exec
	s_and_b64 s[18:19], s[18:19], exec
	s_or_b64 s[4:5], s[4:5], s[18:19]
	s_cbranch_execz .LBB147_5
	s_branch .LBB147_6
.LBB147_252:
	s_mov_b64 s[22:23], -1
                                        ; implicit-def: $sgpr18_sgpr19
	s_branch .LBB147_30
.LBB147_253:
	s_mov_b64 s[24:25], -1
                                        ; implicit-def: $sgpr20_sgpr21
	s_branch .LBB147_43
.LBB147_254:
	s_mov_b64 s[26:27], -1
                                        ; implicit-def: $sgpr22_sgpr23
	s_branch .LBB147_56
.LBB147_255:
	s_mov_b64 s[28:29], -1
                                        ; implicit-def: $sgpr24_sgpr25
	s_branch .LBB147_69
.LBB147_256:
	s_mov_b64 s[30:31], -1
                                        ; implicit-def: $sgpr26_sgpr27
	s_branch .LBB147_82
.LBB147_257:
	s_mov_b64 s[34:35], -1
                                        ; implicit-def: $sgpr28_sgpr29
	s_branch .LBB147_95
.LBB147_258:
	s_mov_b64 s[36:37], -1
                                        ; implicit-def: $sgpr30_sgpr31
	s_branch .LBB147_108
.LBB147_259:
	s_mov_b64 s[38:39], -1
                                        ; implicit-def: $sgpr34_sgpr35
	s_branch .LBB147_121
.LBB147_260:
	s_mov_b64 s[40:41], -1
                                        ; implicit-def: $sgpr36_sgpr37
	s_branch .LBB147_134
.LBB147_261:
	s_mov_b64 s[42:43], -1
                                        ; implicit-def: $sgpr38_sgpr39
	s_branch .LBB147_147
.LBB147_262:
	s_mov_b64 s[44:45], -1
                                        ; implicit-def: $sgpr40_sgpr41
	s_branch .LBB147_160
.LBB147_263:
	s_mov_b64 s[46:47], -1
                                        ; implicit-def: $sgpr42_sgpr43
	s_branch .LBB147_173
.LBB147_264:
	s_mov_b64 s[48:49], -1
                                        ; implicit-def: $sgpr44_sgpr45
	s_branch .LBB147_186
.LBB147_265:
	s_mov_b64 s[50:51], -1
                                        ; implicit-def: $sgpr46_sgpr47
	s_branch .LBB147_199
.LBB147_266:
	s_mov_b64 s[50:51], 0
                                        ; implicit-def: $sgpr48_sgpr49
	s_cbranch_execnz .LBB147_269
	s_branch .LBB147_270
.LBB147_267:
	s_mov_b64 s[50:51], -1
                                        ; implicit-def: $sgpr48_sgpr49
.LBB147_268:
	s_branch .LBB147_270
.LBB147_269:
	s_and_b64 s[52:53], s[46:47], s[4:5]
	s_andn2_b64 s[48:49], s[48:49], exec
	s_and_b64 s[52:53], s[52:53], exec
	s_or_b64 s[48:49], s[48:49], s[52:53]
.LBB147_270:
	s_branch .LBB147_272
.LBB147_271:
	s_cmp_lg_u32 s9, 0
	s_mov_b64 s[14:15], -1
	s_cselect_b64 s[50:51], -1, 0
.LBB147_272:
	s_andn2_b64 vcc, exec, s[50:51]
	s_cbranch_vccz .LBB147_281
; %bb.273:
	s_andn2_b64 vcc, exec, s[14:15]
	s_cbranch_vccnz .LBB147_275
.LBB147_274:
	s_or_b64 s[14:15], s[46:47], s[4:5]
	s_andn2_b64 s[46:47], s[48:49], exec
	s_and_b64 s[14:15], s[14:15], exec
	s_or_b64 s[48:49], s[46:47], s[14:15]
.LBB147_275:
	v_cndmask_b32_e64 v2, 0, 1, s[48:49]
	v_mov_b32_e32 v4, 0
	v_and_b32_e32 v5, 0xffff, v2
	v_mov_b32_e32 v3, v4
	v_mov_b32_e32 v2, v4
.LBB147_276:
	s_or_b64 exec, exec, s[10:11]
	v_or_b32_e32 v6, 0x100, v0
	v_cmp_gt_i32_e32 vcc, s8, v6
	s_and_saveexec_b64 s[10:11], vcc
	s_cbranch_execz .LBB147_291
; %bb.277:
	s_cmp_lt_i32 s9, 1
	s_mov_b64 s[14:15], 0
	s_cbranch_scc1 .LBB147_282
; %bb.278:
	s_cmp_gt_i32 s9, 1
	s_cbranch_scc0 .LBB147_283
; %bb.279:
	s_cmp_eq_u32 s9, 2
	s_cbranch_scc0 .LBB147_535
; %bb.280:
	s_xor_b64 s[46:47], s[44:45], -1
	s_or_b64 s[46:47], s[6:7], s[46:47]
	s_mov_b64 s[48:49], 0
	s_branch .LBB147_285
.LBB147_281:
	s_xor_b64 s[14:15], s[46:47], -1
	s_and_b64 s[50:51], s[6:7], s[14:15]
	s_andn2_b64 s[48:49], s[48:49], exec
	s_and_b64 s[50:51], s[50:51], exec
	s_or_b64 s[48:49], s[48:49], s[50:51]
	s_cbranch_execz .LBB147_274
	s_branch .LBB147_275
.LBB147_282:
                                        ; implicit-def: $sgpr46_sgpr47
	s_mov_b64 s[48:49], 0
	s_cbranch_execnz .LBB147_286
	s_branch .LBB147_287
.LBB147_283:
	s_mov_b64 s[48:49], 0
                                        ; implicit-def: $sgpr46_sgpr47
	s_cbranch_execz .LBB147_285
; %bb.284:
	s_and_b64 s[50:51], s[44:45], s[4:5]
	s_andn2_b64 s[46:47], s[46:47], exec
	s_and_b64 s[50:51], s[50:51], exec
	s_or_b64 s[46:47], s[46:47], s[50:51]
.LBB147_285:
	s_branch .LBB147_287
.LBB147_286:
	s_cmp_lg_u32 s9, 0
	s_mov_b64 s[14:15], -1
	s_cselect_b64 s[48:49], -1, 0
.LBB147_287:
	s_andn2_b64 vcc, exec, s[48:49]
	s_cbranch_vccz .LBB147_296
; %bb.288:
	s_andn2_b64 vcc, exec, s[14:15]
	s_cbranch_vccnz .LBB147_290
.LBB147_289:
	s_or_b64 s[14:15], s[44:45], s[4:5]
	s_andn2_b64 s[44:45], s[46:47], exec
	s_and_b64 s[14:15], s[14:15], exec
	s_or_b64 s[46:47], s[44:45], s[14:15]
.LBB147_290:
	v_cndmask_b32_e64 v7, 0, 1, s[46:47]
	v_lshlrev_b16_e32 v7, 8, v7
	v_or_b32_sdwa v7, v5, v7 dst_sel:DWORD dst_unused:UNUSED_PAD src0_sel:BYTE_0 src1_sel:DWORD
	v_and_b32_e32 v7, 0xffff, v7
	s_mov_b32 s14, 0xffff0000
	v_and_or_b32 v5, v5, s14, v7
.LBB147_291:
	s_or_b64 exec, exec, s[10:11]
	v_or_b32_e32 v7, 0x200, v0
	v_cmp_gt_i32_e32 vcc, s8, v7
	s_and_saveexec_b64 s[10:11], vcc
	s_cbranch_execz .LBB147_306
; %bb.292:
	s_cmp_lt_i32 s9, 1
	s_mov_b64 s[14:15], 0
	s_cbranch_scc1 .LBB147_297
; %bb.293:
	s_cmp_gt_i32 s9, 1
	s_cbranch_scc0 .LBB147_298
; %bb.294:
	s_cmp_eq_u32 s9, 2
	s_cbranch_scc0 .LBB147_536
; %bb.295:
	s_xor_b64 s[44:45], s[42:43], -1
	s_or_b64 s[44:45], s[6:7], s[44:45]
	s_mov_b64 s[46:47], 0
	s_branch .LBB147_300
.LBB147_296:
	s_xor_b64 s[14:15], s[44:45], -1
	s_and_b64 s[48:49], s[6:7], s[14:15]
	s_andn2_b64 s[46:47], s[46:47], exec
	s_and_b64 s[48:49], s[48:49], exec
	s_or_b64 s[46:47], s[46:47], s[48:49]
	s_cbranch_execz .LBB147_289
	s_branch .LBB147_290
.LBB147_297:
                                        ; implicit-def: $sgpr44_sgpr45
	s_mov_b64 s[46:47], 0
	s_cbranch_execnz .LBB147_301
	s_branch .LBB147_302
.LBB147_298:
	s_mov_b64 s[46:47], 0
                                        ; implicit-def: $sgpr44_sgpr45
	s_cbranch_execz .LBB147_300
; %bb.299:
	s_and_b64 s[48:49], s[42:43], s[4:5]
	s_andn2_b64 s[44:45], s[44:45], exec
	s_and_b64 s[48:49], s[48:49], exec
	s_or_b64 s[44:45], s[44:45], s[48:49]
.LBB147_300:
	s_branch .LBB147_302
.LBB147_301:
	s_cmp_lg_u32 s9, 0
	s_mov_b64 s[14:15], -1
	s_cselect_b64 s[46:47], -1, 0
.LBB147_302:
	s_andn2_b64 vcc, exec, s[46:47]
	s_cbranch_vccz .LBB147_311
; %bb.303:
	s_andn2_b64 vcc, exec, s[14:15]
	s_cbranch_vccnz .LBB147_305
.LBB147_304:
	s_or_b64 s[14:15], s[42:43], s[4:5]
	s_andn2_b64 s[42:43], s[44:45], exec
	s_and_b64 s[14:15], s[14:15], exec
	s_or_b64 s[44:45], s[42:43], s[14:15]
.LBB147_305:
	s_movk_i32 s14, 0xff00
	v_and_b32_sdwa v7, v5, s14 dst_sel:DWORD dst_unused:UNUSED_PAD src0_sel:WORD_1 src1_sel:DWORD
	v_cndmask_b32_e64 v8, 0, 1, s[44:45]
	v_or_b32_sdwa v7, v8, v7 dst_sel:WORD_1 dst_unused:UNUSED_PAD src0_sel:DWORD src1_sel:DWORD
	s_mov_b32 s14, 0xffff
	v_and_or_b32 v5, v5, s14, v7
.LBB147_306:
	s_or_b64 exec, exec, s[10:11]
	v_or_b32_e32 v7, 0x300, v0
	v_cmp_gt_i32_e32 vcc, s8, v7
	s_and_saveexec_b64 s[10:11], vcc
	s_cbranch_execz .LBB147_321
; %bb.307:
	s_cmp_lt_i32 s9, 1
	s_mov_b64 s[14:15], 0
	s_cbranch_scc1 .LBB147_312
; %bb.308:
	s_cmp_gt_i32 s9, 1
	s_cbranch_scc0 .LBB147_313
; %bb.309:
	s_cmp_eq_u32 s9, 2
	s_cbranch_scc0 .LBB147_537
; %bb.310:
	s_xor_b64 s[42:43], s[40:41], -1
	s_or_b64 s[42:43], s[6:7], s[42:43]
	s_mov_b64 s[44:45], 0
	s_branch .LBB147_315
.LBB147_311:
	s_xor_b64 s[14:15], s[42:43], -1
	s_and_b64 s[46:47], s[6:7], s[14:15]
	s_andn2_b64 s[44:45], s[44:45], exec
	s_and_b64 s[46:47], s[46:47], exec
	s_or_b64 s[44:45], s[44:45], s[46:47]
	s_cbranch_execz .LBB147_304
	s_branch .LBB147_305
.LBB147_312:
                                        ; implicit-def: $sgpr42_sgpr43
	s_mov_b64 s[44:45], 0
	s_cbranch_execnz .LBB147_316
	s_branch .LBB147_317
.LBB147_313:
	s_mov_b64 s[44:45], 0
                                        ; implicit-def: $sgpr42_sgpr43
	s_cbranch_execz .LBB147_315
; %bb.314:
	s_and_b64 s[46:47], s[40:41], s[4:5]
	s_andn2_b64 s[42:43], s[42:43], exec
	s_and_b64 s[46:47], s[46:47], exec
	s_or_b64 s[42:43], s[42:43], s[46:47]
.LBB147_315:
	s_branch .LBB147_317
.LBB147_316:
	s_cmp_lg_u32 s9, 0
	s_mov_b64 s[14:15], -1
	s_cselect_b64 s[44:45], -1, 0
.LBB147_317:
	s_andn2_b64 vcc, exec, s[44:45]
	s_cbranch_vccz .LBB147_326
; %bb.318:
	s_andn2_b64 vcc, exec, s[14:15]
	s_cbranch_vccnz .LBB147_320
.LBB147_319:
	s_or_b64 s[14:15], s[40:41], s[4:5]
	s_andn2_b64 s[40:41], s[42:43], exec
	s_and_b64 s[14:15], s[14:15], exec
	s_or_b64 s[42:43], s[40:41], s[14:15]
.LBB147_320:
	s_movk_i32 s14, 0xff
	v_cndmask_b32_e64 v8, 0, 1, s[42:43]
	v_and_b32_sdwa v7, v5, s14 dst_sel:DWORD dst_unused:UNUSED_PAD src0_sel:WORD_1 src1_sel:DWORD
	v_lshlrev_b16_e32 v8, 8, v8
	v_or_b32_sdwa v7, v7, v8 dst_sel:WORD_1 dst_unused:UNUSED_PAD src0_sel:DWORD src1_sel:DWORD
	s_mov_b32 s14, 0xffff
	v_and_or_b32 v5, v5, s14, v7
.LBB147_321:
	s_or_b64 exec, exec, s[10:11]
	v_or_b32_e32 v7, 0x400, v0
	v_cmp_gt_i32_e32 vcc, s8, v7
	s_and_saveexec_b64 s[10:11], vcc
	s_cbranch_execz .LBB147_336
; %bb.322:
	s_cmp_lt_i32 s9, 1
	s_mov_b64 s[14:15], 0
	s_cbranch_scc1 .LBB147_327
; %bb.323:
	s_cmp_gt_i32 s9, 1
	s_cbranch_scc0 .LBB147_328
; %bb.324:
	s_cmp_eq_u32 s9, 2
	s_cbranch_scc0 .LBB147_538
; %bb.325:
	s_xor_b64 s[40:41], s[38:39], -1
	s_or_b64 s[40:41], s[6:7], s[40:41]
	s_mov_b64 s[42:43], 0
	s_branch .LBB147_330
.LBB147_326:
	s_xor_b64 s[14:15], s[40:41], -1
	s_and_b64 s[44:45], s[6:7], s[14:15]
	s_andn2_b64 s[42:43], s[42:43], exec
	s_and_b64 s[44:45], s[44:45], exec
	s_or_b64 s[42:43], s[42:43], s[44:45]
	s_cbranch_execz .LBB147_319
	s_branch .LBB147_320
.LBB147_327:
                                        ; implicit-def: $sgpr40_sgpr41
	s_mov_b64 s[42:43], 0
	s_cbranch_execnz .LBB147_331
	s_branch .LBB147_332
.LBB147_328:
	s_mov_b64 s[42:43], 0
                                        ; implicit-def: $sgpr40_sgpr41
	s_cbranch_execz .LBB147_330
; %bb.329:
	s_and_b64 s[44:45], s[38:39], s[4:5]
	s_andn2_b64 s[40:41], s[40:41], exec
	s_and_b64 s[44:45], s[44:45], exec
	s_or_b64 s[40:41], s[40:41], s[44:45]
.LBB147_330:
	s_branch .LBB147_332
.LBB147_331:
	s_cmp_lg_u32 s9, 0
	s_mov_b64 s[14:15], -1
	s_cselect_b64 s[42:43], -1, 0
.LBB147_332:
	s_andn2_b64 vcc, exec, s[42:43]
	s_cbranch_vccz .LBB147_341
; %bb.333:
	s_andn2_b64 vcc, exec, s[14:15]
	s_cbranch_vccnz .LBB147_335
.LBB147_334:
	s_or_b64 s[14:15], s[38:39], s[4:5]
	s_andn2_b64 s[38:39], s[40:41], exec
	s_and_b64 s[14:15], s[14:15], exec
	s_or_b64 s[40:41], s[38:39], s[14:15]
.LBB147_335:
	v_and_b32_e32 v7, 0xffffff00, v4
	v_cndmask_b32_e64 v8, 0, 1, s[40:41]
	v_or_b32_e32 v7, v8, v7
	v_and_b32_e32 v7, 0xffff, v7
	s_mov_b32 s14, 0xffff0000
	v_and_or_b32 v4, v4, s14, v7
.LBB147_336:
	s_or_b64 exec, exec, s[10:11]
	v_or_b32_e32 v7, 0x500, v0
	v_cmp_gt_i32_e32 vcc, s8, v7
	s_and_saveexec_b64 s[10:11], vcc
	s_cbranch_execz .LBB147_351
; %bb.337:
	s_cmp_lt_i32 s9, 1
	s_mov_b64 s[14:15], 0
	s_cbranch_scc1 .LBB147_342
; %bb.338:
	s_cmp_gt_i32 s9, 1
	s_cbranch_scc0 .LBB147_343
; %bb.339:
	s_cmp_eq_u32 s9, 2
	s_cbranch_scc0 .LBB147_539
; %bb.340:
	s_xor_b64 s[38:39], s[36:37], -1
	s_or_b64 s[38:39], s[6:7], s[38:39]
	s_mov_b64 s[40:41], 0
	s_branch .LBB147_345
.LBB147_341:
	s_xor_b64 s[14:15], s[38:39], -1
	s_and_b64 s[42:43], s[6:7], s[14:15]
	s_andn2_b64 s[40:41], s[40:41], exec
	s_and_b64 s[42:43], s[42:43], exec
	s_or_b64 s[40:41], s[40:41], s[42:43]
	s_cbranch_execz .LBB147_334
	s_branch .LBB147_335
.LBB147_342:
                                        ; implicit-def: $sgpr38_sgpr39
	s_mov_b64 s[40:41], 0
	s_cbranch_execnz .LBB147_346
	s_branch .LBB147_347
.LBB147_343:
	s_mov_b64 s[40:41], 0
                                        ; implicit-def: $sgpr38_sgpr39
	s_cbranch_execz .LBB147_345
; %bb.344:
	s_and_b64 s[42:43], s[36:37], s[4:5]
	s_andn2_b64 s[38:39], s[38:39], exec
	s_and_b64 s[42:43], s[42:43], exec
	s_or_b64 s[38:39], s[38:39], s[42:43]
.LBB147_345:
	s_branch .LBB147_347
.LBB147_346:
	s_cmp_lg_u32 s9, 0
	s_mov_b64 s[14:15], -1
	s_cselect_b64 s[40:41], -1, 0
.LBB147_347:
	s_andn2_b64 vcc, exec, s[40:41]
	s_cbranch_vccz .LBB147_356
; %bb.348:
	s_andn2_b64 vcc, exec, s[14:15]
	s_cbranch_vccnz .LBB147_350
.LBB147_349:
	s_or_b64 s[14:15], s[36:37], s[4:5]
	s_andn2_b64 s[36:37], s[38:39], exec
	s_and_b64 s[14:15], s[14:15], exec
	s_or_b64 s[38:39], s[36:37], s[14:15]
.LBB147_350:
	v_cndmask_b32_e64 v7, 0, 1, s[38:39]
	v_lshlrev_b16_e32 v7, 8, v7
	v_or_b32_sdwa v7, v4, v7 dst_sel:DWORD dst_unused:UNUSED_PAD src0_sel:BYTE_0 src1_sel:DWORD
	v_and_b32_e32 v7, 0xffff, v7
	s_mov_b32 s14, 0xffff0000
	v_and_or_b32 v4, v4, s14, v7
.LBB147_351:
	s_or_b64 exec, exec, s[10:11]
	v_or_b32_e32 v7, 0x600, v0
	v_cmp_gt_i32_e32 vcc, s8, v7
	s_and_saveexec_b64 s[10:11], vcc
	s_cbranch_execz .LBB147_366
; %bb.352:
	s_cmp_lt_i32 s9, 1
	s_mov_b64 s[14:15], 0
	s_cbranch_scc1 .LBB147_357
; %bb.353:
	s_cmp_gt_i32 s9, 1
	s_cbranch_scc0 .LBB147_358
; %bb.354:
	s_cmp_eq_u32 s9, 2
	s_cbranch_scc0 .LBB147_540
; %bb.355:
	s_xor_b64 s[36:37], s[34:35], -1
	s_or_b64 s[36:37], s[6:7], s[36:37]
	s_mov_b64 s[38:39], 0
	s_branch .LBB147_360
.LBB147_356:
	s_xor_b64 s[14:15], s[36:37], -1
	s_and_b64 s[40:41], s[6:7], s[14:15]
	s_andn2_b64 s[38:39], s[38:39], exec
	s_and_b64 s[40:41], s[40:41], exec
	s_or_b64 s[38:39], s[38:39], s[40:41]
	s_cbranch_execz .LBB147_349
	s_branch .LBB147_350
.LBB147_357:
                                        ; implicit-def: $sgpr36_sgpr37
	s_mov_b64 s[38:39], 0
	s_cbranch_execnz .LBB147_361
	s_branch .LBB147_362
.LBB147_358:
	s_mov_b64 s[38:39], 0
                                        ; implicit-def: $sgpr36_sgpr37
	s_cbranch_execz .LBB147_360
; %bb.359:
	s_and_b64 s[40:41], s[34:35], s[4:5]
	s_andn2_b64 s[36:37], s[36:37], exec
	s_and_b64 s[40:41], s[40:41], exec
	s_or_b64 s[36:37], s[36:37], s[40:41]
.LBB147_360:
	s_branch .LBB147_362
.LBB147_361:
	s_cmp_lg_u32 s9, 0
	s_mov_b64 s[14:15], -1
	s_cselect_b64 s[38:39], -1, 0
.LBB147_362:
	s_andn2_b64 vcc, exec, s[38:39]
	s_cbranch_vccz .LBB147_371
; %bb.363:
	s_andn2_b64 vcc, exec, s[14:15]
	s_cbranch_vccnz .LBB147_365
.LBB147_364:
	s_or_b64 s[14:15], s[34:35], s[4:5]
	s_andn2_b64 s[34:35], s[36:37], exec
	s_and_b64 s[14:15], s[14:15], exec
	s_or_b64 s[36:37], s[34:35], s[14:15]
.LBB147_365:
	s_movk_i32 s14, 0xff00
	v_and_b32_sdwa v7, v4, s14 dst_sel:DWORD dst_unused:UNUSED_PAD src0_sel:WORD_1 src1_sel:DWORD
	v_cndmask_b32_e64 v8, 0, 1, s[36:37]
	v_or_b32_sdwa v7, v8, v7 dst_sel:WORD_1 dst_unused:UNUSED_PAD src0_sel:DWORD src1_sel:DWORD
	s_mov_b32 s14, 0xffff
	v_and_or_b32 v4, v4, s14, v7
.LBB147_366:
	s_or_b64 exec, exec, s[10:11]
	v_or_b32_e32 v7, 0x700, v0
	v_cmp_gt_i32_e32 vcc, s8, v7
	s_and_saveexec_b64 s[10:11], vcc
	s_cbranch_execz .LBB147_381
; %bb.367:
	s_cmp_lt_i32 s9, 1
	s_mov_b64 s[14:15], 0
	s_cbranch_scc1 .LBB147_372
; %bb.368:
	s_cmp_gt_i32 s9, 1
	s_cbranch_scc0 .LBB147_373
; %bb.369:
	s_cmp_eq_u32 s9, 2
	s_cbranch_scc0 .LBB147_541
; %bb.370:
	s_xor_b64 s[34:35], s[30:31], -1
	s_or_b64 s[34:35], s[6:7], s[34:35]
	s_mov_b64 s[36:37], 0
	s_branch .LBB147_375
.LBB147_371:
	s_xor_b64 s[14:15], s[34:35], -1
	s_and_b64 s[38:39], s[6:7], s[14:15]
	s_andn2_b64 s[36:37], s[36:37], exec
	s_and_b64 s[38:39], s[38:39], exec
	s_or_b64 s[36:37], s[36:37], s[38:39]
	s_cbranch_execz .LBB147_364
	s_branch .LBB147_365
.LBB147_372:
                                        ; implicit-def: $sgpr34_sgpr35
	s_mov_b64 s[36:37], 0
	s_cbranch_execnz .LBB147_376
	s_branch .LBB147_377
.LBB147_373:
	s_mov_b64 s[36:37], 0
                                        ; implicit-def: $sgpr34_sgpr35
	s_cbranch_execz .LBB147_375
; %bb.374:
	s_and_b64 s[38:39], s[30:31], s[4:5]
	s_andn2_b64 s[34:35], s[34:35], exec
	s_and_b64 s[38:39], s[38:39], exec
	s_or_b64 s[34:35], s[34:35], s[38:39]
.LBB147_375:
	s_branch .LBB147_377
.LBB147_376:
	s_cmp_lg_u32 s9, 0
	s_mov_b64 s[14:15], -1
	s_cselect_b64 s[36:37], -1, 0
.LBB147_377:
	s_andn2_b64 vcc, exec, s[36:37]
	s_cbranch_vccz .LBB147_386
; %bb.378:
	s_andn2_b64 vcc, exec, s[14:15]
	s_cbranch_vccnz .LBB147_380
.LBB147_379:
	s_or_b64 s[14:15], s[30:31], s[4:5]
	s_andn2_b64 s[30:31], s[34:35], exec
	s_and_b64 s[14:15], s[14:15], exec
	s_or_b64 s[34:35], s[30:31], s[14:15]
.LBB147_380:
	s_movk_i32 s14, 0xff
	v_cndmask_b32_e64 v8, 0, 1, s[34:35]
	v_and_b32_sdwa v7, v4, s14 dst_sel:DWORD dst_unused:UNUSED_PAD src0_sel:WORD_1 src1_sel:DWORD
	v_lshlrev_b16_e32 v8, 8, v8
	v_or_b32_sdwa v7, v7, v8 dst_sel:WORD_1 dst_unused:UNUSED_PAD src0_sel:DWORD src1_sel:DWORD
	s_mov_b32 s14, 0xffff
	v_and_or_b32 v4, v4, s14, v7
.LBB147_381:
	s_or_b64 exec, exec, s[10:11]
	v_or_b32_e32 v7, 0x800, v0
	v_cmp_gt_i32_e32 vcc, s8, v7
	s_and_saveexec_b64 s[10:11], vcc
	s_cbranch_execz .LBB147_396
; %bb.382:
	s_cmp_lt_i32 s9, 1
	s_mov_b64 s[14:15], 0
	s_cbranch_scc1 .LBB147_387
; %bb.383:
	s_cmp_gt_i32 s9, 1
	s_cbranch_scc0 .LBB147_388
; %bb.384:
	s_cmp_eq_u32 s9, 2
	s_cbranch_scc0 .LBB147_542
; %bb.385:
	s_xor_b64 s[30:31], s[28:29], -1
	s_or_b64 s[30:31], s[6:7], s[30:31]
	s_mov_b64 s[34:35], 0
	s_branch .LBB147_390
.LBB147_386:
	s_xor_b64 s[14:15], s[30:31], -1
	s_and_b64 s[36:37], s[6:7], s[14:15]
	s_andn2_b64 s[34:35], s[34:35], exec
	s_and_b64 s[36:37], s[36:37], exec
	s_or_b64 s[34:35], s[34:35], s[36:37]
	s_cbranch_execz .LBB147_379
	s_branch .LBB147_380
.LBB147_387:
                                        ; implicit-def: $sgpr30_sgpr31
	s_mov_b64 s[34:35], 0
	s_cbranch_execnz .LBB147_391
	s_branch .LBB147_392
.LBB147_388:
	s_mov_b64 s[34:35], 0
                                        ; implicit-def: $sgpr30_sgpr31
	s_cbranch_execz .LBB147_390
; %bb.389:
	s_and_b64 s[36:37], s[28:29], s[4:5]
	s_andn2_b64 s[30:31], s[30:31], exec
	s_and_b64 s[36:37], s[36:37], exec
	s_or_b64 s[30:31], s[30:31], s[36:37]
.LBB147_390:
	s_branch .LBB147_392
.LBB147_391:
	s_cmp_lg_u32 s9, 0
	s_mov_b64 s[14:15], -1
	s_cselect_b64 s[34:35], -1, 0
.LBB147_392:
	s_andn2_b64 vcc, exec, s[34:35]
	s_cbranch_vccz .LBB147_401
; %bb.393:
	s_andn2_b64 vcc, exec, s[14:15]
	s_cbranch_vccnz .LBB147_395
.LBB147_394:
	s_or_b64 s[14:15], s[28:29], s[4:5]
	s_andn2_b64 s[28:29], s[30:31], exec
	s_and_b64 s[14:15], s[14:15], exec
	s_or_b64 s[30:31], s[28:29], s[14:15]
.LBB147_395:
	v_and_b32_e32 v7, 0xffffff00, v3
	v_cndmask_b32_e64 v8, 0, 1, s[30:31]
	v_or_b32_e32 v7, v8, v7
	v_and_b32_e32 v7, 0xffff, v7
	s_mov_b32 s14, 0xffff0000
	v_and_or_b32 v3, v3, s14, v7
.LBB147_396:
	s_or_b64 exec, exec, s[10:11]
	v_or_b32_e32 v7, 0x900, v0
	v_cmp_gt_i32_e32 vcc, s8, v7
	s_and_saveexec_b64 s[10:11], vcc
	s_cbranch_execz .LBB147_411
; %bb.397:
	s_cmp_lt_i32 s9, 1
	s_mov_b64 s[14:15], 0
	s_cbranch_scc1 .LBB147_402
; %bb.398:
	s_cmp_gt_i32 s9, 1
	s_cbranch_scc0 .LBB147_403
; %bb.399:
	s_cmp_eq_u32 s9, 2
	s_cbranch_scc0 .LBB147_543
; %bb.400:
	s_xor_b64 s[28:29], s[26:27], -1
	s_or_b64 s[28:29], s[6:7], s[28:29]
	s_mov_b64 s[30:31], 0
	s_branch .LBB147_405
.LBB147_401:
	s_xor_b64 s[14:15], s[28:29], -1
	s_and_b64 s[34:35], s[6:7], s[14:15]
	s_andn2_b64 s[30:31], s[30:31], exec
	s_and_b64 s[34:35], s[34:35], exec
	s_or_b64 s[30:31], s[30:31], s[34:35]
	s_cbranch_execz .LBB147_394
	s_branch .LBB147_395
.LBB147_402:
                                        ; implicit-def: $sgpr28_sgpr29
	s_mov_b64 s[30:31], 0
	s_cbranch_execnz .LBB147_406
	s_branch .LBB147_407
.LBB147_403:
	s_mov_b64 s[30:31], 0
                                        ; implicit-def: $sgpr28_sgpr29
	s_cbranch_execz .LBB147_405
; %bb.404:
	s_and_b64 s[34:35], s[26:27], s[4:5]
	s_andn2_b64 s[28:29], s[28:29], exec
	s_and_b64 s[34:35], s[34:35], exec
	s_or_b64 s[28:29], s[28:29], s[34:35]
.LBB147_405:
	s_branch .LBB147_407
.LBB147_406:
	s_cmp_lg_u32 s9, 0
	s_mov_b64 s[14:15], -1
	s_cselect_b64 s[30:31], -1, 0
.LBB147_407:
	s_andn2_b64 vcc, exec, s[30:31]
	s_cbranch_vccz .LBB147_416
; %bb.408:
	s_andn2_b64 vcc, exec, s[14:15]
	s_cbranch_vccnz .LBB147_410
.LBB147_409:
	s_or_b64 s[14:15], s[26:27], s[4:5]
	s_andn2_b64 s[26:27], s[28:29], exec
	s_and_b64 s[14:15], s[14:15], exec
	s_or_b64 s[28:29], s[26:27], s[14:15]
.LBB147_410:
	v_cndmask_b32_e64 v7, 0, 1, s[28:29]
	v_lshlrev_b16_e32 v7, 8, v7
	v_or_b32_sdwa v7, v3, v7 dst_sel:DWORD dst_unused:UNUSED_PAD src0_sel:BYTE_0 src1_sel:DWORD
	v_and_b32_e32 v7, 0xffff, v7
	s_mov_b32 s14, 0xffff0000
	v_and_or_b32 v3, v3, s14, v7
.LBB147_411:
	s_or_b64 exec, exec, s[10:11]
	v_or_b32_e32 v7, 0xa00, v0
	v_cmp_gt_i32_e32 vcc, s8, v7
	s_and_saveexec_b64 s[10:11], vcc
	s_cbranch_execz .LBB147_426
; %bb.412:
	s_cmp_lt_i32 s9, 1
	s_mov_b64 s[14:15], 0
	s_cbranch_scc1 .LBB147_417
; %bb.413:
	s_cmp_gt_i32 s9, 1
	s_cbranch_scc0 .LBB147_418
; %bb.414:
	s_cmp_eq_u32 s9, 2
	s_cbranch_scc0 .LBB147_544
; %bb.415:
	s_xor_b64 s[26:27], s[24:25], -1
	s_or_b64 s[26:27], s[6:7], s[26:27]
	s_mov_b64 s[28:29], 0
	s_branch .LBB147_420
.LBB147_416:
	s_xor_b64 s[14:15], s[26:27], -1
	s_and_b64 s[30:31], s[6:7], s[14:15]
	s_andn2_b64 s[28:29], s[28:29], exec
	s_and_b64 s[30:31], s[30:31], exec
	s_or_b64 s[28:29], s[28:29], s[30:31]
	s_cbranch_execz .LBB147_409
	s_branch .LBB147_410
.LBB147_417:
                                        ; implicit-def: $sgpr26_sgpr27
	s_mov_b64 s[28:29], 0
	s_cbranch_execnz .LBB147_421
	s_branch .LBB147_422
.LBB147_418:
	s_mov_b64 s[28:29], 0
                                        ; implicit-def: $sgpr26_sgpr27
	s_cbranch_execz .LBB147_420
; %bb.419:
	s_and_b64 s[30:31], s[24:25], s[4:5]
	s_andn2_b64 s[26:27], s[26:27], exec
	s_and_b64 s[30:31], s[30:31], exec
	s_or_b64 s[26:27], s[26:27], s[30:31]
.LBB147_420:
	s_branch .LBB147_422
.LBB147_421:
	s_cmp_lg_u32 s9, 0
	s_mov_b64 s[14:15], -1
	s_cselect_b64 s[28:29], -1, 0
.LBB147_422:
	s_andn2_b64 vcc, exec, s[28:29]
	s_cbranch_vccz .LBB147_431
; %bb.423:
	s_andn2_b64 vcc, exec, s[14:15]
	s_cbranch_vccnz .LBB147_425
.LBB147_424:
	s_or_b64 s[14:15], s[24:25], s[4:5]
	s_andn2_b64 s[24:25], s[26:27], exec
	s_and_b64 s[14:15], s[14:15], exec
	s_or_b64 s[26:27], s[24:25], s[14:15]
.LBB147_425:
	s_movk_i32 s14, 0xff00
	v_and_b32_sdwa v7, v3, s14 dst_sel:DWORD dst_unused:UNUSED_PAD src0_sel:WORD_1 src1_sel:DWORD
	v_cndmask_b32_e64 v8, 0, 1, s[26:27]
	v_or_b32_sdwa v7, v8, v7 dst_sel:WORD_1 dst_unused:UNUSED_PAD src0_sel:DWORD src1_sel:DWORD
	s_mov_b32 s14, 0xffff
	v_and_or_b32 v3, v3, s14, v7
.LBB147_426:
	s_or_b64 exec, exec, s[10:11]
	v_or_b32_e32 v7, 0xb00, v0
	v_cmp_gt_i32_e32 vcc, s8, v7
	s_and_saveexec_b64 s[10:11], vcc
	s_cbranch_execz .LBB147_441
; %bb.427:
	s_cmp_lt_i32 s9, 1
	s_mov_b64 s[14:15], 0
	s_cbranch_scc1 .LBB147_432
; %bb.428:
	s_cmp_gt_i32 s9, 1
	s_cbranch_scc0 .LBB147_433
; %bb.429:
	s_cmp_eq_u32 s9, 2
	s_cbranch_scc0 .LBB147_545
; %bb.430:
	s_xor_b64 s[24:25], s[22:23], -1
	s_or_b64 s[24:25], s[6:7], s[24:25]
	s_mov_b64 s[26:27], 0
	s_branch .LBB147_435
.LBB147_431:
	s_xor_b64 s[14:15], s[24:25], -1
	s_and_b64 s[28:29], s[6:7], s[14:15]
	s_andn2_b64 s[26:27], s[26:27], exec
	s_and_b64 s[28:29], s[28:29], exec
	s_or_b64 s[26:27], s[26:27], s[28:29]
	s_cbranch_execz .LBB147_424
	s_branch .LBB147_425
.LBB147_432:
                                        ; implicit-def: $sgpr24_sgpr25
	s_mov_b64 s[26:27], 0
	s_cbranch_execnz .LBB147_436
	s_branch .LBB147_437
.LBB147_433:
	s_mov_b64 s[26:27], 0
                                        ; implicit-def: $sgpr24_sgpr25
	s_cbranch_execz .LBB147_435
; %bb.434:
	s_and_b64 s[28:29], s[22:23], s[4:5]
	s_andn2_b64 s[24:25], s[24:25], exec
	s_and_b64 s[28:29], s[28:29], exec
	s_or_b64 s[24:25], s[24:25], s[28:29]
.LBB147_435:
	s_branch .LBB147_437
.LBB147_436:
	s_cmp_lg_u32 s9, 0
	s_mov_b64 s[14:15], -1
	s_cselect_b64 s[26:27], -1, 0
.LBB147_437:
	s_andn2_b64 vcc, exec, s[26:27]
	s_cbranch_vccz .LBB147_446
; %bb.438:
	s_andn2_b64 vcc, exec, s[14:15]
	s_cbranch_vccnz .LBB147_440
.LBB147_439:
	s_or_b64 s[14:15], s[22:23], s[4:5]
	s_andn2_b64 s[22:23], s[24:25], exec
	s_and_b64 s[14:15], s[14:15], exec
	s_or_b64 s[24:25], s[22:23], s[14:15]
.LBB147_440:
	s_movk_i32 s14, 0xff
	v_cndmask_b32_e64 v8, 0, 1, s[24:25]
	v_and_b32_sdwa v7, v3, s14 dst_sel:DWORD dst_unused:UNUSED_PAD src0_sel:WORD_1 src1_sel:DWORD
	v_lshlrev_b16_e32 v8, 8, v8
	v_or_b32_sdwa v7, v7, v8 dst_sel:WORD_1 dst_unused:UNUSED_PAD src0_sel:DWORD src1_sel:DWORD
	s_mov_b32 s14, 0xffff
	v_and_or_b32 v3, v3, s14, v7
.LBB147_441:
	s_or_b64 exec, exec, s[10:11]
	v_or_b32_e32 v7, 0xc00, v0
	v_cmp_gt_i32_e32 vcc, s8, v7
	s_and_saveexec_b64 s[10:11], vcc
	s_cbranch_execz .LBB147_456
; %bb.442:
	s_cmp_lt_i32 s9, 1
	s_mov_b64 s[14:15], 0
	s_cbranch_scc1 .LBB147_447
; %bb.443:
	s_cmp_gt_i32 s9, 1
	s_cbranch_scc0 .LBB147_448
; %bb.444:
	s_cmp_eq_u32 s9, 2
	s_cbranch_scc0 .LBB147_546
; %bb.445:
	s_xor_b64 s[22:23], s[20:21], -1
	s_or_b64 s[22:23], s[6:7], s[22:23]
	s_mov_b64 s[24:25], 0
	s_branch .LBB147_450
.LBB147_446:
	s_xor_b64 s[14:15], s[22:23], -1
	s_and_b64 s[26:27], s[6:7], s[14:15]
	s_andn2_b64 s[24:25], s[24:25], exec
	s_and_b64 s[26:27], s[26:27], exec
	s_or_b64 s[24:25], s[24:25], s[26:27]
	s_cbranch_execz .LBB147_439
	s_branch .LBB147_440
.LBB147_447:
                                        ; implicit-def: $sgpr22_sgpr23
	s_mov_b64 s[24:25], 0
	s_cbranch_execnz .LBB147_451
	s_branch .LBB147_452
.LBB147_448:
	s_mov_b64 s[24:25], 0
                                        ; implicit-def: $sgpr22_sgpr23
	s_cbranch_execz .LBB147_450
; %bb.449:
	s_and_b64 s[26:27], s[20:21], s[4:5]
	s_andn2_b64 s[22:23], s[22:23], exec
	s_and_b64 s[26:27], s[26:27], exec
	s_or_b64 s[22:23], s[22:23], s[26:27]
.LBB147_450:
	s_branch .LBB147_452
.LBB147_451:
	s_cmp_lg_u32 s9, 0
	s_mov_b64 s[14:15], -1
	s_cselect_b64 s[24:25], -1, 0
.LBB147_452:
	s_andn2_b64 vcc, exec, s[24:25]
	s_cbranch_vccz .LBB147_461
; %bb.453:
	s_andn2_b64 vcc, exec, s[14:15]
	s_cbranch_vccnz .LBB147_455
.LBB147_454:
	s_or_b64 s[14:15], s[20:21], s[4:5]
	s_andn2_b64 s[20:21], s[22:23], exec
	s_and_b64 s[14:15], s[14:15], exec
	s_or_b64 s[22:23], s[20:21], s[14:15]
.LBB147_455:
	v_and_b32_e32 v7, 0xffffff00, v2
	v_cndmask_b32_e64 v8, 0, 1, s[22:23]
	v_or_b32_e32 v7, v8, v7
	v_and_b32_e32 v7, 0xffff, v7
	s_mov_b32 s14, 0xffff0000
	v_and_or_b32 v2, v2, s14, v7
.LBB147_456:
	s_or_b64 exec, exec, s[10:11]
	v_or_b32_e32 v7, 0xd00, v0
	v_cmp_gt_i32_e32 vcc, s8, v7
	s_and_saveexec_b64 s[10:11], vcc
	s_cbranch_execz .LBB147_471
; %bb.457:
	s_cmp_lt_i32 s9, 1
	s_mov_b64 s[14:15], 0
	s_cbranch_scc1 .LBB147_462
; %bb.458:
	s_cmp_gt_i32 s9, 1
	s_cbranch_scc0 .LBB147_463
; %bb.459:
	s_cmp_eq_u32 s9, 2
	s_cbranch_scc0 .LBB147_547
; %bb.460:
	s_xor_b64 s[20:21], s[18:19], -1
	s_or_b64 s[20:21], s[6:7], s[20:21]
	s_mov_b64 s[22:23], 0
	s_branch .LBB147_465
.LBB147_461:
	s_xor_b64 s[14:15], s[20:21], -1
	s_and_b64 s[24:25], s[6:7], s[14:15]
	s_andn2_b64 s[22:23], s[22:23], exec
	s_and_b64 s[24:25], s[24:25], exec
	s_or_b64 s[22:23], s[22:23], s[24:25]
	s_cbranch_execz .LBB147_454
	s_branch .LBB147_455
.LBB147_462:
                                        ; implicit-def: $sgpr20_sgpr21
	s_mov_b64 s[22:23], 0
	s_cbranch_execnz .LBB147_466
	s_branch .LBB147_467
.LBB147_463:
	s_mov_b64 s[22:23], 0
                                        ; implicit-def: $sgpr20_sgpr21
	s_cbranch_execz .LBB147_465
; %bb.464:
	s_and_b64 s[24:25], s[18:19], s[4:5]
	s_andn2_b64 s[20:21], s[20:21], exec
	s_and_b64 s[24:25], s[24:25], exec
	s_or_b64 s[20:21], s[20:21], s[24:25]
.LBB147_465:
	s_branch .LBB147_467
.LBB147_466:
	s_cmp_lg_u32 s9, 0
	s_mov_b64 s[14:15], -1
	s_cselect_b64 s[22:23], -1, 0
.LBB147_467:
	s_andn2_b64 vcc, exec, s[22:23]
	s_cbranch_vccz .LBB147_476
; %bb.468:
	s_andn2_b64 vcc, exec, s[14:15]
	s_cbranch_vccnz .LBB147_470
.LBB147_469:
	s_or_b64 s[14:15], s[18:19], s[4:5]
	s_andn2_b64 s[18:19], s[20:21], exec
	s_and_b64 s[14:15], s[14:15], exec
	s_or_b64 s[20:21], s[18:19], s[14:15]
.LBB147_470:
	v_cndmask_b32_e64 v7, 0, 1, s[20:21]
	v_lshlrev_b16_e32 v7, 8, v7
	v_or_b32_sdwa v7, v2, v7 dst_sel:DWORD dst_unused:UNUSED_PAD src0_sel:BYTE_0 src1_sel:DWORD
	v_and_b32_e32 v7, 0xffff, v7
	s_mov_b32 s14, 0xffff0000
	v_and_or_b32 v2, v2, s14, v7
.LBB147_471:
	s_or_b64 exec, exec, s[10:11]
	v_or_b32_e32 v7, 0xe00, v0
	v_cmp_gt_i32_e32 vcc, s8, v7
	s_and_saveexec_b64 s[10:11], vcc
	s_cbranch_execz .LBB147_486
; %bb.472:
	s_cmp_lt_i32 s9, 1
	s_mov_b64 s[14:15], 0
	s_cbranch_scc1 .LBB147_477
; %bb.473:
	s_cmp_gt_i32 s9, 1
	s_cbranch_scc0 .LBB147_478
; %bb.474:
	s_cmp_eq_u32 s9, 2
	s_cbranch_scc0 .LBB147_548
; %bb.475:
	s_xor_b64 s[18:19], s[16:17], -1
	s_or_b64 s[18:19], s[6:7], s[18:19]
	s_mov_b64 s[20:21], 0
	s_branch .LBB147_480
.LBB147_476:
	s_xor_b64 s[14:15], s[18:19], -1
	s_and_b64 s[22:23], s[6:7], s[14:15]
	s_andn2_b64 s[20:21], s[20:21], exec
	s_and_b64 s[22:23], s[22:23], exec
	s_or_b64 s[20:21], s[20:21], s[22:23]
	s_cbranch_execz .LBB147_469
	s_branch .LBB147_470
.LBB147_477:
                                        ; implicit-def: $sgpr18_sgpr19
	s_mov_b64 s[20:21], 0
	s_cbranch_execnz .LBB147_481
	s_branch .LBB147_482
.LBB147_478:
	s_mov_b64 s[20:21], 0
                                        ; implicit-def: $sgpr18_sgpr19
	s_cbranch_execz .LBB147_480
; %bb.479:
	s_and_b64 s[22:23], s[16:17], s[4:5]
	s_andn2_b64 s[18:19], s[18:19], exec
	s_and_b64 s[22:23], s[22:23], exec
	s_or_b64 s[18:19], s[18:19], s[22:23]
.LBB147_480:
	s_branch .LBB147_482
.LBB147_481:
	s_cmp_lg_u32 s9, 0
	s_mov_b64 s[14:15], -1
	s_cselect_b64 s[20:21], -1, 0
.LBB147_482:
	s_andn2_b64 vcc, exec, s[20:21]
	s_cbranch_vccz .LBB147_491
; %bb.483:
	s_andn2_b64 vcc, exec, s[14:15]
	s_cbranch_vccnz .LBB147_485
.LBB147_484:
	s_or_b64 s[14:15], s[16:17], s[4:5]
	s_andn2_b64 s[16:17], s[18:19], exec
	s_and_b64 s[14:15], s[14:15], exec
	s_or_b64 s[18:19], s[16:17], s[14:15]
.LBB147_485:
	s_movk_i32 s14, 0xff00
	v_and_b32_sdwa v7, v2, s14 dst_sel:DWORD dst_unused:UNUSED_PAD src0_sel:WORD_1 src1_sel:DWORD
	v_cndmask_b32_e64 v8, 0, 1, s[18:19]
	v_or_b32_sdwa v7, v8, v7 dst_sel:WORD_1 dst_unused:UNUSED_PAD src0_sel:DWORD src1_sel:DWORD
	s_mov_b32 s14, 0xffff
	v_and_or_b32 v2, v2, s14, v7
.LBB147_486:
	s_or_b64 exec, exec, s[10:11]
	v_or_b32_e32 v7, 0xf00, v0
	v_cmp_gt_i32_e32 vcc, s8, v7
	s_and_saveexec_b64 s[10:11], vcc
	s_cbranch_execz .LBB147_501
; %bb.487:
	s_cmp_lt_i32 s9, 1
	s_mov_b64 s[14:15], 0
	s_cbranch_scc1 .LBB147_492
; %bb.488:
	s_cmp_gt_i32 s9, 1
	s_cbranch_scc0 .LBB147_493
; %bb.489:
	s_cmp_eq_u32 s9, 2
	s_cbranch_scc0 .LBB147_549
; %bb.490:
	s_xor_b64 s[16:17], s[2:3], -1
	s_or_b64 s[16:17], s[6:7], s[16:17]
	s_mov_b64 s[18:19], 0
	s_branch .LBB147_495
.LBB147_491:
	s_xor_b64 s[14:15], s[16:17], -1
	s_and_b64 s[20:21], s[6:7], s[14:15]
	s_andn2_b64 s[18:19], s[18:19], exec
	s_and_b64 s[20:21], s[20:21], exec
	s_or_b64 s[18:19], s[18:19], s[20:21]
	s_cbranch_execz .LBB147_484
	s_branch .LBB147_485
.LBB147_492:
                                        ; implicit-def: $sgpr16_sgpr17
	s_mov_b64 s[18:19], 0
	s_cbranch_execnz .LBB147_496
	s_branch .LBB147_497
.LBB147_493:
	s_mov_b64 s[18:19], 0
                                        ; implicit-def: $sgpr16_sgpr17
	s_cbranch_execz .LBB147_495
; %bb.494:
	s_and_b64 s[20:21], s[2:3], s[4:5]
	s_andn2_b64 s[16:17], s[16:17], exec
	s_and_b64 s[20:21], s[20:21], exec
	s_or_b64 s[16:17], s[16:17], s[20:21]
.LBB147_495:
	s_branch .LBB147_497
.LBB147_496:
	s_cmp_lg_u32 s9, 0
	s_mov_b64 s[14:15], -1
	s_cselect_b64 s[18:19], -1, 0
.LBB147_497:
	s_andn2_b64 vcc, exec, s[18:19]
	s_cbranch_vccz .LBB147_534
; %bb.498:
	s_andn2_b64 vcc, exec, s[14:15]
	s_cbranch_vccnz .LBB147_500
.LBB147_499:
	s_or_b64 s[2:3], s[2:3], s[4:5]
	s_andn2_b64 s[4:5], s[16:17], exec
	s_and_b64 s[2:3], s[2:3], exec
	s_or_b64 s[16:17], s[4:5], s[2:3]
.LBB147_500:
	s_movk_i32 s2, 0xff
	v_cndmask_b32_e64 v8, 0, 1, s[16:17]
	v_and_b32_sdwa v7, v2, s2 dst_sel:DWORD dst_unused:UNUSED_PAD src0_sel:WORD_1 src1_sel:DWORD
	v_lshlrev_b16_e32 v8, 8, v8
	v_or_b32_sdwa v7, v7, v8 dst_sel:WORD_1 dst_unused:UNUSED_PAD src0_sel:DWORD src1_sel:DWORD
	s_mov_b32 s2, 0xffff
	v_and_or_b32 v2, v2, s2, v7
.LBB147_501:
	s_or_b64 exec, exec, s[10:11]
	s_and_saveexec_b64 s[2:3], s[0:1]
	s_xor_b64 s[0:1], exec, s[2:3]
	s_cbranch_execz .LBB147_503
; %bb.502:
	v_mov_b32_e32 v0, v6
	global_store_byte v1, v5, s[12:13]
.LBB147_503:
	s_or_b64 exec, exec, s[0:1]
	v_cmp_gt_i32_e32 vcc, s8, v0
	s_and_saveexec_b64 s[0:1], vcc
	s_cbranch_execnz .LBB147_520
; %bb.504:
	s_or_b64 exec, exec, s[0:1]
	v_cmp_gt_i32_e32 vcc, s8, v0
	s_and_saveexec_b64 s[0:1], vcc
	s_cbranch_execnz .LBB147_521
.LBB147_505:
	s_or_b64 exec, exec, s[0:1]
	v_cmp_gt_i32_e32 vcc, s8, v0
	s_and_saveexec_b64 s[0:1], vcc
	s_cbranch_execnz .LBB147_522
.LBB147_506:
	s_or_b64 exec, exec, s[0:1]
	v_cmp_gt_i32_e32 vcc, s8, v0
	s_and_saveexec_b64 s[0:1], vcc
	s_cbranch_execnz .LBB147_523
.LBB147_507:
	s_or_b64 exec, exec, s[0:1]
	v_cmp_gt_i32_e32 vcc, s8, v0
	s_and_saveexec_b64 s[0:1], vcc
	s_cbranch_execnz .LBB147_524
.LBB147_508:
	s_or_b64 exec, exec, s[0:1]
	v_cmp_gt_i32_e32 vcc, s8, v0
	s_and_saveexec_b64 s[0:1], vcc
	s_cbranch_execnz .LBB147_525
.LBB147_509:
	s_or_b64 exec, exec, s[0:1]
	v_cmp_gt_i32_e32 vcc, s8, v0
	s_and_saveexec_b64 s[0:1], vcc
	s_cbranch_execnz .LBB147_526
.LBB147_510:
	s_or_b64 exec, exec, s[0:1]
	v_cmp_gt_i32_e32 vcc, s8, v0
	s_and_saveexec_b64 s[0:1], vcc
	s_cbranch_execnz .LBB147_527
.LBB147_511:
	s_or_b64 exec, exec, s[0:1]
	v_cmp_gt_i32_e32 vcc, s8, v0
	s_and_saveexec_b64 s[0:1], vcc
	s_cbranch_execnz .LBB147_528
.LBB147_512:
	s_or_b64 exec, exec, s[0:1]
	v_cmp_gt_i32_e32 vcc, s8, v0
	s_and_saveexec_b64 s[0:1], vcc
	s_cbranch_execnz .LBB147_529
.LBB147_513:
	s_or_b64 exec, exec, s[0:1]
	v_cmp_gt_i32_e32 vcc, s8, v0
	s_and_saveexec_b64 s[0:1], vcc
	s_cbranch_execnz .LBB147_530
.LBB147_514:
	s_or_b64 exec, exec, s[0:1]
	v_cmp_gt_i32_e32 vcc, s8, v0
	s_and_saveexec_b64 s[0:1], vcc
	s_cbranch_execnz .LBB147_531
.LBB147_515:
	s_or_b64 exec, exec, s[0:1]
	v_cmp_gt_i32_e32 vcc, s8, v0
	s_and_saveexec_b64 s[0:1], vcc
	s_cbranch_execnz .LBB147_532
.LBB147_516:
	s_or_b64 exec, exec, s[0:1]
	v_cmp_gt_i32_e32 vcc, s8, v0
	s_and_saveexec_b64 s[0:1], vcc
	s_cbranch_execnz .LBB147_533
.LBB147_517:
	s_or_b64 exec, exec, s[0:1]
	v_cmp_gt_i32_e32 vcc, s8, v0
	s_and_saveexec_b64 s[0:1], vcc
	s_cbranch_execz .LBB147_519
.LBB147_518:
	v_lshrrev_b32_e32 v1, 24, v2
	v_add_u32_e32 v0, s33, v0
	global_store_byte v0, v1, s[12:13]
.LBB147_519:
	s_endpgm
.LBB147_520:
	v_lshrrev_b32_e32 v1, 8, v5
	v_add_u32_e32 v6, s33, v0
	v_add_u32_e32 v0, 0x100, v0
	global_store_byte v6, v1, s[12:13]
	s_or_b64 exec, exec, s[0:1]
	v_cmp_gt_i32_e32 vcc, s8, v0
	s_and_saveexec_b64 s[0:1], vcc
	s_cbranch_execz .LBB147_505
.LBB147_521:
	v_add_u32_e32 v1, s33, v0
	v_add_u32_e32 v0, 0x100, v0
	global_store_byte_d16_hi v1, v5, s[12:13]
	s_or_b64 exec, exec, s[0:1]
	v_cmp_gt_i32_e32 vcc, s8, v0
	s_and_saveexec_b64 s[0:1], vcc
	s_cbranch_execz .LBB147_506
.LBB147_522:
	v_lshrrev_b32_e32 v1, 24, v5
	v_add_u32_e32 v5, s33, v0
	v_add_u32_e32 v0, 0x100, v0
	global_store_byte v5, v1, s[12:13]
	s_or_b64 exec, exec, s[0:1]
	v_cmp_gt_i32_e32 vcc, s8, v0
	s_and_saveexec_b64 s[0:1], vcc
	s_cbranch_execz .LBB147_507
.LBB147_523:
	v_add_u32_e32 v1, s33, v0
	v_add_u32_e32 v0, 0x100, v0
	global_store_byte v1, v4, s[12:13]
	s_or_b64 exec, exec, s[0:1]
	v_cmp_gt_i32_e32 vcc, s8, v0
	s_and_saveexec_b64 s[0:1], vcc
	s_cbranch_execz .LBB147_508
.LBB147_524:
	v_lshrrev_b32_e32 v1, 8, v4
	v_add_u32_e32 v5, s33, v0
	v_add_u32_e32 v0, 0x100, v0
	global_store_byte v5, v1, s[12:13]
	s_or_b64 exec, exec, s[0:1]
	v_cmp_gt_i32_e32 vcc, s8, v0
	s_and_saveexec_b64 s[0:1], vcc
	s_cbranch_execz .LBB147_509
.LBB147_525:
	v_add_u32_e32 v1, s33, v0
	v_add_u32_e32 v0, 0x100, v0
	global_store_byte_d16_hi v1, v4, s[12:13]
	s_or_b64 exec, exec, s[0:1]
	v_cmp_gt_i32_e32 vcc, s8, v0
	s_and_saveexec_b64 s[0:1], vcc
	s_cbranch_execz .LBB147_510
.LBB147_526:
	v_lshrrev_b32_e32 v1, 24, v4
	v_add_u32_e32 v4, s33, v0
	v_add_u32_e32 v0, 0x100, v0
	global_store_byte v4, v1, s[12:13]
	s_or_b64 exec, exec, s[0:1]
	v_cmp_gt_i32_e32 vcc, s8, v0
	s_and_saveexec_b64 s[0:1], vcc
	s_cbranch_execz .LBB147_511
.LBB147_527:
	v_add_u32_e32 v1, s33, v0
	v_add_u32_e32 v0, 0x100, v0
	global_store_byte v1, v3, s[12:13]
	s_or_b64 exec, exec, s[0:1]
	v_cmp_gt_i32_e32 vcc, s8, v0
	s_and_saveexec_b64 s[0:1], vcc
	s_cbranch_execz .LBB147_512
.LBB147_528:
	v_lshrrev_b32_e32 v1, 8, v3
	v_add_u32_e32 v4, s33, v0
	v_add_u32_e32 v0, 0x100, v0
	global_store_byte v4, v1, s[12:13]
	s_or_b64 exec, exec, s[0:1]
	v_cmp_gt_i32_e32 vcc, s8, v0
	s_and_saveexec_b64 s[0:1], vcc
	s_cbranch_execz .LBB147_513
.LBB147_529:
	v_add_u32_e32 v1, s33, v0
	v_add_u32_e32 v0, 0x100, v0
	global_store_byte_d16_hi v1, v3, s[12:13]
	s_or_b64 exec, exec, s[0:1]
	v_cmp_gt_i32_e32 vcc, s8, v0
	s_and_saveexec_b64 s[0:1], vcc
	s_cbranch_execz .LBB147_514
.LBB147_530:
	v_lshrrev_b32_e32 v1, 24, v3
	v_add_u32_e32 v3, s33, v0
	v_add_u32_e32 v0, 0x100, v0
	global_store_byte v3, v1, s[12:13]
	s_or_b64 exec, exec, s[0:1]
	v_cmp_gt_i32_e32 vcc, s8, v0
	s_and_saveexec_b64 s[0:1], vcc
	s_cbranch_execz .LBB147_515
.LBB147_531:
	v_add_u32_e32 v1, s33, v0
	v_add_u32_e32 v0, 0x100, v0
	global_store_byte v1, v2, s[12:13]
	s_or_b64 exec, exec, s[0:1]
	v_cmp_gt_i32_e32 vcc, s8, v0
	s_and_saveexec_b64 s[0:1], vcc
	s_cbranch_execz .LBB147_516
.LBB147_532:
	v_lshrrev_b32_e32 v1, 8, v2
	v_add_u32_e32 v3, s33, v0
	v_add_u32_e32 v0, 0x100, v0
	global_store_byte v3, v1, s[12:13]
	s_or_b64 exec, exec, s[0:1]
	v_cmp_gt_i32_e32 vcc, s8, v0
	s_and_saveexec_b64 s[0:1], vcc
	s_cbranch_execz .LBB147_517
.LBB147_533:
	v_add_u32_e32 v1, s33, v0
	v_add_u32_e32 v0, 0x100, v0
	global_store_byte_d16_hi v1, v2, s[12:13]
	s_or_b64 exec, exec, s[0:1]
	v_cmp_gt_i32_e32 vcc, s8, v0
	s_and_saveexec_b64 s[0:1], vcc
	s_cbranch_execnz .LBB147_518
	s_branch .LBB147_519
.LBB147_534:
	s_xor_b64 s[14:15], s[2:3], -1
	s_and_b64 s[6:7], s[6:7], s[14:15]
	s_andn2_b64 s[16:17], s[16:17], exec
	s_and_b64 s[6:7], s[6:7], exec
	s_or_b64 s[16:17], s[16:17], s[6:7]
	s_cbranch_execz .LBB147_499
	s_branch .LBB147_500
.LBB147_535:
	s_mov_b64 s[48:49], -1
                                        ; implicit-def: $sgpr46_sgpr47
	s_branch .LBB147_285
.LBB147_536:
	s_mov_b64 s[46:47], -1
                                        ; implicit-def: $sgpr44_sgpr45
	s_branch .LBB147_300
.LBB147_537:
	s_mov_b64 s[44:45], -1
                                        ; implicit-def: $sgpr42_sgpr43
	s_branch .LBB147_315
.LBB147_538:
	s_mov_b64 s[42:43], -1
                                        ; implicit-def: $sgpr40_sgpr41
	s_branch .LBB147_330
.LBB147_539:
	s_mov_b64 s[40:41], -1
                                        ; implicit-def: $sgpr38_sgpr39
	s_branch .LBB147_345
.LBB147_540:
	s_mov_b64 s[38:39], -1
                                        ; implicit-def: $sgpr36_sgpr37
	s_branch .LBB147_360
.LBB147_541:
	s_mov_b64 s[36:37], -1
                                        ; implicit-def: $sgpr34_sgpr35
	s_branch .LBB147_375
.LBB147_542:
	s_mov_b64 s[34:35], -1
                                        ; implicit-def: $sgpr30_sgpr31
	s_branch .LBB147_390
.LBB147_543:
	s_mov_b64 s[30:31], -1
                                        ; implicit-def: $sgpr28_sgpr29
	s_branch .LBB147_405
.LBB147_544:
	s_mov_b64 s[28:29], -1
                                        ; implicit-def: $sgpr26_sgpr27
	s_branch .LBB147_420
.LBB147_545:
	s_mov_b64 s[26:27], -1
                                        ; implicit-def: $sgpr24_sgpr25
	s_branch .LBB147_435
.LBB147_546:
	s_mov_b64 s[24:25], -1
                                        ; implicit-def: $sgpr22_sgpr23
	s_branch .LBB147_450
.LBB147_547:
	s_mov_b64 s[22:23], -1
                                        ; implicit-def: $sgpr20_sgpr21
	s_branch .LBB147_465
.LBB147_548:
	s_mov_b64 s[20:21], -1
                                        ; implicit-def: $sgpr18_sgpr19
	s_branch .LBB147_480
.LBB147_549:
	s_mov_b64 s[18:19], -1
                                        ; implicit-def: $sgpr16_sgpr17
	s_branch .LBB147_495
	.section	.rodata,"a",@progbits
	.p2align	6, 0x0
	.amdhsa_kernel _ZN2at6native29vectorized_elementwise_kernelILi2EZNS0_21compare_scalar_kernelIbEEvRNS_18TensorIteratorBaseENS0_12_GLOBAL__N_16OpTypeET_EUlbE_St5arrayIPcLm2EEEEviT0_T1_
		.amdhsa_group_segment_fixed_size 0
		.amdhsa_private_segment_fixed_size 0
		.amdhsa_kernarg_size 32
		.amdhsa_user_sgpr_count 6
		.amdhsa_user_sgpr_private_segment_buffer 1
		.amdhsa_user_sgpr_dispatch_ptr 0
		.amdhsa_user_sgpr_queue_ptr 0
		.amdhsa_user_sgpr_kernarg_segment_ptr 1
		.amdhsa_user_sgpr_dispatch_id 0
		.amdhsa_user_sgpr_flat_scratch_init 0
		.amdhsa_user_sgpr_private_segment_size 0
		.amdhsa_uses_dynamic_stack 0
		.amdhsa_system_sgpr_private_segment_wavefront_offset 0
		.amdhsa_system_sgpr_workgroup_id_x 1
		.amdhsa_system_sgpr_workgroup_id_y 0
		.amdhsa_system_sgpr_workgroup_id_z 0
		.amdhsa_system_sgpr_workgroup_info 0
		.amdhsa_system_vgpr_workitem_id 0
		.amdhsa_next_free_vgpr 11
		.amdhsa_next_free_sgpr 54
		.amdhsa_reserve_vcc 1
		.amdhsa_reserve_flat_scratch 0
		.amdhsa_float_round_mode_32 0
		.amdhsa_float_round_mode_16_64 0
		.amdhsa_float_denorm_mode_32 3
		.amdhsa_float_denorm_mode_16_64 3
		.amdhsa_dx10_clamp 1
		.amdhsa_ieee_mode 1
		.amdhsa_fp16_overflow 0
		.amdhsa_exception_fp_ieee_invalid_op 0
		.amdhsa_exception_fp_denorm_src 0
		.amdhsa_exception_fp_ieee_div_zero 0
		.amdhsa_exception_fp_ieee_overflow 0
		.amdhsa_exception_fp_ieee_underflow 0
		.amdhsa_exception_fp_ieee_inexact 0
		.amdhsa_exception_int_div_zero 0
	.end_amdhsa_kernel
	.section	.text._ZN2at6native29vectorized_elementwise_kernelILi2EZNS0_21compare_scalar_kernelIbEEvRNS_18TensorIteratorBaseENS0_12_GLOBAL__N_16OpTypeET_EUlbE_St5arrayIPcLm2EEEEviT0_T1_,"axG",@progbits,_ZN2at6native29vectorized_elementwise_kernelILi2EZNS0_21compare_scalar_kernelIbEEvRNS_18TensorIteratorBaseENS0_12_GLOBAL__N_16OpTypeET_EUlbE_St5arrayIPcLm2EEEEviT0_T1_,comdat
.Lfunc_end147:
	.size	_ZN2at6native29vectorized_elementwise_kernelILi2EZNS0_21compare_scalar_kernelIbEEvRNS_18TensorIteratorBaseENS0_12_GLOBAL__N_16OpTypeET_EUlbE_St5arrayIPcLm2EEEEviT0_T1_, .Lfunc_end147-_ZN2at6native29vectorized_elementwise_kernelILi2EZNS0_21compare_scalar_kernelIbEEvRNS_18TensorIteratorBaseENS0_12_GLOBAL__N_16OpTypeET_EUlbE_St5arrayIPcLm2EEEEviT0_T1_
                                        ; -- End function
	.set _ZN2at6native29vectorized_elementwise_kernelILi2EZNS0_21compare_scalar_kernelIbEEvRNS_18TensorIteratorBaseENS0_12_GLOBAL__N_16OpTypeET_EUlbE_St5arrayIPcLm2EEEEviT0_T1_.num_vgpr, 11
	.set _ZN2at6native29vectorized_elementwise_kernelILi2EZNS0_21compare_scalar_kernelIbEEvRNS_18TensorIteratorBaseENS0_12_GLOBAL__N_16OpTypeET_EUlbE_St5arrayIPcLm2EEEEviT0_T1_.num_agpr, 0
	.set _ZN2at6native29vectorized_elementwise_kernelILi2EZNS0_21compare_scalar_kernelIbEEvRNS_18TensorIteratorBaseENS0_12_GLOBAL__N_16OpTypeET_EUlbE_St5arrayIPcLm2EEEEviT0_T1_.numbered_sgpr, 54
	.set _ZN2at6native29vectorized_elementwise_kernelILi2EZNS0_21compare_scalar_kernelIbEEvRNS_18TensorIteratorBaseENS0_12_GLOBAL__N_16OpTypeET_EUlbE_St5arrayIPcLm2EEEEviT0_T1_.num_named_barrier, 0
	.set _ZN2at6native29vectorized_elementwise_kernelILi2EZNS0_21compare_scalar_kernelIbEEvRNS_18TensorIteratorBaseENS0_12_GLOBAL__N_16OpTypeET_EUlbE_St5arrayIPcLm2EEEEviT0_T1_.private_seg_size, 0
	.set _ZN2at6native29vectorized_elementwise_kernelILi2EZNS0_21compare_scalar_kernelIbEEvRNS_18TensorIteratorBaseENS0_12_GLOBAL__N_16OpTypeET_EUlbE_St5arrayIPcLm2EEEEviT0_T1_.uses_vcc, 1
	.set _ZN2at6native29vectorized_elementwise_kernelILi2EZNS0_21compare_scalar_kernelIbEEvRNS_18TensorIteratorBaseENS0_12_GLOBAL__N_16OpTypeET_EUlbE_St5arrayIPcLm2EEEEviT0_T1_.uses_flat_scratch, 0
	.set _ZN2at6native29vectorized_elementwise_kernelILi2EZNS0_21compare_scalar_kernelIbEEvRNS_18TensorIteratorBaseENS0_12_GLOBAL__N_16OpTypeET_EUlbE_St5arrayIPcLm2EEEEviT0_T1_.has_dyn_sized_stack, 0
	.set _ZN2at6native29vectorized_elementwise_kernelILi2EZNS0_21compare_scalar_kernelIbEEvRNS_18TensorIteratorBaseENS0_12_GLOBAL__N_16OpTypeET_EUlbE_St5arrayIPcLm2EEEEviT0_T1_.has_recursion, 0
	.set _ZN2at6native29vectorized_elementwise_kernelILi2EZNS0_21compare_scalar_kernelIbEEvRNS_18TensorIteratorBaseENS0_12_GLOBAL__N_16OpTypeET_EUlbE_St5arrayIPcLm2EEEEviT0_T1_.has_indirect_call, 0
	.section	.AMDGPU.csdata,"",@progbits
; Kernel info:
; codeLenInByte = 8644
; TotalNumSgprs: 58
; NumVgprs: 11
; ScratchSize: 0
; MemoryBound: 0
; FloatMode: 240
; IeeeMode: 1
; LDSByteSize: 0 bytes/workgroup (compile time only)
; SGPRBlocks: 7
; VGPRBlocks: 2
; NumSGPRsForWavesPerEU: 58
; NumVGPRsForWavesPerEU: 11
; Occupancy: 10
; WaveLimiterHint : 1
; COMPUTE_PGM_RSRC2:SCRATCH_EN: 0
; COMPUTE_PGM_RSRC2:USER_SGPR: 6
; COMPUTE_PGM_RSRC2:TRAP_HANDLER: 0
; COMPUTE_PGM_RSRC2:TGID_X_EN: 1
; COMPUTE_PGM_RSRC2:TGID_Y_EN: 0
; COMPUTE_PGM_RSRC2:TGID_Z_EN: 0
; COMPUTE_PGM_RSRC2:TIDIG_COMP_CNT: 0
	.section	.text._ZN2at6native27unrolled_elementwise_kernelIZNS0_21compare_scalar_kernelIbEEvRNS_18TensorIteratorBaseENS0_12_GLOBAL__N_16OpTypeET_EUlbE_St5arrayIPcLm2EELi4E23TrivialOffsetCalculatorILi1EjESD_NS0_6memory15LoadWithoutCastENSE_16StoreWithoutCastEEEviS7_T0_T2_T3_T4_T5_,"axG",@progbits,_ZN2at6native27unrolled_elementwise_kernelIZNS0_21compare_scalar_kernelIbEEvRNS_18TensorIteratorBaseENS0_12_GLOBAL__N_16OpTypeET_EUlbE_St5arrayIPcLm2EELi4E23TrivialOffsetCalculatorILi1EjESD_NS0_6memory15LoadWithoutCastENSE_16StoreWithoutCastEEEviS7_T0_T2_T3_T4_T5_,comdat
	.globl	_ZN2at6native27unrolled_elementwise_kernelIZNS0_21compare_scalar_kernelIbEEvRNS_18TensorIteratorBaseENS0_12_GLOBAL__N_16OpTypeET_EUlbE_St5arrayIPcLm2EELi4E23TrivialOffsetCalculatorILi1EjESD_NS0_6memory15LoadWithoutCastENSE_16StoreWithoutCastEEEviS7_T0_T2_T3_T4_T5_ ; -- Begin function _ZN2at6native27unrolled_elementwise_kernelIZNS0_21compare_scalar_kernelIbEEvRNS_18TensorIteratorBaseENS0_12_GLOBAL__N_16OpTypeET_EUlbE_St5arrayIPcLm2EELi4E23TrivialOffsetCalculatorILi1EjESD_NS0_6memory15LoadWithoutCastENSE_16StoreWithoutCastEEEviS7_T0_T2_T3_T4_T5_
	.p2align	8
	.type	_ZN2at6native27unrolled_elementwise_kernelIZNS0_21compare_scalar_kernelIbEEvRNS_18TensorIteratorBaseENS0_12_GLOBAL__N_16OpTypeET_EUlbE_St5arrayIPcLm2EELi4E23TrivialOffsetCalculatorILi1EjESD_NS0_6memory15LoadWithoutCastENSE_16StoreWithoutCastEEEviS7_T0_T2_T3_T4_T5_,@function
_ZN2at6native27unrolled_elementwise_kernelIZNS0_21compare_scalar_kernelIbEEvRNS_18TensorIteratorBaseENS0_12_GLOBAL__N_16OpTypeET_EUlbE_St5arrayIPcLm2EELi4E23TrivialOffsetCalculatorILi1EjESD_NS0_6memory15LoadWithoutCastENSE_16StoreWithoutCastEEEviS7_T0_T2_T3_T4_T5_: ; @_ZN2at6native27unrolled_elementwise_kernelIZNS0_21compare_scalar_kernelIbEEvRNS_18TensorIteratorBaseENS0_12_GLOBAL__N_16OpTypeET_EUlbE_St5arrayIPcLm2EELi4E23TrivialOffsetCalculatorILi1EjESD_NS0_6memory15LoadWithoutCastENSE_16StoreWithoutCastEEEviS7_T0_T2_T3_T4_T5_
; %bb.0:
	s_load_dwordx8 s[8:15], s[4:5], 0x0
	s_lshl_b32 s28, s6, 10
	s_mov_b64 s[18:19], 0
	v_or_b32_e32 v1, s28, v0
	s_mov_b64 s[20:21], 0
	s_waitcnt lgkmcnt(0)
	s_sub_i32 s8, s8, s28
	v_cmp_gt_i32_e64 s[0:1], s8, v0
	v_mov_b32_e32 v2, v0
	s_and_saveexec_b64 s[2:3], s[0:1]
	s_cbranch_execz .LBB148_2
; %bb.1:
	global_load_ubyte v3, v1, s[14:15]
	v_or_b32_e32 v2, 0x100, v0
	s_waitcnt vmcnt(0)
	v_cmp_ne_u16_e32 vcc, 0, v3
	s_and_b64 s[20:21], vcc, exec
.LBB148_2:
	s_or_b64 exec, exec, s[2:3]
	v_cmp_gt_i32_e32 vcc, s8, v2
	s_and_saveexec_b64 s[2:3], vcc
	s_cbranch_execz .LBB148_4
; %bb.3:
	v_add_u32_e32 v3, s28, v2
	global_load_ubyte v3, v3, s[14:15]
	v_add_u32_e32 v2, 0x100, v2
	s_waitcnt vmcnt(0)
	v_cmp_ne_u16_e32 vcc, 0, v3
	s_and_b64 s[18:19], vcc, exec
.LBB148_4:
	s_or_b64 exec, exec, s[2:3]
	v_cmp_gt_i32_e32 vcc, s8, v2
	s_mov_b64 s[2:3], 0
	s_mov_b64 s[16:17], 0
	s_and_saveexec_b64 s[4:5], vcc
	s_cbranch_execz .LBB148_6
; %bb.5:
	v_add_u32_e32 v3, s28, v2
	global_load_ubyte v3, v3, s[14:15]
	v_add_u32_e32 v2, 0x100, v2
	s_waitcnt vmcnt(0)
	v_cmp_ne_u16_e32 vcc, 0, v3
	s_and_b64 s[16:17], vcc, exec
.LBB148_6:
	s_or_b64 exec, exec, s[4:5]
	v_cmp_gt_i32_e32 vcc, s8, v2
	s_and_saveexec_b64 s[4:5], vcc
	s_cbranch_execz .LBB148_8
; %bb.7:
	v_add_u32_e32 v2, s28, v2
	global_load_ubyte v2, v2, s[14:15]
	s_waitcnt vmcnt(0)
	v_cmp_ne_u16_e32 vcc, 0, v2
	s_and_b64 s[2:3], vcc, exec
.LBB148_8:
	s_or_b64 exec, exec, s[4:5]
	s_bitcmp1_b32 s10, 0
	s_cselect_b64 s[6:7], -1, 0
	s_xor_b64 s[4:5], s[6:7], -1
	v_mov_b32_e32 v2, 0
	s_and_saveexec_b64 s[10:11], s[0:1]
	s_cbranch_execz .LBB148_24
; %bb.9:
	s_cmp_lt_i32 s9, 1
	s_mov_b64 s[14:15], 0
	s_cbranch_scc1 .LBB148_13
; %bb.10:
	s_cmp_gt_i32 s9, 1
	s_cbranch_scc0 .LBB148_14
; %bb.11:
	s_cmp_eq_u32 s9, 2
	s_cbranch_scc0 .LBB148_15
; %bb.12:
	s_xor_b64 s[22:23], s[20:21], -1
	s_or_b64 s[22:23], s[6:7], s[22:23]
	s_mov_b64 s[24:25], 0
	s_branch .LBB148_16
.LBB148_13:
                                        ; implicit-def: $sgpr22_sgpr23
	s_mov_b64 s[24:25], 0
	s_cbranch_execnz .LBB148_19
	s_branch .LBB148_20
.LBB148_14:
	s_mov_b64 s[24:25], 0
                                        ; implicit-def: $sgpr22_sgpr23
	s_cbranch_execnz .LBB148_17
	s_branch .LBB148_18
.LBB148_15:
	s_mov_b64 s[24:25], -1
                                        ; implicit-def: $sgpr22_sgpr23
.LBB148_16:
	s_branch .LBB148_18
.LBB148_17:
	s_and_b64 s[26:27], s[20:21], s[4:5]
	s_andn2_b64 s[22:23], s[22:23], exec
	s_and_b64 s[26:27], s[26:27], exec
	s_or_b64 s[22:23], s[22:23], s[26:27]
.LBB148_18:
	s_branch .LBB148_20
.LBB148_19:
	s_cmp_lg_u32 s9, 0
	s_mov_b64 s[14:15], -1
	s_cselect_b64 s[24:25], -1, 0
.LBB148_20:
	s_andn2_b64 vcc, exec, s[24:25]
	s_cbranch_vccz .LBB148_29
; %bb.21:
	s_andn2_b64 vcc, exec, s[14:15]
	s_cbranch_vccnz .LBB148_23
.LBB148_22:
	s_or_b64 s[14:15], s[20:21], s[4:5]
	s_andn2_b64 s[20:21], s[22:23], exec
	s_and_b64 s[14:15], s[14:15], exec
	s_or_b64 s[22:23], s[20:21], s[14:15]
.LBB148_23:
	v_cndmask_b32_e64 v2, 0, 1, s[22:23]
.LBB148_24:
	s_or_b64 exec, exec, s[10:11]
	v_or_b32_e32 v3, 0x100, v0
	v_cmp_gt_i32_e32 vcc, s8, v3
	s_and_saveexec_b64 s[10:11], vcc
	s_cbranch_execz .LBB148_39
; %bb.25:
	s_cmp_lt_i32 s9, 1
	s_mov_b64 s[14:15], 0
	s_cbranch_scc1 .LBB148_30
; %bb.26:
	s_cmp_gt_i32 s9, 1
	s_cbranch_scc0 .LBB148_31
; %bb.27:
	s_cmp_eq_u32 s9, 2
	s_cbranch_scc0 .LBB148_79
; %bb.28:
	s_xor_b64 s[20:21], s[18:19], -1
	s_or_b64 s[20:21], s[6:7], s[20:21]
	s_mov_b64 s[22:23], 0
	s_branch .LBB148_33
.LBB148_29:
	s_xor_b64 s[14:15], s[20:21], -1
	s_and_b64 s[24:25], s[6:7], s[14:15]
	s_andn2_b64 s[22:23], s[22:23], exec
	s_and_b64 s[24:25], s[24:25], exec
	s_or_b64 s[22:23], s[22:23], s[24:25]
	s_cbranch_execz .LBB148_22
	s_branch .LBB148_23
.LBB148_30:
                                        ; implicit-def: $sgpr20_sgpr21
	s_mov_b64 s[22:23], 0
	s_cbranch_execnz .LBB148_34
	s_branch .LBB148_35
.LBB148_31:
	s_mov_b64 s[22:23], 0
                                        ; implicit-def: $sgpr20_sgpr21
	s_cbranch_execz .LBB148_33
; %bb.32:
	s_and_b64 s[24:25], s[18:19], s[4:5]
	s_andn2_b64 s[20:21], s[20:21], exec
	s_and_b64 s[24:25], s[24:25], exec
	s_or_b64 s[20:21], s[20:21], s[24:25]
.LBB148_33:
	s_branch .LBB148_35
.LBB148_34:
	s_cmp_lg_u32 s9, 0
	s_mov_b64 s[14:15], -1
	s_cselect_b64 s[22:23], -1, 0
.LBB148_35:
	s_andn2_b64 vcc, exec, s[22:23]
	s_cbranch_vccz .LBB148_44
; %bb.36:
	s_andn2_b64 vcc, exec, s[14:15]
	s_cbranch_vccnz .LBB148_38
.LBB148_37:
	s_or_b64 s[14:15], s[18:19], s[4:5]
	s_andn2_b64 s[18:19], s[20:21], exec
	s_and_b64 s[14:15], s[14:15], exec
	s_or_b64 s[20:21], s[18:19], s[14:15]
.LBB148_38:
	v_cndmask_b32_e64 v4, 0, 1, s[20:21]
	v_lshlrev_b16_e32 v4, 8, v4
	v_or_b32_e32 v2, v2, v4
	v_and_b32_e32 v2, 0xffff, v2
.LBB148_39:
	s_or_b64 exec, exec, s[10:11]
	v_or_b32_e32 v4, 0x200, v0
	v_cmp_gt_i32_e32 vcc, s8, v4
	s_and_saveexec_b64 s[10:11], vcc
	s_cbranch_execz .LBB148_54
; %bb.40:
	s_cmp_lt_i32 s9, 1
	s_mov_b64 s[14:15], 0
	s_cbranch_scc1 .LBB148_45
; %bb.41:
	s_cmp_gt_i32 s9, 1
	s_cbranch_scc0 .LBB148_46
; %bb.42:
	s_cmp_eq_u32 s9, 2
	s_cbranch_scc0 .LBB148_80
; %bb.43:
	s_xor_b64 s[18:19], s[16:17], -1
	s_or_b64 s[18:19], s[6:7], s[18:19]
	s_mov_b64 s[20:21], 0
	s_branch .LBB148_48
.LBB148_44:
	s_xor_b64 s[14:15], s[18:19], -1
	s_and_b64 s[22:23], s[6:7], s[14:15]
	s_andn2_b64 s[20:21], s[20:21], exec
	s_and_b64 s[22:23], s[22:23], exec
	s_or_b64 s[20:21], s[20:21], s[22:23]
	s_cbranch_execz .LBB148_37
	s_branch .LBB148_38
.LBB148_45:
                                        ; implicit-def: $sgpr18_sgpr19
	s_mov_b64 s[20:21], 0
	s_cbranch_execnz .LBB148_49
	s_branch .LBB148_50
.LBB148_46:
	s_mov_b64 s[20:21], 0
                                        ; implicit-def: $sgpr18_sgpr19
	s_cbranch_execz .LBB148_48
; %bb.47:
	s_and_b64 s[22:23], s[16:17], s[4:5]
	s_andn2_b64 s[18:19], s[18:19], exec
	s_and_b64 s[22:23], s[22:23], exec
	s_or_b64 s[18:19], s[18:19], s[22:23]
.LBB148_48:
	s_branch .LBB148_50
.LBB148_49:
	s_cmp_lg_u32 s9, 0
	s_mov_b64 s[14:15], -1
	s_cselect_b64 s[20:21], -1, 0
.LBB148_50:
	s_andn2_b64 vcc, exec, s[20:21]
	s_cbranch_vccz .LBB148_59
; %bb.51:
	s_andn2_b64 vcc, exec, s[14:15]
	s_cbranch_vccnz .LBB148_53
.LBB148_52:
	s_or_b64 s[14:15], s[16:17], s[4:5]
	s_andn2_b64 s[16:17], s[18:19], exec
	s_and_b64 s[14:15], s[14:15], exec
	s_or_b64 s[18:19], s[16:17], s[14:15]
.LBB148_53:
	v_cndmask_b32_e64 v4, 0, 1, s[18:19]
	v_lshl_or_b32 v2, v4, 16, v2
.LBB148_54:
	s_or_b64 exec, exec, s[10:11]
	v_or_b32_e32 v4, 0x300, v0
	v_cmp_gt_i32_e32 vcc, s8, v4
	s_and_saveexec_b64 s[10:11], vcc
	s_cbranch_execz .LBB148_69
; %bb.55:
	s_cmp_lt_i32 s9, 1
	s_mov_b64 s[14:15], 0
	s_cbranch_scc1 .LBB148_60
; %bb.56:
	s_cmp_gt_i32 s9, 1
	s_cbranch_scc0 .LBB148_61
; %bb.57:
	s_cmp_eq_u32 s9, 2
	s_cbranch_scc0 .LBB148_81
; %bb.58:
	s_xor_b64 s[16:17], s[2:3], -1
	s_or_b64 s[16:17], s[6:7], s[16:17]
	s_mov_b64 s[18:19], 0
	s_branch .LBB148_63
.LBB148_59:
	s_xor_b64 s[14:15], s[16:17], -1
	s_and_b64 s[20:21], s[6:7], s[14:15]
	s_andn2_b64 s[18:19], s[18:19], exec
	s_and_b64 s[20:21], s[20:21], exec
	s_or_b64 s[18:19], s[18:19], s[20:21]
	s_cbranch_execz .LBB148_52
	s_branch .LBB148_53
.LBB148_60:
                                        ; implicit-def: $sgpr16_sgpr17
	s_mov_b64 s[18:19], 0
	s_cbranch_execnz .LBB148_64
	s_branch .LBB148_65
.LBB148_61:
	s_mov_b64 s[18:19], 0
                                        ; implicit-def: $sgpr16_sgpr17
	s_cbranch_execz .LBB148_63
; %bb.62:
	s_and_b64 s[20:21], s[2:3], s[4:5]
	s_andn2_b64 s[16:17], s[16:17], exec
	s_and_b64 s[20:21], s[20:21], exec
	s_or_b64 s[16:17], s[16:17], s[20:21]
.LBB148_63:
	s_branch .LBB148_65
.LBB148_64:
	s_cmp_lg_u32 s9, 0
	s_mov_b64 s[14:15], -1
	s_cselect_b64 s[18:19], -1, 0
.LBB148_65:
	s_andn2_b64 vcc, exec, s[18:19]
	s_cbranch_vccz .LBB148_78
; %bb.66:
	s_andn2_b64 vcc, exec, s[14:15]
	s_cbranch_vccnz .LBB148_68
.LBB148_67:
	s_or_b64 s[2:3], s[2:3], s[4:5]
	s_andn2_b64 s[4:5], s[16:17], exec
	s_and_b64 s[2:3], s[2:3], exec
	s_or_b64 s[16:17], s[4:5], s[2:3]
.LBB148_68:
	v_cndmask_b32_e64 v4, 0, 1, s[16:17]
	v_lshlrev_b16_e32 v4, 8, v4
	v_or_b32_sdwa v4, v2, v4 dst_sel:WORD_1 dst_unused:UNUSED_PAD src0_sel:WORD_1 src1_sel:DWORD
	s_mov_b32 s2, 0xffff
	v_and_or_b32 v2, v2, s2, v4
.LBB148_69:
	s_or_b64 exec, exec, s[10:11]
	s_and_saveexec_b64 s[2:3], s[0:1]
	s_xor_b64 s[0:1], exec, s[2:3]
	s_cbranch_execz .LBB148_71
; %bb.70:
	v_mov_b32_e32 v0, v3
	global_store_byte v1, v2, s[12:13]
.LBB148_71:
	s_or_b64 exec, exec, s[0:1]
	v_cmp_gt_i32_e32 vcc, s8, v0
	s_and_saveexec_b64 s[0:1], vcc
	s_cbranch_execnz .LBB148_75
; %bb.72:
	s_or_b64 exec, exec, s[0:1]
	v_cmp_gt_i32_e32 vcc, s8, v0
	s_and_saveexec_b64 s[0:1], vcc
	s_cbranch_execnz .LBB148_76
.LBB148_73:
	s_or_b64 exec, exec, s[0:1]
	v_cmp_gt_i32_e32 vcc, s8, v0
	s_and_saveexec_b64 s[0:1], vcc
	s_cbranch_execnz .LBB148_77
.LBB148_74:
	s_endpgm
.LBB148_75:
	v_add_u32_e32 v1, 0x100, v0
	v_add_u32_e32 v0, s28, v0
	v_lshrrev_b32_e32 v3, 8, v2
	global_store_byte v0, v3, s[12:13]
	v_mov_b32_e32 v0, v1
	s_or_b64 exec, exec, s[0:1]
	v_cmp_gt_i32_e32 vcc, s8, v0
	s_and_saveexec_b64 s[0:1], vcc
	s_cbranch_execz .LBB148_73
.LBB148_76:
	v_add_u32_e32 v1, 0x100, v0
	v_add_u32_e32 v0, s28, v0
	global_store_byte_d16_hi v0, v2, s[12:13]
	v_mov_b32_e32 v0, v1
	s_or_b64 exec, exec, s[0:1]
	v_cmp_gt_i32_e32 vcc, s8, v0
	s_and_saveexec_b64 s[0:1], vcc
	s_cbranch_execz .LBB148_74
.LBB148_77:
	v_add_u32_e32 v0, s28, v0
	v_lshrrev_b32_e32 v1, 24, v2
	global_store_byte v0, v1, s[12:13]
	s_endpgm
.LBB148_78:
	s_xor_b64 s[14:15], s[2:3], -1
	s_and_b64 s[6:7], s[6:7], s[14:15]
	s_andn2_b64 s[16:17], s[16:17], exec
	s_and_b64 s[6:7], s[6:7], exec
	s_or_b64 s[16:17], s[16:17], s[6:7]
	s_cbranch_execz .LBB148_67
	s_branch .LBB148_68
.LBB148_79:
	s_mov_b64 s[22:23], -1
                                        ; implicit-def: $sgpr20_sgpr21
	s_branch .LBB148_33
.LBB148_80:
	s_mov_b64 s[20:21], -1
                                        ; implicit-def: $sgpr18_sgpr19
	s_branch .LBB148_48
.LBB148_81:
	s_mov_b64 s[18:19], -1
                                        ; implicit-def: $sgpr16_sgpr17
	s_branch .LBB148_63
	.section	.rodata,"a",@progbits
	.p2align	6, 0x0
	.amdhsa_kernel _ZN2at6native27unrolled_elementwise_kernelIZNS0_21compare_scalar_kernelIbEEvRNS_18TensorIteratorBaseENS0_12_GLOBAL__N_16OpTypeET_EUlbE_St5arrayIPcLm2EELi4E23TrivialOffsetCalculatorILi1EjESD_NS0_6memory15LoadWithoutCastENSE_16StoreWithoutCastEEEviS7_T0_T2_T3_T4_T5_
		.amdhsa_group_segment_fixed_size 0
		.amdhsa_private_segment_fixed_size 0
		.amdhsa_kernarg_size 36
		.amdhsa_user_sgpr_count 6
		.amdhsa_user_sgpr_private_segment_buffer 1
		.amdhsa_user_sgpr_dispatch_ptr 0
		.amdhsa_user_sgpr_queue_ptr 0
		.amdhsa_user_sgpr_kernarg_segment_ptr 1
		.amdhsa_user_sgpr_dispatch_id 0
		.amdhsa_user_sgpr_flat_scratch_init 0
		.amdhsa_user_sgpr_private_segment_size 0
		.amdhsa_uses_dynamic_stack 0
		.amdhsa_system_sgpr_private_segment_wavefront_offset 0
		.amdhsa_system_sgpr_workgroup_id_x 1
		.amdhsa_system_sgpr_workgroup_id_y 0
		.amdhsa_system_sgpr_workgroup_id_z 0
		.amdhsa_system_sgpr_workgroup_info 0
		.amdhsa_system_vgpr_workitem_id 0
		.amdhsa_next_free_vgpr 5
		.amdhsa_next_free_sgpr 29
		.amdhsa_reserve_vcc 1
		.amdhsa_reserve_flat_scratch 0
		.amdhsa_float_round_mode_32 0
		.amdhsa_float_round_mode_16_64 0
		.amdhsa_float_denorm_mode_32 3
		.amdhsa_float_denorm_mode_16_64 3
		.amdhsa_dx10_clamp 1
		.amdhsa_ieee_mode 1
		.amdhsa_fp16_overflow 0
		.amdhsa_exception_fp_ieee_invalid_op 0
		.amdhsa_exception_fp_denorm_src 0
		.amdhsa_exception_fp_ieee_div_zero 0
		.amdhsa_exception_fp_ieee_overflow 0
		.amdhsa_exception_fp_ieee_underflow 0
		.amdhsa_exception_fp_ieee_inexact 0
		.amdhsa_exception_int_div_zero 0
	.end_amdhsa_kernel
	.section	.text._ZN2at6native27unrolled_elementwise_kernelIZNS0_21compare_scalar_kernelIbEEvRNS_18TensorIteratorBaseENS0_12_GLOBAL__N_16OpTypeET_EUlbE_St5arrayIPcLm2EELi4E23TrivialOffsetCalculatorILi1EjESD_NS0_6memory15LoadWithoutCastENSE_16StoreWithoutCastEEEviS7_T0_T2_T3_T4_T5_,"axG",@progbits,_ZN2at6native27unrolled_elementwise_kernelIZNS0_21compare_scalar_kernelIbEEvRNS_18TensorIteratorBaseENS0_12_GLOBAL__N_16OpTypeET_EUlbE_St5arrayIPcLm2EELi4E23TrivialOffsetCalculatorILi1EjESD_NS0_6memory15LoadWithoutCastENSE_16StoreWithoutCastEEEviS7_T0_T2_T3_T4_T5_,comdat
.Lfunc_end148:
	.size	_ZN2at6native27unrolled_elementwise_kernelIZNS0_21compare_scalar_kernelIbEEvRNS_18TensorIteratorBaseENS0_12_GLOBAL__N_16OpTypeET_EUlbE_St5arrayIPcLm2EELi4E23TrivialOffsetCalculatorILi1EjESD_NS0_6memory15LoadWithoutCastENSE_16StoreWithoutCastEEEviS7_T0_T2_T3_T4_T5_, .Lfunc_end148-_ZN2at6native27unrolled_elementwise_kernelIZNS0_21compare_scalar_kernelIbEEvRNS_18TensorIteratorBaseENS0_12_GLOBAL__N_16OpTypeET_EUlbE_St5arrayIPcLm2EELi4E23TrivialOffsetCalculatorILi1EjESD_NS0_6memory15LoadWithoutCastENSE_16StoreWithoutCastEEEviS7_T0_T2_T3_T4_T5_
                                        ; -- End function
	.set _ZN2at6native27unrolled_elementwise_kernelIZNS0_21compare_scalar_kernelIbEEvRNS_18TensorIteratorBaseENS0_12_GLOBAL__N_16OpTypeET_EUlbE_St5arrayIPcLm2EELi4E23TrivialOffsetCalculatorILi1EjESD_NS0_6memory15LoadWithoutCastENSE_16StoreWithoutCastEEEviS7_T0_T2_T3_T4_T5_.num_vgpr, 5
	.set _ZN2at6native27unrolled_elementwise_kernelIZNS0_21compare_scalar_kernelIbEEvRNS_18TensorIteratorBaseENS0_12_GLOBAL__N_16OpTypeET_EUlbE_St5arrayIPcLm2EELi4E23TrivialOffsetCalculatorILi1EjESD_NS0_6memory15LoadWithoutCastENSE_16StoreWithoutCastEEEviS7_T0_T2_T3_T4_T5_.num_agpr, 0
	.set _ZN2at6native27unrolled_elementwise_kernelIZNS0_21compare_scalar_kernelIbEEvRNS_18TensorIteratorBaseENS0_12_GLOBAL__N_16OpTypeET_EUlbE_St5arrayIPcLm2EELi4E23TrivialOffsetCalculatorILi1EjESD_NS0_6memory15LoadWithoutCastENSE_16StoreWithoutCastEEEviS7_T0_T2_T3_T4_T5_.numbered_sgpr, 29
	.set _ZN2at6native27unrolled_elementwise_kernelIZNS0_21compare_scalar_kernelIbEEvRNS_18TensorIteratorBaseENS0_12_GLOBAL__N_16OpTypeET_EUlbE_St5arrayIPcLm2EELi4E23TrivialOffsetCalculatorILi1EjESD_NS0_6memory15LoadWithoutCastENSE_16StoreWithoutCastEEEviS7_T0_T2_T3_T4_T5_.num_named_barrier, 0
	.set _ZN2at6native27unrolled_elementwise_kernelIZNS0_21compare_scalar_kernelIbEEvRNS_18TensorIteratorBaseENS0_12_GLOBAL__N_16OpTypeET_EUlbE_St5arrayIPcLm2EELi4E23TrivialOffsetCalculatorILi1EjESD_NS0_6memory15LoadWithoutCastENSE_16StoreWithoutCastEEEviS7_T0_T2_T3_T4_T5_.private_seg_size, 0
	.set _ZN2at6native27unrolled_elementwise_kernelIZNS0_21compare_scalar_kernelIbEEvRNS_18TensorIteratorBaseENS0_12_GLOBAL__N_16OpTypeET_EUlbE_St5arrayIPcLm2EELi4E23TrivialOffsetCalculatorILi1EjESD_NS0_6memory15LoadWithoutCastENSE_16StoreWithoutCastEEEviS7_T0_T2_T3_T4_T5_.uses_vcc, 1
	.set _ZN2at6native27unrolled_elementwise_kernelIZNS0_21compare_scalar_kernelIbEEvRNS_18TensorIteratorBaseENS0_12_GLOBAL__N_16OpTypeET_EUlbE_St5arrayIPcLm2EELi4E23TrivialOffsetCalculatorILi1EjESD_NS0_6memory15LoadWithoutCastENSE_16StoreWithoutCastEEEviS7_T0_T2_T3_T4_T5_.uses_flat_scratch, 0
	.set _ZN2at6native27unrolled_elementwise_kernelIZNS0_21compare_scalar_kernelIbEEvRNS_18TensorIteratorBaseENS0_12_GLOBAL__N_16OpTypeET_EUlbE_St5arrayIPcLm2EELi4E23TrivialOffsetCalculatorILi1EjESD_NS0_6memory15LoadWithoutCastENSE_16StoreWithoutCastEEEviS7_T0_T2_T3_T4_T5_.has_dyn_sized_stack, 0
	.set _ZN2at6native27unrolled_elementwise_kernelIZNS0_21compare_scalar_kernelIbEEvRNS_18TensorIteratorBaseENS0_12_GLOBAL__N_16OpTypeET_EUlbE_St5arrayIPcLm2EELi4E23TrivialOffsetCalculatorILi1EjESD_NS0_6memory15LoadWithoutCastENSE_16StoreWithoutCastEEEviS7_T0_T2_T3_T4_T5_.has_recursion, 0
	.set _ZN2at6native27unrolled_elementwise_kernelIZNS0_21compare_scalar_kernelIbEEvRNS_18TensorIteratorBaseENS0_12_GLOBAL__N_16OpTypeET_EUlbE_St5arrayIPcLm2EELi4E23TrivialOffsetCalculatorILi1EjESD_NS0_6memory15LoadWithoutCastENSE_16StoreWithoutCastEEEviS7_T0_T2_T3_T4_T5_.has_indirect_call, 0
	.section	.AMDGPU.csdata,"",@progbits
; Kernel info:
; codeLenInByte = 1252
; TotalNumSgprs: 33
; NumVgprs: 5
; ScratchSize: 0
; MemoryBound: 0
; FloatMode: 240
; IeeeMode: 1
; LDSByteSize: 0 bytes/workgroup (compile time only)
; SGPRBlocks: 4
; VGPRBlocks: 1
; NumSGPRsForWavesPerEU: 33
; NumVGPRsForWavesPerEU: 5
; Occupancy: 10
; WaveLimiterHint : 0
; COMPUTE_PGM_RSRC2:SCRATCH_EN: 0
; COMPUTE_PGM_RSRC2:USER_SGPR: 6
; COMPUTE_PGM_RSRC2:TRAP_HANDLER: 0
; COMPUTE_PGM_RSRC2:TGID_X_EN: 1
; COMPUTE_PGM_RSRC2:TGID_Y_EN: 0
; COMPUTE_PGM_RSRC2:TGID_Z_EN: 0
; COMPUTE_PGM_RSRC2:TIDIG_COMP_CNT: 0
	.section	.text._ZN2at6native32elementwise_kernel_manual_unrollILi128ELi8EZNS0_22gpu_kernel_impl_nocastIZNS0_21compare_scalar_kernelIbEEvRNS_18TensorIteratorBaseENS0_12_GLOBAL__N_16OpTypeET_EUlbE_EEvS5_RKS8_EUlibE_EEviT1_,"axG",@progbits,_ZN2at6native32elementwise_kernel_manual_unrollILi128ELi8EZNS0_22gpu_kernel_impl_nocastIZNS0_21compare_scalar_kernelIbEEvRNS_18TensorIteratorBaseENS0_12_GLOBAL__N_16OpTypeET_EUlbE_EEvS5_RKS8_EUlibE_EEviT1_,comdat
	.globl	_ZN2at6native32elementwise_kernel_manual_unrollILi128ELi8EZNS0_22gpu_kernel_impl_nocastIZNS0_21compare_scalar_kernelIbEEvRNS_18TensorIteratorBaseENS0_12_GLOBAL__N_16OpTypeET_EUlbE_EEvS5_RKS8_EUlibE_EEviT1_ ; -- Begin function _ZN2at6native32elementwise_kernel_manual_unrollILi128ELi8EZNS0_22gpu_kernel_impl_nocastIZNS0_21compare_scalar_kernelIbEEvRNS_18TensorIteratorBaseENS0_12_GLOBAL__N_16OpTypeET_EUlbE_EEvS5_RKS8_EUlibE_EEviT1_
	.p2align	8
	.type	_ZN2at6native32elementwise_kernel_manual_unrollILi128ELi8EZNS0_22gpu_kernel_impl_nocastIZNS0_21compare_scalar_kernelIbEEvRNS_18TensorIteratorBaseENS0_12_GLOBAL__N_16OpTypeET_EUlbE_EEvS5_RKS8_EUlibE_EEviT1_,@function
_ZN2at6native32elementwise_kernel_manual_unrollILi128ELi8EZNS0_22gpu_kernel_impl_nocastIZNS0_21compare_scalar_kernelIbEEvRNS_18TensorIteratorBaseENS0_12_GLOBAL__N_16OpTypeET_EUlbE_EEvS5_RKS8_EUlibE_EEviT1_: ; @_ZN2at6native32elementwise_kernel_manual_unrollILi128ELi8EZNS0_22gpu_kernel_impl_nocastIZNS0_21compare_scalar_kernelIbEEvRNS_18TensorIteratorBaseENS0_12_GLOBAL__N_16OpTypeET_EUlbE_EEvS5_RKS8_EUlibE_EEviT1_
; %bb.0:
	s_load_dword s61, s[4:5], 0x0
	s_load_dword s33, s[4:5], 0x8
	s_add_u32 s34, s4, 8
	s_addc_u32 s35, s5, 0
	v_lshl_or_b32 v15, s6, 10, v0
	v_or_b32_e32 v22, 0x380, v15
	s_waitcnt lgkmcnt(0)
	s_add_i32 s60, s33, -1
	s_cmp_gt_u32 s60, 1
	v_cmp_le_i32_e32 vcc, s61, v22
	s_cselect_b64 s[36:37], -1, 0
	s_and_saveexec_b64 s[0:1], vcc
	s_xor_b64 s[38:39], exec, s[0:1]
	s_cbranch_execz .LBB149_235
; %bb.1:
	s_load_dwordx4 s[20:23], s[34:35], 0x4
	s_load_dwordx2 s[46:47], s[34:35], 0x14
	s_load_dwordx2 s[44:45], s[34:35], 0x158
	s_cmp_lg_u32 s33, 0
	s_cselect_b64 s[52:53], -1, 0
	s_add_u32 s50, s34, 0xc4
	s_addc_u32 s51, s35, 0
	s_min_u32 s62, s60, 15
	s_load_dwordx4 s[24:27], s[34:35], 0xc4
	s_load_dwordx4 s[16:19], s[34:35], 0x148
	s_cmp_gt_u32 s33, 1
	s_cselect_b64 s[48:49], -1, 0
	s_waitcnt lgkmcnt(0)
	s_bitcmp1_b32 s45, 0
	s_cselect_b64 s[42:43], -1, 0
	s_mov_b64 s[0:1], -1
	s_xor_b64 s[40:41], s[42:43], -1
	v_cmp_gt_i32_e32 vcc, s61, v15
	s_and_saveexec_b64 s[54:55], vcc
	s_cbranch_execnz .LBB149_9
; %bb.2:
	s_or_b64 exec, exec, s[54:55]
	v_cmp_gt_i32_e32 vcc, s61, v15
	s_and_saveexec_b64 s[54:55], vcc
	s_cbranch_execnz .LBB149_38
.LBB149_3:
	s_or_b64 exec, exec, s[54:55]
	v_cmp_gt_i32_e32 vcc, s61, v15
	s_and_saveexec_b64 s[54:55], vcc
	s_cbranch_execnz .LBB149_66
.LBB149_4:
	s_or_b64 exec, exec, s[54:55]
	v_cmp_gt_i32_e32 vcc, s61, v15
	s_and_saveexec_b64 s[54:55], vcc
	s_cbranch_execnz .LBB149_94
.LBB149_5:
	s_or_b64 exec, exec, s[54:55]
	v_cmp_gt_i32_e32 vcc, s61, v15
	s_and_saveexec_b64 s[54:55], vcc
	s_cbranch_execnz .LBB149_122
.LBB149_6:
	s_or_b64 exec, exec, s[54:55]
	v_cmp_gt_i32_e32 vcc, s61, v15
	s_and_saveexec_b64 s[54:55], vcc
	s_cbranch_execnz .LBB149_150
.LBB149_7:
	s_or_b64 exec, exec, s[54:55]
	v_cmp_gt_i32_e32 vcc, s61, v15
	s_and_saveexec_b64 s[54:55], vcc
	s_cbranch_execnz .LBB149_178
.LBB149_8:
	s_or_b64 exec, exec, s[54:55]
	v_cmp_gt_i32_e32 vcc, s61, v15
	s_and_saveexec_b64 s[54:55], vcc
	s_cbranch_execnz .LBB149_206
	s_branch .LBB149_234
.LBB149_9:
	s_andn2_b64 vcc, exec, s[36:37]
                                        ; implicit-def: $vgpr0
                                        ; implicit-def: $vgpr2
	s_cbranch_vccnz .LBB149_20
; %bb.10:
	s_andn2_b64 vcc, exec, s[52:53]
	s_cbranch_vccnz .LBB149_14
; %bb.11:
	s_add_i32 s63, s62, 1
	s_cmp_eq_u32 s60, 2
	s_cbranch_scc1 .LBB149_15
; %bb.12:
	s_and_b32 s45, s63, 28
	v_mov_b32_e32 v2, 0
	s_mov_b32 s64, 0
	s_mov_b64 s[56:57], s[34:35]
	s_mov_b64 s[58:59], s[50:51]
	v_mov_b32_e32 v0, 0
	v_mov_b32_e32 v1, v15
.LBB149_13:                             ; =>This Inner Loop Header: Depth=1
	s_load_dwordx8 s[8:15], s[56:57], 0x4
	s_load_dwordx4 s[28:31], s[56:57], 0x24
	s_load_dwordx8 s[0:7], s[58:59], 0x0
	s_add_u32 s56, s56, 48
	s_addc_u32 s57, s57, 0
	s_waitcnt lgkmcnt(0)
	v_mul_hi_u32 v3, s9, v1
	s_add_i32 s64, s64, 4
	s_add_u32 s58, s58, 32
	s_addc_u32 s59, s59, 0
	v_add_u32_e32 v3, v1, v3
	v_lshrrev_b32_e32 v3, s10, v3
	v_mul_lo_u32 v4, v3, s8
	v_mul_hi_u32 v5, s12, v3
	s_cmp_lg_u32 s45, s64
	v_sub_u32_e32 v1, v1, v4
	v_add_u32_e32 v4, v3, v5
	v_mul_lo_u32 v5, v1, s0
	v_mul_lo_u32 v6, v1, s1
	v_lshrrev_b32_e32 v1, s13, v4
	v_mul_lo_u32 v4, v1, s11
	v_mul_hi_u32 v7, s15, v1
	v_sub_u32_e32 v3, v3, v4
	v_add_u32_e32 v4, v1, v7
	v_lshrrev_b32_e32 v4, s28, v4
	v_mul_hi_u32 v8, s30, v4
	v_mul_lo_u32 v9, v4, s14
	v_mul_lo_u32 v7, v3, s2
	;; [unrolled: 1-line block ×3, first 2 shown]
	v_sub_u32_e32 v9, v1, v9
	v_add_u32_e32 v1, v4, v8
	v_lshrrev_b32_e32 v1, s31, v1
	v_mul_lo_u32 v8, v1, s29
	v_mul_lo_u32 v10, v9, s4
	v_mul_lo_u32 v9, v9, s5
	v_add3_u32 v0, v5, v0, v7
	v_sub_u32_e32 v4, v4, v8
	v_mul_lo_u32 v8, v4, s6
	v_mul_lo_u32 v4, v4, s7
	v_add3_u32 v2, v6, v2, v3
	v_add3_u32 v0, v10, v0, v8
	;; [unrolled: 1-line block ×3, first 2 shown]
	s_cbranch_scc1 .LBB149_13
	s_branch .LBB149_16
.LBB149_14:
	v_mov_b32_e32 v0, 0
	v_mov_b32_e32 v2, 0
	s_branch .LBB149_19
.LBB149_15:
	s_mov_b32 s45, 0
	v_mov_b32_e32 v0, 0
	v_mov_b32_e32 v2, 0
	;; [unrolled: 1-line block ×3, first 2 shown]
.LBB149_16:
	s_and_b32 s4, s63, 3
	s_cmp_eq_u32 s4, 0
	s_cbranch_scc1 .LBB149_19
; %bb.17:
	s_lshl_b32 s0, s45, 3
	s_add_u32 s0, s34, s0
	s_addc_u32 s1, s35, 0
	s_add_u32 s0, s0, 0xc4
	s_addc_u32 s1, s1, 0
	s_mul_i32 s2, s45, 12
	s_add_u32 s2, s34, s2
	s_addc_u32 s3, s35, 0
.LBB149_18:                             ; =>This Inner Loop Header: Depth=1
	s_load_dwordx2 s[6:7], s[2:3], 0x4
	s_load_dword s5, s[2:3], 0xc
	s_load_dwordx2 s[8:9], s[0:1], 0x0
	s_add_u32 s2, s2, 12
	s_addc_u32 s3, s3, 0
	s_waitcnt lgkmcnt(0)
	v_mul_hi_u32 v3, s7, v1
	s_add_u32 s0, s0, 8
	s_addc_u32 s1, s1, 0
	s_add_i32 s4, s4, -1
	v_add_u32_e32 v3, v1, v3
	v_lshrrev_b32_e32 v4, s5, v3
	v_mul_lo_u32 v3, v4, s6
	s_cmp_lg_u32 s4, 0
	v_sub_u32_e32 v3, v1, v3
	v_mad_u64_u32 v[0:1], s[6:7], v3, s8, v[0:1]
	v_mad_u64_u32 v[2:3], s[6:7], v3, s9, v[2:3]
	v_mov_b32_e32 v1, v4
	s_cbranch_scc1 .LBB149_18
.LBB149_19:
	s_mov_b64 s[0:1], 0
.LBB149_20:
	s_andn2_b64 vcc, exec, s[0:1]
	s_cbranch_vccnz .LBB149_23
; %bb.21:
	v_mul_hi_u32 v0, s21, v15
	s_andn2_b64 vcc, exec, s[48:49]
	v_add_u32_e32 v0, v15, v0
	v_lshrrev_b32_e32 v1, s22, v0
	v_mul_lo_u32 v0, v1, s20
	v_sub_u32_e32 v2, v15, v0
	v_mul_lo_u32 v0, v2, s24
	v_mul_lo_u32 v2, v2, s25
	s_cbranch_vccnz .LBB149_23
; %bb.22:
	v_mul_hi_u32 v3, s46, v1
	v_add_u32_e32 v3, v1, v3
	v_lshrrev_b32_e32 v3, s47, v3
	v_mul_lo_u32 v3, v3, s23
	v_sub_u32_e32 v3, v1, v3
	v_mad_u64_u32 v[0:1], s[0:1], v3, s26, v[0:1]
	v_mad_u64_u32 v[2:3], s[0:1], v3, s27, v[2:3]
.LBB149_23:
	global_load_ubyte v1, v2, s[18:19]
	s_cmp_lt_i32 s44, 1
	s_mov_b64 s[2:3], 0
	s_waitcnt vmcnt(0)
	v_cmp_ne_u16_e64 s[0:1], 0, v1
	s_cbranch_scc1 .LBB149_27
; %bb.24:
	s_cmp_gt_i32 s44, 1
	s_cbranch_scc0 .LBB149_28
; %bb.25:
	s_cmp_eq_u32 s44, 2
	s_cbranch_scc0 .LBB149_29
; %bb.26:
	s_xor_b64 s[4:5], s[0:1], -1
	s_or_b64 s[4:5], s[42:43], s[4:5]
	s_mov_b64 s[6:7], 0
	s_branch .LBB149_30
.LBB149_27:
                                        ; implicit-def: $sgpr4_sgpr5
	s_mov_b64 s[6:7], 0
	s_cbranch_execnz .LBB149_33
	s_branch .LBB149_34
.LBB149_28:
	s_mov_b64 s[6:7], 0
                                        ; implicit-def: $sgpr4_sgpr5
	s_cbranch_execnz .LBB149_31
	s_branch .LBB149_32
.LBB149_29:
	s_mov_b64 s[6:7], -1
                                        ; implicit-def: $sgpr4_sgpr5
.LBB149_30:
	s_branch .LBB149_32
.LBB149_31:
	s_and_b64 s[8:9], s[0:1], s[40:41]
	s_andn2_b64 s[4:5], s[4:5], exec
	s_and_b64 s[8:9], s[8:9], exec
	s_or_b64 s[4:5], s[4:5], s[8:9]
.LBB149_32:
	s_branch .LBB149_34
.LBB149_33:
	s_cmp_lg_u32 s44, 0
	s_mov_b64 s[2:3], -1
	s_cselect_b64 s[6:7], -1, 0
.LBB149_34:
	s_andn2_b64 vcc, exec, s[6:7]
	s_cbranch_vccz .LBB149_43
; %bb.35:
	s_andn2_b64 vcc, exec, s[2:3]
	s_cbranch_vccnz .LBB149_37
.LBB149_36:
	s_or_b64 s[0:1], s[0:1], s[40:41]
	s_andn2_b64 s[2:3], s[4:5], exec
	s_and_b64 s[0:1], s[0:1], exec
	s_or_b64 s[4:5], s[2:3], s[0:1]
.LBB149_37:
	v_cndmask_b32_e64 v1, 0, 1, s[4:5]
	v_add_u32_e32 v15, 0x80, v15
	global_store_byte v0, v1, s[16:17]
	s_or_b64 exec, exec, s[54:55]
	v_cmp_gt_i32_e32 vcc, s61, v15
	s_and_saveexec_b64 s[54:55], vcc
	s_cbranch_execz .LBB149_3
.LBB149_38:
	s_andn2_b64 vcc, exec, s[36:37]
	s_cbranch_vccnz .LBB149_44
; %bb.39:
	s_andn2_b64 vcc, exec, s[52:53]
	s_cbranch_vccnz .LBB149_45
; %bb.40:
	s_add_i32 s63, s62, 1
	s_cmp_eq_u32 s60, 2
	s_cbranch_scc1 .LBB149_46
; %bb.41:
	s_and_b32 s45, s63, 28
	v_mov_b32_e32 v2, 0
	s_mov_b32 s64, 0
	s_mov_b64 s[56:57], s[34:35]
	s_mov_b64 s[58:59], s[50:51]
	v_mov_b32_e32 v0, 0
	v_mov_b32_e32 v1, v15
.LBB149_42:                             ; =>This Inner Loop Header: Depth=1
	s_load_dwordx8 s[8:15], s[56:57], 0x4
	s_load_dwordx4 s[28:31], s[56:57], 0x24
	s_load_dwordx8 s[0:7], s[58:59], 0x0
	s_add_u32 s56, s56, 48
	s_addc_u32 s57, s57, 0
	s_waitcnt lgkmcnt(0)
	v_mul_hi_u32 v3, s9, v1
	s_add_i32 s64, s64, 4
	s_add_u32 s58, s58, 32
	s_addc_u32 s59, s59, 0
	v_add_u32_e32 v3, v1, v3
	v_lshrrev_b32_e32 v3, s10, v3
	v_mul_lo_u32 v4, v3, s8
	v_mul_hi_u32 v5, s12, v3
	s_cmp_eq_u32 s45, s64
	v_sub_u32_e32 v1, v1, v4
	v_add_u32_e32 v4, v3, v5
	v_mul_lo_u32 v5, v1, s0
	v_mul_lo_u32 v6, v1, s1
	v_lshrrev_b32_e32 v1, s13, v4
	v_mul_lo_u32 v4, v1, s11
	v_mul_hi_u32 v7, s15, v1
	v_sub_u32_e32 v3, v3, v4
	v_add_u32_e32 v4, v1, v7
	v_lshrrev_b32_e32 v4, s28, v4
	v_mul_hi_u32 v8, s30, v4
	v_mul_lo_u32 v9, v4, s14
	v_mul_lo_u32 v7, v3, s2
	;; [unrolled: 1-line block ×3, first 2 shown]
	v_sub_u32_e32 v9, v1, v9
	v_add_u32_e32 v1, v4, v8
	v_lshrrev_b32_e32 v1, s31, v1
	v_mul_lo_u32 v8, v1, s29
	v_mul_lo_u32 v10, v9, s4
	;; [unrolled: 1-line block ×3, first 2 shown]
	v_add3_u32 v0, v5, v0, v7
	v_sub_u32_e32 v4, v4, v8
	v_mul_lo_u32 v8, v4, s6
	v_mul_lo_u32 v4, v4, s7
	v_add3_u32 v2, v6, v2, v3
	v_add3_u32 v0, v10, v0, v8
	v_add3_u32 v2, v9, v2, v4
	s_cbranch_scc0 .LBB149_42
	s_branch .LBB149_47
.LBB149_43:
	s_xor_b64 s[2:3], s[0:1], -1
	s_and_b64 s[6:7], s[42:43], s[2:3]
	s_andn2_b64 s[4:5], s[4:5], exec
	s_and_b64 s[6:7], s[6:7], exec
	s_or_b64 s[4:5], s[4:5], s[6:7]
	s_cbranch_execz .LBB149_36
	s_branch .LBB149_37
.LBB149_44:
                                        ; implicit-def: $vgpr0
                                        ; implicit-def: $vgpr2
	s_branch .LBB149_51
.LBB149_45:
	v_mov_b32_e32 v0, 0
	v_mov_b32_e32 v2, 0
	s_branch .LBB149_50
.LBB149_46:
	s_mov_b32 s45, 0
	v_mov_b32_e32 v0, 0
	v_mov_b32_e32 v2, 0
	;; [unrolled: 1-line block ×3, first 2 shown]
.LBB149_47:
	s_and_b32 s4, s63, 3
	s_cmp_eq_u32 s4, 0
	s_cbranch_scc1 .LBB149_50
; %bb.48:
	s_lshl_b32 s0, s45, 3
	s_add_u32 s0, s34, s0
	s_addc_u32 s1, s35, 0
	s_add_u32 s0, s0, 0xc4
	s_addc_u32 s1, s1, 0
	s_mul_i32 s2, s45, 12
	s_add_u32 s2, s34, s2
	s_addc_u32 s3, s35, 0
.LBB149_49:                             ; =>This Inner Loop Header: Depth=1
	s_load_dwordx2 s[6:7], s[2:3], 0x4
	s_load_dword s5, s[2:3], 0xc
	s_load_dwordx2 s[8:9], s[0:1], 0x0
	s_add_u32 s2, s2, 12
	s_addc_u32 s3, s3, 0
	s_waitcnt lgkmcnt(0)
	v_mul_hi_u32 v3, s7, v1
	s_add_u32 s0, s0, 8
	s_addc_u32 s1, s1, 0
	s_add_i32 s4, s4, -1
	v_add_u32_e32 v3, v1, v3
	v_lshrrev_b32_e32 v4, s5, v3
	v_mul_lo_u32 v3, v4, s6
	s_cmp_lg_u32 s4, 0
	v_sub_u32_e32 v3, v1, v3
	v_mad_u64_u32 v[0:1], s[6:7], v3, s8, v[0:1]
	v_mad_u64_u32 v[2:3], s[6:7], v3, s9, v[2:3]
	v_mov_b32_e32 v1, v4
	s_cbranch_scc1 .LBB149_49
.LBB149_50:
	s_cbranch_execnz .LBB149_53
.LBB149_51:
	v_mul_hi_u32 v0, s21, v15
	s_andn2_b64 vcc, exec, s[48:49]
	v_add_u32_e32 v0, v15, v0
	v_lshrrev_b32_e32 v1, s22, v0
	v_mul_lo_u32 v0, v1, s20
	v_sub_u32_e32 v2, v15, v0
	v_mul_lo_u32 v0, v2, s24
	v_mul_lo_u32 v2, v2, s25
	s_cbranch_vccnz .LBB149_53
; %bb.52:
	v_mul_hi_u32 v3, s46, v1
	v_add_u32_e32 v3, v1, v3
	v_lshrrev_b32_e32 v3, s47, v3
	v_mul_lo_u32 v3, v3, s23
	v_sub_u32_e32 v3, v1, v3
	v_mad_u64_u32 v[0:1], s[0:1], v3, s26, v[0:1]
	v_mad_u64_u32 v[2:3], s[0:1], v3, s27, v[2:3]
.LBB149_53:
	global_load_ubyte v1, v2, s[18:19]
	s_cmp_lt_i32 s44, 1
	s_mov_b64 s[2:3], 0
	s_waitcnt vmcnt(0)
	v_cmp_ne_u16_e64 s[0:1], 0, v1
	s_cbranch_scc1 .LBB149_57
; %bb.54:
	s_cmp_gt_i32 s44, 1
	s_cbranch_scc0 .LBB149_58
; %bb.55:
	s_cmp_eq_u32 s44, 2
	s_cbranch_scc0 .LBB149_471
; %bb.56:
	s_xor_b64 s[4:5], s[0:1], -1
	s_or_b64 s[4:5], s[42:43], s[4:5]
	s_mov_b64 s[6:7], 0
	s_branch .LBB149_60
.LBB149_57:
                                        ; implicit-def: $sgpr4_sgpr5
	s_mov_b64 s[6:7], 0
	s_cbranch_execnz .LBB149_61
	s_branch .LBB149_62
.LBB149_58:
	s_mov_b64 s[6:7], 0
                                        ; implicit-def: $sgpr4_sgpr5
	s_cbranch_execz .LBB149_60
; %bb.59:
	s_and_b64 s[8:9], s[0:1], s[40:41]
	s_andn2_b64 s[4:5], s[4:5], exec
	s_and_b64 s[8:9], s[8:9], exec
	s_or_b64 s[4:5], s[4:5], s[8:9]
.LBB149_60:
	s_branch .LBB149_62
.LBB149_61:
	s_cmp_lg_u32 s44, 0
	s_mov_b64 s[2:3], -1
	s_cselect_b64 s[6:7], -1, 0
.LBB149_62:
	s_andn2_b64 vcc, exec, s[6:7]
	s_cbranch_vccz .LBB149_71
; %bb.63:
	s_andn2_b64 vcc, exec, s[2:3]
	s_cbranch_vccnz .LBB149_65
.LBB149_64:
	s_or_b64 s[0:1], s[0:1], s[40:41]
	s_andn2_b64 s[2:3], s[4:5], exec
	s_and_b64 s[0:1], s[0:1], exec
	s_or_b64 s[4:5], s[2:3], s[0:1]
.LBB149_65:
	v_cndmask_b32_e64 v1, 0, 1, s[4:5]
	v_add_u32_e32 v15, 0x80, v15
	global_store_byte v0, v1, s[16:17]
	s_or_b64 exec, exec, s[54:55]
	v_cmp_gt_i32_e32 vcc, s61, v15
	s_and_saveexec_b64 s[54:55], vcc
	s_cbranch_execz .LBB149_4
.LBB149_66:
	s_andn2_b64 vcc, exec, s[36:37]
	s_cbranch_vccnz .LBB149_72
; %bb.67:
	s_andn2_b64 vcc, exec, s[52:53]
	s_cbranch_vccnz .LBB149_73
; %bb.68:
	s_add_i32 s63, s62, 1
	s_cmp_eq_u32 s60, 2
	s_cbranch_scc1 .LBB149_74
; %bb.69:
	s_and_b32 s45, s63, 28
	v_mov_b32_e32 v2, 0
	s_mov_b32 s64, 0
	s_mov_b64 s[56:57], s[34:35]
	s_mov_b64 s[58:59], s[50:51]
	v_mov_b32_e32 v0, 0
	v_mov_b32_e32 v1, v15
.LBB149_70:                             ; =>This Inner Loop Header: Depth=1
	s_load_dwordx8 s[8:15], s[56:57], 0x4
	s_load_dwordx4 s[28:31], s[56:57], 0x24
	s_load_dwordx8 s[0:7], s[58:59], 0x0
	s_add_u32 s56, s56, 48
	s_addc_u32 s57, s57, 0
	s_waitcnt lgkmcnt(0)
	v_mul_hi_u32 v3, s9, v1
	s_add_i32 s64, s64, 4
	s_add_u32 s58, s58, 32
	s_addc_u32 s59, s59, 0
	v_add_u32_e32 v3, v1, v3
	v_lshrrev_b32_e32 v3, s10, v3
	v_mul_lo_u32 v4, v3, s8
	v_mul_hi_u32 v5, s12, v3
	s_cmp_eq_u32 s45, s64
	v_sub_u32_e32 v1, v1, v4
	v_add_u32_e32 v4, v3, v5
	v_mul_lo_u32 v5, v1, s0
	v_mul_lo_u32 v6, v1, s1
	v_lshrrev_b32_e32 v1, s13, v4
	v_mul_lo_u32 v4, v1, s11
	v_mul_hi_u32 v7, s15, v1
	v_sub_u32_e32 v3, v3, v4
	v_add_u32_e32 v4, v1, v7
	v_lshrrev_b32_e32 v4, s28, v4
	v_mul_hi_u32 v8, s30, v4
	v_mul_lo_u32 v9, v4, s14
	v_mul_lo_u32 v7, v3, s2
	;; [unrolled: 1-line block ×3, first 2 shown]
	v_sub_u32_e32 v9, v1, v9
	v_add_u32_e32 v1, v4, v8
	v_lshrrev_b32_e32 v1, s31, v1
	v_mul_lo_u32 v8, v1, s29
	v_mul_lo_u32 v10, v9, s4
	;; [unrolled: 1-line block ×3, first 2 shown]
	v_add3_u32 v0, v5, v0, v7
	v_sub_u32_e32 v4, v4, v8
	v_mul_lo_u32 v8, v4, s6
	v_mul_lo_u32 v4, v4, s7
	v_add3_u32 v2, v6, v2, v3
	v_add3_u32 v0, v10, v0, v8
	v_add3_u32 v2, v9, v2, v4
	s_cbranch_scc0 .LBB149_70
	s_branch .LBB149_75
.LBB149_71:
	s_xor_b64 s[2:3], s[0:1], -1
	s_and_b64 s[6:7], s[42:43], s[2:3]
	s_andn2_b64 s[4:5], s[4:5], exec
	s_and_b64 s[6:7], s[6:7], exec
	s_or_b64 s[4:5], s[4:5], s[6:7]
	s_cbranch_execz .LBB149_64
	s_branch .LBB149_65
.LBB149_72:
                                        ; implicit-def: $vgpr0
                                        ; implicit-def: $vgpr2
	s_branch .LBB149_79
.LBB149_73:
	v_mov_b32_e32 v0, 0
	v_mov_b32_e32 v2, 0
	s_branch .LBB149_78
.LBB149_74:
	s_mov_b32 s45, 0
	v_mov_b32_e32 v0, 0
	v_mov_b32_e32 v2, 0
	;; [unrolled: 1-line block ×3, first 2 shown]
.LBB149_75:
	s_and_b32 s4, s63, 3
	s_cmp_eq_u32 s4, 0
	s_cbranch_scc1 .LBB149_78
; %bb.76:
	s_lshl_b32 s0, s45, 3
	s_add_u32 s0, s34, s0
	s_addc_u32 s1, s35, 0
	s_add_u32 s0, s0, 0xc4
	s_addc_u32 s1, s1, 0
	s_mul_i32 s2, s45, 12
	s_add_u32 s2, s34, s2
	s_addc_u32 s3, s35, 0
.LBB149_77:                             ; =>This Inner Loop Header: Depth=1
	s_load_dwordx2 s[6:7], s[2:3], 0x4
	s_load_dword s5, s[2:3], 0xc
	s_load_dwordx2 s[8:9], s[0:1], 0x0
	s_add_u32 s2, s2, 12
	s_addc_u32 s3, s3, 0
	s_waitcnt lgkmcnt(0)
	v_mul_hi_u32 v3, s7, v1
	s_add_u32 s0, s0, 8
	s_addc_u32 s1, s1, 0
	s_add_i32 s4, s4, -1
	v_add_u32_e32 v3, v1, v3
	v_lshrrev_b32_e32 v4, s5, v3
	v_mul_lo_u32 v3, v4, s6
	s_cmp_lg_u32 s4, 0
	v_sub_u32_e32 v3, v1, v3
	v_mad_u64_u32 v[0:1], s[6:7], v3, s8, v[0:1]
	v_mad_u64_u32 v[2:3], s[6:7], v3, s9, v[2:3]
	v_mov_b32_e32 v1, v4
	s_cbranch_scc1 .LBB149_77
.LBB149_78:
	s_cbranch_execnz .LBB149_81
.LBB149_79:
	v_mul_hi_u32 v0, s21, v15
	s_andn2_b64 vcc, exec, s[48:49]
	v_add_u32_e32 v0, v15, v0
	v_lshrrev_b32_e32 v1, s22, v0
	v_mul_lo_u32 v0, v1, s20
	v_sub_u32_e32 v2, v15, v0
	v_mul_lo_u32 v0, v2, s24
	v_mul_lo_u32 v2, v2, s25
	s_cbranch_vccnz .LBB149_81
; %bb.80:
	v_mul_hi_u32 v3, s46, v1
	v_add_u32_e32 v3, v1, v3
	v_lshrrev_b32_e32 v3, s47, v3
	v_mul_lo_u32 v3, v3, s23
	v_sub_u32_e32 v3, v1, v3
	v_mad_u64_u32 v[0:1], s[0:1], v3, s26, v[0:1]
	v_mad_u64_u32 v[2:3], s[0:1], v3, s27, v[2:3]
.LBB149_81:
	global_load_ubyte v1, v2, s[18:19]
	s_cmp_lt_i32 s44, 1
	s_mov_b64 s[2:3], 0
	s_waitcnt vmcnt(0)
	v_cmp_ne_u16_e64 s[0:1], 0, v1
	s_cbranch_scc1 .LBB149_85
; %bb.82:
	s_cmp_gt_i32 s44, 1
	s_cbranch_scc0 .LBB149_86
; %bb.83:
	s_cmp_eq_u32 s44, 2
	s_cbranch_scc0 .LBB149_472
; %bb.84:
	s_xor_b64 s[4:5], s[0:1], -1
	s_or_b64 s[4:5], s[42:43], s[4:5]
	s_mov_b64 s[6:7], 0
	s_branch .LBB149_88
.LBB149_85:
                                        ; implicit-def: $sgpr4_sgpr5
	s_mov_b64 s[6:7], 0
	s_cbranch_execnz .LBB149_89
	s_branch .LBB149_90
.LBB149_86:
	s_mov_b64 s[6:7], 0
                                        ; implicit-def: $sgpr4_sgpr5
	s_cbranch_execz .LBB149_88
; %bb.87:
	s_and_b64 s[8:9], s[0:1], s[40:41]
	s_andn2_b64 s[4:5], s[4:5], exec
	s_and_b64 s[8:9], s[8:9], exec
	s_or_b64 s[4:5], s[4:5], s[8:9]
.LBB149_88:
	s_branch .LBB149_90
.LBB149_89:
	s_cmp_lg_u32 s44, 0
	s_mov_b64 s[2:3], -1
	s_cselect_b64 s[6:7], -1, 0
.LBB149_90:
	s_andn2_b64 vcc, exec, s[6:7]
	s_cbranch_vccz .LBB149_99
; %bb.91:
	s_andn2_b64 vcc, exec, s[2:3]
	s_cbranch_vccnz .LBB149_93
.LBB149_92:
	s_or_b64 s[0:1], s[0:1], s[40:41]
	s_andn2_b64 s[2:3], s[4:5], exec
	s_and_b64 s[0:1], s[0:1], exec
	s_or_b64 s[4:5], s[2:3], s[0:1]
.LBB149_93:
	v_cndmask_b32_e64 v1, 0, 1, s[4:5]
	v_add_u32_e32 v15, 0x80, v15
	global_store_byte v0, v1, s[16:17]
	s_or_b64 exec, exec, s[54:55]
	v_cmp_gt_i32_e32 vcc, s61, v15
	s_and_saveexec_b64 s[54:55], vcc
	s_cbranch_execz .LBB149_5
.LBB149_94:
	s_andn2_b64 vcc, exec, s[36:37]
	s_cbranch_vccnz .LBB149_100
; %bb.95:
	s_andn2_b64 vcc, exec, s[52:53]
	s_cbranch_vccnz .LBB149_101
; %bb.96:
	s_add_i32 s63, s62, 1
	s_cmp_eq_u32 s60, 2
	s_cbranch_scc1 .LBB149_102
; %bb.97:
	s_and_b32 s45, s63, 28
	v_mov_b32_e32 v2, 0
	s_mov_b32 s64, 0
	s_mov_b64 s[56:57], s[34:35]
	s_mov_b64 s[58:59], s[50:51]
	v_mov_b32_e32 v0, 0
	v_mov_b32_e32 v1, v15
.LBB149_98:                             ; =>This Inner Loop Header: Depth=1
	s_load_dwordx8 s[8:15], s[56:57], 0x4
	s_load_dwordx4 s[28:31], s[56:57], 0x24
	s_load_dwordx8 s[0:7], s[58:59], 0x0
	s_add_u32 s56, s56, 48
	s_addc_u32 s57, s57, 0
	s_waitcnt lgkmcnt(0)
	v_mul_hi_u32 v3, s9, v1
	s_add_i32 s64, s64, 4
	s_add_u32 s58, s58, 32
	s_addc_u32 s59, s59, 0
	v_add_u32_e32 v3, v1, v3
	v_lshrrev_b32_e32 v3, s10, v3
	v_mul_lo_u32 v4, v3, s8
	v_mul_hi_u32 v5, s12, v3
	s_cmp_eq_u32 s45, s64
	v_sub_u32_e32 v1, v1, v4
	v_add_u32_e32 v4, v3, v5
	v_mul_lo_u32 v5, v1, s0
	v_mul_lo_u32 v6, v1, s1
	v_lshrrev_b32_e32 v1, s13, v4
	v_mul_lo_u32 v4, v1, s11
	v_mul_hi_u32 v7, s15, v1
	v_sub_u32_e32 v3, v3, v4
	v_add_u32_e32 v4, v1, v7
	v_lshrrev_b32_e32 v4, s28, v4
	v_mul_hi_u32 v8, s30, v4
	v_mul_lo_u32 v9, v4, s14
	v_mul_lo_u32 v7, v3, s2
	;; [unrolled: 1-line block ×3, first 2 shown]
	v_sub_u32_e32 v9, v1, v9
	v_add_u32_e32 v1, v4, v8
	v_lshrrev_b32_e32 v1, s31, v1
	v_mul_lo_u32 v8, v1, s29
	v_mul_lo_u32 v10, v9, s4
	;; [unrolled: 1-line block ×3, first 2 shown]
	v_add3_u32 v0, v5, v0, v7
	v_sub_u32_e32 v4, v4, v8
	v_mul_lo_u32 v8, v4, s6
	v_mul_lo_u32 v4, v4, s7
	v_add3_u32 v2, v6, v2, v3
	v_add3_u32 v0, v10, v0, v8
	;; [unrolled: 1-line block ×3, first 2 shown]
	s_cbranch_scc0 .LBB149_98
	s_branch .LBB149_103
.LBB149_99:
	s_xor_b64 s[2:3], s[0:1], -1
	s_and_b64 s[6:7], s[42:43], s[2:3]
	s_andn2_b64 s[4:5], s[4:5], exec
	s_and_b64 s[6:7], s[6:7], exec
	s_or_b64 s[4:5], s[4:5], s[6:7]
	s_cbranch_execz .LBB149_92
	s_branch .LBB149_93
.LBB149_100:
                                        ; implicit-def: $vgpr0
                                        ; implicit-def: $vgpr2
	s_branch .LBB149_107
.LBB149_101:
	v_mov_b32_e32 v0, 0
	v_mov_b32_e32 v2, 0
	s_branch .LBB149_106
.LBB149_102:
	s_mov_b32 s45, 0
	v_mov_b32_e32 v0, 0
	v_mov_b32_e32 v2, 0
	;; [unrolled: 1-line block ×3, first 2 shown]
.LBB149_103:
	s_and_b32 s4, s63, 3
	s_cmp_eq_u32 s4, 0
	s_cbranch_scc1 .LBB149_106
; %bb.104:
	s_lshl_b32 s0, s45, 3
	s_add_u32 s0, s34, s0
	s_addc_u32 s1, s35, 0
	s_add_u32 s0, s0, 0xc4
	s_addc_u32 s1, s1, 0
	s_mul_i32 s2, s45, 12
	s_add_u32 s2, s34, s2
	s_addc_u32 s3, s35, 0
.LBB149_105:                            ; =>This Inner Loop Header: Depth=1
	s_load_dwordx2 s[6:7], s[2:3], 0x4
	s_load_dword s5, s[2:3], 0xc
	s_load_dwordx2 s[8:9], s[0:1], 0x0
	s_add_u32 s2, s2, 12
	s_addc_u32 s3, s3, 0
	s_waitcnt lgkmcnt(0)
	v_mul_hi_u32 v3, s7, v1
	s_add_u32 s0, s0, 8
	s_addc_u32 s1, s1, 0
	s_add_i32 s4, s4, -1
	v_add_u32_e32 v3, v1, v3
	v_lshrrev_b32_e32 v4, s5, v3
	v_mul_lo_u32 v3, v4, s6
	s_cmp_lg_u32 s4, 0
	v_sub_u32_e32 v3, v1, v3
	v_mad_u64_u32 v[0:1], s[6:7], v3, s8, v[0:1]
	v_mad_u64_u32 v[2:3], s[6:7], v3, s9, v[2:3]
	v_mov_b32_e32 v1, v4
	s_cbranch_scc1 .LBB149_105
.LBB149_106:
	s_cbranch_execnz .LBB149_109
.LBB149_107:
	v_mul_hi_u32 v0, s21, v15
	s_andn2_b64 vcc, exec, s[48:49]
	v_add_u32_e32 v0, v15, v0
	v_lshrrev_b32_e32 v1, s22, v0
	v_mul_lo_u32 v0, v1, s20
	v_sub_u32_e32 v2, v15, v0
	v_mul_lo_u32 v0, v2, s24
	v_mul_lo_u32 v2, v2, s25
	s_cbranch_vccnz .LBB149_109
; %bb.108:
	v_mul_hi_u32 v3, s46, v1
	v_add_u32_e32 v3, v1, v3
	v_lshrrev_b32_e32 v3, s47, v3
	v_mul_lo_u32 v3, v3, s23
	v_sub_u32_e32 v3, v1, v3
	v_mad_u64_u32 v[0:1], s[0:1], v3, s26, v[0:1]
	v_mad_u64_u32 v[2:3], s[0:1], v3, s27, v[2:3]
.LBB149_109:
	global_load_ubyte v1, v2, s[18:19]
	s_cmp_lt_i32 s44, 1
	s_mov_b64 s[2:3], 0
	s_waitcnt vmcnt(0)
	v_cmp_ne_u16_e64 s[0:1], 0, v1
	s_cbranch_scc1 .LBB149_113
; %bb.110:
	s_cmp_gt_i32 s44, 1
	s_cbranch_scc0 .LBB149_114
; %bb.111:
	s_cmp_eq_u32 s44, 2
	s_cbranch_scc0 .LBB149_473
; %bb.112:
	s_xor_b64 s[4:5], s[0:1], -1
	s_or_b64 s[4:5], s[42:43], s[4:5]
	s_mov_b64 s[6:7], 0
	s_branch .LBB149_116
.LBB149_113:
                                        ; implicit-def: $sgpr4_sgpr5
	s_mov_b64 s[6:7], 0
	s_cbranch_execnz .LBB149_117
	s_branch .LBB149_118
.LBB149_114:
	s_mov_b64 s[6:7], 0
                                        ; implicit-def: $sgpr4_sgpr5
	s_cbranch_execz .LBB149_116
; %bb.115:
	s_and_b64 s[8:9], s[0:1], s[40:41]
	s_andn2_b64 s[4:5], s[4:5], exec
	s_and_b64 s[8:9], s[8:9], exec
	s_or_b64 s[4:5], s[4:5], s[8:9]
.LBB149_116:
	s_branch .LBB149_118
.LBB149_117:
	s_cmp_lg_u32 s44, 0
	s_mov_b64 s[2:3], -1
	s_cselect_b64 s[6:7], -1, 0
.LBB149_118:
	s_andn2_b64 vcc, exec, s[6:7]
	s_cbranch_vccz .LBB149_127
; %bb.119:
	s_andn2_b64 vcc, exec, s[2:3]
	s_cbranch_vccnz .LBB149_121
.LBB149_120:
	s_or_b64 s[0:1], s[0:1], s[40:41]
	s_andn2_b64 s[2:3], s[4:5], exec
	s_and_b64 s[0:1], s[0:1], exec
	s_or_b64 s[4:5], s[2:3], s[0:1]
.LBB149_121:
	v_cndmask_b32_e64 v1, 0, 1, s[4:5]
	v_add_u32_e32 v15, 0x80, v15
	global_store_byte v0, v1, s[16:17]
	s_or_b64 exec, exec, s[54:55]
	v_cmp_gt_i32_e32 vcc, s61, v15
	s_and_saveexec_b64 s[54:55], vcc
	s_cbranch_execz .LBB149_6
.LBB149_122:
	s_andn2_b64 vcc, exec, s[36:37]
	s_cbranch_vccnz .LBB149_128
; %bb.123:
	s_andn2_b64 vcc, exec, s[52:53]
	s_cbranch_vccnz .LBB149_129
; %bb.124:
	s_add_i32 s63, s62, 1
	s_cmp_eq_u32 s60, 2
	s_cbranch_scc1 .LBB149_130
; %bb.125:
	s_and_b32 s45, s63, 28
	v_mov_b32_e32 v2, 0
	s_mov_b32 s64, 0
	s_mov_b64 s[56:57], s[34:35]
	s_mov_b64 s[58:59], s[50:51]
	v_mov_b32_e32 v0, 0
	v_mov_b32_e32 v1, v15
.LBB149_126:                            ; =>This Inner Loop Header: Depth=1
	s_load_dwordx8 s[8:15], s[56:57], 0x4
	s_load_dwordx4 s[28:31], s[56:57], 0x24
	s_load_dwordx8 s[0:7], s[58:59], 0x0
	s_add_u32 s56, s56, 48
	s_addc_u32 s57, s57, 0
	s_waitcnt lgkmcnt(0)
	v_mul_hi_u32 v3, s9, v1
	s_add_i32 s64, s64, 4
	s_add_u32 s58, s58, 32
	s_addc_u32 s59, s59, 0
	v_add_u32_e32 v3, v1, v3
	v_lshrrev_b32_e32 v3, s10, v3
	v_mul_lo_u32 v4, v3, s8
	v_mul_hi_u32 v5, s12, v3
	s_cmp_eq_u32 s45, s64
	v_sub_u32_e32 v1, v1, v4
	v_add_u32_e32 v4, v3, v5
	v_mul_lo_u32 v5, v1, s0
	v_mul_lo_u32 v6, v1, s1
	v_lshrrev_b32_e32 v1, s13, v4
	v_mul_lo_u32 v4, v1, s11
	v_mul_hi_u32 v7, s15, v1
	v_sub_u32_e32 v3, v3, v4
	v_add_u32_e32 v4, v1, v7
	v_lshrrev_b32_e32 v4, s28, v4
	v_mul_hi_u32 v8, s30, v4
	v_mul_lo_u32 v9, v4, s14
	v_mul_lo_u32 v7, v3, s2
	;; [unrolled: 1-line block ×3, first 2 shown]
	v_sub_u32_e32 v9, v1, v9
	v_add_u32_e32 v1, v4, v8
	v_lshrrev_b32_e32 v1, s31, v1
	v_mul_lo_u32 v8, v1, s29
	v_mul_lo_u32 v10, v9, s4
	;; [unrolled: 1-line block ×3, first 2 shown]
	v_add3_u32 v0, v5, v0, v7
	v_sub_u32_e32 v4, v4, v8
	v_mul_lo_u32 v8, v4, s6
	v_mul_lo_u32 v4, v4, s7
	v_add3_u32 v2, v6, v2, v3
	v_add3_u32 v0, v10, v0, v8
	;; [unrolled: 1-line block ×3, first 2 shown]
	s_cbranch_scc0 .LBB149_126
	s_branch .LBB149_131
.LBB149_127:
	s_xor_b64 s[2:3], s[0:1], -1
	s_and_b64 s[6:7], s[42:43], s[2:3]
	s_andn2_b64 s[4:5], s[4:5], exec
	s_and_b64 s[6:7], s[6:7], exec
	s_or_b64 s[4:5], s[4:5], s[6:7]
	s_cbranch_execz .LBB149_120
	s_branch .LBB149_121
.LBB149_128:
                                        ; implicit-def: $vgpr0
                                        ; implicit-def: $vgpr2
	s_branch .LBB149_135
.LBB149_129:
	v_mov_b32_e32 v0, 0
	v_mov_b32_e32 v2, 0
	s_branch .LBB149_134
.LBB149_130:
	s_mov_b32 s45, 0
	v_mov_b32_e32 v0, 0
	v_mov_b32_e32 v2, 0
	;; [unrolled: 1-line block ×3, first 2 shown]
.LBB149_131:
	s_and_b32 s4, s63, 3
	s_cmp_eq_u32 s4, 0
	s_cbranch_scc1 .LBB149_134
; %bb.132:
	s_lshl_b32 s0, s45, 3
	s_add_u32 s0, s34, s0
	s_addc_u32 s1, s35, 0
	s_add_u32 s0, s0, 0xc4
	s_addc_u32 s1, s1, 0
	s_mul_i32 s2, s45, 12
	s_add_u32 s2, s34, s2
	s_addc_u32 s3, s35, 0
.LBB149_133:                            ; =>This Inner Loop Header: Depth=1
	s_load_dwordx2 s[6:7], s[2:3], 0x4
	s_load_dword s5, s[2:3], 0xc
	s_load_dwordx2 s[8:9], s[0:1], 0x0
	s_add_u32 s2, s2, 12
	s_addc_u32 s3, s3, 0
	s_waitcnt lgkmcnt(0)
	v_mul_hi_u32 v3, s7, v1
	s_add_u32 s0, s0, 8
	s_addc_u32 s1, s1, 0
	s_add_i32 s4, s4, -1
	v_add_u32_e32 v3, v1, v3
	v_lshrrev_b32_e32 v4, s5, v3
	v_mul_lo_u32 v3, v4, s6
	s_cmp_lg_u32 s4, 0
	v_sub_u32_e32 v3, v1, v3
	v_mad_u64_u32 v[0:1], s[6:7], v3, s8, v[0:1]
	v_mad_u64_u32 v[2:3], s[6:7], v3, s9, v[2:3]
	v_mov_b32_e32 v1, v4
	s_cbranch_scc1 .LBB149_133
.LBB149_134:
	s_cbranch_execnz .LBB149_137
.LBB149_135:
	v_mul_hi_u32 v0, s21, v15
	s_andn2_b64 vcc, exec, s[48:49]
	v_add_u32_e32 v0, v15, v0
	v_lshrrev_b32_e32 v1, s22, v0
	v_mul_lo_u32 v0, v1, s20
	v_sub_u32_e32 v2, v15, v0
	v_mul_lo_u32 v0, v2, s24
	v_mul_lo_u32 v2, v2, s25
	s_cbranch_vccnz .LBB149_137
; %bb.136:
	v_mul_hi_u32 v3, s46, v1
	v_add_u32_e32 v3, v1, v3
	v_lshrrev_b32_e32 v3, s47, v3
	v_mul_lo_u32 v3, v3, s23
	v_sub_u32_e32 v3, v1, v3
	v_mad_u64_u32 v[0:1], s[0:1], v3, s26, v[0:1]
	v_mad_u64_u32 v[2:3], s[0:1], v3, s27, v[2:3]
.LBB149_137:
	global_load_ubyte v1, v2, s[18:19]
	s_cmp_lt_i32 s44, 1
	s_mov_b64 s[2:3], 0
	s_waitcnt vmcnt(0)
	v_cmp_ne_u16_e64 s[0:1], 0, v1
	s_cbranch_scc1 .LBB149_141
; %bb.138:
	s_cmp_gt_i32 s44, 1
	s_cbranch_scc0 .LBB149_142
; %bb.139:
	s_cmp_eq_u32 s44, 2
	s_cbranch_scc0 .LBB149_474
; %bb.140:
	s_xor_b64 s[4:5], s[0:1], -1
	s_or_b64 s[4:5], s[42:43], s[4:5]
	s_mov_b64 s[6:7], 0
	s_branch .LBB149_144
.LBB149_141:
                                        ; implicit-def: $sgpr4_sgpr5
	s_mov_b64 s[6:7], 0
	s_cbranch_execnz .LBB149_145
	s_branch .LBB149_146
.LBB149_142:
	s_mov_b64 s[6:7], 0
                                        ; implicit-def: $sgpr4_sgpr5
	s_cbranch_execz .LBB149_144
; %bb.143:
	s_and_b64 s[8:9], s[0:1], s[40:41]
	s_andn2_b64 s[4:5], s[4:5], exec
	s_and_b64 s[8:9], s[8:9], exec
	s_or_b64 s[4:5], s[4:5], s[8:9]
.LBB149_144:
	s_branch .LBB149_146
.LBB149_145:
	s_cmp_lg_u32 s44, 0
	s_mov_b64 s[2:3], -1
	s_cselect_b64 s[6:7], -1, 0
.LBB149_146:
	s_andn2_b64 vcc, exec, s[6:7]
	s_cbranch_vccz .LBB149_155
; %bb.147:
	s_andn2_b64 vcc, exec, s[2:3]
	s_cbranch_vccnz .LBB149_149
.LBB149_148:
	s_or_b64 s[0:1], s[0:1], s[40:41]
	s_andn2_b64 s[2:3], s[4:5], exec
	s_and_b64 s[0:1], s[0:1], exec
	s_or_b64 s[4:5], s[2:3], s[0:1]
.LBB149_149:
	v_cndmask_b32_e64 v1, 0, 1, s[4:5]
	v_add_u32_e32 v15, 0x80, v15
	global_store_byte v0, v1, s[16:17]
	s_or_b64 exec, exec, s[54:55]
	v_cmp_gt_i32_e32 vcc, s61, v15
	s_and_saveexec_b64 s[54:55], vcc
	s_cbranch_execz .LBB149_7
.LBB149_150:
	s_andn2_b64 vcc, exec, s[36:37]
	s_cbranch_vccnz .LBB149_156
; %bb.151:
	s_andn2_b64 vcc, exec, s[52:53]
	s_cbranch_vccnz .LBB149_157
; %bb.152:
	s_add_i32 s63, s62, 1
	s_cmp_eq_u32 s60, 2
	s_cbranch_scc1 .LBB149_158
; %bb.153:
	s_and_b32 s45, s63, 28
	v_mov_b32_e32 v2, 0
	s_mov_b32 s64, 0
	s_mov_b64 s[56:57], s[34:35]
	s_mov_b64 s[58:59], s[50:51]
	v_mov_b32_e32 v0, 0
	v_mov_b32_e32 v1, v15
.LBB149_154:                            ; =>This Inner Loop Header: Depth=1
	s_load_dwordx8 s[8:15], s[56:57], 0x4
	s_load_dwordx4 s[28:31], s[56:57], 0x24
	s_load_dwordx8 s[0:7], s[58:59], 0x0
	s_add_u32 s56, s56, 48
	s_addc_u32 s57, s57, 0
	s_waitcnt lgkmcnt(0)
	v_mul_hi_u32 v3, s9, v1
	s_add_i32 s64, s64, 4
	s_add_u32 s58, s58, 32
	s_addc_u32 s59, s59, 0
	v_add_u32_e32 v3, v1, v3
	v_lshrrev_b32_e32 v3, s10, v3
	v_mul_lo_u32 v4, v3, s8
	v_mul_hi_u32 v5, s12, v3
	s_cmp_eq_u32 s45, s64
	v_sub_u32_e32 v1, v1, v4
	v_add_u32_e32 v4, v3, v5
	v_mul_lo_u32 v5, v1, s0
	v_mul_lo_u32 v6, v1, s1
	v_lshrrev_b32_e32 v1, s13, v4
	v_mul_lo_u32 v4, v1, s11
	v_mul_hi_u32 v7, s15, v1
	v_sub_u32_e32 v3, v3, v4
	v_add_u32_e32 v4, v1, v7
	v_lshrrev_b32_e32 v4, s28, v4
	v_mul_hi_u32 v8, s30, v4
	v_mul_lo_u32 v9, v4, s14
	v_mul_lo_u32 v7, v3, s2
	v_mul_lo_u32 v3, v3, s3
	v_sub_u32_e32 v9, v1, v9
	v_add_u32_e32 v1, v4, v8
	v_lshrrev_b32_e32 v1, s31, v1
	v_mul_lo_u32 v8, v1, s29
	v_mul_lo_u32 v10, v9, s4
	;; [unrolled: 1-line block ×3, first 2 shown]
	v_add3_u32 v0, v5, v0, v7
	v_sub_u32_e32 v4, v4, v8
	v_mul_lo_u32 v8, v4, s6
	v_mul_lo_u32 v4, v4, s7
	v_add3_u32 v2, v6, v2, v3
	v_add3_u32 v0, v10, v0, v8
	;; [unrolled: 1-line block ×3, first 2 shown]
	s_cbranch_scc0 .LBB149_154
	s_branch .LBB149_159
.LBB149_155:
	s_xor_b64 s[2:3], s[0:1], -1
	s_and_b64 s[6:7], s[42:43], s[2:3]
	s_andn2_b64 s[4:5], s[4:5], exec
	s_and_b64 s[6:7], s[6:7], exec
	s_or_b64 s[4:5], s[4:5], s[6:7]
	s_cbranch_execz .LBB149_148
	s_branch .LBB149_149
.LBB149_156:
                                        ; implicit-def: $vgpr0
                                        ; implicit-def: $vgpr2
	s_branch .LBB149_163
.LBB149_157:
	v_mov_b32_e32 v0, 0
	v_mov_b32_e32 v2, 0
	s_branch .LBB149_162
.LBB149_158:
	s_mov_b32 s45, 0
	v_mov_b32_e32 v0, 0
	v_mov_b32_e32 v2, 0
	;; [unrolled: 1-line block ×3, first 2 shown]
.LBB149_159:
	s_and_b32 s4, s63, 3
	s_cmp_eq_u32 s4, 0
	s_cbranch_scc1 .LBB149_162
; %bb.160:
	s_lshl_b32 s0, s45, 3
	s_add_u32 s0, s34, s0
	s_addc_u32 s1, s35, 0
	s_add_u32 s0, s0, 0xc4
	s_addc_u32 s1, s1, 0
	s_mul_i32 s2, s45, 12
	s_add_u32 s2, s34, s2
	s_addc_u32 s3, s35, 0
.LBB149_161:                            ; =>This Inner Loop Header: Depth=1
	s_load_dwordx2 s[6:7], s[2:3], 0x4
	s_load_dword s5, s[2:3], 0xc
	s_load_dwordx2 s[8:9], s[0:1], 0x0
	s_add_u32 s2, s2, 12
	s_addc_u32 s3, s3, 0
	s_waitcnt lgkmcnt(0)
	v_mul_hi_u32 v3, s7, v1
	s_add_u32 s0, s0, 8
	s_addc_u32 s1, s1, 0
	s_add_i32 s4, s4, -1
	v_add_u32_e32 v3, v1, v3
	v_lshrrev_b32_e32 v4, s5, v3
	v_mul_lo_u32 v3, v4, s6
	s_cmp_lg_u32 s4, 0
	v_sub_u32_e32 v3, v1, v3
	v_mad_u64_u32 v[0:1], s[6:7], v3, s8, v[0:1]
	v_mad_u64_u32 v[2:3], s[6:7], v3, s9, v[2:3]
	v_mov_b32_e32 v1, v4
	s_cbranch_scc1 .LBB149_161
.LBB149_162:
	s_cbranch_execnz .LBB149_165
.LBB149_163:
	v_mul_hi_u32 v0, s21, v15
	s_andn2_b64 vcc, exec, s[48:49]
	v_add_u32_e32 v0, v15, v0
	v_lshrrev_b32_e32 v1, s22, v0
	v_mul_lo_u32 v0, v1, s20
	v_sub_u32_e32 v2, v15, v0
	v_mul_lo_u32 v0, v2, s24
	v_mul_lo_u32 v2, v2, s25
	s_cbranch_vccnz .LBB149_165
; %bb.164:
	v_mul_hi_u32 v3, s46, v1
	v_add_u32_e32 v3, v1, v3
	v_lshrrev_b32_e32 v3, s47, v3
	v_mul_lo_u32 v3, v3, s23
	v_sub_u32_e32 v3, v1, v3
	v_mad_u64_u32 v[0:1], s[0:1], v3, s26, v[0:1]
	v_mad_u64_u32 v[2:3], s[0:1], v3, s27, v[2:3]
.LBB149_165:
	global_load_ubyte v1, v2, s[18:19]
	s_cmp_lt_i32 s44, 1
	s_mov_b64 s[2:3], 0
	s_waitcnt vmcnt(0)
	v_cmp_ne_u16_e64 s[0:1], 0, v1
	s_cbranch_scc1 .LBB149_169
; %bb.166:
	s_cmp_gt_i32 s44, 1
	s_cbranch_scc0 .LBB149_170
; %bb.167:
	s_cmp_eq_u32 s44, 2
	s_cbranch_scc0 .LBB149_475
; %bb.168:
	s_xor_b64 s[4:5], s[0:1], -1
	s_or_b64 s[4:5], s[42:43], s[4:5]
	s_mov_b64 s[6:7], 0
	s_branch .LBB149_172
.LBB149_169:
                                        ; implicit-def: $sgpr4_sgpr5
	s_mov_b64 s[6:7], 0
	s_cbranch_execnz .LBB149_173
	s_branch .LBB149_174
.LBB149_170:
	s_mov_b64 s[6:7], 0
                                        ; implicit-def: $sgpr4_sgpr5
	s_cbranch_execz .LBB149_172
; %bb.171:
	s_and_b64 s[8:9], s[0:1], s[40:41]
	s_andn2_b64 s[4:5], s[4:5], exec
	s_and_b64 s[8:9], s[8:9], exec
	s_or_b64 s[4:5], s[4:5], s[8:9]
.LBB149_172:
	s_branch .LBB149_174
.LBB149_173:
	s_cmp_lg_u32 s44, 0
	s_mov_b64 s[2:3], -1
	s_cselect_b64 s[6:7], -1, 0
.LBB149_174:
	s_andn2_b64 vcc, exec, s[6:7]
	s_cbranch_vccz .LBB149_183
; %bb.175:
	s_andn2_b64 vcc, exec, s[2:3]
	s_cbranch_vccnz .LBB149_177
.LBB149_176:
	s_or_b64 s[0:1], s[0:1], s[40:41]
	s_andn2_b64 s[2:3], s[4:5], exec
	s_and_b64 s[0:1], s[0:1], exec
	s_or_b64 s[4:5], s[2:3], s[0:1]
.LBB149_177:
	v_cndmask_b32_e64 v1, 0, 1, s[4:5]
	v_add_u32_e32 v15, 0x80, v15
	global_store_byte v0, v1, s[16:17]
	s_or_b64 exec, exec, s[54:55]
	v_cmp_gt_i32_e32 vcc, s61, v15
	s_and_saveexec_b64 s[54:55], vcc
	s_cbranch_execz .LBB149_8
.LBB149_178:
	s_andn2_b64 vcc, exec, s[36:37]
	s_cbranch_vccnz .LBB149_184
; %bb.179:
	s_andn2_b64 vcc, exec, s[52:53]
	s_cbranch_vccnz .LBB149_185
; %bb.180:
	s_add_i32 s63, s62, 1
	s_cmp_eq_u32 s60, 2
	s_cbranch_scc1 .LBB149_186
; %bb.181:
	s_and_b32 s45, s63, 28
	v_mov_b32_e32 v2, 0
	s_mov_b32 s64, 0
	s_mov_b64 s[56:57], s[34:35]
	s_mov_b64 s[58:59], s[50:51]
	v_mov_b32_e32 v0, 0
	v_mov_b32_e32 v1, v15
.LBB149_182:                            ; =>This Inner Loop Header: Depth=1
	s_load_dwordx8 s[8:15], s[56:57], 0x4
	s_load_dwordx4 s[28:31], s[56:57], 0x24
	s_load_dwordx8 s[0:7], s[58:59], 0x0
	s_add_u32 s56, s56, 48
	s_addc_u32 s57, s57, 0
	s_waitcnt lgkmcnt(0)
	v_mul_hi_u32 v3, s9, v1
	s_add_i32 s64, s64, 4
	s_add_u32 s58, s58, 32
	s_addc_u32 s59, s59, 0
	v_add_u32_e32 v3, v1, v3
	v_lshrrev_b32_e32 v3, s10, v3
	v_mul_lo_u32 v4, v3, s8
	v_mul_hi_u32 v5, s12, v3
	s_cmp_eq_u32 s45, s64
	v_sub_u32_e32 v1, v1, v4
	v_add_u32_e32 v4, v3, v5
	v_mul_lo_u32 v5, v1, s0
	v_mul_lo_u32 v6, v1, s1
	v_lshrrev_b32_e32 v1, s13, v4
	v_mul_lo_u32 v4, v1, s11
	v_mul_hi_u32 v7, s15, v1
	v_sub_u32_e32 v3, v3, v4
	v_add_u32_e32 v4, v1, v7
	v_lshrrev_b32_e32 v4, s28, v4
	v_mul_hi_u32 v8, s30, v4
	v_mul_lo_u32 v9, v4, s14
	v_mul_lo_u32 v7, v3, s2
	v_mul_lo_u32 v3, v3, s3
	v_sub_u32_e32 v9, v1, v9
	v_add_u32_e32 v1, v4, v8
	v_lshrrev_b32_e32 v1, s31, v1
	v_mul_lo_u32 v8, v1, s29
	v_mul_lo_u32 v10, v9, s4
	;; [unrolled: 1-line block ×3, first 2 shown]
	v_add3_u32 v0, v5, v0, v7
	v_sub_u32_e32 v4, v4, v8
	v_mul_lo_u32 v8, v4, s6
	v_mul_lo_u32 v4, v4, s7
	v_add3_u32 v2, v6, v2, v3
	v_add3_u32 v0, v10, v0, v8
	;; [unrolled: 1-line block ×3, first 2 shown]
	s_cbranch_scc0 .LBB149_182
	s_branch .LBB149_187
.LBB149_183:
	s_xor_b64 s[2:3], s[0:1], -1
	s_and_b64 s[6:7], s[42:43], s[2:3]
	s_andn2_b64 s[4:5], s[4:5], exec
	s_and_b64 s[6:7], s[6:7], exec
	s_or_b64 s[4:5], s[4:5], s[6:7]
	s_cbranch_execz .LBB149_176
	s_branch .LBB149_177
.LBB149_184:
                                        ; implicit-def: $vgpr0
                                        ; implicit-def: $vgpr2
	s_branch .LBB149_191
.LBB149_185:
	v_mov_b32_e32 v0, 0
	v_mov_b32_e32 v2, 0
	s_branch .LBB149_190
.LBB149_186:
	s_mov_b32 s45, 0
	v_mov_b32_e32 v0, 0
	v_mov_b32_e32 v2, 0
	;; [unrolled: 1-line block ×3, first 2 shown]
.LBB149_187:
	s_and_b32 s4, s63, 3
	s_cmp_eq_u32 s4, 0
	s_cbranch_scc1 .LBB149_190
; %bb.188:
	s_lshl_b32 s0, s45, 3
	s_add_u32 s0, s34, s0
	s_addc_u32 s1, s35, 0
	s_add_u32 s0, s0, 0xc4
	s_addc_u32 s1, s1, 0
	s_mul_i32 s2, s45, 12
	s_add_u32 s2, s34, s2
	s_addc_u32 s3, s35, 0
.LBB149_189:                            ; =>This Inner Loop Header: Depth=1
	s_load_dwordx2 s[6:7], s[2:3], 0x4
	s_load_dword s5, s[2:3], 0xc
	s_load_dwordx2 s[8:9], s[0:1], 0x0
	s_add_u32 s2, s2, 12
	s_addc_u32 s3, s3, 0
	s_waitcnt lgkmcnt(0)
	v_mul_hi_u32 v3, s7, v1
	s_add_u32 s0, s0, 8
	s_addc_u32 s1, s1, 0
	s_add_i32 s4, s4, -1
	v_add_u32_e32 v3, v1, v3
	v_lshrrev_b32_e32 v4, s5, v3
	v_mul_lo_u32 v3, v4, s6
	s_cmp_lg_u32 s4, 0
	v_sub_u32_e32 v3, v1, v3
	v_mad_u64_u32 v[0:1], s[6:7], v3, s8, v[0:1]
	v_mad_u64_u32 v[2:3], s[6:7], v3, s9, v[2:3]
	v_mov_b32_e32 v1, v4
	s_cbranch_scc1 .LBB149_189
.LBB149_190:
	s_cbranch_execnz .LBB149_193
.LBB149_191:
	v_mul_hi_u32 v0, s21, v15
	s_andn2_b64 vcc, exec, s[48:49]
	v_add_u32_e32 v0, v15, v0
	v_lshrrev_b32_e32 v1, s22, v0
	v_mul_lo_u32 v0, v1, s20
	v_sub_u32_e32 v2, v15, v0
	v_mul_lo_u32 v0, v2, s24
	v_mul_lo_u32 v2, v2, s25
	s_cbranch_vccnz .LBB149_193
; %bb.192:
	v_mul_hi_u32 v3, s46, v1
	v_add_u32_e32 v3, v1, v3
	v_lshrrev_b32_e32 v3, s47, v3
	v_mul_lo_u32 v3, v3, s23
	v_sub_u32_e32 v3, v1, v3
	v_mad_u64_u32 v[0:1], s[0:1], v3, s26, v[0:1]
	v_mad_u64_u32 v[2:3], s[0:1], v3, s27, v[2:3]
.LBB149_193:
	global_load_ubyte v1, v2, s[18:19]
	s_cmp_lt_i32 s44, 1
	s_mov_b64 s[2:3], 0
	s_waitcnt vmcnt(0)
	v_cmp_ne_u16_e64 s[0:1], 0, v1
	s_cbranch_scc1 .LBB149_197
; %bb.194:
	s_cmp_gt_i32 s44, 1
	s_cbranch_scc0 .LBB149_198
; %bb.195:
	s_cmp_eq_u32 s44, 2
	s_cbranch_scc0 .LBB149_476
; %bb.196:
	s_xor_b64 s[4:5], s[0:1], -1
	s_or_b64 s[4:5], s[42:43], s[4:5]
	s_mov_b64 s[6:7], 0
	s_branch .LBB149_200
.LBB149_197:
                                        ; implicit-def: $sgpr4_sgpr5
	s_mov_b64 s[6:7], 0
	s_cbranch_execnz .LBB149_201
	s_branch .LBB149_202
.LBB149_198:
	s_mov_b64 s[6:7], 0
                                        ; implicit-def: $sgpr4_sgpr5
	s_cbranch_execz .LBB149_200
; %bb.199:
	s_and_b64 s[8:9], s[0:1], s[40:41]
	s_andn2_b64 s[4:5], s[4:5], exec
	s_and_b64 s[8:9], s[8:9], exec
	s_or_b64 s[4:5], s[4:5], s[8:9]
.LBB149_200:
	s_branch .LBB149_202
.LBB149_201:
	s_cmp_lg_u32 s44, 0
	s_mov_b64 s[2:3], -1
	s_cselect_b64 s[6:7], -1, 0
.LBB149_202:
	s_andn2_b64 vcc, exec, s[6:7]
	s_cbranch_vccz .LBB149_211
; %bb.203:
	s_andn2_b64 vcc, exec, s[2:3]
	s_cbranch_vccnz .LBB149_205
.LBB149_204:
	s_or_b64 s[0:1], s[0:1], s[40:41]
	s_andn2_b64 s[2:3], s[4:5], exec
	s_and_b64 s[0:1], s[0:1], exec
	s_or_b64 s[4:5], s[2:3], s[0:1]
.LBB149_205:
	v_cndmask_b32_e64 v1, 0, 1, s[4:5]
	v_add_u32_e32 v15, 0x80, v15
	global_store_byte v0, v1, s[16:17]
	s_or_b64 exec, exec, s[54:55]
	v_cmp_gt_i32_e32 vcc, s61, v15
	s_and_saveexec_b64 s[54:55], vcc
	s_cbranch_execz .LBB149_234
.LBB149_206:
	s_andn2_b64 vcc, exec, s[36:37]
	s_cbranch_vccnz .LBB149_212
; %bb.207:
	s_andn2_b64 vcc, exec, s[52:53]
	s_cbranch_vccnz .LBB149_213
; %bb.208:
	s_add_i32 s62, s62, 1
	s_cmp_eq_u32 s60, 2
	s_cbranch_scc1 .LBB149_214
; %bb.209:
	s_and_b32 s45, s62, 28
	v_mov_b32_e32 v2, 0
	s_mov_b32 s56, 0
	s_mov_b64 s[52:53], s[34:35]
	v_mov_b32_e32 v0, 0
	v_mov_b32_e32 v1, v15
.LBB149_210:                            ; =>This Inner Loop Header: Depth=1
	s_load_dwordx8 s[8:15], s[52:53], 0x4
	s_load_dwordx4 s[28:31], s[52:53], 0x24
	s_load_dwordx8 s[0:7], s[50:51], 0x0
	s_add_u32 s52, s52, 48
	s_addc_u32 s53, s53, 0
	s_waitcnt lgkmcnt(0)
	v_mul_hi_u32 v3, s9, v1
	s_add_i32 s56, s56, 4
	s_add_u32 s50, s50, 32
	s_addc_u32 s51, s51, 0
	v_add_u32_e32 v3, v1, v3
	v_lshrrev_b32_e32 v3, s10, v3
	v_mul_lo_u32 v4, v3, s8
	v_mul_hi_u32 v5, s12, v3
	s_cmp_eq_u32 s45, s56
	v_sub_u32_e32 v1, v1, v4
	v_add_u32_e32 v4, v3, v5
	v_mul_lo_u32 v5, v1, s0
	v_mul_lo_u32 v6, v1, s1
	v_lshrrev_b32_e32 v1, s13, v4
	v_mul_lo_u32 v4, v1, s11
	v_mul_hi_u32 v7, s15, v1
	v_sub_u32_e32 v3, v3, v4
	v_add_u32_e32 v4, v1, v7
	v_lshrrev_b32_e32 v4, s28, v4
	v_mul_hi_u32 v8, s30, v4
	v_mul_lo_u32 v9, v4, s14
	v_mul_lo_u32 v7, v3, s2
	;; [unrolled: 1-line block ×3, first 2 shown]
	v_sub_u32_e32 v9, v1, v9
	v_add_u32_e32 v1, v4, v8
	v_lshrrev_b32_e32 v1, s31, v1
	v_mul_lo_u32 v8, v1, s29
	v_mul_lo_u32 v10, v9, s4
	;; [unrolled: 1-line block ×3, first 2 shown]
	v_add3_u32 v0, v5, v0, v7
	v_sub_u32_e32 v4, v4, v8
	v_mul_lo_u32 v8, v4, s6
	v_mul_lo_u32 v4, v4, s7
	v_add3_u32 v2, v6, v2, v3
	v_add3_u32 v0, v10, v0, v8
	;; [unrolled: 1-line block ×3, first 2 shown]
	s_cbranch_scc0 .LBB149_210
	s_branch .LBB149_215
.LBB149_211:
	s_xor_b64 s[2:3], s[0:1], -1
	s_and_b64 s[6:7], s[42:43], s[2:3]
	s_andn2_b64 s[4:5], s[4:5], exec
	s_and_b64 s[6:7], s[6:7], exec
	s_or_b64 s[4:5], s[4:5], s[6:7]
	s_cbranch_execz .LBB149_204
	s_branch .LBB149_205
.LBB149_212:
                                        ; implicit-def: $vgpr0
                                        ; implicit-def: $vgpr2
	s_branch .LBB149_219
.LBB149_213:
	v_mov_b32_e32 v0, 0
	v_mov_b32_e32 v2, 0
	s_branch .LBB149_218
.LBB149_214:
	s_mov_b32 s45, 0
	v_mov_b32_e32 v0, 0
	v_mov_b32_e32 v2, 0
	;; [unrolled: 1-line block ×3, first 2 shown]
.LBB149_215:
	s_and_b32 s4, s62, 3
	s_cmp_eq_u32 s4, 0
	s_cbranch_scc1 .LBB149_218
; %bb.216:
	s_lshl_b32 s0, s45, 3
	s_add_u32 s0, s34, s0
	s_addc_u32 s1, s35, 0
	s_add_u32 s0, s0, 0xc4
	s_addc_u32 s1, s1, 0
	s_mul_i32 s2, s45, 12
	s_add_u32 s2, s34, s2
	s_addc_u32 s3, s35, 0
.LBB149_217:                            ; =>This Inner Loop Header: Depth=1
	s_load_dwordx2 s[6:7], s[2:3], 0x4
	s_load_dword s5, s[2:3], 0xc
	s_load_dwordx2 s[8:9], s[0:1], 0x0
	s_add_u32 s2, s2, 12
	s_addc_u32 s3, s3, 0
	s_waitcnt lgkmcnt(0)
	v_mul_hi_u32 v3, s7, v1
	s_add_u32 s0, s0, 8
	s_addc_u32 s1, s1, 0
	s_add_i32 s4, s4, -1
	v_add_u32_e32 v3, v1, v3
	v_lshrrev_b32_e32 v4, s5, v3
	v_mul_lo_u32 v3, v4, s6
	s_cmp_lg_u32 s4, 0
	v_sub_u32_e32 v3, v1, v3
	v_mad_u64_u32 v[0:1], s[6:7], v3, s8, v[0:1]
	v_mad_u64_u32 v[2:3], s[6:7], v3, s9, v[2:3]
	v_mov_b32_e32 v1, v4
	s_cbranch_scc1 .LBB149_217
.LBB149_218:
	s_cbranch_execnz .LBB149_221
.LBB149_219:
	v_mul_hi_u32 v0, s21, v15
	s_andn2_b64 vcc, exec, s[48:49]
	v_add_u32_e32 v0, v15, v0
	v_lshrrev_b32_e32 v1, s22, v0
	v_mul_lo_u32 v0, v1, s20
	v_sub_u32_e32 v2, v15, v0
	v_mul_lo_u32 v0, v2, s24
	v_mul_lo_u32 v2, v2, s25
	s_cbranch_vccnz .LBB149_221
; %bb.220:
	v_mul_hi_u32 v3, s46, v1
	v_add_u32_e32 v3, v1, v3
	v_lshrrev_b32_e32 v3, s47, v3
	v_mul_lo_u32 v3, v3, s23
	v_sub_u32_e32 v3, v1, v3
	v_mad_u64_u32 v[0:1], s[0:1], v3, s26, v[0:1]
	v_mad_u64_u32 v[2:3], s[0:1], v3, s27, v[2:3]
.LBB149_221:
	global_load_ubyte v1, v2, s[18:19]
	s_cmp_lt_i32 s44, 1
	s_mov_b64 s[2:3], 0
	s_waitcnt vmcnt(0)
	v_cmp_ne_u16_e64 s[0:1], 0, v1
	s_cbranch_scc1 .LBB149_225
; %bb.222:
	s_cmp_gt_i32 s44, 1
	s_cbranch_scc0 .LBB149_226
; %bb.223:
	s_cmp_eq_u32 s44, 2
	s_cbranch_scc0 .LBB149_477
; %bb.224:
	s_xor_b64 s[4:5], s[0:1], -1
	s_or_b64 s[4:5], s[42:43], s[4:5]
	s_mov_b64 s[6:7], 0
	s_branch .LBB149_228
.LBB149_225:
                                        ; implicit-def: $sgpr4_sgpr5
	s_mov_b64 s[6:7], 0
	s_cbranch_execnz .LBB149_229
	s_branch .LBB149_230
.LBB149_226:
	s_mov_b64 s[6:7], 0
                                        ; implicit-def: $sgpr4_sgpr5
	s_cbranch_execz .LBB149_228
; %bb.227:
	s_and_b64 s[8:9], s[0:1], s[40:41]
	s_andn2_b64 s[4:5], s[4:5], exec
	s_and_b64 s[8:9], s[8:9], exec
	s_or_b64 s[4:5], s[4:5], s[8:9]
.LBB149_228:
	s_branch .LBB149_230
.LBB149_229:
	s_cmp_lg_u32 s44, 0
	s_mov_b64 s[2:3], -1
	s_cselect_b64 s[6:7], -1, 0
.LBB149_230:
	s_andn2_b64 vcc, exec, s[6:7]
	s_cbranch_vccz .LBB149_244
; %bb.231:
	s_andn2_b64 vcc, exec, s[2:3]
	s_cbranch_vccnz .LBB149_233
.LBB149_232:
	s_or_b64 s[0:1], s[0:1], s[40:41]
	s_andn2_b64 s[2:3], s[4:5], exec
	s_and_b64 s[0:1], s[0:1], exec
	s_or_b64 s[4:5], s[2:3], s[0:1]
.LBB149_233:
	v_cndmask_b32_e64 v1, 0, 1, s[4:5]
	global_store_byte v0, v1, s[16:17]
.LBB149_234:
	s_or_b64 exec, exec, s[54:55]
                                        ; implicit-def: $vgpr22
                                        ; implicit-def: $vgpr15
.LBB149_235:
	s_andn2_saveexec_b64 s[0:1], s[38:39]
	s_cbranch_execz .LBB149_242
; %bb.236:
	v_cndmask_b32_e64 v0, 0, 1, s[36:37]
	v_cmp_ne_u32_e64 s[0:1], 1, v0
	s_andn2_b64 vcc, exec, s[36:37]
	s_cbranch_vccnz .LBB149_243
; %bb.237:
	s_cmp_lg_u32 s33, 0
	s_mov_b32 s26, 0
	s_cbranch_scc0 .LBB149_245
; %bb.238:
	s_min_u32 s27, s60, 15
	s_add_i32 s27, s27, 1
	s_cmp_eq_u32 s60, 2
	s_cbranch_scc1 .LBB149_246
; %bb.239:
	s_and_b32 s26, s27, 28
	s_add_u32 s2, s34, 0xc4
	s_addc_u32 s3, s35, 0
	v_mov_b32_e32 v5, 0
	s_mov_b32 s28, 0
	s_mov_b64 s[24:25], s[34:35]
	v_mov_b32_e32 v0, 0
	v_mov_b32_e32 v1, v15
.LBB149_240:                            ; =>This Inner Loop Header: Depth=1
	s_load_dwordx8 s[12:19], s[24:25], 0x4
	s_load_dwordx4 s[20:23], s[24:25], 0x24
	s_load_dwordx8 s[4:11], s[2:3], 0x0
	s_add_u32 s24, s24, 48
	s_addc_u32 s25, s25, 0
	s_waitcnt lgkmcnt(0)
	v_mul_hi_u32 v2, s13, v1
	s_add_i32 s28, s28, 4
	s_add_u32 s2, s2, 32
	s_addc_u32 s3, s3, 0
	v_add_u32_e32 v2, v1, v2
	v_lshrrev_b32_e32 v2, s14, v2
	v_mul_lo_u32 v3, v2, s12
	v_mul_hi_u32 v4, s16, v2
	s_cmp_lg_u32 s26, s28
	v_sub_u32_e32 v1, v1, v3
	v_add_u32_e32 v3, v2, v4
	v_mul_lo_u32 v4, v1, s4
	v_mul_lo_u32 v6, v1, s5
	v_lshrrev_b32_e32 v1, s17, v3
	v_mul_lo_u32 v3, v1, s15
	v_mul_hi_u32 v7, s19, v1
	v_sub_u32_e32 v2, v2, v3
	v_add_u32_e32 v3, v1, v7
	v_lshrrev_b32_e32 v3, s20, v3
	v_mul_hi_u32 v8, s22, v3
	v_mul_lo_u32 v9, v3, s18
	v_mul_lo_u32 v7, v2, s6
	;; [unrolled: 1-line block ×3, first 2 shown]
	v_sub_u32_e32 v9, v1, v9
	v_add_u32_e32 v1, v3, v8
	v_lshrrev_b32_e32 v1, s23, v1
	v_mul_lo_u32 v8, v1, s21
	v_mul_lo_u32 v10, v9, s8
	;; [unrolled: 1-line block ×3, first 2 shown]
	v_add3_u32 v0, v4, v0, v7
	v_sub_u32_e32 v3, v3, v8
	v_mul_lo_u32 v8, v3, s10
	v_mul_lo_u32 v3, v3, s11
	v_add3_u32 v2, v6, v5, v2
	v_add3_u32 v0, v10, v0, v8
	;; [unrolled: 1-line block ×3, first 2 shown]
	s_cbranch_scc1 .LBB149_240
; %bb.241:
	s_and_b32 s6, s27, 3
	s_cmp_eq_u32 s6, 0
	s_cbranch_scc0 .LBB149_247
	s_branch .LBB149_249
.LBB149_242:
	s_endpgm
.LBB149_243:
                                        ; implicit-def: $vgpr0
                                        ; implicit-def: $vgpr5
	s_branch .LBB149_250
.LBB149_244:
	s_xor_b64 s[2:3], s[0:1], -1
	s_and_b64 s[6:7], s[42:43], s[2:3]
	s_andn2_b64 s[4:5], s[4:5], exec
	s_and_b64 s[6:7], s[6:7], exec
	s_or_b64 s[4:5], s[4:5], s[6:7]
	s_cbranch_execz .LBB149_232
	s_branch .LBB149_233
.LBB149_245:
	v_mov_b32_e32 v0, 0
	v_mov_b32_e32 v5, 0
	s_branch .LBB149_249
.LBB149_246:
	v_mov_b32_e32 v0, 0
	v_mov_b32_e32 v5, 0
	;; [unrolled: 1-line block ×3, first 2 shown]
	s_and_b32 s6, s27, 3
	s_cmp_eq_u32 s6, 0
	s_cbranch_scc1 .LBB149_249
.LBB149_247:
	s_lshl_b32 s2, s26, 3
	s_add_u32 s2, s34, s2
	s_addc_u32 s3, s35, 0
	s_add_u32 s2, s2, 0xc4
	s_addc_u32 s3, s3, 0
	s_mul_i32 s4, s26, 12
	s_add_u32 s4, s34, s4
	s_addc_u32 s5, s35, 0
.LBB149_248:                            ; =>This Inner Loop Header: Depth=1
	s_load_dwordx2 s[8:9], s[4:5], 0x4
	s_load_dword s7, s[4:5], 0xc
	s_load_dwordx2 s[10:11], s[2:3], 0x0
	s_add_u32 s4, s4, 12
	s_addc_u32 s5, s5, 0
	s_waitcnt lgkmcnt(0)
	v_mul_hi_u32 v2, s9, v1
	s_add_u32 s2, s2, 8
	s_addc_u32 s3, s3, 0
	s_add_i32 s6, s6, -1
	v_add_u32_e32 v2, v1, v2
	v_lshrrev_b32_e32 v2, s7, v2
	v_mul_lo_u32 v3, v2, s8
	s_cmp_lg_u32 s6, 0
	v_sub_u32_e32 v3, v1, v3
	v_mad_u64_u32 v[0:1], s[8:9], v3, s10, v[0:1]
	v_mad_u64_u32 v[5:6], s[8:9], v3, s11, v[5:6]
	v_mov_b32_e32 v1, v2
	s_cbranch_scc1 .LBB149_248
.LBB149_249:
	s_cbranch_execnz .LBB149_252
.LBB149_250:
	s_load_dwordx4 s[4:7], s[34:35], 0x4
	s_load_dwordx2 s[2:3], s[34:35], 0xc4
	s_cmp_lt_u32 s33, 2
	s_waitcnt lgkmcnt(0)
	v_mul_hi_u32 v0, s5, v15
	v_add_u32_e32 v0, v15, v0
	v_lshrrev_b32_e32 v1, s6, v0
	v_mul_lo_u32 v0, v1, s4
	v_sub_u32_e32 v2, v15, v0
	v_mul_lo_u32 v0, v2, s2
	v_mul_lo_u32 v5, v2, s3
	s_cbranch_scc1 .LBB149_252
; %bb.251:
	s_load_dwordx4 s[4:7], s[34:35], 0x10
	s_load_dwordx2 s[2:3], s[34:35], 0xcc
	s_waitcnt lgkmcnt(0)
	v_mul_hi_u32 v2, s5, v1
	v_add_u32_e32 v2, v1, v2
	v_lshrrev_b32_e32 v2, s6, v2
	v_mul_lo_u32 v2, v2, s4
	v_sub_u32_e32 v2, v1, v2
	v_mad_u64_u32 v[0:1], s[4:5], v2, s2, v[0:1]
	v_mad_u64_u32 v[5:6], s[2:3], v2, s3, v[5:6]
.LBB149_252:
	s_and_b64 vcc, exec, s[0:1]
	v_add_u32_e32 v3, 0x80, v15
	s_cbranch_vccnz .LBB149_258
; %bb.253:
	s_cmp_lg_u32 s33, 0
	s_mov_b32 s26, 0
	s_cbranch_scc0 .LBB149_259
; %bb.254:
	s_min_u32 s27, s60, 15
	s_add_i32 s27, s27, 1
	s_cmp_eq_u32 s60, 2
	s_cbranch_scc1 .LBB149_260
; %bb.255:
	s_and_b32 s26, s27, 28
	s_add_u32 s2, s34, 0xc4
	s_addc_u32 s3, s35, 0
	v_mov_b32_e32 v6, 0
	s_mov_b32 s28, 0
	s_mov_b64 s[24:25], s[34:35]
	v_mov_b32_e32 v1, 0
	v_mov_b32_e32 v2, v3
.LBB149_256:                            ; =>This Inner Loop Header: Depth=1
	s_load_dwordx8 s[12:19], s[24:25], 0x4
	s_load_dwordx4 s[20:23], s[24:25], 0x24
	s_load_dwordx8 s[4:11], s[2:3], 0x0
	s_add_u32 s24, s24, 48
	s_addc_u32 s25, s25, 0
	s_waitcnt lgkmcnt(0)
	v_mul_hi_u32 v4, s13, v2
	s_add_i32 s28, s28, 4
	s_add_u32 s2, s2, 32
	s_addc_u32 s3, s3, 0
	v_add_u32_e32 v4, v2, v4
	v_lshrrev_b32_e32 v4, s14, v4
	v_mul_lo_u32 v7, v4, s12
	v_mul_hi_u32 v8, s16, v4
	s_cmp_lg_u32 s26, s28
	v_sub_u32_e32 v2, v2, v7
	v_add_u32_e32 v7, v4, v8
	v_mul_lo_u32 v8, v2, s4
	v_mul_lo_u32 v9, v2, s5
	v_lshrrev_b32_e32 v2, s17, v7
	v_mul_lo_u32 v7, v2, s15
	v_mul_hi_u32 v10, s19, v2
	v_sub_u32_e32 v4, v4, v7
	v_add_u32_e32 v7, v2, v10
	v_lshrrev_b32_e32 v7, s20, v7
	v_mul_hi_u32 v11, s22, v7
	v_mul_lo_u32 v12, v7, s18
	v_mul_lo_u32 v10, v4, s6
	v_mul_lo_u32 v4, v4, s7
	v_sub_u32_e32 v12, v2, v12
	v_add_u32_e32 v2, v7, v11
	v_lshrrev_b32_e32 v2, s23, v2
	v_mul_lo_u32 v11, v2, s21
	v_mul_lo_u32 v13, v12, s8
	;; [unrolled: 1-line block ×3, first 2 shown]
	v_add3_u32 v1, v8, v1, v10
	v_sub_u32_e32 v7, v7, v11
	v_mul_lo_u32 v11, v7, s10
	v_mul_lo_u32 v7, v7, s11
	v_add3_u32 v4, v9, v6, v4
	v_add3_u32 v1, v13, v1, v11
	;; [unrolled: 1-line block ×3, first 2 shown]
	s_cbranch_scc1 .LBB149_256
; %bb.257:
	s_and_b32 s6, s27, 3
	s_cmp_eq_u32 s6, 0
	s_cbranch_scc0 .LBB149_261
	s_branch .LBB149_263
.LBB149_258:
                                        ; implicit-def: $vgpr1
                                        ; implicit-def: $vgpr6
	s_branch .LBB149_264
.LBB149_259:
	v_mov_b32_e32 v1, 0
	v_mov_b32_e32 v6, 0
	s_branch .LBB149_263
.LBB149_260:
	v_mov_b32_e32 v1, 0
	v_mov_b32_e32 v6, 0
	v_mov_b32_e32 v2, v3
	s_and_b32 s6, s27, 3
	s_cmp_eq_u32 s6, 0
	s_cbranch_scc1 .LBB149_263
.LBB149_261:
	s_lshl_b32 s2, s26, 3
	s_add_u32 s2, s34, s2
	s_addc_u32 s3, s35, 0
	s_add_u32 s2, s2, 0xc4
	s_addc_u32 s3, s3, 0
	s_mul_i32 s4, s26, 12
	s_add_u32 s4, s34, s4
	s_addc_u32 s5, s35, 0
.LBB149_262:                            ; =>This Inner Loop Header: Depth=1
	s_load_dwordx2 s[8:9], s[4:5], 0x4
	s_load_dword s7, s[4:5], 0xc
	s_load_dwordx2 s[10:11], s[2:3], 0x0
	s_add_u32 s4, s4, 12
	s_addc_u32 s5, s5, 0
	s_waitcnt lgkmcnt(0)
	v_mul_hi_u32 v4, s9, v2
	s_add_u32 s2, s2, 8
	s_addc_u32 s3, s3, 0
	s_add_i32 s6, s6, -1
	v_add_u32_e32 v4, v2, v4
	v_lshrrev_b32_e32 v4, s7, v4
	v_mul_lo_u32 v7, v4, s8
	s_cmp_lg_u32 s6, 0
	v_sub_u32_e32 v7, v2, v7
	v_mad_u64_u32 v[1:2], s[8:9], v7, s10, v[1:2]
	v_mad_u64_u32 v[6:7], s[8:9], v7, s11, v[6:7]
	v_mov_b32_e32 v2, v4
	s_cbranch_scc1 .LBB149_262
.LBB149_263:
	s_cbranch_execnz .LBB149_266
.LBB149_264:
	s_load_dwordx4 s[4:7], s[34:35], 0x4
	s_load_dwordx2 s[2:3], s[34:35], 0xc4
	s_cmp_lt_u32 s33, 2
	s_waitcnt lgkmcnt(0)
	v_mul_hi_u32 v1, s5, v3
	v_add_u32_e32 v1, v3, v1
	v_lshrrev_b32_e32 v2, s6, v1
	v_mul_lo_u32 v1, v2, s4
	v_sub_u32_e32 v3, v3, v1
	v_mul_lo_u32 v1, v3, s2
	v_mul_lo_u32 v6, v3, s3
	s_cbranch_scc1 .LBB149_266
; %bb.265:
	s_load_dwordx4 s[4:7], s[34:35], 0x10
	s_load_dwordx2 s[2:3], s[34:35], 0xcc
	s_waitcnt lgkmcnt(0)
	v_mul_hi_u32 v3, s5, v2
	v_add_u32_e32 v3, v2, v3
	v_lshrrev_b32_e32 v3, s6, v3
	v_mul_lo_u32 v3, v3, s4
	v_sub_u32_e32 v3, v2, v3
	v_mad_u64_u32 v[1:2], s[4:5], v3, s2, v[1:2]
	v_mad_u64_u32 v[6:7], s[2:3], v3, s3, v[6:7]
.LBB149_266:
	s_and_b64 vcc, exec, s[0:1]
	v_add_u32_e32 v4, 0x100, v15
	s_cbranch_vccnz .LBB149_272
; %bb.267:
	s_cmp_lg_u32 s33, 0
	s_mov_b32 s26, 0
	s_cbranch_scc0 .LBB149_273
; %bb.268:
	s_min_u32 s27, s60, 15
	s_add_i32 s27, s27, 1
	s_cmp_eq_u32 s60, 2
	s_cbranch_scc1 .LBB149_274
; %bb.269:
	s_and_b32 s26, s27, 28
	s_add_u32 s2, s34, 0xc4
	s_addc_u32 s3, s35, 0
	v_mov_b32_e32 v9, 0
	s_mov_b32 s28, 0
	s_mov_b64 s[24:25], s[34:35]
	v_mov_b32_e32 v2, 0
	v_mov_b32_e32 v3, v4
.LBB149_270:                            ; =>This Inner Loop Header: Depth=1
	s_load_dwordx8 s[12:19], s[24:25], 0x4
	s_load_dwordx4 s[20:23], s[24:25], 0x24
	s_load_dwordx8 s[4:11], s[2:3], 0x0
	s_add_u32 s24, s24, 48
	s_addc_u32 s25, s25, 0
	s_waitcnt lgkmcnt(0)
	v_mul_hi_u32 v7, s13, v3
	s_add_i32 s28, s28, 4
	s_add_u32 s2, s2, 32
	s_addc_u32 s3, s3, 0
	v_add_u32_e32 v7, v3, v7
	v_lshrrev_b32_e32 v7, s14, v7
	v_mul_lo_u32 v8, v7, s12
	v_mul_hi_u32 v10, s16, v7
	s_cmp_lg_u32 s26, s28
	v_sub_u32_e32 v3, v3, v8
	v_add_u32_e32 v8, v7, v10
	v_mul_lo_u32 v10, v3, s4
	v_mul_lo_u32 v11, v3, s5
	v_lshrrev_b32_e32 v3, s17, v8
	v_mul_lo_u32 v8, v3, s15
	v_mul_hi_u32 v12, s19, v3
	v_sub_u32_e32 v7, v7, v8
	v_add_u32_e32 v8, v3, v12
	v_lshrrev_b32_e32 v8, s20, v8
	v_mul_hi_u32 v13, s22, v8
	v_mul_lo_u32 v14, v8, s18
	v_mul_lo_u32 v12, v7, s6
	;; [unrolled: 1-line block ×3, first 2 shown]
	v_sub_u32_e32 v14, v3, v14
	v_add_u32_e32 v3, v8, v13
	v_lshrrev_b32_e32 v3, s23, v3
	v_mul_lo_u32 v13, v3, s21
	v_mul_lo_u32 v16, v14, s8
	;; [unrolled: 1-line block ×3, first 2 shown]
	v_add3_u32 v2, v10, v2, v12
	v_sub_u32_e32 v8, v8, v13
	v_mul_lo_u32 v13, v8, s10
	v_mul_lo_u32 v8, v8, s11
	v_add3_u32 v7, v11, v9, v7
	v_add3_u32 v2, v16, v2, v13
	;; [unrolled: 1-line block ×3, first 2 shown]
	s_cbranch_scc1 .LBB149_270
; %bb.271:
	s_and_b32 s6, s27, 3
	s_cmp_eq_u32 s6, 0
	s_cbranch_scc0 .LBB149_275
	s_branch .LBB149_277
.LBB149_272:
                                        ; implicit-def: $vgpr2
                                        ; implicit-def: $vgpr9
	s_branch .LBB149_278
.LBB149_273:
	v_mov_b32_e32 v2, 0
	v_mov_b32_e32 v9, 0
	s_branch .LBB149_277
.LBB149_274:
	v_mov_b32_e32 v2, 0
	v_mov_b32_e32 v9, 0
	;; [unrolled: 1-line block ×3, first 2 shown]
	s_and_b32 s6, s27, 3
	s_cmp_eq_u32 s6, 0
	s_cbranch_scc1 .LBB149_277
.LBB149_275:
	s_lshl_b32 s2, s26, 3
	s_add_u32 s2, s34, s2
	s_addc_u32 s3, s35, 0
	s_add_u32 s2, s2, 0xc4
	s_addc_u32 s3, s3, 0
	s_mul_i32 s4, s26, 12
	s_add_u32 s4, s34, s4
	s_addc_u32 s5, s35, 0
.LBB149_276:                            ; =>This Inner Loop Header: Depth=1
	s_load_dwordx2 s[8:9], s[4:5], 0x4
	s_load_dword s7, s[4:5], 0xc
	s_load_dwordx2 s[10:11], s[2:3], 0x0
	s_add_u32 s4, s4, 12
	s_addc_u32 s5, s5, 0
	s_waitcnt lgkmcnt(0)
	v_mul_hi_u32 v7, s9, v3
	s_add_u32 s2, s2, 8
	s_addc_u32 s3, s3, 0
	s_add_i32 s6, s6, -1
	v_add_u32_e32 v7, v3, v7
	v_lshrrev_b32_e32 v7, s7, v7
	v_mul_lo_u32 v8, v7, s8
	s_cmp_lg_u32 s6, 0
	v_sub_u32_e32 v8, v3, v8
	v_mad_u64_u32 v[2:3], s[8:9], v8, s10, v[2:3]
	v_mad_u64_u32 v[9:10], s[8:9], v8, s11, v[9:10]
	v_mov_b32_e32 v3, v7
	s_cbranch_scc1 .LBB149_276
.LBB149_277:
	s_cbranch_execnz .LBB149_280
.LBB149_278:
	s_load_dwordx4 s[4:7], s[34:35], 0x4
	s_load_dwordx2 s[2:3], s[34:35], 0xc4
	s_cmp_lt_u32 s33, 2
	s_waitcnt lgkmcnt(0)
	v_mul_hi_u32 v2, s5, v4
	v_add_u32_e32 v2, v4, v2
	v_lshrrev_b32_e32 v3, s6, v2
	v_mul_lo_u32 v2, v3, s4
	v_sub_u32_e32 v4, v4, v2
	v_mul_lo_u32 v2, v4, s2
	v_mul_lo_u32 v9, v4, s3
	s_cbranch_scc1 .LBB149_280
; %bb.279:
	s_load_dwordx4 s[4:7], s[34:35], 0x10
	s_load_dwordx2 s[2:3], s[34:35], 0xcc
	s_waitcnt lgkmcnt(0)
	v_mul_hi_u32 v4, s5, v3
	v_add_u32_e32 v4, v3, v4
	v_lshrrev_b32_e32 v4, s6, v4
	v_mul_lo_u32 v4, v4, s4
	v_sub_u32_e32 v4, v3, v4
	v_mad_u64_u32 v[2:3], s[4:5], v4, s2, v[2:3]
	v_mad_u64_u32 v[9:10], s[2:3], v4, s3, v[9:10]
.LBB149_280:
	s_and_b64 vcc, exec, s[0:1]
	v_add_u32_e32 v7, 0x180, v15
	s_cbranch_vccnz .LBB149_286
; %bb.281:
	s_cmp_lg_u32 s33, 0
	s_mov_b32 s26, 0
	s_cbranch_scc0 .LBB149_287
; %bb.282:
	s_min_u32 s27, s60, 15
	s_add_i32 s27, s27, 1
	s_cmp_eq_u32 s60, 2
	s_cbranch_scc1 .LBB149_288
; %bb.283:
	s_and_b32 s26, s27, 28
	s_add_u32 s2, s34, 0xc4
	s_addc_u32 s3, s35, 0
	v_mov_b32_e32 v12, 0
	s_mov_b32 s28, 0
	s_mov_b64 s[24:25], s[34:35]
	v_mov_b32_e32 v3, 0
	v_mov_b32_e32 v4, v7
.LBB149_284:                            ; =>This Inner Loop Header: Depth=1
	s_load_dwordx8 s[12:19], s[24:25], 0x4
	s_load_dwordx4 s[20:23], s[24:25], 0x24
	s_load_dwordx8 s[4:11], s[2:3], 0x0
	s_add_u32 s24, s24, 48
	s_addc_u32 s25, s25, 0
	s_waitcnt lgkmcnt(0)
	v_mul_hi_u32 v8, s13, v4
	s_add_i32 s28, s28, 4
	s_add_u32 s2, s2, 32
	s_addc_u32 s3, s3, 0
	v_add_u32_e32 v8, v4, v8
	v_lshrrev_b32_e32 v8, s14, v8
	v_mul_lo_u32 v10, v8, s12
	v_mul_hi_u32 v11, s16, v8
	s_cmp_lg_u32 s26, s28
	v_sub_u32_e32 v4, v4, v10
	v_add_u32_e32 v10, v8, v11
	v_mul_lo_u32 v11, v4, s4
	v_mul_lo_u32 v13, v4, s5
	v_lshrrev_b32_e32 v4, s17, v10
	v_mul_lo_u32 v10, v4, s15
	v_mul_hi_u32 v14, s19, v4
	v_sub_u32_e32 v8, v8, v10
	v_add_u32_e32 v10, v4, v14
	v_lshrrev_b32_e32 v10, s20, v10
	v_mul_hi_u32 v16, s22, v10
	v_mul_lo_u32 v17, v10, s18
	v_mul_lo_u32 v14, v8, s6
	v_mul_lo_u32 v8, v8, s7
	v_sub_u32_e32 v17, v4, v17
	v_add_u32_e32 v4, v10, v16
	v_lshrrev_b32_e32 v4, s23, v4
	v_mul_lo_u32 v16, v4, s21
	v_mul_lo_u32 v18, v17, s8
	;; [unrolled: 1-line block ×3, first 2 shown]
	v_add3_u32 v3, v11, v3, v14
	v_sub_u32_e32 v10, v10, v16
	v_mul_lo_u32 v16, v10, s10
	v_mul_lo_u32 v10, v10, s11
	v_add3_u32 v8, v13, v12, v8
	v_add3_u32 v3, v18, v3, v16
	;; [unrolled: 1-line block ×3, first 2 shown]
	s_cbranch_scc1 .LBB149_284
; %bb.285:
	s_and_b32 s6, s27, 3
	s_cmp_eq_u32 s6, 0
	s_cbranch_scc0 .LBB149_289
	s_branch .LBB149_291
.LBB149_286:
                                        ; implicit-def: $vgpr3
                                        ; implicit-def: $vgpr12
	s_branch .LBB149_292
.LBB149_287:
	v_mov_b32_e32 v3, 0
	v_mov_b32_e32 v12, 0
	s_branch .LBB149_291
.LBB149_288:
	v_mov_b32_e32 v3, 0
	v_mov_b32_e32 v12, 0
	;; [unrolled: 1-line block ×3, first 2 shown]
	s_and_b32 s6, s27, 3
	s_cmp_eq_u32 s6, 0
	s_cbranch_scc1 .LBB149_291
.LBB149_289:
	s_lshl_b32 s2, s26, 3
	s_add_u32 s2, s34, s2
	s_addc_u32 s3, s35, 0
	s_add_u32 s2, s2, 0xc4
	s_addc_u32 s3, s3, 0
	s_mul_i32 s4, s26, 12
	s_add_u32 s4, s34, s4
	s_addc_u32 s5, s35, 0
.LBB149_290:                            ; =>This Inner Loop Header: Depth=1
	s_load_dwordx2 s[8:9], s[4:5], 0x4
	s_load_dword s7, s[4:5], 0xc
	s_load_dwordx2 s[10:11], s[2:3], 0x0
	s_add_u32 s4, s4, 12
	s_addc_u32 s5, s5, 0
	s_waitcnt lgkmcnt(0)
	v_mul_hi_u32 v8, s9, v4
	s_add_u32 s2, s2, 8
	s_addc_u32 s3, s3, 0
	s_add_i32 s6, s6, -1
	v_add_u32_e32 v8, v4, v8
	v_lshrrev_b32_e32 v8, s7, v8
	v_mul_lo_u32 v10, v8, s8
	s_cmp_lg_u32 s6, 0
	v_sub_u32_e32 v10, v4, v10
	v_mad_u64_u32 v[3:4], s[8:9], v10, s10, v[3:4]
	v_mad_u64_u32 v[12:13], s[8:9], v10, s11, v[12:13]
	v_mov_b32_e32 v4, v8
	s_cbranch_scc1 .LBB149_290
.LBB149_291:
	s_cbranch_execnz .LBB149_294
.LBB149_292:
	s_load_dwordx4 s[4:7], s[34:35], 0x4
	s_load_dwordx2 s[2:3], s[34:35], 0xc4
	s_cmp_lt_u32 s33, 2
	s_waitcnt lgkmcnt(0)
	v_mul_hi_u32 v3, s5, v7
	v_add_u32_e32 v3, v7, v3
	v_lshrrev_b32_e32 v4, s6, v3
	v_mul_lo_u32 v3, v4, s4
	v_sub_u32_e32 v7, v7, v3
	v_mul_lo_u32 v3, v7, s2
	v_mul_lo_u32 v12, v7, s3
	s_cbranch_scc1 .LBB149_294
; %bb.293:
	s_load_dwordx4 s[4:7], s[34:35], 0x10
	s_load_dwordx2 s[2:3], s[34:35], 0xcc
	s_waitcnt lgkmcnt(0)
	v_mul_hi_u32 v7, s5, v4
	v_add_u32_e32 v7, v4, v7
	v_lshrrev_b32_e32 v7, s6, v7
	v_mul_lo_u32 v7, v7, s4
	v_sub_u32_e32 v7, v4, v7
	v_mad_u64_u32 v[3:4], s[4:5], v7, s2, v[3:4]
	v_mad_u64_u32 v[12:13], s[2:3], v7, s3, v[12:13]
.LBB149_294:
	s_and_b64 vcc, exec, s[0:1]
	v_add_u32_e32 v4, 0x200, v15
	s_cbranch_vccnz .LBB149_300
; %bb.295:
	s_cmp_lg_u32 s33, 0
	s_mov_b32 s26, 0
	s_cbranch_scc0 .LBB149_301
; %bb.296:
	s_min_u32 s27, s60, 15
	s_add_i32 s27, s27, 1
	s_cmp_eq_u32 s60, 2
	s_cbranch_scc1 .LBB149_302
; %bb.297:
	s_and_b32 s26, s27, 28
	s_add_u32 s2, s34, 0xc4
	s_addc_u32 s3, s35, 0
	v_mov_b32_e32 v13, 0
	s_mov_b32 s28, 0
	s_mov_b64 s[24:25], s[34:35]
	v_mov_b32_e32 v7, 0
	v_mov_b32_e32 v8, v4
.LBB149_298:                            ; =>This Inner Loop Header: Depth=1
	s_load_dwordx8 s[12:19], s[24:25], 0x4
	s_load_dwordx4 s[20:23], s[24:25], 0x24
	s_load_dwordx8 s[4:11], s[2:3], 0x0
	s_add_u32 s24, s24, 48
	s_addc_u32 s25, s25, 0
	s_waitcnt lgkmcnt(0)
	v_mul_hi_u32 v10, s13, v8
	s_add_i32 s28, s28, 4
	s_add_u32 s2, s2, 32
	s_addc_u32 s3, s3, 0
	v_add_u32_e32 v10, v8, v10
	v_lshrrev_b32_e32 v10, s14, v10
	v_mul_lo_u32 v11, v10, s12
	v_mul_hi_u32 v14, s16, v10
	s_cmp_lg_u32 s26, s28
	v_sub_u32_e32 v8, v8, v11
	v_add_u32_e32 v11, v10, v14
	v_mul_lo_u32 v14, v8, s4
	v_mul_lo_u32 v16, v8, s5
	v_lshrrev_b32_e32 v8, s17, v11
	v_mul_lo_u32 v11, v8, s15
	v_mul_hi_u32 v17, s19, v8
	v_sub_u32_e32 v10, v10, v11
	v_add_u32_e32 v11, v8, v17
	v_lshrrev_b32_e32 v11, s20, v11
	v_mul_hi_u32 v18, s22, v11
	v_mul_lo_u32 v19, v11, s18
	v_mul_lo_u32 v17, v10, s6
	;; [unrolled: 1-line block ×3, first 2 shown]
	v_sub_u32_e32 v19, v8, v19
	v_add_u32_e32 v8, v11, v18
	v_lshrrev_b32_e32 v8, s23, v8
	v_mul_lo_u32 v18, v8, s21
	v_mul_lo_u32 v20, v19, s8
	;; [unrolled: 1-line block ×3, first 2 shown]
	v_add3_u32 v7, v14, v7, v17
	v_sub_u32_e32 v11, v11, v18
	v_mul_lo_u32 v18, v11, s10
	v_mul_lo_u32 v11, v11, s11
	v_add3_u32 v10, v16, v13, v10
	v_add3_u32 v7, v20, v7, v18
	;; [unrolled: 1-line block ×3, first 2 shown]
	s_cbranch_scc1 .LBB149_298
; %bb.299:
	s_and_b32 s6, s27, 3
	s_cmp_eq_u32 s6, 0
	s_cbranch_scc0 .LBB149_303
	s_branch .LBB149_305
.LBB149_300:
                                        ; implicit-def: $vgpr7
                                        ; implicit-def: $vgpr13
	s_branch .LBB149_306
.LBB149_301:
	v_mov_b32_e32 v7, 0
	v_mov_b32_e32 v13, 0
	s_branch .LBB149_305
.LBB149_302:
	v_mov_b32_e32 v7, 0
	v_mov_b32_e32 v13, 0
	;; [unrolled: 1-line block ×3, first 2 shown]
	s_and_b32 s6, s27, 3
	s_cmp_eq_u32 s6, 0
	s_cbranch_scc1 .LBB149_305
.LBB149_303:
	s_lshl_b32 s2, s26, 3
	s_add_u32 s2, s34, s2
	s_addc_u32 s3, s35, 0
	s_add_u32 s2, s2, 0xc4
	s_addc_u32 s3, s3, 0
	s_mul_i32 s4, s26, 12
	s_add_u32 s4, s34, s4
	s_addc_u32 s5, s35, 0
.LBB149_304:                            ; =>This Inner Loop Header: Depth=1
	s_load_dwordx2 s[8:9], s[4:5], 0x4
	s_load_dword s7, s[4:5], 0xc
	s_load_dwordx2 s[10:11], s[2:3], 0x0
	s_add_u32 s4, s4, 12
	s_addc_u32 s5, s5, 0
	s_waitcnt lgkmcnt(0)
	v_mul_hi_u32 v10, s9, v8
	s_add_u32 s2, s2, 8
	s_addc_u32 s3, s3, 0
	s_add_i32 s6, s6, -1
	v_add_u32_e32 v10, v8, v10
	v_lshrrev_b32_e32 v10, s7, v10
	v_mul_lo_u32 v11, v10, s8
	s_cmp_lg_u32 s6, 0
	v_sub_u32_e32 v11, v8, v11
	v_mad_u64_u32 v[7:8], s[8:9], v11, s10, v[7:8]
	v_mad_u64_u32 v[13:14], s[8:9], v11, s11, v[13:14]
	v_mov_b32_e32 v8, v10
	s_cbranch_scc1 .LBB149_304
.LBB149_305:
	s_cbranch_execnz .LBB149_308
.LBB149_306:
	s_load_dwordx4 s[4:7], s[34:35], 0x4
	s_load_dwordx2 s[2:3], s[34:35], 0xc4
	s_cmp_lt_u32 s33, 2
	s_waitcnt lgkmcnt(0)
	v_mul_hi_u32 v7, s5, v4
	v_add_u32_e32 v7, v4, v7
	v_lshrrev_b32_e32 v8, s6, v7
	v_mul_lo_u32 v7, v8, s4
	v_sub_u32_e32 v4, v4, v7
	v_mul_lo_u32 v7, v4, s2
	v_mul_lo_u32 v13, v4, s3
	s_cbranch_scc1 .LBB149_308
; %bb.307:
	s_load_dwordx4 s[4:7], s[34:35], 0x10
	s_load_dwordx2 s[2:3], s[34:35], 0xcc
	s_waitcnt lgkmcnt(0)
	v_mul_hi_u32 v4, s5, v8
	v_add_u32_e32 v4, v8, v4
	v_lshrrev_b32_e32 v4, s6, v4
	v_mul_lo_u32 v4, v4, s4
	v_sub_u32_e32 v4, v8, v4
	v_mad_u64_u32 v[7:8], s[4:5], v4, s2, v[7:8]
	v_mad_u64_u32 v[13:14], s[2:3], v4, s3, v[13:14]
.LBB149_308:
	s_and_b64 vcc, exec, s[0:1]
	v_add_u32_e32 v4, 0x280, v15
	s_cbranch_vccnz .LBB149_314
; %bb.309:
	s_cmp_lg_u32 s33, 0
	s_mov_b32 s26, 0
	s_cbranch_scc0 .LBB149_315
; %bb.310:
	s_min_u32 s27, s60, 15
	s_add_i32 s27, s27, 1
	s_cmp_eq_u32 s60, 2
	s_cbranch_scc1 .LBB149_316
; %bb.311:
	s_and_b32 s26, s27, 28
	s_add_u32 s2, s34, 0xc4
	s_addc_u32 s3, s35, 0
	v_mov_b32_e32 v16, 0
	s_mov_b32 s28, 0
	s_mov_b64 s[24:25], s[34:35]
	v_mov_b32_e32 v10, 0
	v_mov_b32_e32 v8, v4
.LBB149_312:                            ; =>This Inner Loop Header: Depth=1
	s_load_dwordx8 s[12:19], s[24:25], 0x4
	s_load_dwordx4 s[20:23], s[24:25], 0x24
	s_load_dwordx8 s[4:11], s[2:3], 0x0
	s_add_u32 s24, s24, 48
	s_addc_u32 s25, s25, 0
	s_waitcnt lgkmcnt(0)
	v_mul_hi_u32 v11, s13, v8
	s_add_i32 s28, s28, 4
	s_add_u32 s2, s2, 32
	s_addc_u32 s3, s3, 0
	v_add_u32_e32 v11, v8, v11
	v_lshrrev_b32_e32 v11, s14, v11
	v_mul_lo_u32 v14, v11, s12
	v_mul_hi_u32 v17, s16, v11
	s_cmp_lg_u32 s26, s28
	v_sub_u32_e32 v8, v8, v14
	v_add_u32_e32 v14, v11, v17
	v_mul_lo_u32 v17, v8, s4
	v_mul_lo_u32 v18, v8, s5
	v_lshrrev_b32_e32 v8, s17, v14
	v_mul_lo_u32 v14, v8, s15
	v_mul_hi_u32 v19, s19, v8
	v_sub_u32_e32 v11, v11, v14
	v_add_u32_e32 v14, v8, v19
	v_lshrrev_b32_e32 v14, s20, v14
	v_mul_hi_u32 v20, s22, v14
	v_mul_lo_u32 v21, v14, s18
	v_mul_lo_u32 v19, v11, s6
	;; [unrolled: 1-line block ×3, first 2 shown]
	v_sub_u32_e32 v21, v8, v21
	v_add_u32_e32 v8, v14, v20
	v_lshrrev_b32_e32 v8, s23, v8
	v_mul_lo_u32 v20, v8, s21
	v_mul_lo_u32 v23, v21, s8
	;; [unrolled: 1-line block ×3, first 2 shown]
	v_add3_u32 v10, v17, v10, v19
	v_sub_u32_e32 v14, v14, v20
	v_mul_lo_u32 v20, v14, s10
	v_mul_lo_u32 v14, v14, s11
	v_add3_u32 v11, v18, v16, v11
	v_add3_u32 v10, v23, v10, v20
	;; [unrolled: 1-line block ×3, first 2 shown]
	s_cbranch_scc1 .LBB149_312
; %bb.313:
	s_and_b32 s6, s27, 3
	s_cmp_eq_u32 s6, 0
	s_cbranch_scc0 .LBB149_317
	s_branch .LBB149_319
.LBB149_314:
                                        ; implicit-def: $vgpr10
                                        ; implicit-def: $vgpr16
	s_branch .LBB149_320
.LBB149_315:
	v_mov_b32_e32 v10, 0
	v_mov_b32_e32 v16, 0
	s_branch .LBB149_319
.LBB149_316:
	v_mov_b32_e32 v10, 0
	v_mov_b32_e32 v16, 0
	;; [unrolled: 1-line block ×3, first 2 shown]
	s_and_b32 s6, s27, 3
	s_cmp_eq_u32 s6, 0
	s_cbranch_scc1 .LBB149_319
.LBB149_317:
	s_lshl_b32 s2, s26, 3
	s_add_u32 s2, s34, s2
	s_addc_u32 s3, s35, 0
	s_add_u32 s2, s2, 0xc4
	s_addc_u32 s3, s3, 0
	s_mul_i32 s4, s26, 12
	s_add_u32 s4, s34, s4
	s_addc_u32 s5, s35, 0
.LBB149_318:                            ; =>This Inner Loop Header: Depth=1
	s_load_dwordx2 s[8:9], s[4:5], 0x4
	s_load_dword s7, s[4:5], 0xc
	s_load_dwordx2 s[10:11], s[2:3], 0x0
	s_add_u32 s4, s4, 12
	s_addc_u32 s5, s5, 0
	s_waitcnt lgkmcnt(0)
	v_mul_hi_u32 v11, s9, v8
	s_add_u32 s2, s2, 8
	s_addc_u32 s3, s3, 0
	s_add_i32 s6, s6, -1
	v_add_u32_e32 v11, v8, v11
	v_lshrrev_b32_e32 v14, s7, v11
	v_mul_lo_u32 v11, v14, s8
	s_cmp_lg_u32 s6, 0
	v_sub_u32_e32 v8, v8, v11
	v_mad_u64_u32 v[10:11], s[8:9], v8, s10, v[10:11]
	v_mad_u64_u32 v[16:17], s[8:9], v8, s11, v[16:17]
	v_mov_b32_e32 v8, v14
	s_cbranch_scc1 .LBB149_318
.LBB149_319:
	s_cbranch_execnz .LBB149_322
.LBB149_320:
	s_load_dwordx4 s[4:7], s[34:35], 0x4
	s_load_dwordx2 s[2:3], s[34:35], 0xc4
	s_cmp_lt_u32 s33, 2
	s_waitcnt lgkmcnt(0)
	v_mul_hi_u32 v8, s5, v4
	v_add_u32_e32 v8, v4, v8
	v_lshrrev_b32_e32 v8, s6, v8
	v_mul_lo_u32 v10, v8, s4
	v_sub_u32_e32 v4, v4, v10
	v_mul_lo_u32 v10, v4, s2
	v_mul_lo_u32 v16, v4, s3
	s_cbranch_scc1 .LBB149_322
; %bb.321:
	s_load_dwordx4 s[4:7], s[34:35], 0x10
	s_load_dwordx2 s[2:3], s[34:35], 0xcc
	s_waitcnt lgkmcnt(0)
	v_mul_hi_u32 v4, s5, v8
	v_add_u32_e32 v4, v8, v4
	v_lshrrev_b32_e32 v4, s6, v4
	v_mul_lo_u32 v4, v4, s4
	v_sub_u32_e32 v4, v8, v4
	v_mad_u64_u32 v[10:11], s[4:5], v4, s2, v[10:11]
	v_mad_u64_u32 v[16:17], s[2:3], v4, s3, v[16:17]
.LBB149_322:
	s_and_b64 vcc, exec, s[0:1]
	v_add_u32_e32 v4, 0x300, v15
	s_cbranch_vccnz .LBB149_328
; %bb.323:
	s_cmp_lg_u32 s33, 0
	s_mov_b32 s26, 0
	s_cbranch_scc0 .LBB149_329
; %bb.324:
	s_min_u32 s27, s60, 15
	s_add_i32 s27, s27, 1
	s_cmp_eq_u32 s60, 2
	s_cbranch_scc1 .LBB149_330
; %bb.325:
	s_and_b32 s26, s27, 28
	s_add_u32 s2, s34, 0xc4
	s_addc_u32 s3, s35, 0
	v_mov_b32_e32 v17, 0
	s_mov_b32 s28, 0
	s_mov_b64 s[24:25], s[34:35]
	v_mov_b32_e32 v14, 0
	v_mov_b32_e32 v8, v4
.LBB149_326:                            ; =>This Inner Loop Header: Depth=1
	s_load_dwordx8 s[12:19], s[24:25], 0x4
	s_load_dwordx4 s[20:23], s[24:25], 0x24
	s_load_dwordx8 s[4:11], s[2:3], 0x0
	s_add_u32 s24, s24, 48
	s_addc_u32 s25, s25, 0
	s_waitcnt lgkmcnt(0)
	v_mul_hi_u32 v11, s13, v8
	s_add_i32 s28, s28, 4
	s_add_u32 s2, s2, 32
	s_addc_u32 s3, s3, 0
	v_add_u32_e32 v11, v8, v11
	v_lshrrev_b32_e32 v11, s14, v11
	v_mul_lo_u32 v15, v11, s12
	v_mul_hi_u32 v18, s16, v11
	s_cmp_lg_u32 s26, s28
	v_sub_u32_e32 v8, v8, v15
	v_add_u32_e32 v15, v11, v18
	v_mul_lo_u32 v18, v8, s4
	v_mul_lo_u32 v19, v8, s5
	v_lshrrev_b32_e32 v8, s17, v15
	v_mul_lo_u32 v15, v8, s15
	v_mul_hi_u32 v20, s19, v8
	v_sub_u32_e32 v11, v11, v15
	v_add_u32_e32 v15, v8, v20
	v_lshrrev_b32_e32 v15, s20, v15
	v_mul_hi_u32 v21, s22, v15
	v_mul_lo_u32 v23, v15, s18
	v_mul_lo_u32 v20, v11, s6
	;; [unrolled: 1-line block ×3, first 2 shown]
	v_sub_u32_e32 v23, v8, v23
	v_add_u32_e32 v8, v15, v21
	v_lshrrev_b32_e32 v8, s23, v8
	v_mul_lo_u32 v21, v8, s21
	v_mul_lo_u32 v24, v23, s8
	v_mul_lo_u32 v23, v23, s9
	v_add3_u32 v14, v18, v14, v20
	v_sub_u32_e32 v15, v15, v21
	v_mul_lo_u32 v21, v15, s10
	v_mul_lo_u32 v15, v15, s11
	v_add3_u32 v11, v19, v17, v11
	v_add3_u32 v14, v24, v14, v21
	;; [unrolled: 1-line block ×3, first 2 shown]
	s_cbranch_scc1 .LBB149_326
; %bb.327:
	s_and_b32 s6, s27, 3
	s_cmp_eq_u32 s6, 0
	s_cbranch_scc0 .LBB149_331
	s_branch .LBB149_333
.LBB149_328:
                                        ; implicit-def: $vgpr14
                                        ; implicit-def: $vgpr17
	s_branch .LBB149_334
.LBB149_329:
	v_mov_b32_e32 v14, 0
	v_mov_b32_e32 v17, 0
	s_branch .LBB149_333
.LBB149_330:
	v_mov_b32_e32 v14, 0
	v_mov_b32_e32 v17, 0
	;; [unrolled: 1-line block ×3, first 2 shown]
	s_and_b32 s6, s27, 3
	s_cmp_eq_u32 s6, 0
	s_cbranch_scc1 .LBB149_333
.LBB149_331:
	s_lshl_b32 s2, s26, 3
	s_add_u32 s2, s34, s2
	s_addc_u32 s3, s35, 0
	s_add_u32 s2, s2, 0xc4
	s_addc_u32 s3, s3, 0
	s_mul_i32 s4, s26, 12
	s_add_u32 s4, s34, s4
	s_addc_u32 s5, s35, 0
.LBB149_332:                            ; =>This Inner Loop Header: Depth=1
	s_load_dwordx2 s[8:9], s[4:5], 0x4
	s_load_dword s7, s[4:5], 0xc
	s_load_dwordx2 s[10:11], s[2:3], 0x0
	s_add_u32 s4, s4, 12
	s_addc_u32 s5, s5, 0
	s_waitcnt lgkmcnt(0)
	v_mul_hi_u32 v11, s9, v8
	s_add_u32 s2, s2, 8
	s_addc_u32 s3, s3, 0
	s_add_i32 s6, s6, -1
	v_add_u32_e32 v11, v8, v11
	v_lshrrev_b32_e32 v11, s7, v11
	v_mul_lo_u32 v15, v11, s8
	s_cmp_lg_u32 s6, 0
	v_sub_u32_e32 v8, v8, v15
	v_mad_u64_u32 v[14:15], s[8:9], v8, s10, v[14:15]
	v_mad_u64_u32 v[17:18], s[8:9], v8, s11, v[17:18]
	v_mov_b32_e32 v8, v11
	s_cbranch_scc1 .LBB149_332
.LBB149_333:
	s_cbranch_execnz .LBB149_336
.LBB149_334:
	s_load_dwordx4 s[4:7], s[34:35], 0x4
	s_load_dwordx2 s[2:3], s[34:35], 0xc4
	s_cmp_lt_u32 s33, 2
	s_waitcnt lgkmcnt(0)
	v_mul_hi_u32 v8, s5, v4
	v_add_u32_e32 v8, v4, v8
	v_lshrrev_b32_e32 v8, s6, v8
	v_mul_lo_u32 v11, v8, s4
	v_sub_u32_e32 v4, v4, v11
	v_mul_lo_u32 v14, v4, s2
	v_mul_lo_u32 v17, v4, s3
	s_cbranch_scc1 .LBB149_336
; %bb.335:
	s_load_dwordx4 s[4:7], s[34:35], 0x10
	s_load_dwordx2 s[2:3], s[34:35], 0xcc
	s_waitcnt lgkmcnt(0)
	v_mul_hi_u32 v4, s5, v8
	v_add_u32_e32 v4, v8, v4
	v_lshrrev_b32_e32 v4, s6, v4
	v_mul_lo_u32 v4, v4, s4
	v_sub_u32_e32 v4, v8, v4
	v_mad_u64_u32 v[14:15], s[4:5], v4, s2, v[14:15]
	v_mad_u64_u32 v[17:18], s[2:3], v4, s3, v[17:18]
.LBB149_336:
	s_and_b64 vcc, exec, s[0:1]
	s_cbranch_vccnz .LBB149_342
; %bb.337:
	s_cmp_lg_u32 s33, 0
	s_mov_b32 s24, 0
	s_cbranch_scc0 .LBB149_343
; %bb.338:
	s_min_u32 s25, s60, 15
	s_add_i32 s25, s25, 1
	s_cmp_eq_u32 s60, 2
	s_cbranch_scc1 .LBB149_344
; %bb.339:
	s_and_b32 s24, s25, 28
	s_add_u32 s20, s34, 0xc4
	s_addc_u32 s21, s35, 0
	v_mov_b32_e32 v20, 0
	s_mov_b32 s26, 0
	s_mov_b64 s[22:23], s[34:35]
	v_mov_b32_e32 v18, 0
	v_mov_b32_e32 v4, v22
.LBB149_340:                            ; =>This Inner Loop Header: Depth=1
	s_load_dwordx8 s[8:15], s[22:23], 0x4
	s_load_dwordx4 s[16:19], s[22:23], 0x24
	s_load_dwordx8 s[0:7], s[20:21], 0x0
	s_add_u32 s22, s22, 48
	s_addc_u32 s23, s23, 0
	s_waitcnt lgkmcnt(0)
	v_mul_hi_u32 v8, s9, v4
	s_add_i32 s26, s26, 4
	s_add_u32 s20, s20, 32
	s_addc_u32 s21, s21, 0
	v_add_u32_e32 v8, v4, v8
	v_lshrrev_b32_e32 v8, s10, v8
	v_mul_lo_u32 v11, v8, s8
	v_mul_hi_u32 v15, s12, v8
	s_cmp_lg_u32 s24, s26
	v_sub_u32_e32 v4, v4, v11
	v_add_u32_e32 v11, v8, v15
	v_mul_lo_u32 v15, v4, s0
	v_mul_lo_u32 v19, v4, s1
	v_lshrrev_b32_e32 v4, s13, v11
	v_mul_lo_u32 v11, v4, s11
	v_mul_hi_u32 v21, s15, v4
	v_sub_u32_e32 v8, v8, v11
	v_add_u32_e32 v11, v4, v21
	v_lshrrev_b32_e32 v11, s16, v11
	v_mul_hi_u32 v23, s18, v11
	v_mul_lo_u32 v24, v11, s14
	v_mul_lo_u32 v21, v8, s2
	;; [unrolled: 1-line block ×3, first 2 shown]
	v_sub_u32_e32 v24, v4, v24
	v_add_u32_e32 v4, v11, v23
	v_lshrrev_b32_e32 v4, s19, v4
	v_mul_lo_u32 v23, v4, s17
	v_mul_lo_u32 v25, v24, s4
	;; [unrolled: 1-line block ×3, first 2 shown]
	v_add3_u32 v15, v15, v18, v21
	v_sub_u32_e32 v11, v11, v23
	v_mul_lo_u32 v23, v11, s6
	v_mul_lo_u32 v11, v11, s7
	v_add3_u32 v8, v19, v20, v8
	v_add3_u32 v18, v25, v15, v23
	;; [unrolled: 1-line block ×3, first 2 shown]
	s_cbranch_scc1 .LBB149_340
; %bb.341:
	s_and_b32 s4, s25, 3
	s_cmp_eq_u32 s4, 0
	s_cbranch_scc0 .LBB149_345
	s_branch .LBB149_347
.LBB149_342:
                                        ; implicit-def: $vgpr18
                                        ; implicit-def: $vgpr20
	s_branch .LBB149_348
.LBB149_343:
	v_mov_b32_e32 v18, 0
	v_mov_b32_e32 v20, 0
	s_branch .LBB149_347
.LBB149_344:
	v_mov_b32_e32 v18, 0
	v_mov_b32_e32 v20, 0
	;; [unrolled: 1-line block ×3, first 2 shown]
	s_and_b32 s4, s25, 3
	s_cmp_eq_u32 s4, 0
	s_cbranch_scc1 .LBB149_347
.LBB149_345:
	s_lshl_b32 s0, s24, 3
	s_add_u32 s0, s34, s0
	s_addc_u32 s1, s35, 0
	s_add_u32 s0, s0, 0xc4
	s_addc_u32 s1, s1, 0
	s_mul_i32 s2, s24, 12
	s_add_u32 s2, s34, s2
	s_addc_u32 s3, s35, 0
.LBB149_346:                            ; =>This Inner Loop Header: Depth=1
	s_load_dwordx2 s[6:7], s[2:3], 0x4
	s_load_dword s5, s[2:3], 0xc
	s_load_dwordx2 s[8:9], s[0:1], 0x0
	s_add_u32 s2, s2, 12
	s_addc_u32 s3, s3, 0
	s_waitcnt lgkmcnt(0)
	v_mul_hi_u32 v8, s7, v4
	s_add_u32 s0, s0, 8
	s_addc_u32 s1, s1, 0
	s_add_i32 s4, s4, -1
	v_add_u32_e32 v8, v4, v8
	v_lshrrev_b32_e32 v8, s5, v8
	v_mul_lo_u32 v11, v8, s6
	s_cmp_lg_u32 s4, 0
	v_sub_u32_e32 v4, v4, v11
	v_mad_u64_u32 v[18:19], s[6:7], v4, s8, v[18:19]
	v_mad_u64_u32 v[20:21], s[6:7], v4, s9, v[20:21]
	v_mov_b32_e32 v4, v8
	s_cbranch_scc1 .LBB149_346
.LBB149_347:
	s_cbranch_execnz .LBB149_350
.LBB149_348:
	s_load_dwordx4 s[0:3], s[34:35], 0x4
	s_load_dwordx2 s[4:5], s[34:35], 0xc4
	s_cmp_lt_u32 s33, 2
	s_waitcnt lgkmcnt(0)
	v_mul_hi_u32 v4, s1, v22
	v_add_u32_e32 v4, v22, v4
	v_lshrrev_b32_e32 v4, s2, v4
	v_mul_lo_u32 v8, v4, s0
	v_sub_u32_e32 v8, v22, v8
	v_mul_lo_u32 v18, v8, s4
	v_mul_lo_u32 v20, v8, s5
	s_cbranch_scc1 .LBB149_350
; %bb.349:
	s_load_dwordx4 s[0:3], s[34:35], 0x10
	s_load_dwordx2 s[4:5], s[34:35], 0xcc
	s_waitcnt lgkmcnt(0)
	v_mul_hi_u32 v8, s1, v4
	v_add_u32_e32 v8, v4, v8
	v_lshrrev_b32_e32 v8, s2, v8
	v_mul_lo_u32 v8, v8, s0
	v_sub_u32_e32 v4, v4, v8
	v_mad_u64_u32 v[18:19], s[0:1], v4, s4, v[18:19]
	v_mad_u64_u32 v[20:21], s[0:1], v4, s5, v[20:21]
.LBB149_350:
	s_load_dwordx4 s[4:7], s[34:35], 0x148
	s_load_dwordx2 s[10:11], s[34:35], 0x158
	s_mov_b64 s[12:13], 0
	s_waitcnt lgkmcnt(0)
	global_load_ubyte v4, v5, s[6:7]
	s_bitcmp1_b32 s11, 0
	s_cselect_b64 s[2:3], -1, 0
	s_cmp_lt_i32 s10, 1
	s_waitcnt vmcnt(0)
	v_cmp_ne_u16_e64 s[0:1], 0, v4
	s_cbranch_scc1 .LBB149_354
; %bb.351:
	s_cmp_gt_i32 s10, 1
	s_cbranch_scc0 .LBB149_355
; %bb.352:
	s_cmp_eq_u32 s10, 2
	s_cbranch_scc0 .LBB149_356
; %bb.353:
	s_xor_b64 s[8:9], s[0:1], -1
	s_or_b64 s[8:9], s[2:3], s[8:9]
	s_mov_b64 s[14:15], 0
	s_branch .LBB149_357
.LBB149_354:
                                        ; implicit-def: $sgpr8_sgpr9
	s_mov_b64 s[14:15], 0
	s_cbranch_execnz .LBB149_360
	s_branch .LBB149_361
.LBB149_355:
	s_mov_b64 s[14:15], 0
                                        ; implicit-def: $sgpr8_sgpr9
	s_cbranch_execnz .LBB149_358
	s_branch .LBB149_359
.LBB149_356:
	s_mov_b64 s[14:15], -1
                                        ; implicit-def: $sgpr8_sgpr9
.LBB149_357:
	s_branch .LBB149_359
.LBB149_358:
	s_xor_b64 s[16:17], s[2:3], -1
	s_and_b64 s[16:17], s[0:1], s[16:17]
	s_andn2_b64 s[8:9], s[8:9], exec
	s_and_b64 s[16:17], s[16:17], exec
	s_or_b64 s[8:9], s[8:9], s[16:17]
.LBB149_359:
	s_branch .LBB149_361
.LBB149_360:
	s_cmp_lg_u32 s10, 0
	s_mov_b64 s[12:13], -1
	s_cselect_b64 s[14:15], -1, 0
.LBB149_361:
	s_andn2_b64 vcc, exec, s[14:15]
	s_cbranch_vccz .LBB149_368
; %bb.362:
	s_andn2_b64 vcc, exec, s[12:13]
	s_cbranch_vccnz .LBB149_364
.LBB149_363:
	s_xor_b64 s[12:13], s[2:3], -1
	s_or_b64 s[0:1], s[0:1], s[12:13]
	s_andn2_b64 s[8:9], s[8:9], exec
	s_and_b64 s[0:1], s[0:1], exec
	s_or_b64 s[8:9], s[8:9], s[0:1]
.LBB149_364:
	global_load_ubyte v4, v6, s[6:7]
	s_cmp_lt_i32 s10, 1
	s_mov_b64 s[14:15], 0
	s_waitcnt vmcnt(0)
	v_cmp_ne_u16_e64 s[0:1], 0, v4
	s_cbranch_scc1 .LBB149_369
; %bb.365:
	s_cmp_gt_i32 s10, 1
	s_cbranch_scc0 .LBB149_370
; %bb.366:
	s_cmp_eq_u32 s10, 2
	s_cbranch_scc0 .LBB149_371
; %bb.367:
	s_xor_b64 s[12:13], s[0:1], -1
	s_or_b64 s[12:13], s[2:3], s[12:13]
	s_mov_b64 s[16:17], 0
	s_branch .LBB149_372
.LBB149_368:
	s_xor_b64 s[12:13], s[0:1], -1
	s_and_b64 s[14:15], s[2:3], s[12:13]
	s_andn2_b64 s[8:9], s[8:9], exec
	s_and_b64 s[14:15], s[14:15], exec
	s_or_b64 s[8:9], s[8:9], s[14:15]
	s_cbranch_execz .LBB149_363
	s_branch .LBB149_364
.LBB149_369:
                                        ; implicit-def: $sgpr12_sgpr13
	s_mov_b64 s[16:17], 0
	s_cbranch_execnz .LBB149_375
	s_branch .LBB149_376
.LBB149_370:
	s_mov_b64 s[16:17], 0
                                        ; implicit-def: $sgpr12_sgpr13
	s_cbranch_execnz .LBB149_373
	s_branch .LBB149_374
.LBB149_371:
	s_mov_b64 s[16:17], -1
                                        ; implicit-def: $sgpr12_sgpr13
.LBB149_372:
	s_branch .LBB149_374
.LBB149_373:
	s_xor_b64 s[18:19], s[2:3], -1
	s_and_b64 s[18:19], s[0:1], s[18:19]
	s_andn2_b64 s[12:13], s[12:13], exec
	s_and_b64 s[18:19], s[18:19], exec
	s_or_b64 s[12:13], s[12:13], s[18:19]
.LBB149_374:
	s_branch .LBB149_376
.LBB149_375:
	s_cmp_lg_u32 s10, 0
	s_mov_b64 s[14:15], -1
	s_cselect_b64 s[16:17], -1, 0
.LBB149_376:
	s_andn2_b64 vcc, exec, s[16:17]
	s_cbranch_vccz .LBB149_383
; %bb.377:
	s_andn2_b64 vcc, exec, s[14:15]
	s_cbranch_vccnz .LBB149_379
.LBB149_378:
	s_xor_b64 s[14:15], s[2:3], -1
	s_or_b64 s[0:1], s[0:1], s[14:15]
	s_andn2_b64 s[12:13], s[12:13], exec
	s_and_b64 s[0:1], s[0:1], exec
	s_or_b64 s[12:13], s[12:13], s[0:1]
.LBB149_379:
	global_load_ubyte v4, v9, s[6:7]
	s_cmp_lt_i32 s10, 1
	s_mov_b64 s[16:17], 0
	s_waitcnt vmcnt(0)
	v_cmp_ne_u16_e64 s[0:1], 0, v4
	s_cbranch_scc1 .LBB149_384
; %bb.380:
	s_cmp_gt_i32 s10, 1
	s_cbranch_scc0 .LBB149_385
; %bb.381:
	s_cmp_eq_u32 s10, 2
	s_cbranch_scc0 .LBB149_386
; %bb.382:
	s_xor_b64 s[14:15], s[0:1], -1
	s_or_b64 s[14:15], s[2:3], s[14:15]
	s_mov_b64 s[18:19], 0
	s_branch .LBB149_387
.LBB149_383:
	s_xor_b64 s[14:15], s[0:1], -1
	s_and_b64 s[16:17], s[2:3], s[14:15]
	s_andn2_b64 s[12:13], s[12:13], exec
	s_and_b64 s[16:17], s[16:17], exec
	s_or_b64 s[12:13], s[12:13], s[16:17]
	s_cbranch_execz .LBB149_378
	s_branch .LBB149_379
.LBB149_384:
                                        ; implicit-def: $sgpr14_sgpr15
	s_mov_b64 s[18:19], 0
	s_cbranch_execnz .LBB149_390
	s_branch .LBB149_391
.LBB149_385:
	s_mov_b64 s[18:19], 0
                                        ; implicit-def: $sgpr14_sgpr15
	s_cbranch_execnz .LBB149_388
	s_branch .LBB149_389
.LBB149_386:
	s_mov_b64 s[18:19], -1
                                        ; implicit-def: $sgpr14_sgpr15
.LBB149_387:
	s_branch .LBB149_389
.LBB149_388:
	s_xor_b64 s[20:21], s[2:3], -1
	s_and_b64 s[20:21], s[0:1], s[20:21]
	s_andn2_b64 s[14:15], s[14:15], exec
	s_and_b64 s[20:21], s[20:21], exec
	s_or_b64 s[14:15], s[14:15], s[20:21]
.LBB149_389:
	s_branch .LBB149_391
.LBB149_390:
	s_cmp_lg_u32 s10, 0
	s_mov_b64 s[16:17], -1
	s_cselect_b64 s[18:19], -1, 0
.LBB149_391:
	s_andn2_b64 vcc, exec, s[18:19]
	s_cbranch_vccz .LBB149_398
; %bb.392:
	s_andn2_b64 vcc, exec, s[16:17]
	s_cbranch_vccnz .LBB149_394
.LBB149_393:
	s_xor_b64 s[16:17], s[2:3], -1
	s_or_b64 s[0:1], s[0:1], s[16:17]
	s_andn2_b64 s[14:15], s[14:15], exec
	s_and_b64 s[0:1], s[0:1], exec
	s_or_b64 s[14:15], s[14:15], s[0:1]
.LBB149_394:
	global_load_ubyte v4, v12, s[6:7]
	s_cmp_lt_i32 s10, 1
	s_mov_b64 s[18:19], 0
	s_waitcnt vmcnt(0)
	v_cmp_ne_u16_e64 s[0:1], 0, v4
	s_cbranch_scc1 .LBB149_399
; %bb.395:
	s_cmp_gt_i32 s10, 1
	s_cbranch_scc0 .LBB149_400
; %bb.396:
	s_cmp_eq_u32 s10, 2
	s_cbranch_scc0 .LBB149_401
; %bb.397:
	s_xor_b64 s[16:17], s[0:1], -1
	s_or_b64 s[16:17], s[2:3], s[16:17]
	s_mov_b64 s[20:21], 0
	s_branch .LBB149_402
.LBB149_398:
	s_xor_b64 s[16:17], s[0:1], -1
	s_and_b64 s[18:19], s[2:3], s[16:17]
	s_andn2_b64 s[14:15], s[14:15], exec
	s_and_b64 s[18:19], s[18:19], exec
	s_or_b64 s[14:15], s[14:15], s[18:19]
	s_cbranch_execz .LBB149_393
	s_branch .LBB149_394
.LBB149_399:
                                        ; implicit-def: $sgpr16_sgpr17
	s_mov_b64 s[20:21], 0
	s_cbranch_execnz .LBB149_405
	s_branch .LBB149_406
.LBB149_400:
	s_mov_b64 s[20:21], 0
                                        ; implicit-def: $sgpr16_sgpr17
	s_cbranch_execnz .LBB149_403
	s_branch .LBB149_404
.LBB149_401:
	s_mov_b64 s[20:21], -1
                                        ; implicit-def: $sgpr16_sgpr17
.LBB149_402:
	s_branch .LBB149_404
.LBB149_403:
	s_xor_b64 s[22:23], s[2:3], -1
	s_and_b64 s[22:23], s[0:1], s[22:23]
	s_andn2_b64 s[16:17], s[16:17], exec
	s_and_b64 s[22:23], s[22:23], exec
	s_or_b64 s[16:17], s[16:17], s[22:23]
.LBB149_404:
	s_branch .LBB149_406
.LBB149_405:
	s_cmp_lg_u32 s10, 0
	s_mov_b64 s[18:19], -1
	s_cselect_b64 s[20:21], -1, 0
.LBB149_406:
	s_andn2_b64 vcc, exec, s[20:21]
	s_cbranch_vccz .LBB149_413
; %bb.407:
	s_andn2_b64 vcc, exec, s[18:19]
	s_cbranch_vccnz .LBB149_409
.LBB149_408:
	s_xor_b64 s[18:19], s[2:3], -1
	s_or_b64 s[0:1], s[0:1], s[18:19]
	s_andn2_b64 s[16:17], s[16:17], exec
	s_and_b64 s[0:1], s[0:1], exec
	s_or_b64 s[16:17], s[16:17], s[0:1]
.LBB149_409:
	global_load_ubyte v4, v13, s[6:7]
	s_cmp_lt_i32 s10, 1
	s_mov_b64 s[20:21], 0
	s_waitcnt vmcnt(0)
	v_cmp_ne_u16_e64 s[0:1], 0, v4
	s_cbranch_scc1 .LBB149_414
; %bb.410:
	s_cmp_gt_i32 s10, 1
	s_cbranch_scc0 .LBB149_415
; %bb.411:
	s_cmp_eq_u32 s10, 2
	s_cbranch_scc0 .LBB149_416
; %bb.412:
	s_xor_b64 s[18:19], s[0:1], -1
	s_or_b64 s[18:19], s[2:3], s[18:19]
	s_mov_b64 s[22:23], 0
	s_branch .LBB149_417
.LBB149_413:
	s_xor_b64 s[18:19], s[0:1], -1
	s_and_b64 s[20:21], s[2:3], s[18:19]
	s_andn2_b64 s[16:17], s[16:17], exec
	s_and_b64 s[20:21], s[20:21], exec
	s_or_b64 s[16:17], s[16:17], s[20:21]
	s_cbranch_execz .LBB149_408
	s_branch .LBB149_409
.LBB149_414:
                                        ; implicit-def: $sgpr18_sgpr19
	s_mov_b64 s[22:23], 0
	s_cbranch_execnz .LBB149_420
	s_branch .LBB149_421
.LBB149_415:
	s_mov_b64 s[22:23], 0
                                        ; implicit-def: $sgpr18_sgpr19
	s_cbranch_execnz .LBB149_418
	s_branch .LBB149_419
.LBB149_416:
	s_mov_b64 s[22:23], -1
                                        ; implicit-def: $sgpr18_sgpr19
.LBB149_417:
	s_branch .LBB149_419
.LBB149_418:
	s_xor_b64 s[24:25], s[2:3], -1
	s_and_b64 s[24:25], s[0:1], s[24:25]
	s_andn2_b64 s[18:19], s[18:19], exec
	s_and_b64 s[24:25], s[24:25], exec
	s_or_b64 s[18:19], s[18:19], s[24:25]
.LBB149_419:
	s_branch .LBB149_421
.LBB149_420:
	s_cmp_lg_u32 s10, 0
	s_mov_b64 s[20:21], -1
	s_cselect_b64 s[22:23], -1, 0
.LBB149_421:
	s_andn2_b64 vcc, exec, s[22:23]
	s_cbranch_vccz .LBB149_428
; %bb.422:
	s_andn2_b64 vcc, exec, s[20:21]
	s_cbranch_vccnz .LBB149_424
.LBB149_423:
	s_xor_b64 s[20:21], s[2:3], -1
	s_or_b64 s[0:1], s[0:1], s[20:21]
	s_andn2_b64 s[18:19], s[18:19], exec
	s_and_b64 s[0:1], s[0:1], exec
	s_or_b64 s[18:19], s[18:19], s[0:1]
.LBB149_424:
	global_load_ubyte v4, v16, s[6:7]
	s_cmp_lt_i32 s10, 1
	s_mov_b64 s[22:23], 0
	s_waitcnt vmcnt(0)
	v_cmp_ne_u16_e64 s[0:1], 0, v4
	s_cbranch_scc1 .LBB149_429
; %bb.425:
	s_cmp_gt_i32 s10, 1
	s_cbranch_scc0 .LBB149_430
; %bb.426:
	s_cmp_eq_u32 s10, 2
	s_cbranch_scc0 .LBB149_431
; %bb.427:
	s_xor_b64 s[20:21], s[0:1], -1
	s_or_b64 s[20:21], s[2:3], s[20:21]
	s_mov_b64 s[24:25], 0
	s_branch .LBB149_432
.LBB149_428:
	s_xor_b64 s[20:21], s[0:1], -1
	s_and_b64 s[22:23], s[2:3], s[20:21]
	s_andn2_b64 s[18:19], s[18:19], exec
	s_and_b64 s[22:23], s[22:23], exec
	s_or_b64 s[18:19], s[18:19], s[22:23]
	s_cbranch_execz .LBB149_423
	s_branch .LBB149_424
.LBB149_429:
                                        ; implicit-def: $sgpr20_sgpr21
	s_mov_b64 s[24:25], 0
	s_cbranch_execnz .LBB149_435
	s_branch .LBB149_436
.LBB149_430:
	s_mov_b64 s[24:25], 0
                                        ; implicit-def: $sgpr20_sgpr21
	s_cbranch_execnz .LBB149_433
	s_branch .LBB149_434
.LBB149_431:
	s_mov_b64 s[24:25], -1
                                        ; implicit-def: $sgpr20_sgpr21
.LBB149_432:
	s_branch .LBB149_434
.LBB149_433:
	s_xor_b64 s[26:27], s[2:3], -1
	s_and_b64 s[26:27], s[0:1], s[26:27]
	s_andn2_b64 s[20:21], s[20:21], exec
	s_and_b64 s[26:27], s[26:27], exec
	s_or_b64 s[20:21], s[20:21], s[26:27]
.LBB149_434:
	s_branch .LBB149_436
.LBB149_435:
	s_cmp_lg_u32 s10, 0
	s_mov_b64 s[22:23], -1
	s_cselect_b64 s[24:25], -1, 0
.LBB149_436:
	s_andn2_b64 vcc, exec, s[24:25]
	s_cbranch_vccz .LBB149_443
; %bb.437:
	s_andn2_b64 vcc, exec, s[22:23]
	s_cbranch_vccnz .LBB149_439
.LBB149_438:
	s_xor_b64 s[22:23], s[2:3], -1
	s_or_b64 s[0:1], s[0:1], s[22:23]
	s_andn2_b64 s[20:21], s[20:21], exec
	s_and_b64 s[0:1], s[0:1], exec
	s_or_b64 s[20:21], s[20:21], s[0:1]
.LBB149_439:
	global_load_ubyte v4, v17, s[6:7]
	s_cmp_lt_i32 s10, 1
	s_mov_b64 s[24:25], 0
	s_waitcnt vmcnt(0)
	v_cmp_ne_u16_e64 s[0:1], 0, v4
	s_cbranch_scc1 .LBB149_444
; %bb.440:
	s_cmp_gt_i32 s10, 1
	s_cbranch_scc0 .LBB149_445
; %bb.441:
	s_cmp_eq_u32 s10, 2
	s_cbranch_scc0 .LBB149_446
; %bb.442:
	s_xor_b64 s[22:23], s[0:1], -1
	s_or_b64 s[22:23], s[2:3], s[22:23]
	s_mov_b64 s[26:27], 0
	s_branch .LBB149_447
.LBB149_443:
	s_xor_b64 s[22:23], s[0:1], -1
	s_and_b64 s[24:25], s[2:3], s[22:23]
	s_andn2_b64 s[20:21], s[20:21], exec
	s_and_b64 s[24:25], s[24:25], exec
	s_or_b64 s[20:21], s[20:21], s[24:25]
	s_cbranch_execz .LBB149_438
	s_branch .LBB149_439
.LBB149_444:
                                        ; implicit-def: $sgpr22_sgpr23
	s_mov_b64 s[26:27], 0
	s_cbranch_execnz .LBB149_450
	s_branch .LBB149_451
.LBB149_445:
	s_mov_b64 s[26:27], 0
                                        ; implicit-def: $sgpr22_sgpr23
	s_cbranch_execnz .LBB149_448
	s_branch .LBB149_449
.LBB149_446:
	s_mov_b64 s[26:27], -1
                                        ; implicit-def: $sgpr22_sgpr23
.LBB149_447:
	s_branch .LBB149_449
.LBB149_448:
	s_xor_b64 s[28:29], s[2:3], -1
	s_and_b64 s[28:29], s[0:1], s[28:29]
	s_andn2_b64 s[22:23], s[22:23], exec
	s_and_b64 s[28:29], s[28:29], exec
	s_or_b64 s[22:23], s[22:23], s[28:29]
.LBB149_449:
	s_branch .LBB149_451
.LBB149_450:
	s_cmp_lg_u32 s10, 0
	s_mov_b64 s[24:25], -1
	s_cselect_b64 s[26:27], -1, 0
.LBB149_451:
	s_andn2_b64 vcc, exec, s[26:27]
	s_cbranch_vccz .LBB149_458
; %bb.452:
	s_andn2_b64 vcc, exec, s[24:25]
	s_cbranch_vccnz .LBB149_454
.LBB149_453:
	s_xor_b64 s[24:25], s[2:3], -1
	s_or_b64 s[0:1], s[0:1], s[24:25]
	s_andn2_b64 s[22:23], s[22:23], exec
	s_and_b64 s[0:1], s[0:1], exec
	s_or_b64 s[22:23], s[22:23], s[0:1]
.LBB149_454:
	global_load_ubyte v4, v20, s[6:7]
	s_cmp_lt_i32 s10, 1
	s_mov_b64 s[24:25], 0
	s_waitcnt vmcnt(0)
	v_cmp_ne_u16_e64 s[0:1], 0, v4
	s_cbranch_scc1 .LBB149_459
; %bb.455:
	s_cmp_gt_i32 s10, 1
	s_cbranch_scc0 .LBB149_460
; %bb.456:
	s_cmp_eq_u32 s10, 2
	s_cbranch_scc0 .LBB149_461
; %bb.457:
	s_xor_b64 s[6:7], s[0:1], -1
	s_or_b64 s[6:7], s[2:3], s[6:7]
	s_mov_b64 s[26:27], 0
	s_branch .LBB149_462
.LBB149_458:
	s_xor_b64 s[24:25], s[0:1], -1
	s_and_b64 s[26:27], s[2:3], s[24:25]
	s_andn2_b64 s[22:23], s[22:23], exec
	s_and_b64 s[26:27], s[26:27], exec
	s_or_b64 s[22:23], s[22:23], s[26:27]
	s_cbranch_execz .LBB149_453
	s_branch .LBB149_454
.LBB149_459:
                                        ; implicit-def: $sgpr6_sgpr7
	s_mov_b64 s[26:27], 0
	s_cbranch_execnz .LBB149_465
	s_branch .LBB149_466
.LBB149_460:
	s_mov_b64 s[26:27], 0
                                        ; implicit-def: $sgpr6_sgpr7
	s_cbranch_execnz .LBB149_463
	s_branch .LBB149_464
.LBB149_461:
	s_mov_b64 s[26:27], -1
                                        ; implicit-def: $sgpr6_sgpr7
.LBB149_462:
	s_branch .LBB149_464
.LBB149_463:
	s_xor_b64 s[28:29], s[2:3], -1
	s_and_b64 s[28:29], s[0:1], s[28:29]
	s_andn2_b64 s[6:7], s[6:7], exec
	s_and_b64 s[28:29], s[28:29], exec
	s_or_b64 s[6:7], s[6:7], s[28:29]
.LBB149_464:
	s_branch .LBB149_466
.LBB149_465:
	s_cmp_lg_u32 s10, 0
	s_mov_b64 s[24:25], -1
	s_cselect_b64 s[26:27], -1, 0
.LBB149_466:
	s_andn2_b64 vcc, exec, s[26:27]
	s_cbranch_vccz .LBB149_470
; %bb.467:
	s_andn2_b64 vcc, exec, s[24:25]
	s_cbranch_vccnz .LBB149_469
.LBB149_468:
	s_xor_b64 s[2:3], s[2:3], -1
	s_or_b64 s[0:1], s[0:1], s[2:3]
	s_andn2_b64 s[2:3], s[6:7], exec
	s_and_b64 s[0:1], s[0:1], exec
	s_or_b64 s[6:7], s[2:3], s[0:1]
.LBB149_469:
	v_cndmask_b32_e64 v12, 0, 1, s[8:9]
	v_cndmask_b32_e64 v4, 0, 1, s[22:23]
	;; [unrolled: 1-line block ×8, first 2 shown]
	global_store_byte v0, v12, s[4:5]
	global_store_byte v1, v11, s[4:5]
	;; [unrolled: 1-line block ×8, first 2 shown]
	s_endpgm
.LBB149_470:
	s_xor_b64 s[10:11], s[0:1], -1
	s_and_b64 s[10:11], s[2:3], s[10:11]
	s_andn2_b64 s[6:7], s[6:7], exec
	s_and_b64 s[10:11], s[10:11], exec
	s_or_b64 s[6:7], s[6:7], s[10:11]
	s_cbranch_execz .LBB149_468
	s_branch .LBB149_469
.LBB149_471:
	s_mov_b64 s[6:7], -1
                                        ; implicit-def: $sgpr4_sgpr5
	s_branch .LBB149_60
.LBB149_472:
	s_mov_b64 s[6:7], -1
                                        ; implicit-def: $sgpr4_sgpr5
	s_branch .LBB149_88
.LBB149_473:
	s_mov_b64 s[6:7], -1
                                        ; implicit-def: $sgpr4_sgpr5
	s_branch .LBB149_116
.LBB149_474:
	s_mov_b64 s[6:7], -1
                                        ; implicit-def: $sgpr4_sgpr5
	s_branch .LBB149_144
.LBB149_475:
	s_mov_b64 s[6:7], -1
                                        ; implicit-def: $sgpr4_sgpr5
	s_branch .LBB149_172
.LBB149_476:
	s_mov_b64 s[6:7], -1
                                        ; implicit-def: $sgpr4_sgpr5
	s_branch .LBB149_200
.LBB149_477:
	s_mov_b64 s[6:7], -1
                                        ; implicit-def: $sgpr4_sgpr5
	s_branch .LBB149_228
	.section	.rodata,"a",@progbits
	.p2align	6, 0x0
	.amdhsa_kernel _ZN2at6native32elementwise_kernel_manual_unrollILi128ELi8EZNS0_22gpu_kernel_impl_nocastIZNS0_21compare_scalar_kernelIbEEvRNS_18TensorIteratorBaseENS0_12_GLOBAL__N_16OpTypeET_EUlbE_EEvS5_RKS8_EUlibE_EEviT1_
		.amdhsa_group_segment_fixed_size 0
		.amdhsa_private_segment_fixed_size 0
		.amdhsa_kernarg_size 360
		.amdhsa_user_sgpr_count 6
		.amdhsa_user_sgpr_private_segment_buffer 1
		.amdhsa_user_sgpr_dispatch_ptr 0
		.amdhsa_user_sgpr_queue_ptr 0
		.amdhsa_user_sgpr_kernarg_segment_ptr 1
		.amdhsa_user_sgpr_dispatch_id 0
		.amdhsa_user_sgpr_flat_scratch_init 0
		.amdhsa_user_sgpr_private_segment_size 0
		.amdhsa_uses_dynamic_stack 0
		.amdhsa_system_sgpr_private_segment_wavefront_offset 0
		.amdhsa_system_sgpr_workgroup_id_x 1
		.amdhsa_system_sgpr_workgroup_id_y 0
		.amdhsa_system_sgpr_workgroup_id_z 0
		.amdhsa_system_sgpr_workgroup_info 0
		.amdhsa_system_vgpr_workitem_id 0
		.amdhsa_next_free_vgpr 26
		.amdhsa_next_free_sgpr 65
		.amdhsa_reserve_vcc 1
		.amdhsa_reserve_flat_scratch 0
		.amdhsa_float_round_mode_32 0
		.amdhsa_float_round_mode_16_64 0
		.amdhsa_float_denorm_mode_32 3
		.amdhsa_float_denorm_mode_16_64 3
		.amdhsa_dx10_clamp 1
		.amdhsa_ieee_mode 1
		.amdhsa_fp16_overflow 0
		.amdhsa_exception_fp_ieee_invalid_op 0
		.amdhsa_exception_fp_denorm_src 0
		.amdhsa_exception_fp_ieee_div_zero 0
		.amdhsa_exception_fp_ieee_overflow 0
		.amdhsa_exception_fp_ieee_underflow 0
		.amdhsa_exception_fp_ieee_inexact 0
		.amdhsa_exception_int_div_zero 0
	.end_amdhsa_kernel
	.section	.text._ZN2at6native32elementwise_kernel_manual_unrollILi128ELi8EZNS0_22gpu_kernel_impl_nocastIZNS0_21compare_scalar_kernelIbEEvRNS_18TensorIteratorBaseENS0_12_GLOBAL__N_16OpTypeET_EUlbE_EEvS5_RKS8_EUlibE_EEviT1_,"axG",@progbits,_ZN2at6native32elementwise_kernel_manual_unrollILi128ELi8EZNS0_22gpu_kernel_impl_nocastIZNS0_21compare_scalar_kernelIbEEvRNS_18TensorIteratorBaseENS0_12_GLOBAL__N_16OpTypeET_EUlbE_EEvS5_RKS8_EUlibE_EEviT1_,comdat
.Lfunc_end149:
	.size	_ZN2at6native32elementwise_kernel_manual_unrollILi128ELi8EZNS0_22gpu_kernel_impl_nocastIZNS0_21compare_scalar_kernelIbEEvRNS_18TensorIteratorBaseENS0_12_GLOBAL__N_16OpTypeET_EUlbE_EEvS5_RKS8_EUlibE_EEviT1_, .Lfunc_end149-_ZN2at6native32elementwise_kernel_manual_unrollILi128ELi8EZNS0_22gpu_kernel_impl_nocastIZNS0_21compare_scalar_kernelIbEEvRNS_18TensorIteratorBaseENS0_12_GLOBAL__N_16OpTypeET_EUlbE_EEvS5_RKS8_EUlibE_EEviT1_
                                        ; -- End function
	.set _ZN2at6native32elementwise_kernel_manual_unrollILi128ELi8EZNS0_22gpu_kernel_impl_nocastIZNS0_21compare_scalar_kernelIbEEvRNS_18TensorIteratorBaseENS0_12_GLOBAL__N_16OpTypeET_EUlbE_EEvS5_RKS8_EUlibE_EEviT1_.num_vgpr, 26
	.set _ZN2at6native32elementwise_kernel_manual_unrollILi128ELi8EZNS0_22gpu_kernel_impl_nocastIZNS0_21compare_scalar_kernelIbEEvRNS_18TensorIteratorBaseENS0_12_GLOBAL__N_16OpTypeET_EUlbE_EEvS5_RKS8_EUlibE_EEviT1_.num_agpr, 0
	.set _ZN2at6native32elementwise_kernel_manual_unrollILi128ELi8EZNS0_22gpu_kernel_impl_nocastIZNS0_21compare_scalar_kernelIbEEvRNS_18TensorIteratorBaseENS0_12_GLOBAL__N_16OpTypeET_EUlbE_EEvS5_RKS8_EUlibE_EEviT1_.numbered_sgpr, 65
	.set _ZN2at6native32elementwise_kernel_manual_unrollILi128ELi8EZNS0_22gpu_kernel_impl_nocastIZNS0_21compare_scalar_kernelIbEEvRNS_18TensorIteratorBaseENS0_12_GLOBAL__N_16OpTypeET_EUlbE_EEvS5_RKS8_EUlibE_EEviT1_.num_named_barrier, 0
	.set _ZN2at6native32elementwise_kernel_manual_unrollILi128ELi8EZNS0_22gpu_kernel_impl_nocastIZNS0_21compare_scalar_kernelIbEEvRNS_18TensorIteratorBaseENS0_12_GLOBAL__N_16OpTypeET_EUlbE_EEvS5_RKS8_EUlibE_EEviT1_.private_seg_size, 0
	.set _ZN2at6native32elementwise_kernel_manual_unrollILi128ELi8EZNS0_22gpu_kernel_impl_nocastIZNS0_21compare_scalar_kernelIbEEvRNS_18TensorIteratorBaseENS0_12_GLOBAL__N_16OpTypeET_EUlbE_EEvS5_RKS8_EUlibE_EEviT1_.uses_vcc, 1
	.set _ZN2at6native32elementwise_kernel_manual_unrollILi128ELi8EZNS0_22gpu_kernel_impl_nocastIZNS0_21compare_scalar_kernelIbEEvRNS_18TensorIteratorBaseENS0_12_GLOBAL__N_16OpTypeET_EUlbE_EEvS5_RKS8_EUlibE_EEviT1_.uses_flat_scratch, 0
	.set _ZN2at6native32elementwise_kernel_manual_unrollILi128ELi8EZNS0_22gpu_kernel_impl_nocastIZNS0_21compare_scalar_kernelIbEEvRNS_18TensorIteratorBaseENS0_12_GLOBAL__N_16OpTypeET_EUlbE_EEvS5_RKS8_EUlibE_EEviT1_.has_dyn_sized_stack, 0
	.set _ZN2at6native32elementwise_kernel_manual_unrollILi128ELi8EZNS0_22gpu_kernel_impl_nocastIZNS0_21compare_scalar_kernelIbEEvRNS_18TensorIteratorBaseENS0_12_GLOBAL__N_16OpTypeET_EUlbE_EEvS5_RKS8_EUlibE_EEviT1_.has_recursion, 0
	.set _ZN2at6native32elementwise_kernel_manual_unrollILi128ELi8EZNS0_22gpu_kernel_impl_nocastIZNS0_21compare_scalar_kernelIbEEvRNS_18TensorIteratorBaseENS0_12_GLOBAL__N_16OpTypeET_EUlbE_EEvS5_RKS8_EUlibE_EEviT1_.has_indirect_call, 0
	.section	.AMDGPU.csdata,"",@progbits
; Kernel info:
; codeLenInByte = 14112
; TotalNumSgprs: 69
; NumVgprs: 26
; ScratchSize: 0
; MemoryBound: 0
; FloatMode: 240
; IeeeMode: 1
; LDSByteSize: 0 bytes/workgroup (compile time only)
; SGPRBlocks: 8
; VGPRBlocks: 6
; NumSGPRsForWavesPerEU: 69
; NumVGPRsForWavesPerEU: 26
; Occupancy: 9
; WaveLimiterHint : 1
; COMPUTE_PGM_RSRC2:SCRATCH_EN: 0
; COMPUTE_PGM_RSRC2:USER_SGPR: 6
; COMPUTE_PGM_RSRC2:TRAP_HANDLER: 0
; COMPUTE_PGM_RSRC2:TGID_X_EN: 1
; COMPUTE_PGM_RSRC2:TGID_Y_EN: 0
; COMPUTE_PGM_RSRC2:TGID_Z_EN: 0
; COMPUTE_PGM_RSRC2:TIDIG_COMP_CNT: 0
	.section	.text._ZN2at6native32elementwise_kernel_manual_unrollILi128ELi4EZNS0_15gpu_kernel_implIZNS0_21compare_scalar_kernelIbEEvRNS_18TensorIteratorBaseENS0_12_GLOBAL__N_16OpTypeET_EUlbE_EEvS5_RKS8_EUlibE_EEviT1_,"axG",@progbits,_ZN2at6native32elementwise_kernel_manual_unrollILi128ELi4EZNS0_15gpu_kernel_implIZNS0_21compare_scalar_kernelIbEEvRNS_18TensorIteratorBaseENS0_12_GLOBAL__N_16OpTypeET_EUlbE_EEvS5_RKS8_EUlibE_EEviT1_,comdat
	.globl	_ZN2at6native32elementwise_kernel_manual_unrollILi128ELi4EZNS0_15gpu_kernel_implIZNS0_21compare_scalar_kernelIbEEvRNS_18TensorIteratorBaseENS0_12_GLOBAL__N_16OpTypeET_EUlbE_EEvS5_RKS8_EUlibE_EEviT1_ ; -- Begin function _ZN2at6native32elementwise_kernel_manual_unrollILi128ELi4EZNS0_15gpu_kernel_implIZNS0_21compare_scalar_kernelIbEEvRNS_18TensorIteratorBaseENS0_12_GLOBAL__N_16OpTypeET_EUlbE_EEvS5_RKS8_EUlibE_EEviT1_
	.p2align	8
	.type	_ZN2at6native32elementwise_kernel_manual_unrollILi128ELi4EZNS0_15gpu_kernel_implIZNS0_21compare_scalar_kernelIbEEvRNS_18TensorIteratorBaseENS0_12_GLOBAL__N_16OpTypeET_EUlbE_EEvS5_RKS8_EUlibE_EEviT1_,@function
_ZN2at6native32elementwise_kernel_manual_unrollILi128ELi4EZNS0_15gpu_kernel_implIZNS0_21compare_scalar_kernelIbEEvRNS_18TensorIteratorBaseENS0_12_GLOBAL__N_16OpTypeET_EUlbE_EEvS5_RKS8_EUlibE_EEviT1_: ; @_ZN2at6native32elementwise_kernel_manual_unrollILi128ELi4EZNS0_15gpu_kernel_implIZNS0_21compare_scalar_kernelIbEEvRNS_18TensorIteratorBaseENS0_12_GLOBAL__N_16OpTypeET_EUlbE_EEvS5_RKS8_EUlibE_EEviT1_
; %bb.0:
	s_load_dwordx2 s[2:3], s[4:5], 0x24
	s_load_dword s33, s[4:5], 0x0
	s_load_dwordx8 s[8:15], s[4:5], 0x8
	v_lshl_or_b32 v2, s6, 9, v0
	v_or_b32_e32 v0, 0x180, v2
	s_waitcnt lgkmcnt(0)
	s_bfe_u32 s15, s3, 0x80008
	v_cmp_le_i32_e32 vcc, s33, v0
	s_mov_b64 s[4:5], 0
	s_mov_b64 s[16:17], 0
	s_and_saveexec_b64 s[0:1], vcc
	s_xor_b64 s[6:7], exec, s[0:1]
	s_cbranch_execz .LBB150_1013
; %bb.1:
	s_bitcmp1_b32 s2, 0
	s_cselect_b64 s[18:19], -1, 0
	s_mov_b64 s[26:27], -1
	s_xor_b64 s[16:17], s[18:19], -1
	v_cmp_gt_i32_e32 vcc, s33, v2
	s_mov_b64 s[28:29], 0
	s_mov_b64 s[22:23], 0
	;; [unrolled: 1-line block ×3, first 2 shown]
	s_and_saveexec_b64 s[24:25], vcc
	s_cbranch_execz .LBB150_248
; %bb.2:
	v_mul_lo_u32 v0, v2, s13
	v_mov_b32_e32 v1, s11
	s_and_b32 s30, 0xffff, s15
	s_cmp_lt_i32 s30, 11
	v_ashrrev_i32_e32 v3, 31, v0
	v_add_co_u32_e32 v0, vcc, s10, v0
	v_addc_co_u32_e32 v1, vcc, v1, v3, vcc
	s_cbranch_scc1 .LBB150_9
; %bb.3:
	s_cmp_gt_i32 s30, 25
	s_cbranch_scc0 .LBB150_15
; %bb.4:
	s_cmp_gt_i32 s30, 28
	s_cbranch_scc0 .LBB150_17
	;; [unrolled: 3-line block ×4, first 2 shown]
; %bb.7:
	s_cmp_eq_u32 s30, 46
	s_mov_b64 s[26:27], 0
	s_cbranch_scc0 .LBB150_41
; %bb.8:
	global_load_dword v3, v[0:1], off
	s_mov_b64 s[20:21], -1
	s_waitcnt vmcnt(0)
	v_and_b32_e32 v3, 0x7fff7fff, v3
	v_cmp_ne_u32_e64 s[0:1], 0, v3
	s_branch .LBB150_43
.LBB150_9:
                                        ; implicit-def: $sgpr0_sgpr1
	s_and_b64 vcc, exec, s[26:27]
	s_cbranch_vccnz .LBB150_89
.LBB150_10:
	s_andn2_b64 vcc, exec, s[20:21]
	s_cbranch_vccnz .LBB150_136
.LBB150_11:
	s_cmp_lt_i32 s14, 1
	s_mov_b64 s[22:23], 0
	s_cbranch_scc1 .LBB150_16
; %bb.12:
	s_cmp_gt_i32 s14, 1
	s_cbranch_scc0 .LBB150_18
; %bb.13:
	s_cmp_eq_u32 s14, 2
	s_cbranch_scc0 .LBB150_20
; %bb.14:
	s_xor_b64 s[20:21], s[0:1], -1
	s_or_b64 s[20:21], s[18:19], s[20:21]
	s_mov_b64 s[26:27], 0
	s_branch .LBB150_21
.LBB150_15:
                                        ; implicit-def: $sgpr0_sgpr1
	s_and_b64 vcc, exec, s[26:27]
	s_cbranch_vccnz .LBB150_64
	s_branch .LBB150_88
.LBB150_16:
                                        ; implicit-def: $sgpr20_sgpr21
	s_mov_b64 s[26:27], 0
	s_cbranch_execnz .LBB150_25
	s_branch .LBB150_26
.LBB150_17:
                                        ; implicit-def: $sgpr0_sgpr1
	s_branch .LBB150_51
.LBB150_18:
	s_mov_b64 s[30:31], -1
	s_mov_b64 s[26:27], 0
                                        ; implicit-def: $sgpr20_sgpr21
	s_branch .LBB150_22
.LBB150_19:
                                        ; implicit-def: $sgpr0_sgpr1
	s_branch .LBB150_46
.LBB150_20:
	s_mov_b64 s[26:27], -1
                                        ; implicit-def: $sgpr20_sgpr21
.LBB150_21:
	s_mov_b64 s[30:31], 0
.LBB150_22:
	s_and_b64 vcc, exec, s[30:31]
	s_cbranch_vccz .LBB150_24
; %bb.23:
	s_and_b64 s[30:31], s[0:1], s[16:17]
	s_andn2_b64 s[20:21], s[20:21], exec
	s_and_b64 s[30:31], s[30:31], exec
	s_or_b64 s[20:21], s[20:21], s[30:31]
.LBB150_24:
	s_branch .LBB150_26
.LBB150_25:
	s_cmp_lg_u32 s14, 0
	s_mov_b64 s[22:23], -1
	s_cselect_b64 s[26:27], -1, 0
.LBB150_26:
	s_andn2_b64 vcc, exec, s[26:27]
	s_cbranch_vccnz .LBB150_28
; %bb.27:
	s_xor_b64 s[22:23], s[0:1], -1
	s_and_b64 s[26:27], s[18:19], s[22:23]
	s_andn2_b64 s[20:21], s[20:21], exec
	s_and_b64 s[26:27], s[26:27], exec
	s_or_b64 s[20:21], s[20:21], s[26:27]
	s_cbranch_execz .LBB150_29
	s_branch .LBB150_30
.LBB150_28:
	s_andn2_b64 vcc, exec, s[22:23]
	s_cbranch_vccnz .LBB150_30
.LBB150_29:
	s_or_b64 s[0:1], s[0:1], s[16:17]
	s_andn2_b64 s[20:21], s[20:21], exec
	s_and_b64 s[0:1], s[0:1], exec
	s_or_b64 s[20:21], s[20:21], s[0:1]
.LBB150_30:
	v_mul_lo_u32 v0, v2, s12
	v_mov_b32_e32 v1, s9
	s_and_b32 s34, s3, 0xff
	s_cmp_lt_i32 s34, 11
	v_ashrrev_i32_e32 v3, 31, v0
	v_add_co_u32_e32 v0, vcc, s8, v0
	v_addc_co_u32_e32 v1, vcc, v1, v3, vcc
	s_cbranch_scc1 .LBB150_37
; %bb.31:
	s_and_b32 s35, 0xffff, s34
	s_cmp_gt_i32 s35, 25
	s_cbranch_scc0 .LBB150_38
; %bb.32:
	s_cmp_gt_i32 s35, 28
	s_cbranch_scc0 .LBB150_39
; %bb.33:
	;; [unrolled: 3-line block ×4, first 2 shown]
	s_mov_b64 s[22:23], 0
	s_mov_b64 s[0:1], -1
	s_cmp_eq_u32 s35, 46
	s_mov_b64 s[26:27], 0
	s_cbranch_scc0 .LBB150_138
; %bb.36:
	v_cndmask_b32_e64 v3, 0, 1.0, s[20:21]
	v_bfe_u32 v4, v3, 16, 1
	s_movk_i32 s0, 0x7fff
	v_add3_u32 v3, v3, v4, s0
	v_lshrrev_b32_e32 v3, 16, v3
	global_store_dword v[0:1], v3, off
	s_mov_b64 s[26:27], -1
	s_mov_b64 s[0:1], 0
	s_branch .LBB150_138
.LBB150_37:
	s_mov_b64 s[0:1], 0
	s_mov_b64 s[26:27], 0
	s_cbranch_execnz .LBB150_207
	s_branch .LBB150_245
.LBB150_38:
	s_mov_b64 s[22:23], -1
	s_mov_b64 s[0:1], 0
	s_mov_b64 s[26:27], 0
	s_branch .LBB150_165
.LBB150_39:
	s_mov_b64 s[22:23], -1
	s_mov_b64 s[0:1], 0
	s_mov_b64 s[26:27], 0
	s_branch .LBB150_148
.LBB150_40:
	s_mov_b64 s[22:23], -1
	s_mov_b64 s[0:1], 0
	s_mov_b64 s[26:27], 0
	s_branch .LBB150_144
.LBB150_41:
	s_mov_b64 s[22:23], -1
.LBB150_42:
                                        ; implicit-def: $sgpr0_sgpr1
.LBB150_43:
	s_and_b64 vcc, exec, s[26:27]
	s_cbranch_vccz .LBB150_45
; %bb.44:
	s_cmp_eq_u32 s30, 44
	s_mov_b64 s[22:23], -1
	s_cselect_b64 s[20:21], -1, 0
	s_or_b64 s[0:1], s[0:1], exec
.LBB150_45:
	s_mov_b64 s[26:27], 0
.LBB150_46:
	s_and_b64 vcc, exec, s[26:27]
	s_cbranch_vccz .LBB150_50
; %bb.47:
	s_cmp_eq_u32 s30, 29
	s_cbranch_scc0 .LBB150_49
; %bb.48:
	global_load_dwordx2 v[3:4], v[0:1], off
	s_mov_b64 s[22:23], 0
	s_mov_b64 s[20:21], -1
	s_mov_b64 s[26:27], 0
	s_waitcnt vmcnt(0)
	v_cmp_ne_u64_e64 s[0:1], 0, v[3:4]
	s_branch .LBB150_51
.LBB150_49:
	s_mov_b64 s[22:23], -1
                                        ; implicit-def: $sgpr0_sgpr1
.LBB150_50:
	s_mov_b64 s[26:27], 0
.LBB150_51:
	s_and_b64 vcc, exec, s[26:27]
	s_cbranch_vccz .LBB150_63
; %bb.52:
	s_cmp_lt_i32 s30, 27
	s_cbranch_scc1 .LBB150_55
; %bb.53:
	s_cmp_gt_i32 s30, 27
	s_cbranch_scc0 .LBB150_56
; %bb.54:
	global_load_dword v3, v[0:1], off
	s_mov_b64 s[20:21], 0
	s_waitcnt vmcnt(0)
	v_cmp_ne_u32_e64 s[0:1], 0, v3
	s_branch .LBB150_57
.LBB150_55:
	s_mov_b64 s[20:21], -1
                                        ; implicit-def: $sgpr0_sgpr1
	s_branch .LBB150_60
.LBB150_56:
	s_mov_b64 s[20:21], -1
                                        ; implicit-def: $sgpr0_sgpr1
.LBB150_57:
	s_andn2_b64 vcc, exec, s[20:21]
	s_cbranch_vccnz .LBB150_59
; %bb.58:
	global_load_ushort v3, v[0:1], off
	s_andn2_b64 s[0:1], s[0:1], exec
	s_waitcnt vmcnt(0)
	v_cmp_ne_u16_e32 vcc, 0, v3
	s_and_b64 s[20:21], vcc, exec
	s_or_b64 s[0:1], s[0:1], s[20:21]
.LBB150_59:
	s_mov_b64 s[20:21], 0
.LBB150_60:
	s_andn2_b64 vcc, exec, s[20:21]
	s_cbranch_vccnz .LBB150_62
; %bb.61:
	global_load_ubyte v3, v[0:1], off
	s_andn2_b64 s[0:1], s[0:1], exec
	s_waitcnt vmcnt(0)
	v_cmp_ne_u16_e32 vcc, 0, v3
	s_and_b64 s[20:21], vcc, exec
	s_or_b64 s[0:1], s[0:1], s[20:21]
.LBB150_62:
	s_mov_b64 s[20:21], -1
.LBB150_63:
	s_branch .LBB150_88
.LBB150_64:
	s_cmp_gt_i32 s30, 22
	s_cbranch_scc0 .LBB150_68
; %bb.65:
	s_cmp_lt_i32 s30, 24
	s_cbranch_scc1 .LBB150_69
; %bb.66:
	s_cmp_gt_i32 s30, 24
	s_cbranch_scc0 .LBB150_70
; %bb.67:
	global_load_ubyte v3, v[0:1], off
	s_mov_b64 s[20:21], 0
	s_waitcnt vmcnt(0)
	v_cmp_ne_u16_e64 s[0:1], 0, v3
	s_branch .LBB150_71
.LBB150_68:
	s_mov_b64 s[26:27], -1
                                        ; implicit-def: $sgpr0_sgpr1
	s_branch .LBB150_77
.LBB150_69:
	s_mov_b64 s[20:21], -1
                                        ; implicit-def: $sgpr0_sgpr1
	s_branch .LBB150_74
.LBB150_70:
	s_mov_b64 s[20:21], -1
                                        ; implicit-def: $sgpr0_sgpr1
.LBB150_71:
	s_andn2_b64 vcc, exec, s[20:21]
	s_cbranch_vccnz .LBB150_73
; %bb.72:
	global_load_ubyte v3, v[0:1], off
	s_andn2_b64 s[0:1], s[0:1], exec
	s_waitcnt vmcnt(0)
	v_and_b32_e32 v3, 0x7f, v3
	v_cmp_ne_u16_e32 vcc, 0, v3
	s_and_b64 s[20:21], vcc, exec
	s_or_b64 s[0:1], s[0:1], s[20:21]
.LBB150_73:
	s_mov_b64 s[20:21], 0
.LBB150_74:
	s_andn2_b64 vcc, exec, s[20:21]
	s_cbranch_vccnz .LBB150_76
; %bb.75:
	global_load_ubyte v3, v[0:1], off
	s_movk_i32 s20, 0x7f00
	s_brev_b32 s21, 16
	s_andn2_b64 s[0:1], s[0:1], exec
	s_waitcnt vmcnt(0)
	v_lshlrev_b32_e32 v4, 8, v3
	v_lshlrev_b32_e32 v3, 25, v3
	v_lshrrev_b32_e32 v5, 4, v3
	v_and_or_b32 v4, v4, s20, 0.5
	v_or_b32_e32 v5, 0x70000000, v5
	v_add_f32_e32 v4, -0.5, v4
	v_mul_f32_e32 v5, 0x7800000, v5
	v_cmp_gt_u32_e32 vcc, s21, v3
	v_cndmask_b32_e32 v3, v5, v4, vcc
	v_cmp_neq_f32_e32 vcc, 0, v3
	s_and_b64 s[20:21], vcc, exec
	s_or_b64 s[0:1], s[0:1], s[20:21]
.LBB150_76:
	s_mov_b64 s[26:27], 0
	s_mov_b64 s[20:21], -1
.LBB150_77:
	s_andn2_b64 vcc, exec, s[26:27]
	s_cbranch_vccnz .LBB150_88
; %bb.78:
	s_cmp_gt_i32 s30, 14
	s_cbranch_scc0 .LBB150_81
; %bb.79:
	s_cmp_eq_u32 s30, 15
	s_cbranch_scc0 .LBB150_82
; %bb.80:
	global_load_ushort v3, v[0:1], off
	s_mov_b64 s[20:21], -1
	s_mov_b64 s[22:23], 0
	s_waitcnt vmcnt(0)
	v_and_b32_e32 v3, 0x7fff, v3
	v_cmp_ne_u16_e64 s[0:1], 0, v3
	s_branch .LBB150_83
.LBB150_81:
	s_mov_b64 s[26:27], -1
                                        ; implicit-def: $sgpr0_sgpr1
	s_branch .LBB150_84
.LBB150_82:
	s_mov_b64 s[22:23], -1
                                        ; implicit-def: $sgpr0_sgpr1
.LBB150_83:
	s_mov_b64 s[26:27], 0
.LBB150_84:
	s_and_b64 vcc, exec, s[26:27]
	s_cbranch_vccz .LBB150_88
; %bb.85:
	s_cmp_eq_u32 s30, 11
	s_cbranch_scc0 .LBB150_87
; %bb.86:
	global_load_ubyte v3, v[0:1], off
	s_mov_b64 s[20:21], -1
	s_mov_b64 s[22:23], 0
	s_waitcnt vmcnt(0)
	v_cmp_ne_u16_e64 s[0:1], 0, v3
	s_branch .LBB150_88
.LBB150_87:
	s_mov_b64 s[22:23], -1
                                        ; implicit-def: $sgpr0_sgpr1
.LBB150_88:
	s_branch .LBB150_10
.LBB150_89:
	s_cmp_lt_i32 s30, 5
	s_cbranch_scc1 .LBB150_94
; %bb.90:
	s_cmp_lt_i32 s30, 8
	s_cbranch_scc1 .LBB150_95
; %bb.91:
	;; [unrolled: 3-line block ×3, first 2 shown]
	s_cmp_gt_i32 s30, 9
	s_cbranch_scc0 .LBB150_97
; %bb.93:
	global_load_dwordx4 v[3:6], v[0:1], off
	s_mov_b64 s[20:21], 0
	s_waitcnt vmcnt(0)
	v_cmp_neq_f64_e32 vcc, 0, v[3:4]
	v_cmp_neq_f64_e64 s[0:1], 0, v[5:6]
	s_or_b64 s[0:1], vcc, s[0:1]
	s_branch .LBB150_98
.LBB150_94:
                                        ; implicit-def: $sgpr0_sgpr1
	s_branch .LBB150_116
.LBB150_95:
	s_mov_b64 s[20:21], -1
                                        ; implicit-def: $sgpr0_sgpr1
	s_branch .LBB150_104
.LBB150_96:
	s_mov_b64 s[20:21], -1
                                        ; implicit-def: $sgpr0_sgpr1
	s_branch .LBB150_101
.LBB150_97:
	s_mov_b64 s[20:21], -1
                                        ; implicit-def: $sgpr0_sgpr1
.LBB150_98:
	s_andn2_b64 vcc, exec, s[20:21]
	s_cbranch_vccnz .LBB150_100
; %bb.99:
	global_load_dwordx2 v[3:4], v[0:1], off
	s_andn2_b64 s[0:1], s[0:1], exec
	s_waitcnt vmcnt(0)
	v_or_b32_e32 v3, v3, v4
	v_and_b32_e32 v3, 0x7fffffff, v3
	v_cmp_ne_u32_e32 vcc, 0, v3
	s_and_b64 s[20:21], vcc, exec
	s_or_b64 s[0:1], s[0:1], s[20:21]
.LBB150_100:
	s_mov_b64 s[20:21], 0
.LBB150_101:
	s_andn2_b64 vcc, exec, s[20:21]
	s_cbranch_vccnz .LBB150_103
; %bb.102:
	global_load_dword v3, v[0:1], off
	s_andn2_b64 s[0:1], s[0:1], exec
	s_waitcnt vmcnt(0)
	v_and_b32_e32 v3, 0x7fff7fff, v3
	v_cmp_ne_u32_e32 vcc, 0, v3
	s_and_b64 s[20:21], vcc, exec
	s_or_b64 s[0:1], s[0:1], s[20:21]
.LBB150_103:
	s_mov_b64 s[20:21], 0
.LBB150_104:
	s_andn2_b64 vcc, exec, s[20:21]
	s_cbranch_vccnz .LBB150_115
; %bb.105:
	s_cmp_lt_i32 s30, 6
	s_cbranch_scc1 .LBB150_108
; %bb.106:
	s_cmp_gt_i32 s30, 6
	s_cbranch_scc0 .LBB150_109
; %bb.107:
	global_load_dwordx2 v[3:4], v[0:1], off
	s_mov_b64 s[20:21], 0
	s_waitcnt vmcnt(0)
	v_cmp_neq_f64_e64 s[0:1], 0, v[3:4]
	s_branch .LBB150_110
.LBB150_108:
	s_mov_b64 s[20:21], -1
                                        ; implicit-def: $sgpr0_sgpr1
	s_branch .LBB150_113
.LBB150_109:
	s_mov_b64 s[20:21], -1
                                        ; implicit-def: $sgpr0_sgpr1
.LBB150_110:
	s_andn2_b64 vcc, exec, s[20:21]
	s_cbranch_vccnz .LBB150_112
; %bb.111:
	global_load_dword v3, v[0:1], off
	s_andn2_b64 s[0:1], s[0:1], exec
	s_waitcnt vmcnt(0)
	v_cmp_neq_f32_e32 vcc, 0, v3
	s_and_b64 s[20:21], vcc, exec
	s_or_b64 s[0:1], s[0:1], s[20:21]
.LBB150_112:
	s_mov_b64 s[20:21], 0
.LBB150_113:
	s_andn2_b64 vcc, exec, s[20:21]
	s_cbranch_vccnz .LBB150_115
; %bb.114:
	global_load_ushort v3, v[0:1], off
	s_andn2_b64 s[0:1], s[0:1], exec
	s_waitcnt vmcnt(0)
	v_and_b32_e32 v3, 0x7fff, v3
	v_cmp_ne_u16_e32 vcc, 0, v3
	s_and_b64 s[20:21], vcc, exec
	s_or_b64 s[0:1], s[0:1], s[20:21]
.LBB150_115:
	s_cbranch_execnz .LBB150_135
.LBB150_116:
	s_cmp_lt_i32 s30, 2
	s_cbranch_scc1 .LBB150_120
; %bb.117:
	s_cmp_lt_i32 s30, 3
	s_cbranch_scc1 .LBB150_121
; %bb.118:
	s_cmp_gt_i32 s30, 3
	s_cbranch_scc0 .LBB150_122
; %bb.119:
	global_load_dwordx2 v[3:4], v[0:1], off
	s_mov_b64 s[20:21], 0
	s_waitcnt vmcnt(0)
	v_cmp_ne_u64_e64 s[0:1], 0, v[3:4]
	s_branch .LBB150_123
.LBB150_120:
	s_mov_b64 s[20:21], -1
                                        ; implicit-def: $sgpr0_sgpr1
	s_branch .LBB150_129
.LBB150_121:
	s_mov_b64 s[20:21], -1
                                        ; implicit-def: $sgpr0_sgpr1
	s_branch .LBB150_126
.LBB150_122:
	s_mov_b64 s[20:21], -1
                                        ; implicit-def: $sgpr0_sgpr1
.LBB150_123:
	s_andn2_b64 vcc, exec, s[20:21]
	s_cbranch_vccnz .LBB150_125
; %bb.124:
	global_load_dword v3, v[0:1], off
	s_andn2_b64 s[0:1], s[0:1], exec
	s_waitcnt vmcnt(0)
	v_cmp_ne_u32_e32 vcc, 0, v3
	s_and_b64 s[20:21], vcc, exec
	s_or_b64 s[0:1], s[0:1], s[20:21]
.LBB150_125:
	s_mov_b64 s[20:21], 0
.LBB150_126:
	s_andn2_b64 vcc, exec, s[20:21]
	s_cbranch_vccnz .LBB150_128
; %bb.127:
	global_load_ushort v3, v[0:1], off
	s_andn2_b64 s[0:1], s[0:1], exec
	s_waitcnt vmcnt(0)
	v_cmp_ne_u16_e32 vcc, 0, v3
	s_and_b64 s[20:21], vcc, exec
	s_or_b64 s[0:1], s[0:1], s[20:21]
.LBB150_128:
	s_mov_b64 s[20:21], 0
.LBB150_129:
	s_andn2_b64 vcc, exec, s[20:21]
	s_cbranch_vccnz .LBB150_135
; %bb.130:
	s_cmp_gt_i32 s30, 0
	s_cbranch_scc0 .LBB150_132
; %bb.131:
	global_load_ubyte v3, v[0:1], off
	s_mov_b64 s[20:21], 0
	s_waitcnt vmcnt(0)
	v_cmp_ne_u16_e64 s[0:1], 0, v3
	s_branch .LBB150_133
.LBB150_132:
	s_mov_b64 s[20:21], -1
                                        ; implicit-def: $sgpr0_sgpr1
.LBB150_133:
	s_andn2_b64 vcc, exec, s[20:21]
	s_cbranch_vccnz .LBB150_135
; %bb.134:
	global_load_ubyte v0, v[0:1], off
	s_andn2_b64 s[0:1], s[0:1], exec
	s_waitcnt vmcnt(0)
	v_cmp_ne_u16_e32 vcc, 0, v0
	s_and_b64 s[20:21], vcc, exec
	s_or_b64 s[0:1], s[0:1], s[20:21]
.LBB150_135:
	s_branch .LBB150_11
.LBB150_136:
	s_mov_b64 s[0:1], 0
	s_mov_b64 s[26:27], 0
                                        ; implicit-def: $vgpr2
	s_branch .LBB150_247
.LBB150_137:
	s_mov_b64 s[22:23], -1
	s_mov_b64 s[0:1], 0
	s_mov_b64 s[26:27], 0
.LBB150_138:
	s_and_b64 vcc, exec, s[22:23]
	s_cbranch_vccz .LBB150_143
; %bb.139:
	s_cmp_eq_u32 s35, 44
	s_mov_b64 s[0:1], -1
	s_cbranch_scc0 .LBB150_143
; %bb.140:
	v_cndmask_b32_e64 v4, 0, 1.0, s[20:21]
	v_lshrrev_b32_e32 v3, 23, v4
	s_movk_i32 s0, 0xff
	v_cmp_ne_u32_e32 vcc, s0, v3
	v_mov_b32_e32 v5, 0xff
	s_and_saveexec_b64 s[22:23], vcc
; %bb.141:
	s_mov_b32 s0, 0x3fffff
	v_and_b32_e32 v5, 0x400000, v4
	v_and_or_b32 v4, v4, s0, v3
	v_cmp_ne_u32_e32 vcc, 0, v5
	v_cmp_ne_u32_e64 s[0:1], 0, v4
	s_and_b64 s[0:1], vcc, s[0:1]
	v_cndmask_b32_e64 v4, 0, 1, s[0:1]
	v_add_u32_e32 v5, v3, v4
; %bb.142:
	s_or_b64 exec, exec, s[22:23]
	s_mov_b64 s[26:27], -1
	s_mov_b64 s[0:1], 0
	global_store_byte v[0:1], v5, off
.LBB150_143:
	s_mov_b64 s[22:23], 0
.LBB150_144:
	s_and_b64 vcc, exec, s[22:23]
	s_cbranch_vccz .LBB150_147
; %bb.145:
	s_cmp_eq_u32 s35, 29
	s_mov_b64 s[0:1], -1
	s_cbranch_scc0 .LBB150_147
; %bb.146:
	s_mov_b32 s0, 0
	v_cndmask_b32_e64 v3, 0, 1, s[20:21]
	v_mov_b32_e32 v4, s0
	global_store_dwordx2 v[0:1], v[3:4], off
	s_mov_b64 s[26:27], -1
	s_mov_b64 s[0:1], 0
.LBB150_147:
	s_mov_b64 s[22:23], 0
.LBB150_148:
	s_and_b64 vcc, exec, s[22:23]
	s_cbranch_vccz .LBB150_164
; %bb.149:
	s_cmp_lt_i32 s35, 27
	s_mov_b64 s[22:23], -1
	s_cbranch_scc1 .LBB150_155
; %bb.150:
	s_cmp_gt_i32 s35, 27
	s_cbranch_scc0 .LBB150_152
; %bb.151:
	v_cndmask_b32_e64 v3, 0, 1, s[20:21]
	s_mov_b64 s[22:23], 0
	global_store_dword v[0:1], v3, off
.LBB150_152:
	s_andn2_b64 vcc, exec, s[22:23]
	s_cbranch_vccnz .LBB150_154
; %bb.153:
	v_cndmask_b32_e64 v3, 0, 1, s[20:21]
	global_store_short v[0:1], v3, off
.LBB150_154:
	s_mov_b64 s[22:23], 0
.LBB150_155:
	s_andn2_b64 vcc, exec, s[22:23]
	s_cbranch_vccnz .LBB150_163
; %bb.156:
	v_cndmask_b32_e64 v4, 0, 1.0, s[20:21]
	s_mov_b32 s22, 0x43800000
	v_cmp_gt_u32_e32 vcc, s22, v4
	v_mov_b32_e32 v5, 0x80
	s_and_saveexec_b64 s[22:23], vcc
	s_cbranch_execz .LBB150_162
; %bb.157:
	s_mov_b32 s26, 0x3bffffff
	v_cmp_lt_u32_e32 vcc, s26, v4
	s_mov_b64 s[26:27], 0
                                        ; implicit-def: $vgpr3
	s_and_saveexec_b64 s[30:31], vcc
	s_xor_b64 s[30:31], exec, s[30:31]
	s_cbranch_execz .LBB150_291
; %bb.158:
	v_bfe_u32 v3, v4, 20, 1
	s_mov_b32 s36, 0x487ffff
	v_add3_u32 v3, v4, v3, s36
	s_mov_b64 s[26:27], exec
	v_lshrrev_b32_e32 v3, 20, v3
                                        ; implicit-def: $vgpr4
	s_andn2_saveexec_b64 s[30:31], s[30:31]
	s_cbranch_execnz .LBB150_292
.LBB150_159:
	s_or_b64 exec, exec, s[30:31]
	v_mov_b32_e32 v5, 0
	s_and_saveexec_b64 s[30:31], s[26:27]
.LBB150_160:
	v_mov_b32_e32 v5, v3
.LBB150_161:
	s_or_b64 exec, exec, s[30:31]
.LBB150_162:
	s_or_b64 exec, exec, s[22:23]
	global_store_byte v[0:1], v5, off
.LBB150_163:
	s_mov_b64 s[26:27], -1
.LBB150_164:
	s_mov_b64 s[22:23], 0
.LBB150_165:
	s_and_b64 vcc, exec, s[22:23]
	s_cbranch_vccz .LBB150_206
; %bb.166:
	s_cmp_gt_i32 s35, 22
	s_mov_b64 s[22:23], -1
	s_cbranch_scc0 .LBB150_198
; %bb.167:
	s_cmp_lt_i32 s35, 24
	s_cbranch_scc1 .LBB150_187
; %bb.168:
	s_cmp_gt_i32 s35, 24
	s_cbranch_scc0 .LBB150_176
; %bb.169:
	v_cndmask_b32_e64 v4, 0, 1.0, s[20:21]
	s_mov_b32 s22, 0x47800000
	v_cmp_gt_u32_e32 vcc, s22, v4
	v_mov_b32_e32 v5, 0x80
	s_and_saveexec_b64 s[22:23], vcc
	s_cbranch_execz .LBB150_175
; %bb.170:
	s_mov_b32 s26, 0x37ffffff
	v_cmp_lt_u32_e32 vcc, s26, v4
	s_mov_b64 s[26:27], 0
                                        ; implicit-def: $vgpr3
	s_and_saveexec_b64 s[30:31], vcc
	s_xor_b64 s[30:31], exec, s[30:31]
	s_cbranch_execz .LBB150_295
; %bb.171:
	v_bfe_u32 v3, v4, 21, 1
	s_mov_b32 s36, 0x88fffff
	v_add3_u32 v3, v4, v3, s36
	s_mov_b64 s[26:27], exec
	v_lshrrev_b32_e32 v3, 21, v3
                                        ; implicit-def: $vgpr4
	s_andn2_saveexec_b64 s[30:31], s[30:31]
	s_cbranch_execnz .LBB150_296
.LBB150_172:
	s_or_b64 exec, exec, s[30:31]
	v_mov_b32_e32 v5, 0
	s_and_saveexec_b64 s[30:31], s[26:27]
.LBB150_173:
	v_mov_b32_e32 v5, v3
.LBB150_174:
	s_or_b64 exec, exec, s[30:31]
.LBB150_175:
	s_or_b64 exec, exec, s[22:23]
	s_mov_b64 s[22:23], 0
	global_store_byte v[0:1], v5, off
.LBB150_176:
	s_and_b64 vcc, exec, s[22:23]
	s_cbranch_vccz .LBB150_186
; %bb.177:
	v_cndmask_b32_e64 v3, 0, 1.0, s[20:21]
	s_mov_b32 s22, 0x43f00000
	v_cmp_gt_u32_e32 vcc, s22, v3
                                        ; implicit-def: $vgpr4
	s_and_saveexec_b64 s[22:23], vcc
	s_xor_b64 s[22:23], exec, s[22:23]
	s_cbranch_execz .LBB150_183
; %bb.178:
	s_mov_b32 s26, 0x3c7fffff
	v_cmp_lt_u32_e32 vcc, s26, v3
                                        ; implicit-def: $vgpr4
	s_and_saveexec_b64 s[26:27], vcc
	s_xor_b64 s[26:27], exec, s[26:27]
; %bb.179:
	v_bfe_u32 v4, v3, 20, 1
	s_mov_b32 s30, 0x407ffff
	v_add3_u32 v3, v3, v4, s30
	v_lshrrev_b32_e32 v4, 20, v3
	v_and_b32_e32 v3, 0xff00000, v3
	s_mov_b32 s30, 0x7f00000
	v_mov_b32_e32 v5, 0x7e
	v_cmp_ne_u32_e32 vcc, s30, v3
	v_cndmask_b32_e32 v4, v5, v4, vcc
                                        ; implicit-def: $vgpr3
; %bb.180:
	s_andn2_saveexec_b64 s[26:27], s[26:27]
; %bb.181:
	v_add_f32_e32 v4, 0x46800000, v3
; %bb.182:
	s_or_b64 exec, exec, s[26:27]
                                        ; implicit-def: $vgpr3
.LBB150_183:
	s_andn2_saveexec_b64 s[22:23], s[22:23]
; %bb.184:
	s_mov_b32 s26, 0x7f800000
	v_mov_b32_e32 v4, 0x7e
	v_mov_b32_e32 v5, 0x7f
	v_cmp_lt_u32_e32 vcc, s26, v3
	v_cndmask_b32_e32 v4, v4, v5, vcc
; %bb.185:
	s_or_b64 exec, exec, s[22:23]
	global_store_byte v[0:1], v4, off
.LBB150_186:
	s_mov_b64 s[22:23], 0
.LBB150_187:
	s_andn2_b64 vcc, exec, s[22:23]
	s_cbranch_vccnz .LBB150_197
; %bb.188:
	v_cndmask_b32_e64 v3, 0, 1.0, s[20:21]
	s_mov_b32 s22, 0x47800000
	v_cmp_gt_u32_e32 vcc, s22, v3
                                        ; implicit-def: $vgpr4
	s_and_saveexec_b64 s[22:23], vcc
	s_xor_b64 s[22:23], exec, s[22:23]
	s_cbranch_execz .LBB150_194
; %bb.189:
	s_mov_b32 s26, 0x387fffff
	v_cmp_lt_u32_e32 vcc, s26, v3
                                        ; implicit-def: $vgpr4
	s_and_saveexec_b64 s[26:27], vcc
	s_xor_b64 s[26:27], exec, s[26:27]
; %bb.190:
	v_bfe_u32 v4, v3, 21, 1
	s_mov_b32 s30, 0x80fffff
	v_add3_u32 v3, v3, v4, s30
	v_lshrrev_b32_e32 v4, 21, v3
                                        ; implicit-def: $vgpr3
; %bb.191:
	s_andn2_saveexec_b64 s[26:27], s[26:27]
; %bb.192:
	v_add_f32_e32 v4, 0x43000000, v3
; %bb.193:
	s_or_b64 exec, exec, s[26:27]
                                        ; implicit-def: $vgpr3
.LBB150_194:
	s_andn2_saveexec_b64 s[22:23], s[22:23]
; %bb.195:
	s_mov_b32 s26, 0x7f800000
	v_mov_b32_e32 v4, 0x7c
	v_mov_b32_e32 v5, 0x7f
	v_cmp_lt_u32_e32 vcc, s26, v3
	v_cndmask_b32_e32 v4, v4, v5, vcc
; %bb.196:
	s_or_b64 exec, exec, s[22:23]
	global_store_byte v[0:1], v4, off
.LBB150_197:
	s_mov_b64 s[22:23], 0
	s_mov_b64 s[26:27], -1
.LBB150_198:
	s_andn2_b64 vcc, exec, s[22:23]
	s_cbranch_vccnz .LBB150_206
; %bb.199:
	s_cmp_gt_i32 s35, 14
	s_mov_b64 s[22:23], -1
	s_cbranch_scc0 .LBB150_203
; %bb.200:
	s_cmp_eq_u32 s35, 15
	s_mov_b64 s[0:1], -1
	s_cbranch_scc0 .LBB150_202
; %bb.201:
	v_cndmask_b32_e64 v3, 0, 1.0, s[20:21]
	v_bfe_u32 v4, v3, 16, 1
	s_movk_i32 s0, 0x7fff
	v_add3_u32 v3, v3, v4, s0
	global_store_short_d16_hi v[0:1], v3, off
	s_mov_b64 s[26:27], -1
	s_mov_b64 s[0:1], 0
.LBB150_202:
	s_mov_b64 s[22:23], 0
.LBB150_203:
	s_and_b64 vcc, exec, s[22:23]
	s_cbranch_vccz .LBB150_206
; %bb.204:
	s_cmp_eq_u32 s35, 11
	s_mov_b64 s[0:1], -1
	s_cbranch_scc0 .LBB150_206
; %bb.205:
	v_cndmask_b32_e64 v3, 0, 1, s[20:21]
	s_mov_b64 s[26:27], -1
	s_mov_b64 s[0:1], 0
	global_store_byte v[0:1], v3, off
.LBB150_206:
	s_branch .LBB150_245
.LBB150_207:
	s_and_b32 s26, 0xffff, s34
	s_cmp_lt_i32 s26, 5
	s_mov_b64 s[22:23], -1
	s_cbranch_scc1 .LBB150_228
; %bb.208:
	s_cmp_lt_i32 s26, 8
	s_cbranch_scc1 .LBB150_218
; %bb.209:
	s_cmp_lt_i32 s26, 9
	s_cbranch_scc1 .LBB150_215
; %bb.210:
	s_cmp_gt_i32 s26, 9
	s_cbranch_scc0 .LBB150_212
; %bb.211:
	v_cndmask_b32_e64 v3, 0, 1, s[20:21]
	v_cvt_f64_u32_e32 v[3:4], v3
	v_mov_b32_e32 v5, 0
	v_mov_b32_e32 v6, v5
	s_mov_b64 s[22:23], 0
	global_store_dwordx4 v[0:1], v[3:6], off
.LBB150_212:
	s_andn2_b64 vcc, exec, s[22:23]
	s_cbranch_vccnz .LBB150_214
; %bb.213:
	v_cndmask_b32_e64 v3, 0, 1.0, s[20:21]
	v_mov_b32_e32 v4, 0
	global_store_dwordx2 v[0:1], v[3:4], off
.LBB150_214:
	s_mov_b64 s[22:23], 0
.LBB150_215:
	s_andn2_b64 vcc, exec, s[22:23]
	s_cbranch_vccnz .LBB150_217
; %bb.216:
	v_cndmask_b32_e64 v3, 0, 1.0, s[20:21]
	v_cvt_f16_f32_e32 v3, v3
	global_store_dword v[0:1], v3, off
.LBB150_217:
	s_mov_b64 s[22:23], 0
.LBB150_218:
	s_andn2_b64 vcc, exec, s[22:23]
	s_cbranch_vccnz .LBB150_227
; %bb.219:
	s_cmp_lt_i32 s26, 6
	s_mov_b64 s[22:23], -1
	s_cbranch_scc1 .LBB150_225
; %bb.220:
	s_cmp_gt_i32 s26, 6
	s_cbranch_scc0 .LBB150_222
; %bb.221:
	v_cndmask_b32_e64 v3, 0, 1, s[20:21]
	v_cvt_f64_u32_e32 v[3:4], v3
	s_mov_b64 s[22:23], 0
	global_store_dwordx2 v[0:1], v[3:4], off
.LBB150_222:
	s_andn2_b64 vcc, exec, s[22:23]
	s_cbranch_vccnz .LBB150_224
; %bb.223:
	v_cndmask_b32_e64 v3, 0, 1.0, s[20:21]
	global_store_dword v[0:1], v3, off
.LBB150_224:
	s_mov_b64 s[22:23], 0
.LBB150_225:
	s_andn2_b64 vcc, exec, s[22:23]
	s_cbranch_vccnz .LBB150_227
; %bb.226:
	v_cndmask_b32_e64 v3, 0, 1.0, s[20:21]
	v_cvt_f16_f32_e32 v3, v3
	global_store_short v[0:1], v3, off
.LBB150_227:
	s_mov_b64 s[22:23], 0
.LBB150_228:
	s_andn2_b64 vcc, exec, s[22:23]
	s_cbranch_vccnz .LBB150_244
; %bb.229:
	s_cmp_lt_i32 s26, 2
	s_mov_b64 s[22:23], -1
	s_cbranch_scc1 .LBB150_239
; %bb.230:
	s_cmp_lt_i32 s26, 3
	s_cbranch_scc1 .LBB150_236
; %bb.231:
	s_cmp_gt_i32 s26, 3
	s_cbranch_scc0 .LBB150_233
; %bb.232:
	s_mov_b32 s22, 0
	v_cndmask_b32_e64 v3, 0, 1, s[20:21]
	v_mov_b32_e32 v4, s22
	global_store_dwordx2 v[0:1], v[3:4], off
	s_mov_b64 s[22:23], 0
.LBB150_233:
	s_andn2_b64 vcc, exec, s[22:23]
	s_cbranch_vccnz .LBB150_235
; %bb.234:
	v_cndmask_b32_e64 v3, 0, 1, s[20:21]
	global_store_dword v[0:1], v3, off
.LBB150_235:
	s_mov_b64 s[22:23], 0
.LBB150_236:
	s_andn2_b64 vcc, exec, s[22:23]
	s_cbranch_vccnz .LBB150_238
; %bb.237:
	v_cndmask_b32_e64 v3, 0, 1, s[20:21]
	global_store_short v[0:1], v3, off
.LBB150_238:
	s_mov_b64 s[22:23], 0
.LBB150_239:
	s_andn2_b64 vcc, exec, s[22:23]
	s_cbranch_vccnz .LBB150_244
; %bb.240:
	s_mov_b64 s[22:23], -1
	s_cmp_gt_i32 s26, 0
	v_cndmask_b32_e64 v3, 0, 1, s[20:21]
	s_cbranch_scc0 .LBB150_242
; %bb.241:
	global_store_byte v[0:1], v3, off
	s_mov_b64 s[22:23], 0
.LBB150_242:
	s_andn2_b64 vcc, exec, s[22:23]
	s_cbranch_vccnz .LBB150_244
; %bb.243:
	global_store_byte v[0:1], v3, off
.LBB150_244:
	s_mov_b64 s[26:27], -1
.LBB150_245:
	s_mov_b64 s[22:23], 0
	s_andn2_b64 vcc, exec, s[26:27]
	s_mov_b64 s[26:27], 0
	s_cbranch_vccnz .LBB150_247
; %bb.246:
	v_add_u32_e32 v2, 0x80, v2
	s_mov_b64 s[26:27], -1
.LBB150_247:
	s_and_b64 s[20:21], s[0:1], exec
	s_and_b64 s[22:23], s[22:23], exec
	s_orn2_b64 s[26:27], s[26:27], exec
.LBB150_248:
	s_or_b64 exec, exec, s[24:25]
	s_mov_b64 s[0:1], 0
	s_mov_b64 s[30:31], 0
                                        ; implicit-def: $sgpr34_sgpr35
                                        ; implicit-def: $vgpr0_vgpr1
	s_and_saveexec_b64 s[24:25], s[26:27]
	s_cbranch_execz .LBB150_257
; %bb.249:
	v_cmp_gt_i32_e32 vcc, s33, v2
	s_mov_b64 s[0:1], -1
	s_mov_b64 s[26:27], s[22:23]
	s_mov_b64 s[28:29], s[20:21]
	s_and_saveexec_b64 s[30:31], vcc
	s_cbranch_execz .LBB150_506
; %bb.250:
	v_mul_lo_u32 v0, v2, s13
	v_mov_b32_e32 v1, s11
	s_and_b32 s36, 0xffff, s15
	s_cmp_lt_i32 s36, 11
	v_ashrrev_i32_e32 v3, 31, v0
	v_add_co_u32_e32 v0, vcc, s10, v0
	v_addc_co_u32_e32 v1, vcc, v1, v3, vcc
	s_cbranch_scc1 .LBB150_260
; %bb.251:
	s_cmp_gt_i32 s36, 25
	s_cbranch_scc0 .LBB150_266
; %bb.252:
	s_cmp_gt_i32 s36, 28
	s_cbranch_scc0 .LBB150_270
	;; [unrolled: 3-line block ×4, first 2 shown]
; %bb.255:
	s_cmp_eq_u32 s36, 46
	s_mov_b64 s[34:35], 0
	s_cbranch_scc0 .LBB150_297
; %bb.256:
	global_load_dword v3, v[0:1], off
	s_mov_b64 s[28:29], -1
	s_mov_b64 s[26:27], 0
	s_waitcnt vmcnt(0)
	v_and_b32_e32 v3, 0x7fff7fff, v3
	v_cmp_ne_u32_e64 s[0:1], 0, v3
	s_branch .LBB150_298
.LBB150_257:
	s_or_b64 exec, exec, s[24:25]
	s_mov_b64 s[24:25], 0
	s_and_saveexec_b64 s[26:27], s[22:23]
	s_cbranch_execnz .LBB150_832
.LBB150_258:
	s_or_b64 exec, exec, s[26:27]
	s_and_saveexec_b64 s[22:23], s[28:29]
	s_xor_b64 s[22:23], exec, s[22:23]
	s_cbranch_execz .LBB150_833
.LBB150_259:
	global_load_ubyte v3, v[0:1], off
	s_andn2_b64 s[26:27], s[34:35], exec
	s_or_b64 s[30:31], s[30:31], exec
	s_waitcnt vmcnt(0)
	v_cmp_ne_u16_e32 vcc, 0, v3
	s_and_b64 s[28:29], vcc, exec
	s_or_b64 s[34:35], s[26:27], s[28:29]
	s_or_b64 exec, exec, s[22:23]
	s_and_saveexec_b64 s[22:23], s[0:1]
	s_cbranch_execz .LBB150_879
	s_branch .LBB150_834
.LBB150_260:
	s_mov_b64 s[28:29], 0
                                        ; implicit-def: $sgpr0_sgpr1
	s_mov_b64 s[26:27], s[22:23]
	s_cbranch_execnz .LBB150_345
.LBB150_261:
	s_andn2_b64 vcc, exec, s[28:29]
	s_cbranch_vccnz .LBB150_393
.LBB150_262:
	s_cmp_lt_i32 s14, 1
	s_mov_b64 s[28:29], 0
	s_cbranch_scc1 .LBB150_267
; %bb.263:
	s_cmp_gt_i32 s14, 1
	s_cbranch_scc0 .LBB150_271
; %bb.264:
	s_cmp_eq_u32 s14, 2
	s_cbranch_scc0 .LBB150_273
; %bb.265:
	s_xor_b64 s[26:27], s[0:1], -1
	s_or_b64 s[26:27], s[18:19], s[26:27]
	s_mov_b64 s[34:35], 0
	s_branch .LBB150_274
.LBB150_266:
	s_mov_b64 s[34:35], -1
	s_mov_b64 s[28:29], 0
	s_mov_b64 s[26:27], s[22:23]
                                        ; implicit-def: $sgpr0_sgpr1
	s_branch .LBB150_319
.LBB150_267:
                                        ; implicit-def: $sgpr26_sgpr27
	s_mov_b64 s[34:35], 0
	s_cbranch_execnz .LBB150_278
.LBB150_268:
	s_andn2_b64 vcc, exec, s[34:35]
	s_cbranch_vccnz .LBB150_279
.LBB150_269:
	s_xor_b64 s[28:29], s[0:1], -1
	s_and_b64 s[34:35], s[18:19], s[28:29]
	s_andn2_b64 s[26:27], s[26:27], exec
	s_and_b64 s[34:35], s[34:35], exec
	s_or_b64 s[26:27], s[26:27], s[34:35]
	s_cbranch_execz .LBB150_280
	s_branch .LBB150_281
.LBB150_270:
	s_mov_b64 s[34:35], -1
	s_mov_b64 s[28:29], 0
	s_mov_b64 s[26:27], s[22:23]
                                        ; implicit-def: $sgpr0_sgpr1
	s_branch .LBB150_306
.LBB150_271:
	s_mov_b64 s[36:37], -1
	s_mov_b64 s[34:35], 0
                                        ; implicit-def: $sgpr26_sgpr27
	s_branch .LBB150_275
.LBB150_272:
	s_mov_b64 s[34:35], -1
	s_mov_b64 s[28:29], 0
	s_mov_b64 s[26:27], s[22:23]
                                        ; implicit-def: $sgpr0_sgpr1
	s_branch .LBB150_301
.LBB150_273:
	s_mov_b64 s[34:35], -1
                                        ; implicit-def: $sgpr26_sgpr27
.LBB150_274:
	s_mov_b64 s[36:37], 0
.LBB150_275:
	s_and_b64 vcc, exec, s[36:37]
	s_cbranch_vccz .LBB150_277
; %bb.276:
	s_and_b64 s[36:37], s[0:1], s[16:17]
	s_andn2_b64 s[26:27], s[26:27], exec
	s_and_b64 s[36:37], s[36:37], exec
	s_or_b64 s[26:27], s[26:27], s[36:37]
.LBB150_277:
	s_branch .LBB150_268
.LBB150_278:
	s_cmp_lg_u32 s14, 0
	s_mov_b64 s[28:29], -1
	s_cselect_b64 s[34:35], -1, 0
	s_andn2_b64 vcc, exec, s[34:35]
	s_cbranch_vccz .LBB150_269
.LBB150_279:
	s_andn2_b64 vcc, exec, s[28:29]
	s_cbranch_vccnz .LBB150_281
.LBB150_280:
	s_or_b64 s[0:1], s[0:1], s[16:17]
	s_andn2_b64 s[26:27], s[26:27], exec
	s_and_b64 s[0:1], s[0:1], exec
	s_or_b64 s[26:27], s[26:27], s[0:1]
.LBB150_281:
	v_mul_lo_u32 v0, v2, s12
	v_mov_b32_e32 v1, s9
	s_and_b32 s38, s3, 0xff
	s_cmp_lt_i32 s38, 11
	v_ashrrev_i32_e32 v3, 31, v0
	v_add_co_u32_e32 v0, vcc, s8, v0
	v_addc_co_u32_e32 v1, vcc, v1, v3, vcc
	s_cbranch_scc1 .LBB150_288
; %bb.282:
	s_and_b32 s39, 0xffff, s38
	s_cmp_gt_i32 s39, 25
	s_cbranch_scc0 .LBB150_289
; %bb.283:
	s_cmp_gt_i32 s39, 28
	s_cbranch_scc0 .LBB150_290
; %bb.284:
	;; [unrolled: 3-line block ×4, first 2 shown]
	s_mov_b64 s[34:35], 0
	s_mov_b64 s[0:1], -1
	s_cmp_eq_u32 s39, 46
	s_mov_b64 s[28:29], 0
	s_cbranch_scc0 .LBB150_395
; %bb.287:
	v_cndmask_b32_e64 v3, 0, 1.0, s[26:27]
	v_bfe_u32 v4, v3, 16, 1
	s_movk_i32 s0, 0x7fff
	v_add3_u32 v3, v3, v4, s0
	v_lshrrev_b32_e32 v3, 16, v3
	global_store_dword v[0:1], v3, off
	s_mov_b64 s[28:29], -1
	s_mov_b64 s[0:1], 0
	s_branch .LBB150_395
.LBB150_288:
	s_mov_b64 s[34:35], -1
	s_mov_b64 s[28:29], 0
	s_mov_b64 s[0:1], s[20:21]
	s_branch .LBB150_464
.LBB150_289:
	s_mov_b64 s[34:35], -1
	s_mov_b64 s[28:29], 0
	s_mov_b64 s[0:1], s[20:21]
	s_branch .LBB150_422
.LBB150_290:
	s_mov_b64 s[34:35], -1
	s_mov_b64 s[28:29], 0
	s_mov_b64 s[0:1], s[20:21]
	s_branch .LBB150_405
.LBB150_291:
	s_andn2_saveexec_b64 s[30:31], s[30:31]
	s_cbranch_execz .LBB150_159
.LBB150_292:
	v_add_f32_e32 v3, 0x46000000, v4
	v_and_b32_e32 v3, 0xff, v3
	v_cmp_ne_u32_e32 vcc, 0, v3
	s_andn2_b64 s[26:27], s[26:27], exec
	s_and_b64 s[36:37], vcc, exec
	s_or_b64 s[26:27], s[26:27], s[36:37]
	s_or_b64 exec, exec, s[30:31]
	v_mov_b32_e32 v5, 0
	s_and_saveexec_b64 s[30:31], s[26:27]
	s_cbranch_execnz .LBB150_160
	s_branch .LBB150_161
.LBB150_293:
	s_mov_b64 s[34:35], -1
	s_mov_b64 s[28:29], 0
	s_mov_b64 s[26:27], s[22:23]
                                        ; implicit-def: $sgpr0_sgpr1
	s_branch .LBB150_298
.LBB150_294:
	s_mov_b64 s[34:35], -1
	s_mov_b64 s[28:29], 0
	s_mov_b64 s[0:1], s[20:21]
	s_branch .LBB150_401
.LBB150_295:
	s_andn2_saveexec_b64 s[30:31], s[30:31]
	s_cbranch_execz .LBB150_172
.LBB150_296:
	v_add_f32_e32 v3, 0x42800000, v4
	v_and_b32_e32 v3, 0xff, v3
	v_cmp_ne_u32_e32 vcc, 0, v3
	s_andn2_b64 s[26:27], s[26:27], exec
	s_and_b64 s[36:37], vcc, exec
	s_or_b64 s[26:27], s[26:27], s[36:37]
	s_or_b64 exec, exec, s[30:31]
	v_mov_b32_e32 v5, 0
	s_and_saveexec_b64 s[30:31], s[26:27]
	s_cbranch_execnz .LBB150_173
	s_branch .LBB150_174
.LBB150_297:
	s_mov_b64 s[26:27], -1
                                        ; implicit-def: $sgpr0_sgpr1
	s_mov_b64 s[28:29], 0
.LBB150_298:
	s_and_b64 vcc, exec, s[34:35]
	s_cbranch_vccz .LBB150_300
; %bb.299:
	s_cmp_eq_u32 s36, 44
	s_cselect_b64 s[28:29], -1, 0
	s_or_b64 s[0:1], s[0:1], exec
	s_or_b64 s[26:27], s[26:27], exec
.LBB150_300:
	s_mov_b64 s[34:35], 0
.LBB150_301:
	s_and_b64 vcc, exec, s[34:35]
	s_cbranch_vccz .LBB150_305
; %bb.302:
	s_cmp_eq_u32 s36, 29
	s_cbranch_scc0 .LBB150_304
; %bb.303:
	global_load_dwordx2 v[3:4], v[0:1], off
	s_mov_b64 s[26:27], 0
	s_mov_b64 s[28:29], -1
	s_mov_b64 s[34:35], 0
	s_waitcnt vmcnt(0)
	v_cmp_ne_u64_e64 s[0:1], 0, v[3:4]
	s_branch .LBB150_306
.LBB150_304:
	s_mov_b64 s[26:27], -1
                                        ; implicit-def: $sgpr0_sgpr1
.LBB150_305:
	s_mov_b64 s[34:35], 0
.LBB150_306:
	s_and_b64 vcc, exec, s[34:35]
	s_cbranch_vccz .LBB150_318
; %bb.307:
	s_cmp_lt_i32 s36, 27
	s_cbranch_scc1 .LBB150_310
; %bb.308:
	s_cmp_gt_i32 s36, 27
	s_cbranch_scc0 .LBB150_311
; %bb.309:
	global_load_dword v3, v[0:1], off
	s_mov_b64 s[28:29], 0
	s_waitcnt vmcnt(0)
	v_cmp_ne_u32_e64 s[0:1], 0, v3
	s_branch .LBB150_312
.LBB150_310:
	s_mov_b64 s[28:29], -1
                                        ; implicit-def: $sgpr0_sgpr1
	s_branch .LBB150_315
.LBB150_311:
	s_mov_b64 s[28:29], -1
                                        ; implicit-def: $sgpr0_sgpr1
.LBB150_312:
	s_andn2_b64 vcc, exec, s[28:29]
	s_cbranch_vccnz .LBB150_314
; %bb.313:
	global_load_ushort v3, v[0:1], off
	s_andn2_b64 s[0:1], s[0:1], exec
	s_waitcnt vmcnt(0)
	v_cmp_ne_u16_e32 vcc, 0, v3
	s_and_b64 s[28:29], vcc, exec
	s_or_b64 s[0:1], s[0:1], s[28:29]
.LBB150_314:
	s_mov_b64 s[28:29], 0
.LBB150_315:
	s_andn2_b64 vcc, exec, s[28:29]
	s_cbranch_vccnz .LBB150_317
; %bb.316:
	global_load_ubyte v3, v[0:1], off
	s_andn2_b64 s[0:1], s[0:1], exec
	s_waitcnt vmcnt(0)
	v_cmp_ne_u16_e32 vcc, 0, v3
	s_and_b64 s[28:29], vcc, exec
	s_or_b64 s[0:1], s[0:1], s[28:29]
.LBB150_317:
	s_mov_b64 s[28:29], -1
.LBB150_318:
	s_mov_b64 s[34:35], 0
.LBB150_319:
	s_and_b64 vcc, exec, s[34:35]
	s_cbranch_vccz .LBB150_344
; %bb.320:
	s_cmp_gt_i32 s36, 22
	s_cbranch_scc0 .LBB150_324
; %bb.321:
	s_cmp_lt_i32 s36, 24
	s_cbranch_scc1 .LBB150_325
; %bb.322:
	s_cmp_gt_i32 s36, 24
	s_cbranch_scc0 .LBB150_326
; %bb.323:
	global_load_ubyte v3, v[0:1], off
	s_mov_b64 s[28:29], 0
	s_waitcnt vmcnt(0)
	v_cmp_ne_u16_e64 s[0:1], 0, v3
	s_branch .LBB150_327
.LBB150_324:
	s_mov_b64 s[34:35], -1
                                        ; implicit-def: $sgpr0_sgpr1
	s_branch .LBB150_333
.LBB150_325:
	s_mov_b64 s[28:29], -1
                                        ; implicit-def: $sgpr0_sgpr1
	s_branch .LBB150_330
.LBB150_326:
	s_mov_b64 s[28:29], -1
                                        ; implicit-def: $sgpr0_sgpr1
.LBB150_327:
	s_andn2_b64 vcc, exec, s[28:29]
	s_cbranch_vccnz .LBB150_329
; %bb.328:
	global_load_ubyte v3, v[0:1], off
	s_andn2_b64 s[0:1], s[0:1], exec
	s_waitcnt vmcnt(0)
	v_and_b32_e32 v3, 0x7f, v3
	v_cmp_ne_u16_e32 vcc, 0, v3
	s_and_b64 s[28:29], vcc, exec
	s_or_b64 s[0:1], s[0:1], s[28:29]
.LBB150_329:
	s_mov_b64 s[28:29], 0
.LBB150_330:
	s_andn2_b64 vcc, exec, s[28:29]
	s_cbranch_vccnz .LBB150_332
; %bb.331:
	global_load_ubyte v3, v[0:1], off
	s_movk_i32 s28, 0x7f00
	s_brev_b32 s29, 16
	s_andn2_b64 s[0:1], s[0:1], exec
	s_waitcnt vmcnt(0)
	v_lshlrev_b32_e32 v4, 8, v3
	v_lshlrev_b32_e32 v3, 25, v3
	v_lshrrev_b32_e32 v5, 4, v3
	v_and_or_b32 v4, v4, s28, 0.5
	v_or_b32_e32 v5, 0x70000000, v5
	v_add_f32_e32 v4, -0.5, v4
	v_mul_f32_e32 v5, 0x7800000, v5
	v_cmp_gt_u32_e32 vcc, s29, v3
	v_cndmask_b32_e32 v3, v5, v4, vcc
	v_cmp_neq_f32_e32 vcc, 0, v3
	s_and_b64 s[28:29], vcc, exec
	s_or_b64 s[0:1], s[0:1], s[28:29]
.LBB150_332:
	s_mov_b64 s[34:35], 0
	s_mov_b64 s[28:29], -1
.LBB150_333:
	s_andn2_b64 vcc, exec, s[34:35]
	s_cbranch_vccnz .LBB150_344
; %bb.334:
	s_cmp_gt_i32 s36, 14
	s_cbranch_scc0 .LBB150_337
; %bb.335:
	s_cmp_eq_u32 s36, 15
	s_cbranch_scc0 .LBB150_338
; %bb.336:
	global_load_ushort v3, v[0:1], off
	s_mov_b64 s[28:29], -1
	s_mov_b64 s[26:27], 0
	s_waitcnt vmcnt(0)
	v_and_b32_e32 v3, 0x7fff, v3
	v_cmp_ne_u16_e64 s[0:1], 0, v3
	s_branch .LBB150_339
.LBB150_337:
	s_mov_b64 s[34:35], -1
                                        ; implicit-def: $sgpr0_sgpr1
	s_branch .LBB150_340
.LBB150_338:
	s_mov_b64 s[26:27], -1
                                        ; implicit-def: $sgpr0_sgpr1
.LBB150_339:
	s_mov_b64 s[34:35], 0
.LBB150_340:
	s_and_b64 vcc, exec, s[34:35]
	s_cbranch_vccz .LBB150_344
; %bb.341:
	s_cmp_eq_u32 s36, 11
	s_cbranch_scc0 .LBB150_343
; %bb.342:
	global_load_ubyte v3, v[0:1], off
	s_mov_b64 s[28:29], -1
	s_mov_b64 s[26:27], 0
	s_waitcnt vmcnt(0)
	v_cmp_ne_u16_e64 s[0:1], 0, v3
	s_branch .LBB150_344
.LBB150_343:
	s_mov_b64 s[26:27], -1
                                        ; implicit-def: $sgpr0_sgpr1
.LBB150_344:
	s_branch .LBB150_261
.LBB150_345:
	s_cmp_lt_i32 s36, 5
	s_cbranch_scc1 .LBB150_350
; %bb.346:
	s_cmp_lt_i32 s36, 8
	s_cbranch_scc1 .LBB150_351
; %bb.347:
	;; [unrolled: 3-line block ×3, first 2 shown]
	s_cmp_gt_i32 s36, 9
	s_cbranch_scc0 .LBB150_353
; %bb.349:
	global_load_dwordx4 v[3:6], v[0:1], off
	s_mov_b64 s[28:29], 0
	s_waitcnt vmcnt(0)
	v_cmp_neq_f64_e32 vcc, 0, v[3:4]
	v_cmp_neq_f64_e64 s[0:1], 0, v[5:6]
	s_or_b64 s[0:1], vcc, s[0:1]
	s_branch .LBB150_354
.LBB150_350:
	s_mov_b64 s[28:29], -1
                                        ; implicit-def: $sgpr0_sgpr1
	s_branch .LBB150_372
.LBB150_351:
	s_mov_b64 s[28:29], -1
                                        ; implicit-def: $sgpr0_sgpr1
	s_branch .LBB150_360
.LBB150_352:
	s_mov_b64 s[28:29], -1
                                        ; implicit-def: $sgpr0_sgpr1
	s_branch .LBB150_357
.LBB150_353:
	s_mov_b64 s[28:29], -1
                                        ; implicit-def: $sgpr0_sgpr1
.LBB150_354:
	s_andn2_b64 vcc, exec, s[28:29]
	s_cbranch_vccnz .LBB150_356
; %bb.355:
	global_load_dwordx2 v[3:4], v[0:1], off
	s_andn2_b64 s[0:1], s[0:1], exec
	s_waitcnt vmcnt(0)
	v_or_b32_e32 v3, v3, v4
	v_and_b32_e32 v3, 0x7fffffff, v3
	v_cmp_ne_u32_e32 vcc, 0, v3
	s_and_b64 s[28:29], vcc, exec
	s_or_b64 s[0:1], s[0:1], s[28:29]
.LBB150_356:
	s_mov_b64 s[28:29], 0
.LBB150_357:
	s_andn2_b64 vcc, exec, s[28:29]
	s_cbranch_vccnz .LBB150_359
; %bb.358:
	global_load_dword v3, v[0:1], off
	s_andn2_b64 s[0:1], s[0:1], exec
	s_waitcnt vmcnt(0)
	v_and_b32_e32 v3, 0x7fff7fff, v3
	v_cmp_ne_u32_e32 vcc, 0, v3
	s_and_b64 s[28:29], vcc, exec
	s_or_b64 s[0:1], s[0:1], s[28:29]
.LBB150_359:
	s_mov_b64 s[28:29], 0
.LBB150_360:
	s_andn2_b64 vcc, exec, s[28:29]
	s_cbranch_vccnz .LBB150_371
; %bb.361:
	s_cmp_lt_i32 s36, 6
	s_cbranch_scc1 .LBB150_364
; %bb.362:
	s_cmp_gt_i32 s36, 6
	s_cbranch_scc0 .LBB150_365
; %bb.363:
	global_load_dwordx2 v[3:4], v[0:1], off
	s_mov_b64 s[28:29], 0
	s_waitcnt vmcnt(0)
	v_cmp_neq_f64_e64 s[0:1], 0, v[3:4]
	s_branch .LBB150_366
.LBB150_364:
	s_mov_b64 s[28:29], -1
                                        ; implicit-def: $sgpr0_sgpr1
	s_branch .LBB150_369
.LBB150_365:
	s_mov_b64 s[28:29], -1
                                        ; implicit-def: $sgpr0_sgpr1
.LBB150_366:
	s_andn2_b64 vcc, exec, s[28:29]
	s_cbranch_vccnz .LBB150_368
; %bb.367:
	global_load_dword v3, v[0:1], off
	s_andn2_b64 s[0:1], s[0:1], exec
	s_waitcnt vmcnt(0)
	v_cmp_neq_f32_e32 vcc, 0, v3
	s_and_b64 s[28:29], vcc, exec
	s_or_b64 s[0:1], s[0:1], s[28:29]
.LBB150_368:
	s_mov_b64 s[28:29], 0
.LBB150_369:
	s_andn2_b64 vcc, exec, s[28:29]
	s_cbranch_vccnz .LBB150_371
; %bb.370:
	global_load_ushort v3, v[0:1], off
	s_andn2_b64 s[0:1], s[0:1], exec
	s_waitcnt vmcnt(0)
	v_and_b32_e32 v3, 0x7fff, v3
	v_cmp_ne_u16_e32 vcc, 0, v3
	s_and_b64 s[28:29], vcc, exec
	s_or_b64 s[0:1], s[0:1], s[28:29]
.LBB150_371:
	s_mov_b64 s[28:29], 0
.LBB150_372:
	s_andn2_b64 vcc, exec, s[28:29]
	s_cbranch_vccnz .LBB150_392
; %bb.373:
	s_cmp_lt_i32 s36, 2
	s_cbranch_scc1 .LBB150_377
; %bb.374:
	s_cmp_lt_i32 s36, 3
	s_cbranch_scc1 .LBB150_378
; %bb.375:
	s_cmp_gt_i32 s36, 3
	s_cbranch_scc0 .LBB150_379
; %bb.376:
	global_load_dwordx2 v[3:4], v[0:1], off
	s_mov_b64 s[28:29], 0
	s_waitcnt vmcnt(0)
	v_cmp_ne_u64_e64 s[0:1], 0, v[3:4]
	s_branch .LBB150_380
.LBB150_377:
	s_mov_b64 s[28:29], -1
                                        ; implicit-def: $sgpr0_sgpr1
	s_branch .LBB150_386
.LBB150_378:
	s_mov_b64 s[28:29], -1
                                        ; implicit-def: $sgpr0_sgpr1
	s_branch .LBB150_383
.LBB150_379:
	s_mov_b64 s[28:29], -1
                                        ; implicit-def: $sgpr0_sgpr1
.LBB150_380:
	s_andn2_b64 vcc, exec, s[28:29]
	s_cbranch_vccnz .LBB150_382
; %bb.381:
	global_load_dword v3, v[0:1], off
	s_andn2_b64 s[0:1], s[0:1], exec
	s_waitcnt vmcnt(0)
	v_cmp_ne_u32_e32 vcc, 0, v3
	s_and_b64 s[28:29], vcc, exec
	s_or_b64 s[0:1], s[0:1], s[28:29]
.LBB150_382:
	s_mov_b64 s[28:29], 0
.LBB150_383:
	s_andn2_b64 vcc, exec, s[28:29]
	s_cbranch_vccnz .LBB150_385
; %bb.384:
	global_load_ushort v3, v[0:1], off
	s_andn2_b64 s[0:1], s[0:1], exec
	s_waitcnt vmcnt(0)
	v_cmp_ne_u16_e32 vcc, 0, v3
	s_and_b64 s[28:29], vcc, exec
	s_or_b64 s[0:1], s[0:1], s[28:29]
.LBB150_385:
	s_mov_b64 s[28:29], 0
.LBB150_386:
	s_andn2_b64 vcc, exec, s[28:29]
	s_cbranch_vccnz .LBB150_392
; %bb.387:
	s_cmp_gt_i32 s36, 0
	s_cbranch_scc0 .LBB150_389
; %bb.388:
	global_load_ubyte v3, v[0:1], off
	s_mov_b64 s[28:29], 0
	s_waitcnt vmcnt(0)
	v_cmp_ne_u16_e64 s[0:1], 0, v3
	s_branch .LBB150_390
.LBB150_389:
	s_mov_b64 s[28:29], -1
                                        ; implicit-def: $sgpr0_sgpr1
.LBB150_390:
	s_andn2_b64 vcc, exec, s[28:29]
	s_cbranch_vccnz .LBB150_392
; %bb.391:
	global_load_ubyte v0, v[0:1], off
	s_andn2_b64 s[0:1], s[0:1], exec
	s_waitcnt vmcnt(0)
	v_cmp_ne_u16_e32 vcc, 0, v0
	s_and_b64 s[28:29], vcc, exec
	s_or_b64 s[0:1], s[0:1], s[28:29]
.LBB150_392:
	s_branch .LBB150_262
.LBB150_393:
	s_mov_b64 s[34:35], 0
	s_mov_b64 s[0:1], s[20:21]
                                        ; implicit-def: $vgpr2
	s_branch .LBB150_505
.LBB150_394:
	s_mov_b64 s[34:35], -1
	s_mov_b64 s[28:29], 0
	s_mov_b64 s[0:1], s[20:21]
.LBB150_395:
	s_and_b64 vcc, exec, s[34:35]
	s_cbranch_vccz .LBB150_400
; %bb.396:
	s_cmp_eq_u32 s39, 44
	s_mov_b64 s[0:1], -1
	s_cbranch_scc0 .LBB150_400
; %bb.397:
	v_cndmask_b32_e64 v4, 0, 1.0, s[26:27]
	v_lshrrev_b32_e32 v3, 23, v4
	s_movk_i32 s0, 0xff
	v_cmp_ne_u32_e32 vcc, s0, v3
	v_mov_b32_e32 v5, 0xff
	s_and_saveexec_b64 s[28:29], vcc
; %bb.398:
	s_mov_b32 s0, 0x3fffff
	v_and_b32_e32 v5, 0x400000, v4
	v_and_or_b32 v4, v4, s0, v3
	v_cmp_ne_u32_e32 vcc, 0, v5
	v_cmp_ne_u32_e64 s[0:1], 0, v4
	s_and_b64 s[0:1], vcc, s[0:1]
	v_cndmask_b32_e64 v4, 0, 1, s[0:1]
	v_add_u32_e32 v5, v3, v4
; %bb.399:
	s_or_b64 exec, exec, s[28:29]
	s_mov_b64 s[28:29], -1
	s_mov_b64 s[0:1], 0
	global_store_byte v[0:1], v5, off
.LBB150_400:
	s_mov_b64 s[34:35], 0
.LBB150_401:
	s_and_b64 vcc, exec, s[34:35]
	s_cbranch_vccz .LBB150_404
; %bb.402:
	s_cmp_eq_u32 s39, 29
	s_mov_b64 s[0:1], -1
	s_cbranch_scc0 .LBB150_404
; %bb.403:
	s_mov_b32 s0, 0
	v_cndmask_b32_e64 v3, 0, 1, s[26:27]
	v_mov_b32_e32 v4, s0
	global_store_dwordx2 v[0:1], v[3:4], off
	s_mov_b64 s[28:29], -1
	s_mov_b64 s[0:1], 0
.LBB150_404:
	s_mov_b64 s[34:35], 0
.LBB150_405:
	s_and_b64 vcc, exec, s[34:35]
	s_cbranch_vccz .LBB150_421
; %bb.406:
	s_cmp_lt_i32 s39, 27
	s_mov_b64 s[28:29], -1
	s_cbranch_scc1 .LBB150_412
; %bb.407:
	s_cmp_gt_i32 s39, 27
	s_cbranch_scc0 .LBB150_409
; %bb.408:
	v_cndmask_b32_e64 v3, 0, 1, s[26:27]
	s_mov_b64 s[28:29], 0
	global_store_dword v[0:1], v3, off
.LBB150_409:
	s_andn2_b64 vcc, exec, s[28:29]
	s_cbranch_vccnz .LBB150_411
; %bb.410:
	v_cndmask_b32_e64 v3, 0, 1, s[26:27]
	global_store_short v[0:1], v3, off
.LBB150_411:
	s_mov_b64 s[28:29], 0
.LBB150_412:
	s_andn2_b64 vcc, exec, s[28:29]
	s_cbranch_vccnz .LBB150_420
; %bb.413:
	v_cndmask_b32_e64 v4, 0, 1.0, s[26:27]
	s_mov_b32 s28, 0x43800000
	v_cmp_gt_u32_e32 vcc, s28, v4
	v_mov_b32_e32 v5, 0x80
	s_and_saveexec_b64 s[28:29], vcc
	s_cbranch_execz .LBB150_419
; %bb.414:
	s_mov_b32 s34, 0x3bffffff
	v_cmp_lt_u32_e32 vcc, s34, v4
	s_mov_b64 s[34:35], 0
                                        ; implicit-def: $vgpr3
	s_and_saveexec_b64 s[36:37], vcc
	s_xor_b64 s[36:37], exec, s[36:37]
	s_cbranch_execz .LBB150_519
; %bb.415:
	v_bfe_u32 v3, v4, 20, 1
	s_mov_b32 s40, 0x487ffff
	v_add3_u32 v3, v4, v3, s40
	s_mov_b64 s[34:35], exec
	v_lshrrev_b32_e32 v3, 20, v3
                                        ; implicit-def: $vgpr4
	s_andn2_saveexec_b64 s[36:37], s[36:37]
	s_cbranch_execnz .LBB150_520
.LBB150_416:
	s_or_b64 exec, exec, s[36:37]
	v_mov_b32_e32 v5, 0
	s_and_saveexec_b64 s[36:37], s[34:35]
.LBB150_417:
	v_mov_b32_e32 v5, v3
.LBB150_418:
	s_or_b64 exec, exec, s[36:37]
.LBB150_419:
	s_or_b64 exec, exec, s[28:29]
	global_store_byte v[0:1], v5, off
.LBB150_420:
	s_mov_b64 s[28:29], -1
.LBB150_421:
	s_mov_b64 s[34:35], 0
.LBB150_422:
	s_and_b64 vcc, exec, s[34:35]
	s_cbranch_vccz .LBB150_463
; %bb.423:
	s_cmp_gt_i32 s39, 22
	s_mov_b64 s[34:35], -1
	s_cbranch_scc0 .LBB150_455
; %bb.424:
	s_cmp_lt_i32 s39, 24
	s_mov_b64 s[28:29], -1
	s_cbranch_scc1 .LBB150_444
; %bb.425:
	s_cmp_gt_i32 s39, 24
	s_cbranch_scc0 .LBB150_433
; %bb.426:
	v_cndmask_b32_e64 v4, 0, 1.0, s[26:27]
	s_mov_b32 s28, 0x47800000
	v_cmp_gt_u32_e32 vcc, s28, v4
	v_mov_b32_e32 v5, 0x80
	s_and_saveexec_b64 s[28:29], vcc
	s_cbranch_execz .LBB150_432
; %bb.427:
	s_mov_b32 s34, 0x37ffffff
	v_cmp_lt_u32_e32 vcc, s34, v4
	s_mov_b64 s[34:35], 0
                                        ; implicit-def: $vgpr3
	s_and_saveexec_b64 s[36:37], vcc
	s_xor_b64 s[36:37], exec, s[36:37]
	s_cbranch_execz .LBB150_522
; %bb.428:
	v_bfe_u32 v3, v4, 21, 1
	s_mov_b32 s40, 0x88fffff
	v_add3_u32 v3, v4, v3, s40
	s_mov_b64 s[34:35], exec
	v_lshrrev_b32_e32 v3, 21, v3
                                        ; implicit-def: $vgpr4
	s_andn2_saveexec_b64 s[36:37], s[36:37]
	s_cbranch_execnz .LBB150_523
.LBB150_429:
	s_or_b64 exec, exec, s[36:37]
	v_mov_b32_e32 v5, 0
	s_and_saveexec_b64 s[36:37], s[34:35]
.LBB150_430:
	v_mov_b32_e32 v5, v3
.LBB150_431:
	s_or_b64 exec, exec, s[36:37]
.LBB150_432:
	s_or_b64 exec, exec, s[28:29]
	s_mov_b64 s[28:29], 0
	global_store_byte v[0:1], v5, off
.LBB150_433:
	s_and_b64 vcc, exec, s[28:29]
	s_cbranch_vccz .LBB150_443
; %bb.434:
	v_cndmask_b32_e64 v3, 0, 1.0, s[26:27]
	s_mov_b32 s28, 0x43f00000
	v_cmp_gt_u32_e32 vcc, s28, v3
                                        ; implicit-def: $vgpr4
	s_and_saveexec_b64 s[28:29], vcc
	s_xor_b64 s[28:29], exec, s[28:29]
	s_cbranch_execz .LBB150_440
; %bb.435:
	s_mov_b32 s34, 0x3c7fffff
	v_cmp_lt_u32_e32 vcc, s34, v3
                                        ; implicit-def: $vgpr4
	s_and_saveexec_b64 s[34:35], vcc
	s_xor_b64 s[34:35], exec, s[34:35]
; %bb.436:
	v_bfe_u32 v4, v3, 20, 1
	s_mov_b32 s36, 0x407ffff
	v_add3_u32 v3, v3, v4, s36
	v_lshrrev_b32_e32 v4, 20, v3
	v_and_b32_e32 v3, 0xff00000, v3
	s_mov_b32 s36, 0x7f00000
	v_mov_b32_e32 v5, 0x7e
	v_cmp_ne_u32_e32 vcc, s36, v3
	v_cndmask_b32_e32 v4, v5, v4, vcc
                                        ; implicit-def: $vgpr3
; %bb.437:
	s_andn2_saveexec_b64 s[34:35], s[34:35]
; %bb.438:
	v_add_f32_e32 v4, 0x46800000, v3
; %bb.439:
	s_or_b64 exec, exec, s[34:35]
                                        ; implicit-def: $vgpr3
.LBB150_440:
	s_andn2_saveexec_b64 s[28:29], s[28:29]
; %bb.441:
	s_mov_b32 s34, 0x7f800000
	v_mov_b32_e32 v4, 0x7e
	v_mov_b32_e32 v5, 0x7f
	v_cmp_lt_u32_e32 vcc, s34, v3
	v_cndmask_b32_e32 v4, v4, v5, vcc
; %bb.442:
	s_or_b64 exec, exec, s[28:29]
	global_store_byte v[0:1], v4, off
.LBB150_443:
	s_mov_b64 s[28:29], 0
.LBB150_444:
	s_andn2_b64 vcc, exec, s[28:29]
	s_cbranch_vccnz .LBB150_454
; %bb.445:
	v_cndmask_b32_e64 v3, 0, 1.0, s[26:27]
	s_mov_b32 s28, 0x47800000
	v_cmp_gt_u32_e32 vcc, s28, v3
                                        ; implicit-def: $vgpr4
	s_and_saveexec_b64 s[28:29], vcc
	s_xor_b64 s[28:29], exec, s[28:29]
	s_cbranch_execz .LBB150_451
; %bb.446:
	s_mov_b32 s34, 0x387fffff
	v_cmp_lt_u32_e32 vcc, s34, v3
                                        ; implicit-def: $vgpr4
	s_and_saveexec_b64 s[34:35], vcc
	s_xor_b64 s[34:35], exec, s[34:35]
; %bb.447:
	v_bfe_u32 v4, v3, 21, 1
	s_mov_b32 s36, 0x80fffff
	v_add3_u32 v3, v3, v4, s36
	v_lshrrev_b32_e32 v4, 21, v3
                                        ; implicit-def: $vgpr3
; %bb.448:
	s_andn2_saveexec_b64 s[34:35], s[34:35]
; %bb.449:
	v_add_f32_e32 v4, 0x43000000, v3
; %bb.450:
	s_or_b64 exec, exec, s[34:35]
                                        ; implicit-def: $vgpr3
.LBB150_451:
	s_andn2_saveexec_b64 s[28:29], s[28:29]
; %bb.452:
	s_mov_b32 s34, 0x7f800000
	v_mov_b32_e32 v4, 0x7c
	v_mov_b32_e32 v5, 0x7f
	v_cmp_lt_u32_e32 vcc, s34, v3
	v_cndmask_b32_e32 v4, v4, v5, vcc
; %bb.453:
	s_or_b64 exec, exec, s[28:29]
	global_store_byte v[0:1], v4, off
.LBB150_454:
	s_mov_b64 s[34:35], 0
	s_mov_b64 s[28:29], -1
.LBB150_455:
	s_andn2_b64 vcc, exec, s[34:35]
	s_cbranch_vccnz .LBB150_463
; %bb.456:
	s_cmp_gt_i32 s39, 14
	s_mov_b64 s[34:35], -1
	s_cbranch_scc0 .LBB150_460
; %bb.457:
	s_cmp_eq_u32 s39, 15
	s_mov_b64 s[0:1], -1
	s_cbranch_scc0 .LBB150_459
; %bb.458:
	v_cndmask_b32_e64 v3, 0, 1.0, s[26:27]
	v_bfe_u32 v4, v3, 16, 1
	s_movk_i32 s0, 0x7fff
	v_add3_u32 v3, v3, v4, s0
	global_store_short_d16_hi v[0:1], v3, off
	s_mov_b64 s[28:29], -1
	s_mov_b64 s[0:1], 0
.LBB150_459:
	s_mov_b64 s[34:35], 0
.LBB150_460:
	s_and_b64 vcc, exec, s[34:35]
	s_cbranch_vccz .LBB150_463
; %bb.461:
	s_cmp_eq_u32 s39, 11
	s_mov_b64 s[0:1], -1
	s_cbranch_scc0 .LBB150_463
; %bb.462:
	v_cndmask_b32_e64 v3, 0, 1, s[26:27]
	s_mov_b64 s[28:29], -1
	s_mov_b64 s[0:1], 0
	global_store_byte v[0:1], v3, off
.LBB150_463:
	s_mov_b64 s[34:35], 0
.LBB150_464:
	s_and_b64 vcc, exec, s[34:35]
	s_cbranch_vccz .LBB150_503
; %bb.465:
	s_and_b32 s34, 0xffff, s38
	s_cmp_lt_i32 s34, 5
	s_mov_b64 s[28:29], -1
	s_cbranch_scc1 .LBB150_486
; %bb.466:
	s_cmp_lt_i32 s34, 8
	s_cbranch_scc1 .LBB150_476
; %bb.467:
	s_cmp_lt_i32 s34, 9
	s_cbranch_scc1 .LBB150_473
; %bb.468:
	s_cmp_gt_i32 s34, 9
	s_cbranch_scc0 .LBB150_470
; %bb.469:
	v_cndmask_b32_e64 v3, 0, 1, s[26:27]
	v_cvt_f64_u32_e32 v[3:4], v3
	v_mov_b32_e32 v5, 0
	v_mov_b32_e32 v6, v5
	s_mov_b64 s[28:29], 0
	global_store_dwordx4 v[0:1], v[3:6], off
.LBB150_470:
	s_andn2_b64 vcc, exec, s[28:29]
	s_cbranch_vccnz .LBB150_472
; %bb.471:
	v_cndmask_b32_e64 v3, 0, 1.0, s[26:27]
	v_mov_b32_e32 v4, 0
	global_store_dwordx2 v[0:1], v[3:4], off
.LBB150_472:
	s_mov_b64 s[28:29], 0
.LBB150_473:
	s_andn2_b64 vcc, exec, s[28:29]
	s_cbranch_vccnz .LBB150_475
; %bb.474:
	v_cndmask_b32_e64 v3, 0, 1.0, s[26:27]
	v_cvt_f16_f32_e32 v3, v3
	global_store_dword v[0:1], v3, off
.LBB150_475:
	s_mov_b64 s[28:29], 0
.LBB150_476:
	s_andn2_b64 vcc, exec, s[28:29]
	s_cbranch_vccnz .LBB150_485
; %bb.477:
	s_cmp_lt_i32 s34, 6
	s_mov_b64 s[28:29], -1
	s_cbranch_scc1 .LBB150_483
; %bb.478:
	s_cmp_gt_i32 s34, 6
	s_cbranch_scc0 .LBB150_480
; %bb.479:
	v_cndmask_b32_e64 v3, 0, 1, s[26:27]
	v_cvt_f64_u32_e32 v[3:4], v3
	s_mov_b64 s[28:29], 0
	global_store_dwordx2 v[0:1], v[3:4], off
.LBB150_480:
	s_andn2_b64 vcc, exec, s[28:29]
	s_cbranch_vccnz .LBB150_482
; %bb.481:
	v_cndmask_b32_e64 v3, 0, 1.0, s[26:27]
	global_store_dword v[0:1], v3, off
.LBB150_482:
	s_mov_b64 s[28:29], 0
.LBB150_483:
	s_andn2_b64 vcc, exec, s[28:29]
	s_cbranch_vccnz .LBB150_485
; %bb.484:
	v_cndmask_b32_e64 v3, 0, 1.0, s[26:27]
	v_cvt_f16_f32_e32 v3, v3
	global_store_short v[0:1], v3, off
.LBB150_485:
	s_mov_b64 s[28:29], 0
.LBB150_486:
	s_andn2_b64 vcc, exec, s[28:29]
	s_cbranch_vccnz .LBB150_502
; %bb.487:
	s_cmp_lt_i32 s34, 2
	s_mov_b64 s[28:29], -1
	s_cbranch_scc1 .LBB150_497
; %bb.488:
	s_cmp_lt_i32 s34, 3
	s_cbranch_scc1 .LBB150_494
; %bb.489:
	s_cmp_gt_i32 s34, 3
	s_cbranch_scc0 .LBB150_491
; %bb.490:
	s_mov_b32 s28, 0
	v_cndmask_b32_e64 v3, 0, 1, s[26:27]
	v_mov_b32_e32 v4, s28
	s_mov_b64 s[28:29], 0
	global_store_dwordx2 v[0:1], v[3:4], off
.LBB150_491:
	s_andn2_b64 vcc, exec, s[28:29]
	s_cbranch_vccnz .LBB150_493
; %bb.492:
	v_cndmask_b32_e64 v3, 0, 1, s[26:27]
	global_store_dword v[0:1], v3, off
.LBB150_493:
	s_mov_b64 s[28:29], 0
.LBB150_494:
	s_andn2_b64 vcc, exec, s[28:29]
	s_cbranch_vccnz .LBB150_496
; %bb.495:
	v_cndmask_b32_e64 v3, 0, 1, s[26:27]
	global_store_short v[0:1], v3, off
.LBB150_496:
	s_mov_b64 s[28:29], 0
.LBB150_497:
	s_andn2_b64 vcc, exec, s[28:29]
	s_cbranch_vccnz .LBB150_502
; %bb.498:
	s_mov_b64 s[28:29], -1
	s_cmp_gt_i32 s34, 0
	v_cndmask_b32_e64 v3, 0, 1, s[26:27]
	s_cbranch_scc0 .LBB150_500
; %bb.499:
	s_mov_b64 s[28:29], 0
	global_store_byte v[0:1], v3, off
.LBB150_500:
	s_andn2_b64 vcc, exec, s[28:29]
	s_cbranch_vccnz .LBB150_502
; %bb.501:
	global_store_byte v[0:1], v3, off
.LBB150_502:
	s_mov_b64 s[28:29], -1
.LBB150_503:
	s_mov_b64 s[26:27], 0
	s_andn2_b64 vcc, exec, s[28:29]
	s_mov_b64 s[34:35], 0
	s_cbranch_vccnz .LBB150_505
; %bb.504:
	v_add_u32_e32 v2, 0x80, v2
	s_mov_b64 s[34:35], -1
.LBB150_505:
	s_andn2_b64 s[28:29], s[20:21], exec
	s_and_b64 s[0:1], s[0:1], exec
	s_or_b64 s[28:29], s[28:29], s[0:1]
	s_andn2_b64 s[0:1], s[22:23], exec
	s_and_b64 s[26:27], s[26:27], exec
	s_or_b64 s[26:27], s[0:1], s[26:27]
	s_orn2_b64 s[0:1], s[34:35], exec
.LBB150_506:
	s_or_b64 exec, exec, s[30:31]
	s_mov_b64 s[36:37], 0
	s_mov_b64 s[38:39], 0
	;; [unrolled: 1-line block ×3, first 2 shown]
                                        ; implicit-def: $sgpr34_sgpr35
                                        ; implicit-def: $vgpr0_vgpr1
	s_and_saveexec_b64 s[30:31], s[0:1]
	s_cbranch_execz .LBB150_831
; %bb.507:
	v_cmp_gt_i32_e32 vcc, s33, v2
	s_mov_b64 s[44:45], -1
	s_mov_b64 s[0:1], s[26:27]
	s_mov_b64 s[38:39], s[28:29]
	s_and_saveexec_b64 s[34:35], vcc
	s_cbranch_execz .LBB150_763
; %bb.508:
	v_mul_lo_u32 v0, v2, s13
	v_mov_b32_e32 v1, s11
	s_and_b32 s42, 0xffff, s15
	s_cmp_lt_i32 s42, 11
	v_ashrrev_i32_e32 v3, 31, v0
	v_add_co_u32_e32 v0, vcc, s10, v0
	v_addc_co_u32_e32 v1, vcc, v1, v3, vcc
	s_cbranch_scc1 .LBB150_515
; %bb.509:
	s_cmp_gt_i32 s42, 25
	s_cbranch_scc0 .LBB150_516
; %bb.510:
	s_cmp_gt_i32 s42, 28
	s_cbranch_scc0 .LBB150_517
	;; [unrolled: 3-line block ×4, first 2 shown]
; %bb.513:
	s_cmp_eq_u32 s42, 46
	s_cbranch_scc0 .LBB150_524
; %bb.514:
	global_load_dword v3, v[0:1], off
	s_mov_b64 s[38:39], -1
	s_waitcnt vmcnt(0)
	v_and_b32_e32 v3, 0x7fff7fff, v3
	v_cmp_ne_u32_e64 s[0:1], 0, v3
	s_branch .LBB150_525
.LBB150_515:
	s_mov_b64 s[40:41], -1
	s_mov_b64 s[38:39], 0
                                        ; implicit-def: $sgpr0_sgpr1
	s_mov_b64 s[36:37], s[26:27]
	s_branch .LBB150_572
.LBB150_516:
	s_mov_b64 s[40:41], -1
	s_mov_b64 s[38:39], 0
	s_mov_b64 s[36:37], s[26:27]
                                        ; implicit-def: $sgpr0_sgpr1
	s_branch .LBB150_546
.LBB150_517:
	s_mov_b64 s[40:41], -1
	s_mov_b64 s[38:39], 0
	s_mov_b64 s[36:37], s[26:27]
                                        ; implicit-def: $sgpr0_sgpr1
	s_branch .LBB150_533
.LBB150_518:
	s_mov_b64 s[40:41], -1
	s_mov_b64 s[38:39], 0
	s_mov_b64 s[36:37], s[26:27]
                                        ; implicit-def: $sgpr0_sgpr1
	s_branch .LBB150_528
.LBB150_519:
	s_andn2_saveexec_b64 s[36:37], s[36:37]
	s_cbranch_execz .LBB150_416
.LBB150_520:
	v_add_f32_e32 v3, 0x46000000, v4
	v_and_b32_e32 v3, 0xff, v3
	v_cmp_ne_u32_e32 vcc, 0, v3
	s_andn2_b64 s[34:35], s[34:35], exec
	s_and_b64 s[40:41], vcc, exec
	s_or_b64 s[34:35], s[34:35], s[40:41]
	s_or_b64 exec, exec, s[36:37]
	v_mov_b32_e32 v5, 0
	s_and_saveexec_b64 s[36:37], s[34:35]
	s_cbranch_execnz .LBB150_417
	s_branch .LBB150_418
.LBB150_521:
	s_mov_b64 s[40:41], -1
	s_mov_b64 s[38:39], 0
	s_mov_b64 s[36:37], s[26:27]
                                        ; implicit-def: $sgpr0_sgpr1
	s_branch .LBB150_525
.LBB150_522:
	s_andn2_saveexec_b64 s[36:37], s[36:37]
	s_cbranch_execz .LBB150_429
.LBB150_523:
	v_add_f32_e32 v3, 0x42800000, v4
	v_and_b32_e32 v3, 0xff, v3
	v_cmp_ne_u32_e32 vcc, 0, v3
	s_andn2_b64 s[34:35], s[34:35], exec
	s_and_b64 s[40:41], vcc, exec
	s_or_b64 s[34:35], s[34:35], s[40:41]
	s_or_b64 exec, exec, s[36:37]
	v_mov_b32_e32 v5, 0
	s_and_saveexec_b64 s[36:37], s[34:35]
	s_cbranch_execnz .LBB150_430
	s_branch .LBB150_431
.LBB150_524:
	s_mov_b64 s[36:37], -1
                                        ; implicit-def: $sgpr0_sgpr1
	s_mov_b64 s[38:39], 0
.LBB150_525:
	s_and_b64 vcc, exec, s[40:41]
	s_cbranch_vccz .LBB150_527
; %bb.526:
	s_cmp_eq_u32 s42, 44
	s_cselect_b64 s[38:39], -1, 0
	s_or_b64 s[0:1], s[0:1], exec
	s_or_b64 s[36:37], s[36:37], exec
.LBB150_527:
	s_mov_b64 s[40:41], 0
.LBB150_528:
	s_and_b64 vcc, exec, s[40:41]
	s_cbranch_vccz .LBB150_532
; %bb.529:
	s_cmp_eq_u32 s42, 29
	s_cbranch_scc0 .LBB150_531
; %bb.530:
	global_load_dwordx2 v[3:4], v[0:1], off
	s_mov_b64 s[36:37], 0
	s_mov_b64 s[38:39], -1
	s_mov_b64 s[40:41], 0
	s_waitcnt vmcnt(0)
	v_cmp_ne_u64_e64 s[0:1], 0, v[3:4]
	s_branch .LBB150_533
.LBB150_531:
	s_mov_b64 s[36:37], -1
                                        ; implicit-def: $sgpr0_sgpr1
.LBB150_532:
	s_mov_b64 s[40:41], 0
.LBB150_533:
	s_and_b64 vcc, exec, s[40:41]
	s_cbranch_vccz .LBB150_545
; %bb.534:
	s_cmp_lt_i32 s42, 27
	s_cbranch_scc1 .LBB150_537
; %bb.535:
	s_cmp_gt_i32 s42, 27
	s_cbranch_scc0 .LBB150_538
; %bb.536:
	global_load_dword v3, v[0:1], off
	s_mov_b64 s[38:39], 0
	s_waitcnt vmcnt(0)
	v_cmp_ne_u32_e64 s[0:1], 0, v3
	s_branch .LBB150_539
.LBB150_537:
	s_mov_b64 s[38:39], -1
                                        ; implicit-def: $sgpr0_sgpr1
	s_branch .LBB150_542
.LBB150_538:
	s_mov_b64 s[38:39], -1
                                        ; implicit-def: $sgpr0_sgpr1
.LBB150_539:
	s_andn2_b64 vcc, exec, s[38:39]
	s_cbranch_vccnz .LBB150_541
; %bb.540:
	global_load_ushort v3, v[0:1], off
	s_andn2_b64 s[0:1], s[0:1], exec
	s_waitcnt vmcnt(0)
	v_cmp_ne_u16_e32 vcc, 0, v3
	s_and_b64 s[38:39], vcc, exec
	s_or_b64 s[0:1], s[0:1], s[38:39]
.LBB150_541:
	s_mov_b64 s[38:39], 0
.LBB150_542:
	s_andn2_b64 vcc, exec, s[38:39]
	s_cbranch_vccnz .LBB150_544
; %bb.543:
	global_load_ubyte v3, v[0:1], off
	s_andn2_b64 s[0:1], s[0:1], exec
	s_waitcnt vmcnt(0)
	v_cmp_ne_u16_e32 vcc, 0, v3
	s_and_b64 s[38:39], vcc, exec
	s_or_b64 s[0:1], s[0:1], s[38:39]
.LBB150_544:
	s_mov_b64 s[38:39], -1
.LBB150_545:
	s_mov_b64 s[40:41], 0
.LBB150_546:
	s_and_b64 vcc, exec, s[40:41]
	s_cbranch_vccz .LBB150_571
; %bb.547:
	s_cmp_gt_i32 s42, 22
	s_cbranch_scc0 .LBB150_551
; %bb.548:
	s_cmp_lt_i32 s42, 24
	s_cbranch_scc1 .LBB150_552
; %bb.549:
	s_cmp_gt_i32 s42, 24
	s_cbranch_scc0 .LBB150_553
; %bb.550:
	global_load_ubyte v3, v[0:1], off
	s_mov_b64 s[38:39], 0
	s_waitcnt vmcnt(0)
	v_cmp_ne_u16_e64 s[0:1], 0, v3
	s_branch .LBB150_554
.LBB150_551:
	s_mov_b64 s[40:41], -1
                                        ; implicit-def: $sgpr0_sgpr1
	s_branch .LBB150_560
.LBB150_552:
	s_mov_b64 s[38:39], -1
                                        ; implicit-def: $sgpr0_sgpr1
	s_branch .LBB150_557
.LBB150_553:
	s_mov_b64 s[38:39], -1
                                        ; implicit-def: $sgpr0_sgpr1
.LBB150_554:
	s_andn2_b64 vcc, exec, s[38:39]
	s_cbranch_vccnz .LBB150_556
; %bb.555:
	global_load_ubyte v3, v[0:1], off
	s_andn2_b64 s[0:1], s[0:1], exec
	s_waitcnt vmcnt(0)
	v_and_b32_e32 v3, 0x7f, v3
	v_cmp_ne_u16_e32 vcc, 0, v3
	s_and_b64 s[38:39], vcc, exec
	s_or_b64 s[0:1], s[0:1], s[38:39]
.LBB150_556:
	s_mov_b64 s[38:39], 0
.LBB150_557:
	s_andn2_b64 vcc, exec, s[38:39]
	s_cbranch_vccnz .LBB150_559
; %bb.558:
	global_load_ubyte v3, v[0:1], off
	s_movk_i32 s38, 0x7f00
	s_brev_b32 s39, 16
	s_andn2_b64 s[0:1], s[0:1], exec
	s_waitcnt vmcnt(0)
	v_lshlrev_b32_e32 v4, 8, v3
	v_lshlrev_b32_e32 v3, 25, v3
	v_lshrrev_b32_e32 v5, 4, v3
	v_and_or_b32 v4, v4, s38, 0.5
	v_or_b32_e32 v5, 0x70000000, v5
	v_add_f32_e32 v4, -0.5, v4
	v_mul_f32_e32 v5, 0x7800000, v5
	v_cmp_gt_u32_e32 vcc, s39, v3
	v_cndmask_b32_e32 v3, v5, v4, vcc
	v_cmp_neq_f32_e32 vcc, 0, v3
	s_and_b64 s[38:39], vcc, exec
	s_or_b64 s[0:1], s[0:1], s[38:39]
.LBB150_559:
	s_mov_b64 s[40:41], 0
	s_mov_b64 s[38:39], -1
.LBB150_560:
	s_andn2_b64 vcc, exec, s[40:41]
	s_cbranch_vccnz .LBB150_571
; %bb.561:
	s_cmp_gt_i32 s42, 14
	s_cbranch_scc0 .LBB150_564
; %bb.562:
	s_cmp_eq_u32 s42, 15
	s_cbranch_scc0 .LBB150_565
; %bb.563:
	global_load_ushort v3, v[0:1], off
	s_mov_b64 s[38:39], -1
	s_mov_b64 s[36:37], 0
	s_waitcnt vmcnt(0)
	v_and_b32_e32 v3, 0x7fff, v3
	v_cmp_ne_u16_e64 s[0:1], 0, v3
	s_branch .LBB150_566
.LBB150_564:
	s_mov_b64 s[40:41], -1
                                        ; implicit-def: $sgpr0_sgpr1
	s_branch .LBB150_567
.LBB150_565:
	s_mov_b64 s[36:37], -1
                                        ; implicit-def: $sgpr0_sgpr1
.LBB150_566:
	s_mov_b64 s[40:41], 0
.LBB150_567:
	s_and_b64 vcc, exec, s[40:41]
	s_cbranch_vccz .LBB150_571
; %bb.568:
	s_cmp_eq_u32 s42, 11
	s_cbranch_scc0 .LBB150_570
; %bb.569:
	global_load_ubyte v3, v[0:1], off
	s_mov_b64 s[38:39], -1
	s_mov_b64 s[36:37], 0
	s_waitcnt vmcnt(0)
	v_cmp_ne_u16_e64 s[0:1], 0, v3
	s_branch .LBB150_571
.LBB150_570:
	s_mov_b64 s[36:37], -1
                                        ; implicit-def: $sgpr0_sgpr1
.LBB150_571:
	s_mov_b64 s[40:41], 0
.LBB150_572:
	s_and_b64 vcc, exec, s[40:41]
	s_cbranch_vccz .LBB150_621
; %bb.573:
	s_cmp_lt_i32 s42, 5
	s_cbranch_scc1 .LBB150_578
; %bb.574:
	s_cmp_lt_i32 s42, 8
	s_cbranch_scc1 .LBB150_579
; %bb.575:
	s_cmp_lt_i32 s42, 9
	s_cbranch_scc1 .LBB150_580
; %bb.576:
	s_cmp_gt_i32 s42, 9
	s_cbranch_scc0 .LBB150_581
; %bb.577:
	global_load_dwordx4 v[3:6], v[0:1], off
	s_mov_b64 s[38:39], 0
	s_waitcnt vmcnt(0)
	v_cmp_neq_f64_e32 vcc, 0, v[3:4]
	v_cmp_neq_f64_e64 s[0:1], 0, v[5:6]
	s_or_b64 s[0:1], vcc, s[0:1]
	s_branch .LBB150_582
.LBB150_578:
	s_mov_b64 s[38:39], -1
                                        ; implicit-def: $sgpr0_sgpr1
	s_branch .LBB150_600
.LBB150_579:
	s_mov_b64 s[38:39], -1
                                        ; implicit-def: $sgpr0_sgpr1
	s_branch .LBB150_588
.LBB150_580:
	s_mov_b64 s[38:39], -1
                                        ; implicit-def: $sgpr0_sgpr1
	s_branch .LBB150_585
.LBB150_581:
	s_mov_b64 s[38:39], -1
                                        ; implicit-def: $sgpr0_sgpr1
.LBB150_582:
	s_andn2_b64 vcc, exec, s[38:39]
	s_cbranch_vccnz .LBB150_584
; %bb.583:
	global_load_dwordx2 v[3:4], v[0:1], off
	s_andn2_b64 s[0:1], s[0:1], exec
	s_waitcnt vmcnt(0)
	v_or_b32_e32 v3, v3, v4
	v_and_b32_e32 v3, 0x7fffffff, v3
	v_cmp_ne_u32_e32 vcc, 0, v3
	s_and_b64 s[38:39], vcc, exec
	s_or_b64 s[0:1], s[0:1], s[38:39]
.LBB150_584:
	s_mov_b64 s[38:39], 0
.LBB150_585:
	s_andn2_b64 vcc, exec, s[38:39]
	s_cbranch_vccnz .LBB150_587
; %bb.586:
	global_load_dword v3, v[0:1], off
	s_andn2_b64 s[0:1], s[0:1], exec
	s_waitcnt vmcnt(0)
	v_and_b32_e32 v3, 0x7fff7fff, v3
	v_cmp_ne_u32_e32 vcc, 0, v3
	s_and_b64 s[38:39], vcc, exec
	s_or_b64 s[0:1], s[0:1], s[38:39]
.LBB150_587:
	s_mov_b64 s[38:39], 0
.LBB150_588:
	s_andn2_b64 vcc, exec, s[38:39]
	s_cbranch_vccnz .LBB150_599
; %bb.589:
	s_cmp_lt_i32 s42, 6
	s_cbranch_scc1 .LBB150_592
; %bb.590:
	s_cmp_gt_i32 s42, 6
	s_cbranch_scc0 .LBB150_593
; %bb.591:
	global_load_dwordx2 v[3:4], v[0:1], off
	s_mov_b64 s[38:39], 0
	s_waitcnt vmcnt(0)
	v_cmp_neq_f64_e64 s[0:1], 0, v[3:4]
	s_branch .LBB150_594
.LBB150_592:
	s_mov_b64 s[38:39], -1
                                        ; implicit-def: $sgpr0_sgpr1
	s_branch .LBB150_597
.LBB150_593:
	s_mov_b64 s[38:39], -1
                                        ; implicit-def: $sgpr0_sgpr1
.LBB150_594:
	s_andn2_b64 vcc, exec, s[38:39]
	s_cbranch_vccnz .LBB150_596
; %bb.595:
	global_load_dword v3, v[0:1], off
	s_andn2_b64 s[0:1], s[0:1], exec
	s_waitcnt vmcnt(0)
	v_cmp_neq_f32_e32 vcc, 0, v3
	s_and_b64 s[38:39], vcc, exec
	s_or_b64 s[0:1], s[0:1], s[38:39]
.LBB150_596:
	s_mov_b64 s[38:39], 0
.LBB150_597:
	s_andn2_b64 vcc, exec, s[38:39]
	s_cbranch_vccnz .LBB150_599
; %bb.598:
	global_load_ushort v3, v[0:1], off
	s_andn2_b64 s[0:1], s[0:1], exec
	s_waitcnt vmcnt(0)
	v_and_b32_e32 v3, 0x7fff, v3
	v_cmp_ne_u16_e32 vcc, 0, v3
	s_and_b64 s[38:39], vcc, exec
	s_or_b64 s[0:1], s[0:1], s[38:39]
.LBB150_599:
	s_mov_b64 s[38:39], 0
.LBB150_600:
	s_andn2_b64 vcc, exec, s[38:39]
	s_cbranch_vccnz .LBB150_620
; %bb.601:
	s_cmp_lt_i32 s42, 2
	s_cbranch_scc1 .LBB150_605
; %bb.602:
	s_cmp_lt_i32 s42, 3
	s_cbranch_scc1 .LBB150_606
; %bb.603:
	s_cmp_gt_i32 s42, 3
	s_cbranch_scc0 .LBB150_607
; %bb.604:
	global_load_dwordx2 v[3:4], v[0:1], off
	s_mov_b64 s[38:39], 0
	s_waitcnt vmcnt(0)
	v_cmp_ne_u64_e64 s[0:1], 0, v[3:4]
	s_branch .LBB150_608
.LBB150_605:
	s_mov_b64 s[38:39], -1
                                        ; implicit-def: $sgpr0_sgpr1
	s_branch .LBB150_614
.LBB150_606:
	s_mov_b64 s[38:39], -1
                                        ; implicit-def: $sgpr0_sgpr1
	s_branch .LBB150_611
.LBB150_607:
	s_mov_b64 s[38:39], -1
                                        ; implicit-def: $sgpr0_sgpr1
.LBB150_608:
	s_andn2_b64 vcc, exec, s[38:39]
	s_cbranch_vccnz .LBB150_610
; %bb.609:
	global_load_dword v3, v[0:1], off
	s_andn2_b64 s[0:1], s[0:1], exec
	s_waitcnt vmcnt(0)
	v_cmp_ne_u32_e32 vcc, 0, v3
	s_and_b64 s[38:39], vcc, exec
	s_or_b64 s[0:1], s[0:1], s[38:39]
.LBB150_610:
	s_mov_b64 s[38:39], 0
.LBB150_611:
	s_andn2_b64 vcc, exec, s[38:39]
	s_cbranch_vccnz .LBB150_613
; %bb.612:
	global_load_ushort v3, v[0:1], off
	s_andn2_b64 s[0:1], s[0:1], exec
	s_waitcnt vmcnt(0)
	v_cmp_ne_u16_e32 vcc, 0, v3
	s_and_b64 s[38:39], vcc, exec
	s_or_b64 s[0:1], s[0:1], s[38:39]
.LBB150_613:
	s_mov_b64 s[38:39], 0
.LBB150_614:
	s_andn2_b64 vcc, exec, s[38:39]
	s_cbranch_vccnz .LBB150_620
; %bb.615:
	s_cmp_gt_i32 s42, 0
	s_cbranch_scc0 .LBB150_617
; %bb.616:
	global_load_ubyte v3, v[0:1], off
	s_mov_b64 s[38:39], 0
	s_waitcnt vmcnt(0)
	v_cmp_ne_u16_e64 s[0:1], 0, v3
	s_branch .LBB150_618
.LBB150_617:
	s_mov_b64 s[38:39], -1
                                        ; implicit-def: $sgpr0_sgpr1
.LBB150_618:
	s_andn2_b64 vcc, exec, s[38:39]
	s_cbranch_vccnz .LBB150_620
; %bb.619:
	global_load_ubyte v0, v[0:1], off
	s_andn2_b64 s[0:1], s[0:1], exec
	s_waitcnt vmcnt(0)
	v_cmp_ne_u16_e32 vcc, 0, v0
	s_and_b64 s[38:39], vcc, exec
	s_or_b64 s[0:1], s[0:1], s[38:39]
.LBB150_620:
	s_mov_b64 s[38:39], -1
.LBB150_621:
	s_andn2_b64 vcc, exec, s[38:39]
	s_cbranch_vccnz .LBB150_626
; %bb.622:
	s_cmp_lt_i32 s14, 1
	s_mov_b64 s[38:39], 0
	s_cbranch_scc1 .LBB150_627
; %bb.623:
	s_cmp_gt_i32 s14, 1
	s_cbranch_scc0 .LBB150_628
; %bb.624:
	s_cmp_eq_u32 s14, 2
	s_cbranch_scc0 .LBB150_629
; %bb.625:
	s_xor_b64 s[36:37], s[0:1], -1
	s_or_b64 s[36:37], s[18:19], s[36:37]
	s_mov_b64 s[40:41], 0
	s_branch .LBB150_630
.LBB150_626:
	s_mov_b64 s[40:41], 0
	s_mov_b64 s[0:1], s[28:29]
                                        ; implicit-def: $vgpr2
	s_branch .LBB150_762
.LBB150_627:
	s_mov_b64 s[42:43], -1
                                        ; implicit-def: $sgpr36_sgpr37
	s_mov_b64 s[40:41], 0
	s_branch .LBB150_634
.LBB150_628:
	s_mov_b64 s[42:43], -1
	s_mov_b64 s[40:41], 0
                                        ; implicit-def: $sgpr36_sgpr37
	s_branch .LBB150_631
.LBB150_629:
	s_mov_b64 s[40:41], -1
                                        ; implicit-def: $sgpr36_sgpr37
.LBB150_630:
	s_mov_b64 s[42:43], 0
.LBB150_631:
	s_and_b64 vcc, exec, s[42:43]
	s_cbranch_vccz .LBB150_633
; %bb.632:
	s_and_b64 s[42:43], s[0:1], s[16:17]
	s_andn2_b64 s[36:37], s[36:37], exec
	s_and_b64 s[42:43], s[42:43], exec
	s_or_b64 s[36:37], s[36:37], s[42:43]
.LBB150_633:
	s_mov_b64 s[42:43], 0
.LBB150_634:
	s_and_b64 vcc, exec, s[42:43]
	s_cbranch_vccz .LBB150_645
; %bb.635:
	s_cmp_lg_u32 s14, 0
	s_mov_b64 s[38:39], -1
	s_cselect_b64 s[40:41], -1, 0
	s_andn2_b64 vcc, exec, s[40:41]
	s_cbranch_vccz .LBB150_646
.LBB150_636:
	s_andn2_b64 vcc, exec, s[38:39]
	s_cbranch_vccnz .LBB150_638
.LBB150_637:
	s_or_b64 s[0:1], s[0:1], s[16:17]
	s_andn2_b64 s[36:37], s[36:37], exec
	s_and_b64 s[0:1], s[0:1], exec
	s_or_b64 s[36:37], s[36:37], s[0:1]
.LBB150_638:
	v_mul_lo_u32 v0, v2, s12
	v_mov_b32_e32 v1, s9
	s_and_b32 s44, s3, 0xff
	s_cmp_lt_i32 s44, 11
	v_ashrrev_i32_e32 v3, 31, v0
	v_add_co_u32_e32 v0, vcc, s8, v0
	v_addc_co_u32_e32 v1, vcc, v1, v3, vcc
	s_cbranch_scc1 .LBB150_647
; %bb.639:
	s_and_b32 s45, 0xffff, s44
	s_cmp_gt_i32 s45, 25
	s_cbranch_scc0 .LBB150_648
; %bb.640:
	s_cmp_gt_i32 s45, 28
	s_cbranch_scc0 .LBB150_649
; %bb.641:
	;; [unrolled: 3-line block ×4, first 2 shown]
	s_mov_b64 s[40:41], 0
	s_mov_b64 s[0:1], -1
	s_cmp_eq_u32 s45, 46
	s_mov_b64 s[38:39], 0
	s_cbranch_scc0 .LBB150_652
; %bb.644:
	v_cndmask_b32_e64 v3, 0, 1.0, s[36:37]
	v_bfe_u32 v4, v3, 16, 1
	s_movk_i32 s0, 0x7fff
	v_add3_u32 v3, v3, v4, s0
	v_lshrrev_b32_e32 v3, 16, v3
	global_store_dword v[0:1], v3, off
	s_mov_b64 s[38:39], -1
	s_mov_b64 s[0:1], 0
	s_branch .LBB150_652
.LBB150_645:
	s_andn2_b64 vcc, exec, s[40:41]
	s_cbranch_vccnz .LBB150_636
.LBB150_646:
	s_xor_b64 s[38:39], s[0:1], -1
	s_and_b64 s[40:41], s[18:19], s[38:39]
	s_andn2_b64 s[36:37], s[36:37], exec
	s_and_b64 s[40:41], s[40:41], exec
	s_or_b64 s[36:37], s[36:37], s[40:41]
	s_cbranch_execz .LBB150_637
	s_branch .LBB150_638
.LBB150_647:
	s_mov_b64 s[40:41], -1
	s_mov_b64 s[38:39], 0
	s_mov_b64 s[0:1], s[28:29]
	s_branch .LBB150_721
.LBB150_648:
	s_mov_b64 s[40:41], -1
	s_mov_b64 s[38:39], 0
	s_mov_b64 s[0:1], s[28:29]
	s_branch .LBB150_679
.LBB150_649:
	s_mov_b64 s[40:41], -1
	s_mov_b64 s[38:39], 0
	s_mov_b64 s[0:1], s[28:29]
	s_branch .LBB150_662
.LBB150_650:
	s_mov_b64 s[40:41], -1
	s_mov_b64 s[38:39], 0
	s_mov_b64 s[0:1], s[28:29]
	s_branch .LBB150_658
.LBB150_651:
	s_mov_b64 s[40:41], -1
	s_mov_b64 s[38:39], 0
	s_mov_b64 s[0:1], s[28:29]
.LBB150_652:
	s_and_b64 vcc, exec, s[40:41]
	s_cbranch_vccz .LBB150_657
; %bb.653:
	s_cmp_eq_u32 s45, 44
	s_mov_b64 s[0:1], -1
	s_cbranch_scc0 .LBB150_657
; %bb.654:
	v_cndmask_b32_e64 v4, 0, 1.0, s[36:37]
	v_lshrrev_b32_e32 v3, 23, v4
	s_movk_i32 s0, 0xff
	v_cmp_ne_u32_e32 vcc, s0, v3
	v_mov_b32_e32 v5, 0xff
	s_and_saveexec_b64 s[38:39], vcc
; %bb.655:
	s_mov_b32 s0, 0x3fffff
	v_and_b32_e32 v5, 0x400000, v4
	v_and_or_b32 v4, v4, s0, v3
	v_cmp_ne_u32_e32 vcc, 0, v5
	v_cmp_ne_u32_e64 s[0:1], 0, v4
	s_and_b64 s[0:1], vcc, s[0:1]
	v_cndmask_b32_e64 v4, 0, 1, s[0:1]
	v_add_u32_e32 v5, v3, v4
; %bb.656:
	s_or_b64 exec, exec, s[38:39]
	s_mov_b64 s[38:39], -1
	s_mov_b64 s[0:1], 0
	global_store_byte v[0:1], v5, off
.LBB150_657:
	s_mov_b64 s[40:41], 0
.LBB150_658:
	s_and_b64 vcc, exec, s[40:41]
	s_cbranch_vccz .LBB150_661
; %bb.659:
	s_cmp_eq_u32 s45, 29
	s_mov_b64 s[0:1], -1
	s_cbranch_scc0 .LBB150_661
; %bb.660:
	s_mov_b32 s0, 0
	v_cndmask_b32_e64 v3, 0, 1, s[36:37]
	v_mov_b32_e32 v4, s0
	global_store_dwordx2 v[0:1], v[3:4], off
	s_mov_b64 s[38:39], -1
	s_mov_b64 s[0:1], 0
.LBB150_661:
	s_mov_b64 s[40:41], 0
.LBB150_662:
	s_and_b64 vcc, exec, s[40:41]
	s_cbranch_vccz .LBB150_678
; %bb.663:
	s_cmp_lt_i32 s45, 27
	s_mov_b64 s[38:39], -1
	s_cbranch_scc1 .LBB150_669
; %bb.664:
	s_cmp_gt_i32 s45, 27
	s_cbranch_scc0 .LBB150_666
; %bb.665:
	v_cndmask_b32_e64 v3, 0, 1, s[36:37]
	s_mov_b64 s[38:39], 0
	global_store_dword v[0:1], v3, off
.LBB150_666:
	s_andn2_b64 vcc, exec, s[38:39]
	s_cbranch_vccnz .LBB150_668
; %bb.667:
	v_cndmask_b32_e64 v3, 0, 1, s[36:37]
	global_store_short v[0:1], v3, off
.LBB150_668:
	s_mov_b64 s[38:39], 0
.LBB150_669:
	s_andn2_b64 vcc, exec, s[38:39]
	s_cbranch_vccnz .LBB150_677
; %bb.670:
	v_cndmask_b32_e64 v4, 0, 1.0, s[36:37]
	s_mov_b32 s38, 0x43800000
	v_cmp_gt_u32_e32 vcc, s38, v4
	v_mov_b32_e32 v5, 0x80
	s_and_saveexec_b64 s[38:39], vcc
	s_cbranch_execz .LBB150_676
; %bb.671:
	s_mov_b32 s40, 0x3bffffff
	v_cmp_lt_u32_e32 vcc, s40, v4
	s_mov_b64 s[40:41], 0
                                        ; implicit-def: $vgpr3
	s_and_saveexec_b64 s[42:43], vcc
	s_xor_b64 s[42:43], exec, s[42:43]
	s_cbranch_execz .LBB150_776
; %bb.672:
	v_bfe_u32 v3, v4, 20, 1
	s_mov_b32 s46, 0x487ffff
	v_add3_u32 v3, v4, v3, s46
	s_mov_b64 s[40:41], exec
	v_lshrrev_b32_e32 v3, 20, v3
                                        ; implicit-def: $vgpr4
	s_andn2_saveexec_b64 s[42:43], s[42:43]
	s_cbranch_execnz .LBB150_777
.LBB150_673:
	s_or_b64 exec, exec, s[42:43]
	v_mov_b32_e32 v5, 0
	s_and_saveexec_b64 s[42:43], s[40:41]
.LBB150_674:
	v_mov_b32_e32 v5, v3
.LBB150_675:
	s_or_b64 exec, exec, s[42:43]
.LBB150_676:
	s_or_b64 exec, exec, s[38:39]
	global_store_byte v[0:1], v5, off
.LBB150_677:
	s_mov_b64 s[38:39], -1
.LBB150_678:
	s_mov_b64 s[40:41], 0
.LBB150_679:
	s_and_b64 vcc, exec, s[40:41]
	s_cbranch_vccz .LBB150_720
; %bb.680:
	s_cmp_gt_i32 s45, 22
	s_mov_b64 s[40:41], -1
	s_cbranch_scc0 .LBB150_712
; %bb.681:
	s_cmp_lt_i32 s45, 24
	s_mov_b64 s[38:39], -1
	s_cbranch_scc1 .LBB150_701
; %bb.682:
	s_cmp_gt_i32 s45, 24
	s_cbranch_scc0 .LBB150_690
; %bb.683:
	v_cndmask_b32_e64 v4, 0, 1.0, s[36:37]
	s_mov_b32 s38, 0x47800000
	v_cmp_gt_u32_e32 vcc, s38, v4
	v_mov_b32_e32 v5, 0x80
	s_and_saveexec_b64 s[38:39], vcc
	s_cbranch_execz .LBB150_689
; %bb.684:
	s_mov_b32 s40, 0x37ffffff
	v_cmp_lt_u32_e32 vcc, s40, v4
	s_mov_b64 s[40:41], 0
                                        ; implicit-def: $vgpr3
	s_and_saveexec_b64 s[42:43], vcc
	s_xor_b64 s[42:43], exec, s[42:43]
	s_cbranch_execz .LBB150_779
; %bb.685:
	v_bfe_u32 v3, v4, 21, 1
	s_mov_b32 s46, 0x88fffff
	v_add3_u32 v3, v4, v3, s46
	s_mov_b64 s[40:41], exec
	v_lshrrev_b32_e32 v3, 21, v3
                                        ; implicit-def: $vgpr4
	s_andn2_saveexec_b64 s[42:43], s[42:43]
	s_cbranch_execnz .LBB150_780
.LBB150_686:
	s_or_b64 exec, exec, s[42:43]
	v_mov_b32_e32 v5, 0
	s_and_saveexec_b64 s[42:43], s[40:41]
.LBB150_687:
	v_mov_b32_e32 v5, v3
.LBB150_688:
	s_or_b64 exec, exec, s[42:43]
.LBB150_689:
	s_or_b64 exec, exec, s[38:39]
	s_mov_b64 s[38:39], 0
	global_store_byte v[0:1], v5, off
.LBB150_690:
	s_and_b64 vcc, exec, s[38:39]
	s_cbranch_vccz .LBB150_700
; %bb.691:
	v_cndmask_b32_e64 v3, 0, 1.0, s[36:37]
	s_mov_b32 s38, 0x43f00000
	v_cmp_gt_u32_e32 vcc, s38, v3
                                        ; implicit-def: $vgpr4
	s_and_saveexec_b64 s[38:39], vcc
	s_xor_b64 s[38:39], exec, s[38:39]
	s_cbranch_execz .LBB150_697
; %bb.692:
	s_mov_b32 s40, 0x3c7fffff
	v_cmp_lt_u32_e32 vcc, s40, v3
                                        ; implicit-def: $vgpr4
	s_and_saveexec_b64 s[40:41], vcc
	s_xor_b64 s[40:41], exec, s[40:41]
; %bb.693:
	v_bfe_u32 v4, v3, 20, 1
	s_mov_b32 s42, 0x407ffff
	v_add3_u32 v3, v3, v4, s42
	v_lshrrev_b32_e32 v4, 20, v3
	v_and_b32_e32 v3, 0xff00000, v3
	s_mov_b32 s42, 0x7f00000
	v_mov_b32_e32 v5, 0x7e
	v_cmp_ne_u32_e32 vcc, s42, v3
	v_cndmask_b32_e32 v4, v5, v4, vcc
                                        ; implicit-def: $vgpr3
; %bb.694:
	s_andn2_saveexec_b64 s[40:41], s[40:41]
; %bb.695:
	v_add_f32_e32 v4, 0x46800000, v3
; %bb.696:
	s_or_b64 exec, exec, s[40:41]
                                        ; implicit-def: $vgpr3
.LBB150_697:
	s_andn2_saveexec_b64 s[38:39], s[38:39]
; %bb.698:
	s_mov_b32 s40, 0x7f800000
	v_mov_b32_e32 v4, 0x7e
	v_mov_b32_e32 v5, 0x7f
	v_cmp_lt_u32_e32 vcc, s40, v3
	v_cndmask_b32_e32 v4, v4, v5, vcc
; %bb.699:
	s_or_b64 exec, exec, s[38:39]
	global_store_byte v[0:1], v4, off
.LBB150_700:
	s_mov_b64 s[38:39], 0
.LBB150_701:
	s_andn2_b64 vcc, exec, s[38:39]
	s_cbranch_vccnz .LBB150_711
; %bb.702:
	v_cndmask_b32_e64 v3, 0, 1.0, s[36:37]
	s_mov_b32 s38, 0x47800000
	v_cmp_gt_u32_e32 vcc, s38, v3
                                        ; implicit-def: $vgpr4
	s_and_saveexec_b64 s[38:39], vcc
	s_xor_b64 s[38:39], exec, s[38:39]
	s_cbranch_execz .LBB150_708
; %bb.703:
	s_mov_b32 s40, 0x387fffff
	v_cmp_lt_u32_e32 vcc, s40, v3
                                        ; implicit-def: $vgpr4
	s_and_saveexec_b64 s[40:41], vcc
	s_xor_b64 s[40:41], exec, s[40:41]
; %bb.704:
	v_bfe_u32 v4, v3, 21, 1
	s_mov_b32 s42, 0x80fffff
	v_add3_u32 v3, v3, v4, s42
	v_lshrrev_b32_e32 v4, 21, v3
                                        ; implicit-def: $vgpr3
; %bb.705:
	s_andn2_saveexec_b64 s[40:41], s[40:41]
; %bb.706:
	v_add_f32_e32 v4, 0x43000000, v3
; %bb.707:
	s_or_b64 exec, exec, s[40:41]
                                        ; implicit-def: $vgpr3
.LBB150_708:
	s_andn2_saveexec_b64 s[38:39], s[38:39]
; %bb.709:
	s_mov_b32 s40, 0x7f800000
	v_mov_b32_e32 v4, 0x7c
	v_mov_b32_e32 v5, 0x7f
	v_cmp_lt_u32_e32 vcc, s40, v3
	v_cndmask_b32_e32 v4, v4, v5, vcc
; %bb.710:
	s_or_b64 exec, exec, s[38:39]
	global_store_byte v[0:1], v4, off
.LBB150_711:
	s_mov_b64 s[40:41], 0
	s_mov_b64 s[38:39], -1
.LBB150_712:
	s_andn2_b64 vcc, exec, s[40:41]
	s_cbranch_vccnz .LBB150_720
; %bb.713:
	s_cmp_gt_i32 s45, 14
	s_mov_b64 s[40:41], -1
	s_cbranch_scc0 .LBB150_717
; %bb.714:
	s_cmp_eq_u32 s45, 15
	s_mov_b64 s[0:1], -1
	s_cbranch_scc0 .LBB150_716
; %bb.715:
	v_cndmask_b32_e64 v3, 0, 1.0, s[36:37]
	v_bfe_u32 v4, v3, 16, 1
	s_movk_i32 s0, 0x7fff
	v_add3_u32 v3, v3, v4, s0
	global_store_short_d16_hi v[0:1], v3, off
	s_mov_b64 s[38:39], -1
	s_mov_b64 s[0:1], 0
.LBB150_716:
	s_mov_b64 s[40:41], 0
.LBB150_717:
	s_and_b64 vcc, exec, s[40:41]
	s_cbranch_vccz .LBB150_720
; %bb.718:
	s_cmp_eq_u32 s45, 11
	s_mov_b64 s[0:1], -1
	s_cbranch_scc0 .LBB150_720
; %bb.719:
	v_cndmask_b32_e64 v3, 0, 1, s[36:37]
	s_mov_b64 s[38:39], -1
	s_mov_b64 s[0:1], 0
	global_store_byte v[0:1], v3, off
.LBB150_720:
	s_mov_b64 s[40:41], 0
.LBB150_721:
	s_and_b64 vcc, exec, s[40:41]
	s_cbranch_vccz .LBB150_760
; %bb.722:
	s_and_b32 s40, 0xffff, s44
	s_cmp_lt_i32 s40, 5
	s_mov_b64 s[38:39], -1
	s_cbranch_scc1 .LBB150_743
; %bb.723:
	s_cmp_lt_i32 s40, 8
	s_cbranch_scc1 .LBB150_733
; %bb.724:
	s_cmp_lt_i32 s40, 9
	s_cbranch_scc1 .LBB150_730
; %bb.725:
	s_cmp_gt_i32 s40, 9
	s_cbranch_scc0 .LBB150_727
; %bb.726:
	v_cndmask_b32_e64 v3, 0, 1, s[36:37]
	v_cvt_f64_u32_e32 v[3:4], v3
	v_mov_b32_e32 v5, 0
	v_mov_b32_e32 v6, v5
	s_mov_b64 s[38:39], 0
	global_store_dwordx4 v[0:1], v[3:6], off
.LBB150_727:
	s_andn2_b64 vcc, exec, s[38:39]
	s_cbranch_vccnz .LBB150_729
; %bb.728:
	v_cndmask_b32_e64 v3, 0, 1.0, s[36:37]
	v_mov_b32_e32 v4, 0
	global_store_dwordx2 v[0:1], v[3:4], off
.LBB150_729:
	s_mov_b64 s[38:39], 0
.LBB150_730:
	s_andn2_b64 vcc, exec, s[38:39]
	s_cbranch_vccnz .LBB150_732
; %bb.731:
	v_cndmask_b32_e64 v3, 0, 1.0, s[36:37]
	v_cvt_f16_f32_e32 v3, v3
	global_store_dword v[0:1], v3, off
.LBB150_732:
	s_mov_b64 s[38:39], 0
.LBB150_733:
	s_andn2_b64 vcc, exec, s[38:39]
	s_cbranch_vccnz .LBB150_742
; %bb.734:
	s_cmp_lt_i32 s40, 6
	s_mov_b64 s[38:39], -1
	s_cbranch_scc1 .LBB150_740
; %bb.735:
	s_cmp_gt_i32 s40, 6
	s_cbranch_scc0 .LBB150_737
; %bb.736:
	v_cndmask_b32_e64 v3, 0, 1, s[36:37]
	v_cvt_f64_u32_e32 v[3:4], v3
	s_mov_b64 s[38:39], 0
	global_store_dwordx2 v[0:1], v[3:4], off
.LBB150_737:
	s_andn2_b64 vcc, exec, s[38:39]
	s_cbranch_vccnz .LBB150_739
; %bb.738:
	v_cndmask_b32_e64 v3, 0, 1.0, s[36:37]
	global_store_dword v[0:1], v3, off
.LBB150_739:
	s_mov_b64 s[38:39], 0
.LBB150_740:
	s_andn2_b64 vcc, exec, s[38:39]
	s_cbranch_vccnz .LBB150_742
; %bb.741:
	v_cndmask_b32_e64 v3, 0, 1.0, s[36:37]
	v_cvt_f16_f32_e32 v3, v3
	global_store_short v[0:1], v3, off
.LBB150_742:
	s_mov_b64 s[38:39], 0
.LBB150_743:
	s_andn2_b64 vcc, exec, s[38:39]
	s_cbranch_vccnz .LBB150_759
; %bb.744:
	s_cmp_lt_i32 s40, 2
	s_mov_b64 s[38:39], -1
	s_cbranch_scc1 .LBB150_754
; %bb.745:
	s_cmp_lt_i32 s40, 3
	s_cbranch_scc1 .LBB150_751
; %bb.746:
	s_cmp_gt_i32 s40, 3
	s_cbranch_scc0 .LBB150_748
; %bb.747:
	s_mov_b32 s38, 0
	v_cndmask_b32_e64 v3, 0, 1, s[36:37]
	v_mov_b32_e32 v4, s38
	s_mov_b64 s[38:39], 0
	global_store_dwordx2 v[0:1], v[3:4], off
.LBB150_748:
	s_andn2_b64 vcc, exec, s[38:39]
	s_cbranch_vccnz .LBB150_750
; %bb.749:
	v_cndmask_b32_e64 v3, 0, 1, s[36:37]
	global_store_dword v[0:1], v3, off
.LBB150_750:
	s_mov_b64 s[38:39], 0
.LBB150_751:
	s_andn2_b64 vcc, exec, s[38:39]
	s_cbranch_vccnz .LBB150_753
; %bb.752:
	v_cndmask_b32_e64 v3, 0, 1, s[36:37]
	global_store_short v[0:1], v3, off
.LBB150_753:
	s_mov_b64 s[38:39], 0
.LBB150_754:
	s_andn2_b64 vcc, exec, s[38:39]
	s_cbranch_vccnz .LBB150_759
; %bb.755:
	s_mov_b64 s[38:39], -1
	s_cmp_gt_i32 s40, 0
	v_cndmask_b32_e64 v3, 0, 1, s[36:37]
	s_cbranch_scc0 .LBB150_757
; %bb.756:
	s_mov_b64 s[38:39], 0
	global_store_byte v[0:1], v3, off
.LBB150_757:
	s_andn2_b64 vcc, exec, s[38:39]
	s_cbranch_vccnz .LBB150_759
; %bb.758:
	global_store_byte v[0:1], v3, off
.LBB150_759:
	s_mov_b64 s[38:39], -1
.LBB150_760:
	s_mov_b64 s[36:37], 0
	s_andn2_b64 vcc, exec, s[38:39]
	s_mov_b64 s[40:41], 0
	s_cbranch_vccnz .LBB150_762
; %bb.761:
	v_add_u32_e32 v2, 0x80, v2
	s_mov_b64 s[40:41], -1
.LBB150_762:
	s_andn2_b64 s[38:39], s[28:29], exec
	s_and_b64 s[0:1], s[0:1], exec
	s_or_b64 s[38:39], s[38:39], s[0:1]
	s_andn2_b64 s[0:1], s[26:27], exec
	s_and_b64 s[36:37], s[36:37], exec
	s_or_b64 s[0:1], s[0:1], s[36:37]
	s_orn2_b64 s[44:45], s[40:41], exec
.LBB150_763:
	s_or_b64 exec, exec, s[34:35]
	s_mov_b64 s[42:43], 0
	s_mov_b64 s[46:47], 0
	;; [unrolled: 1-line block ×3, first 2 shown]
                                        ; implicit-def: $sgpr34_sgpr35
                                        ; implicit-def: $vgpr0_vgpr1
	s_and_saveexec_b64 s[36:37], s[44:45]
	s_cbranch_execz .LBB150_830
; %bb.764:
	v_cmp_gt_i32_e32 vcc, s33, v2
	s_mov_b64 s[44:45], 0
	s_mov_b64 s[48:49], s[0:1]
	;; [unrolled: 1-line block ×3, first 2 shown]
                                        ; implicit-def: $sgpr34_sgpr35
                                        ; implicit-def: $vgpr0_vgpr1
	s_and_saveexec_b64 s[40:41], vcc
	s_cbranch_execz .LBB150_829
; %bb.765:
	v_mul_lo_u32 v0, v2, s13
	v_mov_b32_e32 v1, s11
	s_and_b32 s33, 0xffff, s15
	s_cmp_lt_i32 s33, 11
	v_ashrrev_i32_e32 v3, 31, v0
	v_add_co_u32_e32 v0, vcc, s10, v0
	v_addc_co_u32_e32 v1, vcc, v1, v3, vcc
	s_cbranch_scc1 .LBB150_772
; %bb.766:
	s_cmp_gt_i32 s33, 25
	s_cbranch_scc0 .LBB150_773
; %bb.767:
	s_cmp_gt_i32 s33, 28
	s_cbranch_scc0 .LBB150_774
	;; [unrolled: 3-line block ×4, first 2 shown]
; %bb.770:
	s_cmp_eq_u32 s33, 46
	s_mov_b64 s[48:49], 0
	s_cbranch_scc0 .LBB150_781
; %bb.771:
	global_load_dword v3, v[0:1], off
	s_mov_b64 s[46:47], -1
	s_waitcnt vmcnt(0)
	v_and_b32_e32 v3, 0x7fff7fff, v3
	v_cmp_ne_u32_e64 s[34:35], 0, v3
	s_branch .LBB150_783
.LBB150_772:
	s_mov_b64 s[48:49], -1
                                        ; implicit-def: $sgpr34_sgpr35
	s_mov_b64 s[42:43], s[0:1]
	s_branch .LBB150_828
.LBB150_773:
	s_mov_b64 s[48:49], -1
	s_mov_b64 s[42:43], s[0:1]
                                        ; implicit-def: $sgpr34_sgpr35
	s_branch .LBB150_804
.LBB150_774:
	s_mov_b64 s[48:49], -1
	s_mov_b64 s[42:43], s[0:1]
                                        ; implicit-def: $sgpr34_sgpr35
	s_branch .LBB150_791
.LBB150_775:
	s_mov_b64 s[48:49], -1
	s_mov_b64 s[42:43], s[0:1]
                                        ; implicit-def: $sgpr34_sgpr35
	s_branch .LBB150_786
.LBB150_776:
	s_andn2_saveexec_b64 s[42:43], s[42:43]
	s_cbranch_execz .LBB150_673
.LBB150_777:
	v_add_f32_e32 v3, 0x46000000, v4
	v_and_b32_e32 v3, 0xff, v3
	v_cmp_ne_u32_e32 vcc, 0, v3
	s_andn2_b64 s[40:41], s[40:41], exec
	s_and_b64 s[46:47], vcc, exec
	s_or_b64 s[40:41], s[40:41], s[46:47]
	s_or_b64 exec, exec, s[42:43]
	v_mov_b32_e32 v5, 0
	s_and_saveexec_b64 s[42:43], s[40:41]
	s_cbranch_execnz .LBB150_674
	s_branch .LBB150_675
.LBB150_778:
	s_mov_b64 s[48:49], -1
	s_mov_b64 s[42:43], s[0:1]
	s_branch .LBB150_782
.LBB150_779:
	s_andn2_saveexec_b64 s[42:43], s[42:43]
	s_cbranch_execz .LBB150_686
.LBB150_780:
	v_add_f32_e32 v3, 0x42800000, v4
	v_and_b32_e32 v3, 0xff, v3
	v_cmp_ne_u32_e32 vcc, 0, v3
	s_andn2_b64 s[40:41], s[40:41], exec
	s_and_b64 s[46:47], vcc, exec
	s_or_b64 s[40:41], s[40:41], s[46:47]
	s_or_b64 exec, exec, s[42:43]
	v_mov_b32_e32 v5, 0
	s_and_saveexec_b64 s[42:43], s[40:41]
	s_cbranch_execnz .LBB150_687
	s_branch .LBB150_688
.LBB150_781:
	s_mov_b64 s[42:43], -1
.LBB150_782:
                                        ; implicit-def: $sgpr34_sgpr35
.LBB150_783:
	s_and_b64 vcc, exec, s[48:49]
	s_cbranch_vccz .LBB150_785
; %bb.784:
	s_cmp_lg_u32 s33, 44
	s_cselect_b64 s[48:49], -1, 0
	s_andn2_b64 s[42:43], s[42:43], exec
	s_and_b64 s[48:49], s[48:49], exec
	s_mov_b64 s[46:47], -1
	s_or_b64 s[34:35], s[34:35], exec
	s_or_b64 s[42:43], s[42:43], s[48:49]
.LBB150_785:
	s_mov_b64 s[48:49], 0
.LBB150_786:
	s_and_b64 vcc, exec, s[48:49]
	s_cbranch_vccz .LBB150_790
; %bb.787:
	s_cmp_eq_u32 s33, 29
	s_cbranch_scc0 .LBB150_789
; %bb.788:
	global_load_dwordx2 v[3:4], v[0:1], off
	s_mov_b64 s[42:43], 0
	s_mov_b64 s[46:47], -1
	s_mov_b64 s[48:49], 0
	s_waitcnt vmcnt(0)
	v_cmp_ne_u64_e64 s[34:35], 0, v[3:4]
	s_branch .LBB150_791
.LBB150_789:
	s_mov_b64 s[42:43], -1
                                        ; implicit-def: $sgpr34_sgpr35
.LBB150_790:
	s_mov_b64 s[48:49], 0
.LBB150_791:
	s_and_b64 vcc, exec, s[48:49]
	s_cbranch_vccz .LBB150_803
; %bb.792:
	s_cmp_lt_i32 s33, 27
	s_cbranch_scc1 .LBB150_795
; %bb.793:
	s_cmp_gt_i32 s33, 27
	s_cbranch_scc0 .LBB150_796
; %bb.794:
	global_load_dword v3, v[0:1], off
	s_mov_b64 s[46:47], 0
	s_waitcnt vmcnt(0)
	v_cmp_ne_u32_e64 s[34:35], 0, v3
	s_branch .LBB150_797
.LBB150_795:
	s_mov_b64 s[46:47], -1
                                        ; implicit-def: $sgpr34_sgpr35
	s_branch .LBB150_800
.LBB150_796:
	s_mov_b64 s[46:47], -1
                                        ; implicit-def: $sgpr34_sgpr35
.LBB150_797:
	s_andn2_b64 vcc, exec, s[46:47]
	s_cbranch_vccnz .LBB150_799
; %bb.798:
	global_load_ushort v3, v[0:1], off
	s_andn2_b64 s[34:35], s[34:35], exec
	s_waitcnt vmcnt(0)
	v_cmp_ne_u16_e32 vcc, 0, v3
	s_and_b64 s[46:47], vcc, exec
	s_or_b64 s[34:35], s[34:35], s[46:47]
.LBB150_799:
	s_mov_b64 s[46:47], 0
.LBB150_800:
	s_andn2_b64 vcc, exec, s[46:47]
	s_cbranch_vccnz .LBB150_802
; %bb.801:
	global_load_ubyte v3, v[0:1], off
	s_andn2_b64 s[34:35], s[34:35], exec
	s_waitcnt vmcnt(0)
	v_cmp_ne_u16_e32 vcc, 0, v3
	s_and_b64 s[46:47], vcc, exec
	s_or_b64 s[34:35], s[34:35], s[46:47]
.LBB150_802:
	s_mov_b64 s[46:47], -1
.LBB150_803:
	s_mov_b64 s[48:49], 0
.LBB150_804:
	s_and_b64 vcc, exec, s[48:49]
	s_cbranch_vccz .LBB150_827
; %bb.805:
	s_cmp_gt_i32 s33, 22
	s_cbranch_scc0 .LBB150_809
; %bb.806:
	s_cmp_lt_i32 s33, 24
	s_cbranch_scc1 .LBB150_810
; %bb.807:
	s_cmp_gt_i32 s33, 24
	s_cbranch_scc0 .LBB150_811
; %bb.808:
	global_load_ubyte v3, v[0:1], off
	s_waitcnt vmcnt(0)
	v_cmp_ne_u16_e64 s[34:35], 0, v3
	s_branch .LBB150_812
.LBB150_809:
	s_mov_b64 s[44:45], -1
                                        ; implicit-def: $sgpr34_sgpr35
	s_branch .LBB150_818
.LBB150_810:
	s_mov_b64 s[44:45], -1
                                        ; implicit-def: $sgpr34_sgpr35
	s_branch .LBB150_815
.LBB150_811:
	s_mov_b64 s[44:45], -1
                                        ; implicit-def: $sgpr34_sgpr35
.LBB150_812:
	s_andn2_b64 vcc, exec, s[44:45]
	s_cbranch_vccnz .LBB150_814
; %bb.813:
	global_load_ubyte v3, v[0:1], off
	s_andn2_b64 s[34:35], s[34:35], exec
	s_waitcnt vmcnt(0)
	v_and_b32_e32 v3, 0x7f, v3
	v_cmp_ne_u16_e32 vcc, 0, v3
	s_and_b64 s[44:45], vcc, exec
	s_or_b64 s[34:35], s[34:35], s[44:45]
.LBB150_814:
	s_mov_b64 s[44:45], 0
.LBB150_815:
	s_andn2_b64 vcc, exec, s[44:45]
	s_cbranch_vccnz .LBB150_817
; %bb.816:
	global_load_ubyte v3, v[0:1], off
	s_movk_i32 s44, 0x7f00
	s_brev_b32 s45, 16
	s_andn2_b64 s[34:35], s[34:35], exec
	s_waitcnt vmcnt(0)
	v_lshlrev_b32_e32 v4, 8, v3
	v_lshlrev_b32_e32 v3, 25, v3
	v_lshrrev_b32_e32 v5, 4, v3
	v_and_or_b32 v4, v4, s44, 0.5
	v_or_b32_e32 v5, 0x70000000, v5
	v_add_f32_e32 v4, -0.5, v4
	v_mul_f32_e32 v5, 0x7800000, v5
	v_cmp_gt_u32_e32 vcc, s45, v3
	v_cndmask_b32_e32 v3, v5, v4, vcc
	v_cmp_neq_f32_e32 vcc, 0, v3
	s_and_b64 s[44:45], vcc, exec
	s_or_b64 s[34:35], s[34:35], s[44:45]
.LBB150_817:
	s_mov_b64 s[44:45], 0
	s_mov_b64 s[46:47], -1
.LBB150_818:
	s_andn2_b64 vcc, exec, s[44:45]
	s_mov_b64 s[44:45], 0
	s_cbranch_vccnz .LBB150_827
; %bb.819:
	s_cmp_gt_i32 s33, 14
	s_cbranch_scc0 .LBB150_822
; %bb.820:
	s_cmp_eq_u32 s33, 15
	s_cbranch_scc0 .LBB150_823
; %bb.821:
	global_load_ushort v3, v[0:1], off
	s_mov_b64 s[42:43], 0
	s_mov_b64 s[46:47], -1
	s_waitcnt vmcnt(0)
	v_and_b32_e32 v3, 0x7fff, v3
	v_cmp_ne_u16_e64 s[34:35], 0, v3
	s_branch .LBB150_824
.LBB150_822:
	s_mov_b64 s[48:49], -1
                                        ; implicit-def: $sgpr34_sgpr35
	s_branch .LBB150_825
.LBB150_823:
	s_mov_b64 s[42:43], -1
                                        ; implicit-def: $sgpr34_sgpr35
.LBB150_824:
	s_mov_b64 s[48:49], 0
.LBB150_825:
	s_and_b64 vcc, exec, s[48:49]
	s_cbranch_vccz .LBB150_827
; %bb.826:
	s_cmp_lg_u32 s33, 11
	s_cselect_b64 s[48:49], -1, 0
	s_andn2_b64 s[42:43], s[42:43], exec
	s_and_b64 s[48:49], s[48:49], exec
	s_mov_b64 s[44:45], -1
	s_or_b64 s[42:43], s[42:43], s[48:49]
.LBB150_827:
	s_mov_b64 s[48:49], 0
.LBB150_828:
	s_and_b64 s[50:51], s[46:47], exec
	s_and_b64 s[46:47], s[48:49], exec
	s_andn2_b64 s[48:49], s[0:1], exec
	s_and_b64 s[42:43], s[42:43], exec
	s_and_b64 s[44:45], s[44:45], exec
	s_or_b64 s[48:49], s[48:49], s[42:43]
.LBB150_829:
	s_or_b64 exec, exec, s[40:41]
	s_and_b64 s[42:43], s[44:45], exec
	s_andn2_b64 s[0:1], s[0:1], exec
	s_and_b64 s[44:45], s[48:49], exec
	s_and_b64 s[40:41], s[50:51], exec
	;; [unrolled: 1-line block ×3, first 2 shown]
	s_or_b64 s[0:1], s[0:1], s[44:45]
.LBB150_830:
	s_or_b64 exec, exec, s[36:37]
	s_andn2_b64 s[28:29], s[28:29], exec
	s_and_b64 s[36:37], s[38:39], exec
	s_andn2_b64 s[26:27], s[26:27], exec
	s_and_b64 s[0:1], s[0:1], exec
	s_or_b64 s[28:29], s[28:29], s[36:37]
	s_and_b64 s[40:41], s[40:41], exec
	s_and_b64 s[38:39], s[46:47], exec
	;; [unrolled: 1-line block ×3, first 2 shown]
	s_or_b64 s[26:27], s[26:27], s[0:1]
.LBB150_831:
	s_or_b64 exec, exec, s[30:31]
	s_andn2_b64 s[0:1], s[20:21], exec
	s_and_b64 s[20:21], s[28:29], exec
	s_andn2_b64 s[22:23], s[22:23], exec
	s_and_b64 s[26:27], s[26:27], exec
	s_or_b64 s[20:21], s[0:1], s[20:21]
	s_and_b64 s[30:31], s[40:41], exec
	s_and_b64 s[0:1], s[38:39], exec
	;; [unrolled: 1-line block ×3, first 2 shown]
	s_or_b64 s[22:23], s[22:23], s[26:27]
	s_or_b64 exec, exec, s[24:25]
	s_mov_b64 s[24:25], 0
	s_and_saveexec_b64 s[26:27], s[22:23]
	s_cbranch_execz .LBB150_258
.LBB150_832:
	s_mov_b64 s[24:25], exec
	s_andn2_b64 s[30:31], s[30:31], exec
	s_andn2_b64 s[28:29], s[28:29], exec
	s_trap 2
	s_or_b64 exec, exec, s[26:27]
	s_and_saveexec_b64 s[22:23], s[28:29]
	s_xor_b64 s[22:23], exec, s[22:23]
	s_cbranch_execnz .LBB150_259
.LBB150_833:
	s_or_b64 exec, exec, s[22:23]
	s_and_saveexec_b64 s[22:23], s[0:1]
	s_cbranch_execz .LBB150_879
.LBB150_834:
	s_sext_i32_i16 s0, s15
	s_cmp_lt_i32 s0, 5
	s_cbranch_scc1 .LBB150_839
; %bb.835:
	s_cmp_lt_i32 s0, 8
	s_cbranch_scc1 .LBB150_840
; %bb.836:
	s_cmp_lt_i32 s0, 9
	s_cbranch_scc1 .LBB150_841
; %bb.837:
	s_cmp_gt_i32 s0, 9
	s_cbranch_scc0 .LBB150_842
; %bb.838:
	global_load_dwordx4 v[3:6], v[0:1], off
	s_mov_b64 s[26:27], 0
	s_waitcnt vmcnt(0)
	v_cmp_neq_f64_e32 vcc, 0, v[3:4]
	v_cmp_neq_f64_e64 s[0:1], 0, v[5:6]
	s_or_b64 s[0:1], vcc, s[0:1]
	s_branch .LBB150_843
.LBB150_839:
                                        ; implicit-def: $sgpr0_sgpr1
	s_branch .LBB150_860
.LBB150_840:
                                        ; implicit-def: $sgpr0_sgpr1
	s_branch .LBB150_849
.LBB150_841:
	s_mov_b64 s[26:27], -1
                                        ; implicit-def: $sgpr0_sgpr1
	s_branch .LBB150_846
.LBB150_842:
	s_mov_b64 s[26:27], -1
                                        ; implicit-def: $sgpr0_sgpr1
.LBB150_843:
	s_andn2_b64 vcc, exec, s[26:27]
	s_cbranch_vccnz .LBB150_845
; %bb.844:
	global_load_dwordx2 v[3:4], v[0:1], off
	s_andn2_b64 s[0:1], s[0:1], exec
	s_waitcnt vmcnt(0)
	v_or_b32_e32 v3, v3, v4
	v_and_b32_e32 v3, 0x7fffffff, v3
	v_cmp_ne_u32_e32 vcc, 0, v3
	s_and_b64 s[26:27], vcc, exec
	s_or_b64 s[0:1], s[0:1], s[26:27]
.LBB150_845:
	s_mov_b64 s[26:27], 0
.LBB150_846:
	s_andn2_b64 vcc, exec, s[26:27]
	s_cbranch_vccnz .LBB150_848
; %bb.847:
	global_load_dword v3, v[0:1], off
	s_andn2_b64 s[0:1], s[0:1], exec
	s_waitcnt vmcnt(0)
	v_and_b32_e32 v3, 0x7fff7fff, v3
	v_cmp_ne_u32_e32 vcc, 0, v3
	s_and_b64 s[26:27], vcc, exec
	s_or_b64 s[0:1], s[0:1], s[26:27]
.LBB150_848:
	s_cbranch_execnz .LBB150_859
.LBB150_849:
	s_sext_i32_i16 s0, s15
	s_cmp_lt_i32 s0, 6
	s_cbranch_scc1 .LBB150_852
; %bb.850:
	s_cmp_gt_i32 s0, 6
	s_cbranch_scc0 .LBB150_853
; %bb.851:
	global_load_dwordx2 v[3:4], v[0:1], off
	s_mov_b64 s[26:27], 0
	s_waitcnt vmcnt(0)
	v_cmp_neq_f64_e64 s[0:1], 0, v[3:4]
	s_branch .LBB150_854
.LBB150_852:
	s_mov_b64 s[26:27], -1
                                        ; implicit-def: $sgpr0_sgpr1
	s_branch .LBB150_857
.LBB150_853:
	s_mov_b64 s[26:27], -1
                                        ; implicit-def: $sgpr0_sgpr1
.LBB150_854:
	s_andn2_b64 vcc, exec, s[26:27]
	s_cbranch_vccnz .LBB150_856
; %bb.855:
	global_load_dword v3, v[0:1], off
	s_andn2_b64 s[0:1], s[0:1], exec
	s_waitcnt vmcnt(0)
	v_cmp_neq_f32_e32 vcc, 0, v3
	s_and_b64 s[26:27], vcc, exec
	s_or_b64 s[0:1], s[0:1], s[26:27]
.LBB150_856:
	s_mov_b64 s[26:27], 0
.LBB150_857:
	s_andn2_b64 vcc, exec, s[26:27]
	s_cbranch_vccnz .LBB150_859
; %bb.858:
	global_load_ushort v3, v[0:1], off
	s_andn2_b64 s[0:1], s[0:1], exec
	s_waitcnt vmcnt(0)
	v_and_b32_e32 v3, 0x7fff, v3
	v_cmp_ne_u16_e32 vcc, 0, v3
	s_and_b64 s[26:27], vcc, exec
	s_or_b64 s[0:1], s[0:1], s[26:27]
.LBB150_859:
	s_cbranch_execnz .LBB150_878
.LBB150_860:
	s_sext_i32_i16 s0, s15
	s_cmp_lt_i32 s0, 2
	s_cbranch_scc1 .LBB150_864
; %bb.861:
	s_cmp_lt_i32 s0, 3
	s_cbranch_scc1 .LBB150_865
; %bb.862:
	s_cmp_gt_i32 s0, 3
	s_cbranch_scc0 .LBB150_866
; %bb.863:
	global_load_dwordx2 v[3:4], v[0:1], off
	s_mov_b64 s[26:27], 0
	s_waitcnt vmcnt(0)
	v_cmp_ne_u64_e64 s[0:1], 0, v[3:4]
	s_branch .LBB150_867
.LBB150_864:
                                        ; implicit-def: $sgpr0_sgpr1
	s_branch .LBB150_873
.LBB150_865:
	s_mov_b64 s[26:27], -1
                                        ; implicit-def: $sgpr0_sgpr1
	s_branch .LBB150_870
.LBB150_866:
	s_mov_b64 s[26:27], -1
                                        ; implicit-def: $sgpr0_sgpr1
.LBB150_867:
	s_andn2_b64 vcc, exec, s[26:27]
	s_cbranch_vccnz .LBB150_869
; %bb.868:
	global_load_dword v3, v[0:1], off
	s_andn2_b64 s[0:1], s[0:1], exec
	s_waitcnt vmcnt(0)
	v_cmp_ne_u32_e32 vcc, 0, v3
	s_and_b64 s[26:27], vcc, exec
	s_or_b64 s[0:1], s[0:1], s[26:27]
.LBB150_869:
	s_mov_b64 s[26:27], 0
.LBB150_870:
	s_andn2_b64 vcc, exec, s[26:27]
	s_cbranch_vccnz .LBB150_872
; %bb.871:
	global_load_ushort v3, v[0:1], off
	s_andn2_b64 s[0:1], s[0:1], exec
	s_waitcnt vmcnt(0)
	v_cmp_ne_u16_e32 vcc, 0, v3
	s_and_b64 s[26:27], vcc, exec
	s_or_b64 s[0:1], s[0:1], s[26:27]
.LBB150_872:
	s_cbranch_execnz .LBB150_878
.LBB150_873:
	s_sext_i32_i16 s0, s15
	s_cmp_gt_i32 s0, 0
	s_cbranch_scc0 .LBB150_875
; %bb.874:
	global_load_ubyte v3, v[0:1], off
	s_mov_b64 s[26:27], 0
	s_waitcnt vmcnt(0)
	v_cmp_ne_u16_e64 s[0:1], 0, v3
	s_branch .LBB150_876
.LBB150_875:
	s_mov_b64 s[26:27], -1
                                        ; implicit-def: $sgpr0_sgpr1
.LBB150_876:
	s_andn2_b64 vcc, exec, s[26:27]
	s_cbranch_vccnz .LBB150_878
; %bb.877:
	global_load_ubyte v0, v[0:1], off
	s_andn2_b64 s[0:1], s[0:1], exec
	s_waitcnt vmcnt(0)
	v_cmp_ne_u16_e32 vcc, 0, v0
	s_and_b64 s[26:27], vcc, exec
	s_or_b64 s[0:1], s[0:1], s[26:27]
.LBB150_878:
	s_andn2_b64 s[26:27], s[34:35], exec
	s_and_b64 s[0:1], s[0:1], exec
	s_or_b64 s[34:35], s[26:27], s[0:1]
	s_or_b64 s[30:31], s[30:31], exec
.LBB150_879:
	s_or_b64 exec, exec, s[22:23]
	s_mov_b64 s[36:37], 0
	s_mov_b64 s[28:29], 0
                                        ; implicit-def: $sgpr22_sgpr23
                                        ; implicit-def: $sgpr33
                                        ; implicit-def: $vgpr0_vgpr1
	s_and_saveexec_b64 s[26:27], s[30:31]
	s_cbranch_execz .LBB150_884
; %bb.880:
	s_cmp_lt_i32 s14, 1
	s_mov_b64 s[0:1], 0
	s_cbranch_scc1 .LBB150_887
; %bb.881:
	s_cmp_gt_i32 s14, 1
	s_cbranch_scc0 .LBB150_888
; %bb.882:
	s_cmp_eq_u32 s14, 2
	s_cbranch_scc0 .LBB150_1025
; %bb.883:
	s_xor_b64 s[22:23], s[34:35], -1
	s_or_b64 s[22:23], s[18:19], s[22:23]
	s_branch .LBB150_890
.LBB150_884:
	s_or_b64 exec, exec, s[26:27]
	s_and_saveexec_b64 s[0:1], s[20:21]
	s_cbranch_execnz .LBB150_973
.LBB150_885:
	s_or_b64 exec, exec, s[0:1]
	s_and_saveexec_b64 s[0:1], s[36:37]
	s_xor_b64 s[0:1], exec, s[0:1]
	s_cbranch_execz .LBB150_974
.LBB150_886:
	v_cndmask_b32_e64 v2, 0, 1, s[22:23]
	global_store_byte v[0:1], v2, off
	s_or_b64 exec, exec, s[0:1]
	s_and_saveexec_b64 s[0:1], s[28:29]
	s_xor_b64 s[0:1], exec, s[0:1]
	s_cbranch_execz .LBB150_1012
	s_branch .LBB150_975
.LBB150_887:
                                        ; implicit-def: $sgpr22_sgpr23
	s_cbranch_execnz .LBB150_891
	s_branch .LBB150_892
.LBB150_888:
                                        ; implicit-def: $sgpr22_sgpr23
	s_cbranch_execz .LBB150_890
; %bb.889:
	s_and_b64 s[30:31], s[34:35], s[16:17]
	s_andn2_b64 s[22:23], s[22:23], exec
	s_and_b64 s[30:31], s[30:31], exec
	s_or_b64 s[22:23], s[22:23], s[30:31]
.LBB150_890:
	s_branch .LBB150_892
.LBB150_891:
	s_cmp_lg_u32 s14, 0
	s_mov_b64 s[0:1], -1
	s_cselect_b64 s[28:29], -1, 0
.LBB150_892:
	s_andn2_b64 vcc, exec, s[28:29]
	s_cbranch_vccnz .LBB150_894
; %bb.893:
	s_xor_b64 s[0:1], s[34:35], -1
	s_and_b64 s[18:19], s[18:19], s[0:1]
	s_andn2_b64 s[22:23], s[22:23], exec
	s_and_b64 s[18:19], s[18:19], exec
	s_or_b64 s[22:23], s[22:23], s[18:19]
	s_cbranch_execz .LBB150_895
	s_branch .LBB150_896
.LBB150_894:
	s_andn2_b64 vcc, exec, s[0:1]
	s_cbranch_vccnz .LBB150_896
.LBB150_895:
	s_or_b64 s[0:1], s[34:35], s[16:17]
	s_andn2_b64 s[16:17], s[22:23], exec
	s_and_b64 s[0:1], s[0:1], exec
	s_or_b64 s[22:23], s[16:17], s[0:1]
.LBB150_896:
	v_mul_lo_u32 v0, v2, s12
	v_mov_b32_e32 v1, s9
	s_and_b32 s33, s3, 0xff
	s_cmp_lt_i32 s33, 11
	v_ashrrev_i32_e32 v2, 31, v0
	v_add_co_u32_e32 v0, vcc, s8, v0
	v_addc_co_u32_e32 v1, vcc, v1, v2, vcc
	s_cbranch_scc1 .LBB150_970
; %bb.897:
	s_and_b32 s34, 0xffff, s33
	s_mov_b64 s[18:19], -1
	s_cmp_gt_i32 s34, 25
	s_mov_b64 s[0:1], s[20:21]
	s_cbranch_scc0 .LBB150_930
; %bb.898:
	s_mov_b64 s[16:17], -1
	s_cmp_gt_i32 s34, 28
	s_mov_b64 s[0:1], s[20:21]
	s_cbranch_scc0 .LBB150_914
; %bb.899:
	s_cmp_gt_i32 s34, 43
	s_mov_b64 s[0:1], s[20:21]
	s_cbranch_scc0 .LBB150_910
; %bb.900:
	;; [unrolled: 4-line block ×3, first 2 shown]
	s_cmp_eq_u32 s34, 46
	s_mov_b64 s[0:1], -1
	s_cbranch_scc0 .LBB150_903
; %bb.902:
	v_cndmask_b32_e64 v2, 0, 1.0, s[22:23]
	v_bfe_u32 v3, v2, 16, 1
	s_movk_i32 s0, 0x7fff
	v_add3_u32 v2, v2, v3, s0
	v_lshrrev_b32_e32 v2, 16, v2
	global_store_dword v[0:1], v2, off
	s_mov_b64 s[0:1], 0
.LBB150_903:
	s_mov_b64 s[16:17], 0
.LBB150_904:
	s_and_b64 vcc, exec, s[16:17]
	s_cbranch_vccz .LBB150_909
; %bb.905:
	s_cmp_eq_u32 s34, 44
	s_mov_b64 s[0:1], -1
	s_cbranch_scc0 .LBB150_909
; %bb.906:
	v_cndmask_b32_e64 v3, 0, 1.0, s[22:23]
	v_lshrrev_b32_e32 v2, 23, v3
	s_movk_i32 s0, 0xff
	v_cmp_ne_u32_e32 vcc, s0, v2
	v_mov_b32_e32 v4, 0xff
	s_and_saveexec_b64 s[16:17], vcc
; %bb.907:
	s_mov_b32 s0, 0x3fffff
	v_and_b32_e32 v4, 0x400000, v3
	v_and_or_b32 v3, v3, s0, v2
	v_cmp_ne_u32_e32 vcc, 0, v4
	v_cmp_ne_u32_e64 s[0:1], 0, v3
	s_and_b64 s[0:1], vcc, s[0:1]
	v_cndmask_b32_e64 v3, 0, 1, s[0:1]
	v_add_u32_e32 v4, v2, v3
; %bb.908:
	s_or_b64 exec, exec, s[16:17]
	s_mov_b64 s[0:1], 0
	global_store_byte v[0:1], v4, off
.LBB150_909:
	s_mov_b64 s[16:17], 0
.LBB150_910:
	s_and_b64 vcc, exec, s[16:17]
	s_cbranch_vccz .LBB150_913
; %bb.911:
	s_cmp_eq_u32 s34, 29
	s_mov_b64 s[0:1], -1
	s_cbranch_scc0 .LBB150_913
; %bb.912:
	s_mov_b32 s0, 0
	v_cndmask_b32_e64 v2, 0, 1, s[22:23]
	v_mov_b32_e32 v3, s0
	global_store_dwordx2 v[0:1], v[2:3], off
	s_mov_b64 s[0:1], 0
.LBB150_913:
	s_mov_b64 s[16:17], 0
.LBB150_914:
	s_and_b64 vcc, exec, s[16:17]
	s_cbranch_vccz .LBB150_929
; %bb.915:
	s_cmp_lt_i32 s34, 27
	s_mov_b64 s[16:17], -1
	s_cbranch_scc1 .LBB150_921
; %bb.916:
	s_cmp_gt_i32 s34, 27
	v_cndmask_b32_e64 v2, 0, 1, s[22:23]
	s_cbranch_scc0 .LBB150_918
; %bb.917:
	s_mov_b64 s[16:17], 0
	global_store_dword v[0:1], v2, off
.LBB150_918:
	s_andn2_b64 vcc, exec, s[16:17]
	s_cbranch_vccnz .LBB150_920
; %bb.919:
	global_store_short v[0:1], v2, off
.LBB150_920:
	s_mov_b64 s[16:17], 0
.LBB150_921:
	s_andn2_b64 vcc, exec, s[16:17]
	s_cbranch_vccnz .LBB150_929
; %bb.922:
	v_cndmask_b32_e64 v3, 0, 1.0, s[22:23]
	s_mov_b32 s16, 0x43800000
	v_cmp_gt_u32_e32 vcc, s16, v3
	v_mov_b32_e32 v4, 0x80
	s_and_saveexec_b64 s[16:17], vcc
	s_cbranch_execz .LBB150_928
; %bb.923:
	s_mov_b32 s18, 0x3bffffff
	v_cmp_lt_u32_e32 vcc, s18, v3
	s_mov_b64 s[18:19], 0
                                        ; implicit-def: $vgpr2
	s_and_saveexec_b64 s[28:29], vcc
	s_xor_b64 s[28:29], exec, s[28:29]
	s_cbranch_execz .LBB150_1028
; %bb.924:
	v_bfe_u32 v2, v3, 20, 1
	s_mov_b32 s30, 0x487ffff
	v_add3_u32 v2, v3, v2, s30
	s_mov_b64 s[18:19], exec
	v_lshrrev_b32_e32 v2, 20, v2
                                        ; implicit-def: $vgpr3
	s_andn2_saveexec_b64 s[28:29], s[28:29]
	s_cbranch_execnz .LBB150_1029
.LBB150_925:
	s_or_b64 exec, exec, s[28:29]
	v_mov_b32_e32 v4, 0
	s_and_saveexec_b64 s[28:29], s[18:19]
.LBB150_926:
	v_mov_b32_e32 v4, v2
.LBB150_927:
	s_or_b64 exec, exec, s[28:29]
.LBB150_928:
	s_or_b64 exec, exec, s[16:17]
	global_store_byte v[0:1], v4, off
.LBB150_929:
	s_mov_b64 s[18:19], 0
.LBB150_930:
	s_mov_b64 s[16:17], 0
	s_and_b64 vcc, exec, s[18:19]
	s_cbranch_vccz .LBB150_971
; %bb.931:
	s_cmp_gt_i32 s34, 22
	s_mov_b64 s[18:19], -1
	s_cbranch_scc0 .LBB150_963
; %bb.932:
	s_cmp_lt_i32 s34, 24
	s_cbranch_scc1 .LBB150_952
; %bb.933:
	s_cmp_gt_i32 s34, 24
	s_cbranch_scc0 .LBB150_941
; %bb.934:
	v_cndmask_b32_e64 v3, 0, 1.0, s[22:23]
	s_mov_b32 s18, 0x47800000
	v_cmp_gt_u32_e32 vcc, s18, v3
	v_mov_b32_e32 v4, 0x80
	s_and_saveexec_b64 s[18:19], vcc
	s_cbranch_execz .LBB150_940
; %bb.935:
	s_mov_b32 s28, 0x37ffffff
	v_cmp_lt_u32_e32 vcc, s28, v3
	s_mov_b64 s[28:29], 0
                                        ; implicit-def: $vgpr2
	s_and_saveexec_b64 s[30:31], vcc
	s_xor_b64 s[30:31], exec, s[30:31]
	s_cbranch_execz .LBB150_1150
; %bb.936:
	v_bfe_u32 v2, v3, 21, 1
	s_mov_b32 s35, 0x88fffff
	v_add3_u32 v2, v3, v2, s35
	s_mov_b64 s[28:29], exec
	v_lshrrev_b32_e32 v2, 21, v2
                                        ; implicit-def: $vgpr3
	s_andn2_saveexec_b64 s[30:31], s[30:31]
	s_cbranch_execnz .LBB150_1151
.LBB150_937:
	s_or_b64 exec, exec, s[30:31]
	v_mov_b32_e32 v4, 0
	s_and_saveexec_b64 s[30:31], s[28:29]
.LBB150_938:
	v_mov_b32_e32 v4, v2
.LBB150_939:
	s_or_b64 exec, exec, s[30:31]
.LBB150_940:
	s_or_b64 exec, exec, s[18:19]
	s_mov_b64 s[18:19], 0
	global_store_byte v[0:1], v4, off
.LBB150_941:
	s_and_b64 vcc, exec, s[18:19]
	s_cbranch_vccz .LBB150_951
; %bb.942:
	v_cndmask_b32_e64 v2, 0, 1.0, s[22:23]
	s_mov_b32 s18, 0x43f00000
	v_cmp_gt_u32_e32 vcc, s18, v2
                                        ; implicit-def: $vgpr3
	s_and_saveexec_b64 s[18:19], vcc
	s_xor_b64 s[18:19], exec, s[18:19]
	s_cbranch_execz .LBB150_948
; %bb.943:
	s_mov_b32 s28, 0x3c7fffff
	v_cmp_lt_u32_e32 vcc, s28, v2
                                        ; implicit-def: $vgpr3
	s_and_saveexec_b64 s[28:29], vcc
	s_xor_b64 s[28:29], exec, s[28:29]
; %bb.944:
	v_bfe_u32 v3, v2, 20, 1
	s_mov_b32 s30, 0x407ffff
	v_add3_u32 v2, v2, v3, s30
	v_lshrrev_b32_e32 v3, 20, v2
	v_and_b32_e32 v2, 0xff00000, v2
	s_mov_b32 s30, 0x7f00000
	v_mov_b32_e32 v4, 0x7e
	v_cmp_ne_u32_e32 vcc, s30, v2
	v_cndmask_b32_e32 v3, v4, v3, vcc
                                        ; implicit-def: $vgpr2
; %bb.945:
	s_andn2_saveexec_b64 s[28:29], s[28:29]
; %bb.946:
	v_add_f32_e32 v3, 0x46800000, v2
; %bb.947:
	s_or_b64 exec, exec, s[28:29]
                                        ; implicit-def: $vgpr2
.LBB150_948:
	s_andn2_saveexec_b64 s[18:19], s[18:19]
; %bb.949:
	s_mov_b32 s28, 0x7f800000
	v_mov_b32_e32 v3, 0x7e
	v_mov_b32_e32 v4, 0x7f
	v_cmp_lt_u32_e32 vcc, s28, v2
	v_cndmask_b32_e32 v3, v3, v4, vcc
; %bb.950:
	s_or_b64 exec, exec, s[18:19]
	global_store_byte v[0:1], v3, off
.LBB150_951:
	s_mov_b64 s[18:19], 0
.LBB150_952:
	s_andn2_b64 vcc, exec, s[18:19]
	s_cbranch_vccnz .LBB150_962
; %bb.953:
	v_cndmask_b32_e64 v2, 0, 1.0, s[22:23]
	s_mov_b32 s18, 0x47800000
	v_cmp_gt_u32_e32 vcc, s18, v2
                                        ; implicit-def: $vgpr3
	s_and_saveexec_b64 s[18:19], vcc
	s_xor_b64 s[18:19], exec, s[18:19]
	s_cbranch_execz .LBB150_959
; %bb.954:
	s_mov_b32 s28, 0x387fffff
	v_cmp_lt_u32_e32 vcc, s28, v2
                                        ; implicit-def: $vgpr3
	s_and_saveexec_b64 s[28:29], vcc
	s_xor_b64 s[28:29], exec, s[28:29]
; %bb.955:
	v_bfe_u32 v3, v2, 21, 1
	s_mov_b32 s30, 0x80fffff
	v_add3_u32 v2, v2, v3, s30
	v_lshrrev_b32_e32 v3, 21, v2
                                        ; implicit-def: $vgpr2
; %bb.956:
	s_andn2_saveexec_b64 s[28:29], s[28:29]
; %bb.957:
	v_add_f32_e32 v3, 0x43000000, v2
; %bb.958:
	s_or_b64 exec, exec, s[28:29]
                                        ; implicit-def: $vgpr2
.LBB150_959:
	s_andn2_saveexec_b64 s[18:19], s[18:19]
; %bb.960:
	s_mov_b32 s28, 0x7f800000
	v_mov_b32_e32 v3, 0x7c
	v_mov_b32_e32 v4, 0x7f
	v_cmp_lt_u32_e32 vcc, s28, v2
	v_cndmask_b32_e32 v3, v3, v4, vcc
; %bb.961:
	s_or_b64 exec, exec, s[18:19]
	global_store_byte v[0:1], v3, off
.LBB150_962:
	s_mov_b64 s[18:19], 0
.LBB150_963:
	s_andn2_b64 vcc, exec, s[18:19]
	s_mov_b64 s[18:19], 0
	s_cbranch_vccnz .LBB150_972
; %bb.964:
	s_cmp_gt_i32 s34, 14
	s_mov_b64 s[28:29], -1
	s_cbranch_scc0 .LBB150_968
; %bb.965:
	s_cmp_eq_u32 s34, 15
	s_mov_b64 s[0:1], -1
	s_cbranch_scc0 .LBB150_967
; %bb.966:
	v_cndmask_b32_e64 v2, 0, 1.0, s[22:23]
	v_bfe_u32 v3, v2, 16, 1
	s_movk_i32 s0, 0x7fff
	v_add3_u32 v2, v2, v3, s0
	global_store_short_d16_hi v[0:1], v2, off
	s_mov_b64 s[0:1], 0
.LBB150_967:
	s_mov_b64 s[28:29], 0
.LBB150_968:
	s_and_b64 vcc, exec, s[28:29]
	s_cbranch_vccz .LBB150_972
; %bb.969:
	s_cmp_lg_u32 s34, 11
	s_cselect_b64 s[28:29], -1, 0
	s_andn2_b64 s[0:1], s[0:1], exec
	s_and_b64 s[28:29], s[28:29], exec
	s_mov_b64 s[18:19], -1
	s_or_b64 s[0:1], s[0:1], s[28:29]
	s_branch .LBB150_972
.LBB150_970:
	s_mov_b64 s[18:19], 0
	s_mov_b64 s[16:17], -1
	s_mov_b64 s[0:1], s[20:21]
	s_branch .LBB150_972
.LBB150_971:
	s_mov_b64 s[18:19], 0
.LBB150_972:
	s_and_b64 s[28:29], s[16:17], exec
	s_andn2_b64 s[16:17], s[20:21], exec
	s_and_b64 s[0:1], s[0:1], exec
	s_and_b64 s[36:37], s[18:19], exec
	s_or_b64 s[20:21], s[16:17], s[0:1]
	s_or_b64 exec, exec, s[26:27]
	s_and_saveexec_b64 s[0:1], s[20:21]
	s_cbranch_execz .LBB150_885
.LBB150_973:
	s_or_b64 s[24:25], s[24:25], exec
	s_andn2_b64 s[36:37], s[36:37], exec
	s_trap 2
	s_or_b64 exec, exec, s[0:1]
	s_and_saveexec_b64 s[0:1], s[36:37]
	s_xor_b64 s[0:1], exec, s[0:1]
	s_cbranch_execnz .LBB150_886
.LBB150_974:
	s_or_b64 exec, exec, s[0:1]
	s_and_saveexec_b64 s[0:1], s[28:29]
	s_xor_b64 s[0:1], exec, s[0:1]
	s_cbranch_execz .LBB150_1012
.LBB150_975:
	s_sext_i32_i16 s18, s33
	s_cmp_lt_i32 s18, 5
	s_mov_b64 s[16:17], -1
	s_cbranch_scc1 .LBB150_996
; %bb.976:
	s_cmp_lt_i32 s18, 8
	s_cbranch_scc1 .LBB150_986
; %bb.977:
	s_cmp_lt_i32 s18, 9
	s_cbranch_scc1 .LBB150_983
; %bb.978:
	s_cmp_gt_i32 s18, 9
	s_cbranch_scc0 .LBB150_980
; %bb.979:
	v_cndmask_b32_e64 v2, 0, 1, s[22:23]
	v_cvt_f64_u32_e32 v[2:3], v2
	v_mov_b32_e32 v4, 0
	v_mov_b32_e32 v5, v4
	s_mov_b64 s[16:17], 0
	global_store_dwordx4 v[0:1], v[2:5], off
.LBB150_980:
	s_andn2_b64 vcc, exec, s[16:17]
	s_cbranch_vccnz .LBB150_982
; %bb.981:
	v_cndmask_b32_e64 v2, 0, 1.0, s[22:23]
	v_mov_b32_e32 v3, 0
	global_store_dwordx2 v[0:1], v[2:3], off
.LBB150_982:
	s_mov_b64 s[16:17], 0
.LBB150_983:
	s_andn2_b64 vcc, exec, s[16:17]
	s_cbranch_vccnz .LBB150_985
; %bb.984:
	v_cndmask_b32_e64 v2, 0, 1.0, s[22:23]
	v_cvt_f16_f32_e32 v2, v2
	global_store_dword v[0:1], v2, off
.LBB150_985:
	s_mov_b64 s[16:17], 0
.LBB150_986:
	s_andn2_b64 vcc, exec, s[16:17]
	s_cbranch_vccnz .LBB150_995
; %bb.987:
	s_sext_i32_i16 s18, s33
	s_cmp_lt_i32 s18, 6
	s_mov_b64 s[16:17], -1
	s_cbranch_scc1 .LBB150_993
; %bb.988:
	s_cmp_gt_i32 s18, 6
	s_cbranch_scc0 .LBB150_990
; %bb.989:
	v_cndmask_b32_e64 v2, 0, 1, s[22:23]
	v_cvt_f64_u32_e32 v[2:3], v2
	s_mov_b64 s[16:17], 0
	global_store_dwordx2 v[0:1], v[2:3], off
.LBB150_990:
	s_andn2_b64 vcc, exec, s[16:17]
	s_cbranch_vccnz .LBB150_992
; %bb.991:
	v_cndmask_b32_e64 v2, 0, 1.0, s[22:23]
	global_store_dword v[0:1], v2, off
.LBB150_992:
	s_mov_b64 s[16:17], 0
.LBB150_993:
	s_andn2_b64 vcc, exec, s[16:17]
	s_cbranch_vccnz .LBB150_995
; %bb.994:
	v_cndmask_b32_e64 v2, 0, 1.0, s[22:23]
	v_cvt_f16_f32_e32 v2, v2
	global_store_short v[0:1], v2, off
.LBB150_995:
	s_mov_b64 s[16:17], 0
.LBB150_996:
	s_andn2_b64 vcc, exec, s[16:17]
	s_cbranch_vccnz .LBB150_1012
; %bb.997:
	s_sext_i32_i16 s18, s33
	s_cmp_lt_i32 s18, 2
	s_mov_b64 s[16:17], -1
	s_cbranch_scc1 .LBB150_1007
; %bb.998:
	s_cmp_lt_i32 s18, 3
	s_cbranch_scc1 .LBB150_1004
; %bb.999:
	s_cmp_gt_i32 s18, 3
	s_cbranch_scc0 .LBB150_1001
; %bb.1000:
	s_mov_b32 s16, 0
	v_cndmask_b32_e64 v2, 0, 1, s[22:23]
	v_mov_b32_e32 v3, s16
	s_mov_b64 s[16:17], 0
	global_store_dwordx2 v[0:1], v[2:3], off
.LBB150_1001:
	s_andn2_b64 vcc, exec, s[16:17]
	s_cbranch_vccnz .LBB150_1003
; %bb.1002:
	v_cndmask_b32_e64 v2, 0, 1, s[22:23]
	global_store_dword v[0:1], v2, off
.LBB150_1003:
	s_mov_b64 s[16:17], 0
.LBB150_1004:
	s_andn2_b64 vcc, exec, s[16:17]
	s_cbranch_vccnz .LBB150_1006
; %bb.1005:
	v_cndmask_b32_e64 v2, 0, 1, s[22:23]
	global_store_short v[0:1], v2, off
.LBB150_1006:
	s_mov_b64 s[16:17], 0
.LBB150_1007:
	s_andn2_b64 vcc, exec, s[16:17]
	s_cbranch_vccnz .LBB150_1012
; %bb.1008:
	s_sext_i32_i16 s18, s33
	s_mov_b64 s[16:17], -1
	s_cmp_gt_i32 s18, 0
	v_cndmask_b32_e64 v2, 0, 1, s[22:23]
	s_cbranch_scc0 .LBB150_1010
; %bb.1009:
	s_mov_b64 s[16:17], 0
	global_store_byte v[0:1], v2, off
.LBB150_1010:
	s_andn2_b64 vcc, exec, s[16:17]
	s_cbranch_vccnz .LBB150_1012
; %bb.1011:
	global_store_byte v[0:1], v2, off
.LBB150_1012:
	s_or_b64 exec, exec, s[0:1]
	s_and_b64 s[16:17], s[24:25], exec
                                        ; implicit-def: $vgpr2
.LBB150_1013:
	s_or_saveexec_b64 s[6:7], s[6:7]
	s_mov_b64 s[0:1], 0
                                        ; implicit-def: $sgpr20_sgpr21
                                        ; implicit-def: $sgpr28
                                        ; implicit-def: $vgpr0_vgpr1
	s_xor_b64 exec, exec, s[6:7]
	s_cbranch_execz .LBB150_1509
; %bb.1014:
	v_mul_lo_u32 v3, s13, v2
	v_mov_b32_e32 v1, s11
	s_and_b32 s15, 0xffff, s15
	s_cmp_lt_i32 s15, 11
	v_ashrrev_i32_e32 v4, 31, v3
	v_add_co_u32_e32 v0, vcc, s10, v3
	v_addc_co_u32_e32 v1, vcc, v1, v4, vcc
	s_cbranch_scc1 .LBB150_1021
; %bb.1015:
	s_cmp_gt_i32 s15, 25
	s_mov_b64 s[22:23], 0
	s_cbranch_scc0 .LBB150_1023
; %bb.1016:
	s_cmp_gt_i32 s15, 28
	s_cbranch_scc0 .LBB150_1024
; %bb.1017:
	s_cmp_gt_i32 s15, 43
	;; [unrolled: 3-line block ×3, first 2 shown]
	s_cbranch_scc0 .LBB150_1027
; %bb.1019:
	s_cmp_eq_u32 s15, 46
	s_mov_b64 s[18:19], 0
	s_cbranch_scc0 .LBB150_1030
; %bb.1020:
	global_load_dword v4, v[0:1], off
	s_mov_b64 s[20:21], -1
	s_waitcnt vmcnt(0)
	v_and_b32_e32 v4, 0x7fff7fff, v4
	v_cmp_ne_u32_e64 s[0:1], 0, v4
	s_branch .LBB150_1031
.LBB150_1021:
	s_mov_b64 s[20:21], 0
                                        ; implicit-def: $sgpr0_sgpr1
	s_mov_b64 s[18:19], s[16:17]
	s_cbranch_execnz .LBB150_1076
.LBB150_1022:
	s_andn2_b64 vcc, exec, s[20:21]
	s_cbranch_vccz .LBB150_1121
	s_branch .LBB150_1506
.LBB150_1023:
	s_mov_b64 s[20:21], 0
                                        ; implicit-def: $sgpr0_sgpr1
	s_cbranch_execnz .LBB150_1051
	s_branch .LBB150_1072
.LBB150_1024:
	s_mov_b64 s[18:19], -1
	s_mov_b64 s[20:21], 0
                                        ; implicit-def: $sgpr0_sgpr1
	s_branch .LBB150_1038
.LBB150_1025:
	s_mov_b64 s[28:29], -1
                                        ; implicit-def: $sgpr22_sgpr23
	s_branch .LBB150_890
.LBB150_1026:
	s_mov_b64 s[20:21], 0
                                        ; implicit-def: $sgpr0_sgpr1
	s_cbranch_execnz .LBB150_1034
	s_branch .LBB150_1037
.LBB150_1027:
	s_mov_b64 s[18:19], -1
	s_mov_b64 s[20:21], 0
                                        ; implicit-def: $sgpr0_sgpr1
	s_branch .LBB150_1031
.LBB150_1028:
	s_andn2_saveexec_b64 s[28:29], s[28:29]
	s_cbranch_execz .LBB150_925
.LBB150_1029:
	v_add_f32_e32 v2, 0x46000000, v3
	v_and_b32_e32 v2, 0xff, v2
	v_cmp_ne_u32_e32 vcc, 0, v2
	s_andn2_b64 s[18:19], s[18:19], exec
	s_and_b64 s[30:31], vcc, exec
	s_or_b64 s[18:19], s[18:19], s[30:31]
	s_or_b64 exec, exec, s[28:29]
	v_mov_b32_e32 v4, 0
	s_and_saveexec_b64 s[28:29], s[18:19]
	s_cbranch_execnz .LBB150_926
	s_branch .LBB150_927
.LBB150_1030:
	s_mov_b64 s[4:5], -1
                                        ; implicit-def: $sgpr0_sgpr1
	s_mov_b64 s[20:21], 0
.LBB150_1031:
	s_and_b64 vcc, exec, s[18:19]
	s_cbranch_vccz .LBB150_1033
; %bb.1032:
	s_cmp_lg_u32 s15, 44
	s_mov_b64 s[20:21], -1
	s_cselect_b64 s[4:5], -1, 0
	s_or_b64 s[0:1], s[0:1], exec
.LBB150_1033:
	s_branch .LBB150_1037
.LBB150_1034:
	s_cmp_eq_u32 s15, 29
	s_cbranch_scc0 .LBB150_1036
; %bb.1035:
	global_load_dwordx2 v[4:5], v[0:1], off
	s_mov_b64 s[4:5], 0
	s_mov_b64 s[20:21], -1
	s_mov_b64 s[18:19], 0
	s_waitcnt vmcnt(0)
	v_cmp_ne_u64_e64 s[0:1], 0, v[4:5]
	s_branch .LBB150_1038
.LBB150_1036:
	s_mov_b64 s[4:5], -1
                                        ; implicit-def: $sgpr0_sgpr1
.LBB150_1037:
	s_mov_b64 s[18:19], 0
.LBB150_1038:
	s_and_b64 vcc, exec, s[18:19]
	s_cbranch_vccz .LBB150_1050
; %bb.1039:
	s_cmp_lt_i32 s15, 27
	s_cbranch_scc1 .LBB150_1042
; %bb.1040:
	s_cmp_gt_i32 s15, 27
	s_cbranch_scc0 .LBB150_1043
; %bb.1041:
	global_load_dword v4, v[0:1], off
	s_mov_b64 s[18:19], 0
	s_waitcnt vmcnt(0)
	v_cmp_ne_u32_e64 s[0:1], 0, v4
	s_branch .LBB150_1044
.LBB150_1042:
	s_mov_b64 s[18:19], -1
                                        ; implicit-def: $sgpr0_sgpr1
	s_branch .LBB150_1047
.LBB150_1043:
	s_mov_b64 s[18:19], -1
                                        ; implicit-def: $sgpr0_sgpr1
.LBB150_1044:
	s_andn2_b64 vcc, exec, s[18:19]
	s_cbranch_vccnz .LBB150_1046
; %bb.1045:
	global_load_ushort v4, v[0:1], off
	s_andn2_b64 s[0:1], s[0:1], exec
	s_waitcnt vmcnt(0)
	v_cmp_ne_u16_e32 vcc, 0, v4
	s_and_b64 s[18:19], vcc, exec
	s_or_b64 s[0:1], s[0:1], s[18:19]
.LBB150_1046:
	s_mov_b64 s[18:19], 0
.LBB150_1047:
	s_andn2_b64 vcc, exec, s[18:19]
	s_cbranch_vccnz .LBB150_1049
; %bb.1048:
	global_load_ubyte v4, v[0:1], off
	s_andn2_b64 s[0:1], s[0:1], exec
	s_waitcnt vmcnt(0)
	v_cmp_ne_u16_e32 vcc, 0, v4
	s_and_b64 s[18:19], vcc, exec
	s_or_b64 s[0:1], s[0:1], s[18:19]
.LBB150_1049:
	s_mov_b64 s[20:21], -1
.LBB150_1050:
	s_branch .LBB150_1072
.LBB150_1051:
	s_cmp_gt_i32 s15, 22
	s_cbranch_scc0 .LBB150_1055
; %bb.1052:
	s_cmp_lt_i32 s15, 24
	s_cbranch_scc1 .LBB150_1056
; %bb.1053:
	s_cmp_gt_i32 s15, 24
	s_cbranch_scc0 .LBB150_1057
; %bb.1054:
	global_load_ubyte v4, v[0:1], off
	s_mov_b64 s[18:19], 0
	s_waitcnt vmcnt(0)
	v_cmp_ne_u16_e64 s[0:1], 0, v4
	s_branch .LBB150_1058
.LBB150_1055:
                                        ; implicit-def: $sgpr0_sgpr1
	s_branch .LBB150_1064
.LBB150_1056:
	s_mov_b64 s[18:19], -1
                                        ; implicit-def: $sgpr0_sgpr1
	s_branch .LBB150_1061
.LBB150_1057:
	s_mov_b64 s[18:19], -1
                                        ; implicit-def: $sgpr0_sgpr1
.LBB150_1058:
	s_andn2_b64 vcc, exec, s[18:19]
	s_cbranch_vccnz .LBB150_1060
; %bb.1059:
	global_load_ubyte v4, v[0:1], off
	s_andn2_b64 s[0:1], s[0:1], exec
	s_waitcnt vmcnt(0)
	v_and_b32_e32 v4, 0x7f, v4
	v_cmp_ne_u16_e32 vcc, 0, v4
	s_and_b64 s[18:19], vcc, exec
	s_or_b64 s[0:1], s[0:1], s[18:19]
.LBB150_1060:
	s_mov_b64 s[18:19], 0
.LBB150_1061:
	s_andn2_b64 vcc, exec, s[18:19]
	s_cbranch_vccnz .LBB150_1063
; %bb.1062:
	global_load_ubyte v4, v[0:1], off
	s_movk_i32 s18, 0x7f00
	s_brev_b32 s19, 16
	s_andn2_b64 s[0:1], s[0:1], exec
	s_waitcnt vmcnt(0)
	v_lshlrev_b32_e32 v5, 8, v4
	v_lshlrev_b32_e32 v4, 25, v4
	v_lshrrev_b32_e32 v6, 4, v4
	v_and_or_b32 v5, v5, s18, 0.5
	v_or_b32_e32 v6, 0x70000000, v6
	v_add_f32_e32 v5, -0.5, v5
	v_mul_f32_e32 v6, 0x7800000, v6
	v_cmp_gt_u32_e32 vcc, s19, v4
	v_cndmask_b32_e32 v4, v6, v5, vcc
	v_cmp_neq_f32_e32 vcc, 0, v4
	s_and_b64 s[18:19], vcc, exec
	s_or_b64 s[0:1], s[0:1], s[18:19]
.LBB150_1063:
	s_mov_b64 s[20:21], -1
	s_cbranch_execnz .LBB150_1072
.LBB150_1064:
	s_cmp_gt_i32 s15, 14
	s_cbranch_scc0 .LBB150_1067
; %bb.1065:
	s_cmp_eq_u32 s15, 15
	s_cbranch_scc0 .LBB150_1068
; %bb.1066:
	global_load_ushort v4, v[0:1], off
	s_mov_b64 s[4:5], 0
	s_mov_b64 s[20:21], -1
	s_waitcnt vmcnt(0)
	v_and_b32_e32 v4, 0x7fff, v4
	v_cmp_ne_u16_e64 s[0:1], 0, v4
	s_branch .LBB150_1069
.LBB150_1067:
	s_mov_b64 s[18:19], -1
                                        ; implicit-def: $sgpr0_sgpr1
	s_branch .LBB150_1070
.LBB150_1068:
	s_mov_b64 s[4:5], -1
                                        ; implicit-def: $sgpr0_sgpr1
.LBB150_1069:
	s_mov_b64 s[18:19], 0
.LBB150_1070:
	s_and_b64 vcc, exec, s[18:19]
	s_cbranch_vccz .LBB150_1072
; %bb.1071:
	s_cmp_lg_u32 s15, 11
	s_mov_b64 s[22:23], -1
	s_cselect_b64 s[4:5], -1, 0
.LBB150_1072:
	s_and_b64 vcc, exec, s[4:5]
	s_mov_b64 s[18:19], s[16:17]
	s_cbranch_vccnz .LBB150_1148
; %bb.1073:
	s_andn2_b64 vcc, exec, s[22:23]
	s_cbranch_vccnz .LBB150_1075
.LBB150_1074:
	global_load_ubyte v4, v[0:1], off
	s_andn2_b64 s[0:1], s[0:1], exec
	s_mov_b64 s[20:21], -1
	s_waitcnt vmcnt(0)
	v_cmp_ne_u16_e32 vcc, 0, v4
	s_and_b64 s[4:5], vcc, exec
	s_or_b64 s[0:1], s[0:1], s[4:5]
.LBB150_1075:
	s_branch .LBB150_1022
.LBB150_1076:
	s_cmp_lt_i32 s15, 5
	s_cbranch_scc1 .LBB150_1081
; %bb.1077:
	s_cmp_lt_i32 s15, 8
	s_cbranch_scc1 .LBB150_1082
; %bb.1078:
	;; [unrolled: 3-line block ×3, first 2 shown]
	s_cmp_gt_i32 s15, 9
	s_cbranch_scc0 .LBB150_1084
; %bb.1080:
	global_load_dwordx4 v[4:7], v[0:1], off
	s_mov_b64 s[4:5], 0
	s_waitcnt vmcnt(0)
	v_cmp_neq_f64_e32 vcc, 0, v[4:5]
	v_cmp_neq_f64_e64 s[0:1], 0, v[6:7]
	s_or_b64 s[0:1], vcc, s[0:1]
	s_branch .LBB150_1085
.LBB150_1081:
                                        ; implicit-def: $sgpr0_sgpr1
	s_branch .LBB150_1102
.LBB150_1082:
                                        ; implicit-def: $sgpr0_sgpr1
	s_branch .LBB150_1091
.LBB150_1083:
	s_mov_b64 s[4:5], -1
                                        ; implicit-def: $sgpr0_sgpr1
	s_branch .LBB150_1088
.LBB150_1084:
	s_mov_b64 s[4:5], -1
                                        ; implicit-def: $sgpr0_sgpr1
.LBB150_1085:
	s_andn2_b64 vcc, exec, s[4:5]
	s_cbranch_vccnz .LBB150_1087
; %bb.1086:
	global_load_dwordx2 v[4:5], v[0:1], off
	s_andn2_b64 s[0:1], s[0:1], exec
	s_waitcnt vmcnt(0)
	v_or_b32_e32 v4, v4, v5
	v_and_b32_e32 v4, 0x7fffffff, v4
	v_cmp_ne_u32_e32 vcc, 0, v4
	s_and_b64 s[4:5], vcc, exec
	s_or_b64 s[0:1], s[0:1], s[4:5]
.LBB150_1087:
	s_mov_b64 s[4:5], 0
.LBB150_1088:
	s_andn2_b64 vcc, exec, s[4:5]
	s_cbranch_vccnz .LBB150_1090
; %bb.1089:
	global_load_dword v4, v[0:1], off
	s_andn2_b64 s[0:1], s[0:1], exec
	s_waitcnt vmcnt(0)
	v_and_b32_e32 v4, 0x7fff7fff, v4
	v_cmp_ne_u32_e32 vcc, 0, v4
	s_and_b64 s[4:5], vcc, exec
	s_or_b64 s[0:1], s[0:1], s[4:5]
.LBB150_1090:
	s_cbranch_execnz .LBB150_1101
.LBB150_1091:
	s_cmp_lt_i32 s15, 6
	s_cbranch_scc1 .LBB150_1094
; %bb.1092:
	s_cmp_gt_i32 s15, 6
	s_cbranch_scc0 .LBB150_1095
; %bb.1093:
	global_load_dwordx2 v[4:5], v[0:1], off
	s_mov_b64 s[4:5], 0
	s_waitcnt vmcnt(0)
	v_cmp_neq_f64_e64 s[0:1], 0, v[4:5]
	s_branch .LBB150_1096
.LBB150_1094:
	s_mov_b64 s[4:5], -1
                                        ; implicit-def: $sgpr0_sgpr1
	s_branch .LBB150_1099
.LBB150_1095:
	s_mov_b64 s[4:5], -1
                                        ; implicit-def: $sgpr0_sgpr1
.LBB150_1096:
	s_andn2_b64 vcc, exec, s[4:5]
	s_cbranch_vccnz .LBB150_1098
; %bb.1097:
	global_load_dword v4, v[0:1], off
	s_andn2_b64 s[0:1], s[0:1], exec
	s_waitcnt vmcnt(0)
	v_cmp_neq_f32_e32 vcc, 0, v4
	s_and_b64 s[4:5], vcc, exec
	s_or_b64 s[0:1], s[0:1], s[4:5]
.LBB150_1098:
	s_mov_b64 s[4:5], 0
.LBB150_1099:
	s_andn2_b64 vcc, exec, s[4:5]
	s_cbranch_vccnz .LBB150_1101
; %bb.1100:
	global_load_ushort v4, v[0:1], off
	s_andn2_b64 s[0:1], s[0:1], exec
	s_waitcnt vmcnt(0)
	v_and_b32_e32 v4, 0x7fff, v4
	v_cmp_ne_u16_e32 vcc, 0, v4
	s_and_b64 s[4:5], vcc, exec
	s_or_b64 s[0:1], s[0:1], s[4:5]
.LBB150_1101:
	s_cbranch_execnz .LBB150_1120
.LBB150_1102:
	s_cmp_lt_i32 s15, 2
	s_cbranch_scc1 .LBB150_1106
; %bb.1103:
	s_cmp_lt_i32 s15, 3
	s_cbranch_scc1 .LBB150_1107
; %bb.1104:
	s_cmp_gt_i32 s15, 3
	s_cbranch_scc0 .LBB150_1108
; %bb.1105:
	global_load_dwordx2 v[4:5], v[0:1], off
	s_mov_b64 s[4:5], 0
	s_waitcnt vmcnt(0)
	v_cmp_ne_u64_e64 s[0:1], 0, v[4:5]
	s_branch .LBB150_1109
.LBB150_1106:
                                        ; implicit-def: $sgpr0_sgpr1
	s_branch .LBB150_1115
.LBB150_1107:
	s_mov_b64 s[4:5], -1
                                        ; implicit-def: $sgpr0_sgpr1
	s_branch .LBB150_1112
.LBB150_1108:
	s_mov_b64 s[4:5], -1
                                        ; implicit-def: $sgpr0_sgpr1
.LBB150_1109:
	s_andn2_b64 vcc, exec, s[4:5]
	s_cbranch_vccnz .LBB150_1111
; %bb.1110:
	global_load_dword v4, v[0:1], off
	s_andn2_b64 s[0:1], s[0:1], exec
	s_waitcnt vmcnt(0)
	v_cmp_ne_u32_e32 vcc, 0, v4
	s_and_b64 s[4:5], vcc, exec
	s_or_b64 s[0:1], s[0:1], s[4:5]
.LBB150_1111:
	s_mov_b64 s[4:5], 0
.LBB150_1112:
	s_andn2_b64 vcc, exec, s[4:5]
	s_cbranch_vccnz .LBB150_1114
; %bb.1113:
	global_load_ushort v4, v[0:1], off
	s_andn2_b64 s[0:1], s[0:1], exec
	s_waitcnt vmcnt(0)
	v_cmp_ne_u16_e32 vcc, 0, v4
	s_and_b64 s[4:5], vcc, exec
	s_or_b64 s[0:1], s[0:1], s[4:5]
.LBB150_1114:
	s_cbranch_execnz .LBB150_1120
.LBB150_1115:
	s_cmp_gt_i32 s15, 0
	s_cbranch_scc0 .LBB150_1117
; %bb.1116:
	global_load_ubyte v4, v[0:1], off
	s_mov_b64 s[4:5], 0
	s_waitcnt vmcnt(0)
	v_cmp_ne_u16_e64 s[0:1], 0, v4
	s_branch .LBB150_1118
.LBB150_1117:
	s_mov_b64 s[4:5], -1
                                        ; implicit-def: $sgpr0_sgpr1
.LBB150_1118:
	s_andn2_b64 vcc, exec, s[4:5]
	s_cbranch_vccnz .LBB150_1120
; %bb.1119:
	global_load_ubyte v0, v[0:1], off
	s_andn2_b64 s[0:1], s[0:1], exec
	s_waitcnt vmcnt(0)
	v_cmp_ne_u16_e32 vcc, 0, v0
	s_and_b64 s[4:5], vcc, exec
	s_or_b64 s[0:1], s[0:1], s[4:5]
.LBB150_1120:
.LBB150_1121:
	s_bitcmp1_b32 s2, 0
	s_cselect_b64 s[26:27], -1, 0
	s_cmp_lt_i32 s14, 1
	s_mov_b64 s[4:5], 0
	s_cbranch_scc1 .LBB150_1125
; %bb.1122:
	s_cmp_gt_i32 s14, 1
	s_cbranch_scc0 .LBB150_1126
; %bb.1123:
	s_cmp_eq_u32 s14, 2
	s_cbranch_scc0 .LBB150_1127
; %bb.1124:
	s_xor_b64 s[20:21], s[0:1], -1
	s_or_b64 s[24:25], s[26:27], s[20:21]
	s_mov_b64 s[20:21], 0
	s_branch .LBB150_1128
.LBB150_1125:
                                        ; implicit-def: $sgpr24_sgpr25
	s_mov_b64 s[20:21], 0
	s_cbranch_execnz .LBB150_1131
	s_branch .LBB150_1132
.LBB150_1126:
	s_mov_b64 s[20:21], 0
                                        ; implicit-def: $sgpr24_sgpr25
	s_cbranch_execnz .LBB150_1129
	s_branch .LBB150_1130
.LBB150_1127:
	s_mov_b64 s[20:21], -1
                                        ; implicit-def: $sgpr24_sgpr25
.LBB150_1128:
	s_branch .LBB150_1130
.LBB150_1129:
	s_xor_b64 s[22:23], s[26:27], -1
	s_and_b64 s[22:23], s[0:1], s[22:23]
	s_andn2_b64 s[24:25], s[24:25], exec
	s_and_b64 s[22:23], s[22:23], exec
	s_or_b64 s[24:25], s[24:25], s[22:23]
.LBB150_1130:
	s_branch .LBB150_1132
.LBB150_1131:
	s_cmp_lg_u32 s14, 0
	s_mov_b64 s[4:5], -1
	s_cselect_b64 s[20:21], -1, 0
.LBB150_1132:
	s_andn2_b64 vcc, exec, s[20:21]
	s_cbranch_vccnz .LBB150_1134
; %bb.1133:
	s_xor_b64 s[4:5], s[0:1], -1
	s_and_b64 s[20:21], s[26:27], s[4:5]
	s_andn2_b64 s[22:23], s[24:25], exec
	s_and_b64 s[20:21], s[20:21], exec
	s_or_b64 s[24:25], s[22:23], s[20:21]
	s_cbranch_execz .LBB150_1135
	s_branch .LBB150_1136
.LBB150_1134:
	s_andn2_b64 vcc, exec, s[4:5]
	s_cbranch_vccnz .LBB150_1136
.LBB150_1135:
	s_xor_b64 s[4:5], s[26:27], -1
	s_or_b64 s[0:1], s[0:1], s[4:5]
	s_andn2_b64 s[4:5], s[24:25], exec
	s_and_b64 s[0:1], s[0:1], exec
	s_or_b64 s[24:25], s[4:5], s[0:1]
.LBB150_1136:
	s_lshl_b32 s2, s13, 7
	v_add_u32_e32 v3, s2, v3
	v_ashrrev_i32_e32 v1, 31, v3
	v_mov_b32_e32 v4, s11
	v_add_co_u32_e32 v0, vcc, s10, v3
	s_cmp_lt_i32 s15, 11
	v_addc_co_u32_e32 v1, vcc, v4, v1, vcc
	s_cbranch_scc1 .LBB150_1143
; %bb.1137:
	s_cmp_gt_i32 s15, 25
	s_mov_b64 s[22:23], 0
	s_cbranch_scc0 .LBB150_1145
; %bb.1138:
	s_cmp_gt_i32 s15, 28
	s_cbranch_scc0 .LBB150_1146
; %bb.1139:
	s_cmp_gt_i32 s15, 43
	;; [unrolled: 3-line block ×3, first 2 shown]
	s_cbranch_scc0 .LBB150_1149
; %bb.1141:
	s_cmp_eq_u32 s15, 46
	s_mov_b64 s[28:29], 0
	s_cbranch_scc0 .LBB150_1152
; %bb.1142:
	global_load_dword v4, v[0:1], off
	s_mov_b64 s[4:5], 0
	s_mov_b64 s[20:21], -1
	s_waitcnt vmcnt(0)
	v_and_b32_e32 v4, 0x7fff7fff, v4
	v_cmp_ne_u32_e64 s[0:1], 0, v4
	s_branch .LBB150_1153
.LBB150_1143:
	s_mov_b64 s[20:21], 0
                                        ; implicit-def: $sgpr0_sgpr1
	s_cbranch_execnz .LBB150_1200
.LBB150_1144:
	s_andn2_b64 vcc, exec, s[20:21]
	s_cbranch_vccnz .LBB150_1506
	s_branch .LBB150_1247
.LBB150_1145:
	s_mov_b64 s[20:21], 0
	s_mov_b64 s[4:5], 0
                                        ; implicit-def: $sgpr0_sgpr1
	s_cbranch_execnz .LBB150_1174
	s_branch .LBB150_1196
.LBB150_1146:
	s_mov_b64 s[28:29], -1
	s_mov_b64 s[20:21], 0
	s_mov_b64 s[4:5], 0
                                        ; implicit-def: $sgpr0_sgpr1
	s_branch .LBB150_1161
.LBB150_1147:
	s_mov_b64 s[28:29], -1
	s_mov_b64 s[20:21], 0
	s_mov_b64 s[4:5], 0
                                        ; implicit-def: $sgpr0_sgpr1
	s_branch .LBB150_1156
.LBB150_1148:
	s_mov_b64 s[20:21], 0
	s_or_b64 s[18:19], s[16:17], exec
	s_trap 2
	s_cbranch_execz .LBB150_1074
	s_branch .LBB150_1075
.LBB150_1149:
	s_mov_b64 s[28:29], -1
	s_mov_b64 s[20:21], 0
	s_mov_b64 s[4:5], 0
                                        ; implicit-def: $sgpr0_sgpr1
	s_branch .LBB150_1153
.LBB150_1150:
	s_andn2_saveexec_b64 s[30:31], s[30:31]
	s_cbranch_execz .LBB150_937
.LBB150_1151:
	v_add_f32_e32 v2, 0x42800000, v3
	v_and_b32_e32 v2, 0xff, v2
	v_cmp_ne_u32_e32 vcc, 0, v2
	s_andn2_b64 s[28:29], s[28:29], exec
	s_and_b64 s[36:37], vcc, exec
	s_or_b64 s[28:29], s[28:29], s[36:37]
	s_or_b64 exec, exec, s[30:31]
	v_mov_b32_e32 v4, 0
	s_and_saveexec_b64 s[30:31], s[28:29]
	s_cbranch_execnz .LBB150_938
	s_branch .LBB150_939
.LBB150_1152:
	s_mov_b64 s[4:5], -1
                                        ; implicit-def: $sgpr0_sgpr1
	s_mov_b64 s[20:21], 0
.LBB150_1153:
	s_and_b64 vcc, exec, s[28:29]
	s_cbranch_vccz .LBB150_1155
; %bb.1154:
	s_cmp_lg_u32 s15, 44
	s_mov_b64 s[20:21], -1
	s_cselect_b64 s[4:5], -1, 0
	s_or_b64 s[0:1], s[0:1], exec
.LBB150_1155:
	s_mov_b64 s[28:29], 0
.LBB150_1156:
	s_and_b64 vcc, exec, s[28:29]
	s_cbranch_vccz .LBB150_1160
; %bb.1157:
	s_cmp_eq_u32 s15, 29
	s_cbranch_scc0 .LBB150_1159
; %bb.1158:
	global_load_dwordx2 v[4:5], v[0:1], off
	s_mov_b64 s[4:5], 0
	s_mov_b64 s[20:21], -1
	s_mov_b64 s[28:29], 0
	s_waitcnt vmcnt(0)
	v_cmp_ne_u64_e64 s[0:1], 0, v[4:5]
	s_branch .LBB150_1161
.LBB150_1159:
	s_mov_b64 s[4:5], -1
                                        ; implicit-def: $sgpr0_sgpr1
.LBB150_1160:
	s_mov_b64 s[28:29], 0
.LBB150_1161:
	s_and_b64 vcc, exec, s[28:29]
	s_cbranch_vccz .LBB150_1173
; %bb.1162:
	s_cmp_lt_i32 s15, 27
	s_cbranch_scc1 .LBB150_1165
; %bb.1163:
	s_cmp_gt_i32 s15, 27
	s_cbranch_scc0 .LBB150_1166
; %bb.1164:
	global_load_dword v4, v[0:1], off
	s_mov_b64 s[20:21], 0
	s_waitcnt vmcnt(0)
	v_cmp_ne_u32_e64 s[0:1], 0, v4
	s_branch .LBB150_1167
.LBB150_1165:
	s_mov_b64 s[20:21], -1
                                        ; implicit-def: $sgpr0_sgpr1
	s_branch .LBB150_1170
.LBB150_1166:
	s_mov_b64 s[20:21], -1
                                        ; implicit-def: $sgpr0_sgpr1
.LBB150_1167:
	s_andn2_b64 vcc, exec, s[20:21]
	s_cbranch_vccnz .LBB150_1169
; %bb.1168:
	global_load_ushort v4, v[0:1], off
	s_andn2_b64 s[0:1], s[0:1], exec
	s_waitcnt vmcnt(0)
	v_cmp_ne_u16_e32 vcc, 0, v4
	s_and_b64 s[20:21], vcc, exec
	s_or_b64 s[0:1], s[0:1], s[20:21]
.LBB150_1169:
	s_mov_b64 s[20:21], 0
.LBB150_1170:
	s_andn2_b64 vcc, exec, s[20:21]
	s_cbranch_vccnz .LBB150_1172
; %bb.1171:
	global_load_ubyte v4, v[0:1], off
	s_andn2_b64 s[0:1], s[0:1], exec
	s_waitcnt vmcnt(0)
	v_cmp_ne_u16_e32 vcc, 0, v4
	s_and_b64 s[20:21], vcc, exec
	s_or_b64 s[0:1], s[0:1], s[20:21]
.LBB150_1172:
	s_mov_b64 s[20:21], -1
.LBB150_1173:
	s_branch .LBB150_1196
.LBB150_1174:
	s_cmp_gt_i32 s15, 22
	s_cbranch_scc0 .LBB150_1178
; %bb.1175:
	s_cmp_lt_i32 s15, 24
	s_cbranch_scc1 .LBB150_1179
; %bb.1176:
	s_cmp_gt_i32 s15, 24
	s_cbranch_scc0 .LBB150_1180
; %bb.1177:
	global_load_ubyte v4, v[0:1], off
	s_mov_b64 s[20:21], 0
	s_waitcnt vmcnt(0)
	v_cmp_ne_u16_e64 s[0:1], 0, v4
	s_branch .LBB150_1181
.LBB150_1178:
	s_mov_b64 s[22:23], -1
                                        ; implicit-def: $sgpr0_sgpr1
	s_branch .LBB150_1187
.LBB150_1179:
	s_mov_b64 s[20:21], -1
                                        ; implicit-def: $sgpr0_sgpr1
	s_branch .LBB150_1184
.LBB150_1180:
	s_mov_b64 s[20:21], -1
                                        ; implicit-def: $sgpr0_sgpr1
.LBB150_1181:
	s_andn2_b64 vcc, exec, s[20:21]
	s_cbranch_vccnz .LBB150_1183
; %bb.1182:
	global_load_ubyte v4, v[0:1], off
	s_andn2_b64 s[0:1], s[0:1], exec
	s_waitcnt vmcnt(0)
	v_and_b32_e32 v4, 0x7f, v4
	v_cmp_ne_u16_e32 vcc, 0, v4
	s_and_b64 s[20:21], vcc, exec
	s_or_b64 s[0:1], s[0:1], s[20:21]
.LBB150_1183:
	s_mov_b64 s[20:21], 0
.LBB150_1184:
	s_andn2_b64 vcc, exec, s[20:21]
	s_cbranch_vccnz .LBB150_1186
; %bb.1185:
	global_load_ubyte v4, v[0:1], off
	s_movk_i32 s13, 0x7f00
	s_brev_b32 s20, 16
	s_andn2_b64 s[0:1], s[0:1], exec
	s_waitcnt vmcnt(0)
	v_lshlrev_b32_e32 v5, 8, v4
	v_lshlrev_b32_e32 v4, 25, v4
	v_lshrrev_b32_e32 v6, 4, v4
	v_and_or_b32 v5, v5, s13, 0.5
	v_or_b32_e32 v6, 0x70000000, v6
	v_add_f32_e32 v5, -0.5, v5
	v_mul_f32_e32 v6, 0x7800000, v6
	v_cmp_gt_u32_e32 vcc, s20, v4
	v_cndmask_b32_e32 v4, v6, v5, vcc
	v_cmp_neq_f32_e32 vcc, 0, v4
	s_and_b64 s[20:21], vcc, exec
	s_or_b64 s[0:1], s[0:1], s[20:21]
.LBB150_1186:
	s_mov_b64 s[20:21], -1
.LBB150_1187:
	s_andn2_b64 vcc, exec, s[22:23]
	s_mov_b64 s[22:23], 0
	s_cbranch_vccnz .LBB150_1196
; %bb.1188:
	s_cmp_gt_i32 s15, 14
	s_cbranch_scc0 .LBB150_1191
; %bb.1189:
	s_cmp_eq_u32 s15, 15
	s_cbranch_scc0 .LBB150_1192
; %bb.1190:
	global_load_ushort v4, v[0:1], off
	s_mov_b64 s[4:5], 0
	s_mov_b64 s[20:21], -1
	s_waitcnt vmcnt(0)
	v_and_b32_e32 v4, 0x7fff, v4
	v_cmp_ne_u16_e64 s[0:1], 0, v4
	s_branch .LBB150_1193
.LBB150_1191:
	s_mov_b64 s[28:29], -1
                                        ; implicit-def: $sgpr0_sgpr1
	s_branch .LBB150_1194
.LBB150_1192:
	s_mov_b64 s[4:5], -1
                                        ; implicit-def: $sgpr0_sgpr1
.LBB150_1193:
	s_mov_b64 s[28:29], 0
.LBB150_1194:
	s_and_b64 vcc, exec, s[28:29]
	s_cbranch_vccz .LBB150_1196
; %bb.1195:
	s_cmp_lg_u32 s15, 11
	s_mov_b64 s[22:23], -1
	s_cselect_b64 s[4:5], -1, 0
.LBB150_1196:
	s_and_b64 vcc, exec, s[4:5]
	s_cbranch_vccnz .LBB150_1275
; %bb.1197:
	s_andn2_b64 vcc, exec, s[22:23]
	s_cbranch_vccnz .LBB150_1199
.LBB150_1198:
	global_load_ubyte v4, v[0:1], off
	s_andn2_b64 s[0:1], s[0:1], exec
	s_mov_b64 s[20:21], -1
	s_waitcnt vmcnt(0)
	v_cmp_ne_u16_e32 vcc, 0, v4
	s_and_b64 s[4:5], vcc, exec
	s_or_b64 s[0:1], s[0:1], s[4:5]
.LBB150_1199:
	s_branch .LBB150_1144
.LBB150_1200:
	s_cmp_lt_i32 s15, 5
	s_cbranch_scc1 .LBB150_1205
; %bb.1201:
	s_cmp_lt_i32 s15, 8
	s_cbranch_scc1 .LBB150_1206
; %bb.1202:
	;; [unrolled: 3-line block ×3, first 2 shown]
	s_cmp_gt_i32 s15, 9
	s_cbranch_scc0 .LBB150_1208
; %bb.1204:
	global_load_dwordx4 v[4:7], v[0:1], off
	s_mov_b64 s[4:5], 0
	s_waitcnt vmcnt(0)
	v_cmp_neq_f64_e32 vcc, 0, v[4:5]
	v_cmp_neq_f64_e64 s[0:1], 0, v[6:7]
	s_or_b64 s[0:1], vcc, s[0:1]
	s_branch .LBB150_1209
.LBB150_1205:
                                        ; implicit-def: $sgpr0_sgpr1
	s_branch .LBB150_1227
.LBB150_1206:
	s_mov_b64 s[4:5], -1
                                        ; implicit-def: $sgpr0_sgpr1
	s_branch .LBB150_1215
.LBB150_1207:
	s_mov_b64 s[4:5], -1
                                        ; implicit-def: $sgpr0_sgpr1
	s_branch .LBB150_1212
.LBB150_1208:
	s_mov_b64 s[4:5], -1
                                        ; implicit-def: $sgpr0_sgpr1
.LBB150_1209:
	s_andn2_b64 vcc, exec, s[4:5]
	s_cbranch_vccnz .LBB150_1211
; %bb.1210:
	global_load_dwordx2 v[4:5], v[0:1], off
	s_andn2_b64 s[0:1], s[0:1], exec
	s_waitcnt vmcnt(0)
	v_or_b32_e32 v4, v4, v5
	v_and_b32_e32 v4, 0x7fffffff, v4
	v_cmp_ne_u32_e32 vcc, 0, v4
	s_and_b64 s[4:5], vcc, exec
	s_or_b64 s[0:1], s[0:1], s[4:5]
.LBB150_1211:
	s_mov_b64 s[4:5], 0
.LBB150_1212:
	s_andn2_b64 vcc, exec, s[4:5]
	s_cbranch_vccnz .LBB150_1214
; %bb.1213:
	global_load_dword v4, v[0:1], off
	s_andn2_b64 s[0:1], s[0:1], exec
	s_waitcnt vmcnt(0)
	v_and_b32_e32 v4, 0x7fff7fff, v4
	v_cmp_ne_u32_e32 vcc, 0, v4
	s_and_b64 s[4:5], vcc, exec
	s_or_b64 s[0:1], s[0:1], s[4:5]
.LBB150_1214:
	s_mov_b64 s[4:5], 0
.LBB150_1215:
	s_andn2_b64 vcc, exec, s[4:5]
	s_cbranch_vccnz .LBB150_1226
; %bb.1216:
	s_cmp_lt_i32 s15, 6
	s_cbranch_scc1 .LBB150_1219
; %bb.1217:
	s_cmp_gt_i32 s15, 6
	s_cbranch_scc0 .LBB150_1220
; %bb.1218:
	global_load_dwordx2 v[4:5], v[0:1], off
	s_mov_b64 s[4:5], 0
	s_waitcnt vmcnt(0)
	v_cmp_neq_f64_e64 s[0:1], 0, v[4:5]
	s_branch .LBB150_1221
.LBB150_1219:
	s_mov_b64 s[4:5], -1
                                        ; implicit-def: $sgpr0_sgpr1
	s_branch .LBB150_1224
.LBB150_1220:
	s_mov_b64 s[4:5], -1
                                        ; implicit-def: $sgpr0_sgpr1
.LBB150_1221:
	s_andn2_b64 vcc, exec, s[4:5]
	s_cbranch_vccnz .LBB150_1223
; %bb.1222:
	global_load_dword v4, v[0:1], off
	s_andn2_b64 s[0:1], s[0:1], exec
	s_waitcnt vmcnt(0)
	v_cmp_neq_f32_e32 vcc, 0, v4
	s_and_b64 s[4:5], vcc, exec
	s_or_b64 s[0:1], s[0:1], s[4:5]
.LBB150_1223:
	s_mov_b64 s[4:5], 0
.LBB150_1224:
	s_andn2_b64 vcc, exec, s[4:5]
	s_cbranch_vccnz .LBB150_1226
; %bb.1225:
	global_load_ushort v4, v[0:1], off
	s_andn2_b64 s[0:1], s[0:1], exec
	s_waitcnt vmcnt(0)
	v_and_b32_e32 v4, 0x7fff, v4
	v_cmp_ne_u16_e32 vcc, 0, v4
	s_and_b64 s[4:5], vcc, exec
	s_or_b64 s[0:1], s[0:1], s[4:5]
.LBB150_1226:
	s_cbranch_execnz .LBB150_1246
.LBB150_1227:
	s_cmp_lt_i32 s15, 2
	s_cbranch_scc1 .LBB150_1231
; %bb.1228:
	s_cmp_lt_i32 s15, 3
	s_cbranch_scc1 .LBB150_1232
; %bb.1229:
	s_cmp_gt_i32 s15, 3
	s_cbranch_scc0 .LBB150_1233
; %bb.1230:
	global_load_dwordx2 v[4:5], v[0:1], off
	s_mov_b64 s[4:5], 0
	s_waitcnt vmcnt(0)
	v_cmp_ne_u64_e64 s[0:1], 0, v[4:5]
	s_branch .LBB150_1234
.LBB150_1231:
	s_mov_b64 s[4:5], -1
                                        ; implicit-def: $sgpr0_sgpr1
	s_branch .LBB150_1240
.LBB150_1232:
	s_mov_b64 s[4:5], -1
                                        ; implicit-def: $sgpr0_sgpr1
	s_branch .LBB150_1237
.LBB150_1233:
	s_mov_b64 s[4:5], -1
                                        ; implicit-def: $sgpr0_sgpr1
.LBB150_1234:
	s_andn2_b64 vcc, exec, s[4:5]
	s_cbranch_vccnz .LBB150_1236
; %bb.1235:
	global_load_dword v4, v[0:1], off
	s_andn2_b64 s[0:1], s[0:1], exec
	s_waitcnt vmcnt(0)
	v_cmp_ne_u32_e32 vcc, 0, v4
	s_and_b64 s[4:5], vcc, exec
	s_or_b64 s[0:1], s[0:1], s[4:5]
.LBB150_1236:
	s_mov_b64 s[4:5], 0
.LBB150_1237:
	s_andn2_b64 vcc, exec, s[4:5]
	s_cbranch_vccnz .LBB150_1239
; %bb.1238:
	global_load_ushort v4, v[0:1], off
	s_andn2_b64 s[0:1], s[0:1], exec
	s_waitcnt vmcnt(0)
	v_cmp_ne_u16_e32 vcc, 0, v4
	s_and_b64 s[4:5], vcc, exec
	s_or_b64 s[0:1], s[0:1], s[4:5]
.LBB150_1239:
	s_mov_b64 s[4:5], 0
.LBB150_1240:
	s_andn2_b64 vcc, exec, s[4:5]
	s_cbranch_vccnz .LBB150_1246
; %bb.1241:
	s_cmp_gt_i32 s15, 0
	s_cbranch_scc0 .LBB150_1243
; %bb.1242:
	global_load_ubyte v4, v[0:1], off
	s_mov_b64 s[4:5], 0
	s_waitcnt vmcnt(0)
	v_cmp_ne_u16_e64 s[0:1], 0, v4
	s_branch .LBB150_1244
.LBB150_1243:
	s_mov_b64 s[4:5], -1
                                        ; implicit-def: $sgpr0_sgpr1
.LBB150_1244:
	s_andn2_b64 vcc, exec, s[4:5]
	s_cbranch_vccnz .LBB150_1246
; %bb.1245:
	global_load_ubyte v0, v[0:1], off
	s_andn2_b64 s[0:1], s[0:1], exec
	s_waitcnt vmcnt(0)
	v_cmp_ne_u16_e32 vcc, 0, v0
	s_and_b64 s[4:5], vcc, exec
	s_or_b64 s[0:1], s[0:1], s[4:5]
.LBB150_1246:
.LBB150_1247:
	s_cmp_lt_i32 s14, 1
	s_mov_b64 s[4:5], 0
	s_cbranch_scc1 .LBB150_1251
; %bb.1248:
	s_cmp_gt_i32 s14, 1
	s_cbranch_scc0 .LBB150_1252
; %bb.1249:
	s_cmp_eq_u32 s14, 2
	s_cbranch_scc0 .LBB150_1253
; %bb.1250:
	s_xor_b64 s[20:21], s[0:1], -1
	s_or_b64 s[22:23], s[26:27], s[20:21]
	s_mov_b64 s[20:21], 0
	s_branch .LBB150_1254
.LBB150_1251:
                                        ; implicit-def: $sgpr22_sgpr23
	s_mov_b64 s[20:21], 0
	s_cbranch_execnz .LBB150_1258
	s_branch .LBB150_1259
.LBB150_1252:
	s_mov_b64 s[28:29], -1
	s_mov_b64 s[20:21], 0
                                        ; implicit-def: $sgpr22_sgpr23
	s_branch .LBB150_1255
.LBB150_1253:
	s_mov_b64 s[20:21], -1
                                        ; implicit-def: $sgpr22_sgpr23
.LBB150_1254:
	s_mov_b64 s[28:29], 0
.LBB150_1255:
	s_and_b64 vcc, exec, s[28:29]
	s_cbranch_vccz .LBB150_1257
; %bb.1256:
	s_xor_b64 s[28:29], s[26:27], -1
	s_and_b64 s[28:29], s[0:1], s[28:29]
	s_andn2_b64 s[22:23], s[22:23], exec
	s_and_b64 s[28:29], s[28:29], exec
	s_or_b64 s[22:23], s[22:23], s[28:29]
.LBB150_1257:
	s_branch .LBB150_1259
.LBB150_1258:
	s_cmp_lg_u32 s14, 0
	s_mov_b64 s[4:5], -1
	s_cselect_b64 s[20:21], -1, 0
.LBB150_1259:
	s_andn2_b64 vcc, exec, s[20:21]
	s_cbranch_vccnz .LBB150_1261
; %bb.1260:
	s_xor_b64 s[4:5], s[0:1], -1
	s_and_b64 s[20:21], s[26:27], s[4:5]
	s_andn2_b64 s[22:23], s[22:23], exec
	s_and_b64 s[20:21], s[20:21], exec
	s_or_b64 s[22:23], s[22:23], s[20:21]
	s_cbranch_execz .LBB150_1262
	s_branch .LBB150_1263
.LBB150_1261:
	s_andn2_b64 vcc, exec, s[4:5]
	s_cbranch_vccnz .LBB150_1263
.LBB150_1262:
	s_xor_b64 s[4:5], s[26:27], -1
	s_or_b64 s[0:1], s[0:1], s[4:5]
	s_andn2_b64 s[4:5], s[22:23], exec
	s_and_b64 s[0:1], s[0:1], exec
	s_or_b64 s[22:23], s[4:5], s[0:1]
.LBB150_1263:
	v_add_u32_e32 v3, s2, v3
	v_ashrrev_i32_e32 v1, 31, v3
	v_mov_b32_e32 v4, s11
	v_add_co_u32_e32 v0, vcc, s10, v3
	s_cmp_lt_i32 s15, 11
	v_addc_co_u32_e32 v1, vcc, v4, v1, vcc
	s_cbranch_scc1 .LBB150_1270
; %bb.1264:
	s_cmp_gt_i32 s15, 25
	s_mov_b64 s[28:29], 0
	s_cbranch_scc0 .LBB150_1272
; %bb.1265:
	s_cmp_gt_i32 s15, 28
	s_cbranch_scc0 .LBB150_1273
; %bb.1266:
	s_cmp_gt_i32 s15, 43
	;; [unrolled: 3-line block ×3, first 2 shown]
	s_cbranch_scc0 .LBB150_1276
; %bb.1268:
	s_cmp_eq_u32 s15, 46
	s_mov_b64 s[30:31], 0
	s_cbranch_scc0 .LBB150_1277
; %bb.1269:
	global_load_dword v4, v[0:1], off
	s_mov_b64 s[4:5], 0
	s_mov_b64 s[20:21], -1
	s_waitcnt vmcnt(0)
	v_and_b32_e32 v4, 0x7fff7fff, v4
	v_cmp_ne_u32_e64 s[0:1], 0, v4
	s_branch .LBB150_1278
.LBB150_1270:
	s_mov_b64 s[20:21], 0
                                        ; implicit-def: $sgpr0_sgpr1
	s_cbranch_execnz .LBB150_1326
.LBB150_1271:
	s_andn2_b64 vcc, exec, s[20:21]
	s_cbranch_vccnz .LBB150_1506
	s_branch .LBB150_1374
.LBB150_1272:
	s_mov_b64 s[30:31], -1
	s_mov_b64 s[20:21], 0
	s_mov_b64 s[4:5], 0
                                        ; implicit-def: $sgpr0_sgpr1
	s_branch .LBB150_1299
.LBB150_1273:
	s_mov_b64 s[30:31], -1
	s_mov_b64 s[20:21], 0
	s_mov_b64 s[4:5], 0
                                        ; implicit-def: $sgpr0_sgpr1
	s_branch .LBB150_1286
.LBB150_1274:
	s_mov_b64 s[30:31], -1
	s_mov_b64 s[20:21], 0
	s_mov_b64 s[4:5], 0
                                        ; implicit-def: $sgpr0_sgpr1
	s_branch .LBB150_1281
.LBB150_1275:
	s_trap 2
	s_mov_b64 s[20:21], 0
	s_or_b64 s[18:19], s[18:19], exec
	s_cbranch_execz .LBB150_1198
	s_branch .LBB150_1199
.LBB150_1276:
	s_mov_b64 s[30:31], -1
	s_mov_b64 s[20:21], 0
	s_mov_b64 s[4:5], 0
                                        ; implicit-def: $sgpr0_sgpr1
	s_branch .LBB150_1278
.LBB150_1277:
	s_mov_b64 s[4:5], -1
                                        ; implicit-def: $sgpr0_sgpr1
	s_mov_b64 s[20:21], 0
.LBB150_1278:
	s_and_b64 vcc, exec, s[30:31]
	s_cbranch_vccz .LBB150_1280
; %bb.1279:
	s_cmp_lg_u32 s15, 44
	s_mov_b64 s[20:21], -1
	s_cselect_b64 s[4:5], -1, 0
	s_or_b64 s[0:1], s[0:1], exec
.LBB150_1280:
	s_mov_b64 s[30:31], 0
.LBB150_1281:
	s_and_b64 vcc, exec, s[30:31]
	s_cbranch_vccz .LBB150_1285
; %bb.1282:
	s_cmp_eq_u32 s15, 29
	s_cbranch_scc0 .LBB150_1284
; %bb.1283:
	global_load_dwordx2 v[4:5], v[0:1], off
	s_mov_b64 s[4:5], 0
	s_mov_b64 s[20:21], -1
	s_mov_b64 s[30:31], 0
	s_waitcnt vmcnt(0)
	v_cmp_ne_u64_e64 s[0:1], 0, v[4:5]
	s_branch .LBB150_1286
.LBB150_1284:
	s_mov_b64 s[4:5], -1
                                        ; implicit-def: $sgpr0_sgpr1
.LBB150_1285:
	s_mov_b64 s[30:31], 0
.LBB150_1286:
	s_and_b64 vcc, exec, s[30:31]
	s_cbranch_vccz .LBB150_1298
; %bb.1287:
	s_cmp_lt_i32 s15, 27
	s_cbranch_scc1 .LBB150_1290
; %bb.1288:
	s_cmp_gt_i32 s15, 27
	s_cbranch_scc0 .LBB150_1291
; %bb.1289:
	global_load_dword v4, v[0:1], off
	s_mov_b64 s[20:21], 0
	s_waitcnt vmcnt(0)
	v_cmp_ne_u32_e64 s[0:1], 0, v4
	s_branch .LBB150_1292
.LBB150_1290:
	s_mov_b64 s[20:21], -1
                                        ; implicit-def: $sgpr0_sgpr1
	s_branch .LBB150_1295
.LBB150_1291:
	s_mov_b64 s[20:21], -1
                                        ; implicit-def: $sgpr0_sgpr1
.LBB150_1292:
	s_andn2_b64 vcc, exec, s[20:21]
	s_cbranch_vccnz .LBB150_1294
; %bb.1293:
	global_load_ushort v4, v[0:1], off
	s_andn2_b64 s[0:1], s[0:1], exec
	s_waitcnt vmcnt(0)
	v_cmp_ne_u16_e32 vcc, 0, v4
	s_and_b64 s[20:21], vcc, exec
	s_or_b64 s[0:1], s[0:1], s[20:21]
.LBB150_1294:
	s_mov_b64 s[20:21], 0
.LBB150_1295:
	s_andn2_b64 vcc, exec, s[20:21]
	s_cbranch_vccnz .LBB150_1297
; %bb.1296:
	global_load_ubyte v4, v[0:1], off
	s_andn2_b64 s[0:1], s[0:1], exec
	s_waitcnt vmcnt(0)
	v_cmp_ne_u16_e32 vcc, 0, v4
	s_and_b64 s[20:21], vcc, exec
	s_or_b64 s[0:1], s[0:1], s[20:21]
.LBB150_1297:
	s_mov_b64 s[20:21], -1
.LBB150_1298:
	s_mov_b64 s[30:31], 0
.LBB150_1299:
	s_and_b64 vcc, exec, s[30:31]
	s_cbranch_vccz .LBB150_1322
; %bb.1300:
	s_cmp_gt_i32 s15, 22
	s_cbranch_scc0 .LBB150_1304
; %bb.1301:
	s_cmp_lt_i32 s15, 24
	s_cbranch_scc1 .LBB150_1305
; %bb.1302:
	s_cmp_gt_i32 s15, 24
	s_cbranch_scc0 .LBB150_1306
; %bb.1303:
	global_load_ubyte v4, v[0:1], off
	s_mov_b64 s[20:21], 0
	s_waitcnt vmcnt(0)
	v_cmp_ne_u16_e64 s[0:1], 0, v4
	s_branch .LBB150_1307
.LBB150_1304:
	s_mov_b64 s[28:29], -1
                                        ; implicit-def: $sgpr0_sgpr1
	s_branch .LBB150_1313
.LBB150_1305:
	s_mov_b64 s[20:21], -1
                                        ; implicit-def: $sgpr0_sgpr1
	s_branch .LBB150_1310
.LBB150_1306:
	s_mov_b64 s[20:21], -1
                                        ; implicit-def: $sgpr0_sgpr1
.LBB150_1307:
	s_andn2_b64 vcc, exec, s[20:21]
	s_cbranch_vccnz .LBB150_1309
; %bb.1308:
	global_load_ubyte v4, v[0:1], off
	s_andn2_b64 s[0:1], s[0:1], exec
	s_waitcnt vmcnt(0)
	v_and_b32_e32 v4, 0x7f, v4
	v_cmp_ne_u16_e32 vcc, 0, v4
	s_and_b64 s[20:21], vcc, exec
	s_or_b64 s[0:1], s[0:1], s[20:21]
.LBB150_1309:
	s_mov_b64 s[20:21], 0
.LBB150_1310:
	s_andn2_b64 vcc, exec, s[20:21]
	s_cbranch_vccnz .LBB150_1312
; %bb.1311:
	global_load_ubyte v4, v[0:1], off
	s_movk_i32 s13, 0x7f00
	s_brev_b32 s20, 16
	s_andn2_b64 s[0:1], s[0:1], exec
	s_waitcnt vmcnt(0)
	v_lshlrev_b32_e32 v5, 8, v4
	v_lshlrev_b32_e32 v4, 25, v4
	v_lshrrev_b32_e32 v6, 4, v4
	v_and_or_b32 v5, v5, s13, 0.5
	v_or_b32_e32 v6, 0x70000000, v6
	v_add_f32_e32 v5, -0.5, v5
	v_mul_f32_e32 v6, 0x7800000, v6
	v_cmp_gt_u32_e32 vcc, s20, v4
	v_cndmask_b32_e32 v4, v6, v5, vcc
	v_cmp_neq_f32_e32 vcc, 0, v4
	s_and_b64 s[20:21], vcc, exec
	s_or_b64 s[0:1], s[0:1], s[20:21]
.LBB150_1312:
	s_mov_b64 s[20:21], -1
.LBB150_1313:
	s_andn2_b64 vcc, exec, s[28:29]
	s_mov_b64 s[28:29], 0
	s_cbranch_vccnz .LBB150_1322
; %bb.1314:
	s_cmp_gt_i32 s15, 14
	s_cbranch_scc0 .LBB150_1317
; %bb.1315:
	s_cmp_eq_u32 s15, 15
	s_cbranch_scc0 .LBB150_1318
; %bb.1316:
	global_load_ushort v4, v[0:1], off
	s_mov_b64 s[4:5], 0
	s_mov_b64 s[20:21], -1
	s_waitcnt vmcnt(0)
	v_and_b32_e32 v4, 0x7fff, v4
	v_cmp_ne_u16_e64 s[0:1], 0, v4
	s_branch .LBB150_1319
.LBB150_1317:
	s_mov_b64 s[30:31], -1
                                        ; implicit-def: $sgpr0_sgpr1
	s_branch .LBB150_1320
.LBB150_1318:
	s_mov_b64 s[4:5], -1
                                        ; implicit-def: $sgpr0_sgpr1
.LBB150_1319:
	s_mov_b64 s[30:31], 0
.LBB150_1320:
	s_and_b64 vcc, exec, s[30:31]
	s_cbranch_vccz .LBB150_1322
; %bb.1321:
	s_cmp_lg_u32 s15, 11
	s_mov_b64 s[28:29], -1
	s_cselect_b64 s[4:5], -1, 0
.LBB150_1322:
	s_and_b64 vcc, exec, s[4:5]
	s_cbranch_vccnz .LBB150_1401
; %bb.1323:
	s_andn2_b64 vcc, exec, s[28:29]
	s_cbranch_vccnz .LBB150_1325
.LBB150_1324:
	global_load_ubyte v4, v[0:1], off
	s_andn2_b64 s[0:1], s[0:1], exec
	s_mov_b64 s[20:21], -1
	s_waitcnt vmcnt(0)
	v_cmp_ne_u16_e32 vcc, 0, v4
	s_and_b64 s[4:5], vcc, exec
	s_or_b64 s[0:1], s[0:1], s[4:5]
.LBB150_1325:
	s_branch .LBB150_1271
.LBB150_1326:
	s_cmp_lt_i32 s15, 5
	s_cbranch_scc1 .LBB150_1331
; %bb.1327:
	s_cmp_lt_i32 s15, 8
	s_cbranch_scc1 .LBB150_1332
; %bb.1328:
	;; [unrolled: 3-line block ×3, first 2 shown]
	s_cmp_gt_i32 s15, 9
	s_cbranch_scc0 .LBB150_1334
; %bb.1330:
	global_load_dwordx4 v[4:7], v[0:1], off
	s_mov_b64 s[4:5], 0
	s_waitcnt vmcnt(0)
	v_cmp_neq_f64_e32 vcc, 0, v[4:5]
	v_cmp_neq_f64_e64 s[0:1], 0, v[6:7]
	s_or_b64 s[0:1], vcc, s[0:1]
	s_branch .LBB150_1335
.LBB150_1331:
	s_mov_b64 s[4:5], -1
                                        ; implicit-def: $sgpr0_sgpr1
	s_branch .LBB150_1353
.LBB150_1332:
	s_mov_b64 s[4:5], -1
                                        ; implicit-def: $sgpr0_sgpr1
	s_branch .LBB150_1341
.LBB150_1333:
	s_mov_b64 s[4:5], -1
                                        ; implicit-def: $sgpr0_sgpr1
	s_branch .LBB150_1338
.LBB150_1334:
	s_mov_b64 s[4:5], -1
                                        ; implicit-def: $sgpr0_sgpr1
.LBB150_1335:
	s_andn2_b64 vcc, exec, s[4:5]
	s_cbranch_vccnz .LBB150_1337
; %bb.1336:
	global_load_dwordx2 v[4:5], v[0:1], off
	s_andn2_b64 s[0:1], s[0:1], exec
	s_waitcnt vmcnt(0)
	v_or_b32_e32 v4, v4, v5
	v_and_b32_e32 v4, 0x7fffffff, v4
	v_cmp_ne_u32_e32 vcc, 0, v4
	s_and_b64 s[4:5], vcc, exec
	s_or_b64 s[0:1], s[0:1], s[4:5]
.LBB150_1337:
	s_mov_b64 s[4:5], 0
.LBB150_1338:
	s_andn2_b64 vcc, exec, s[4:5]
	s_cbranch_vccnz .LBB150_1340
; %bb.1339:
	global_load_dword v4, v[0:1], off
	s_andn2_b64 s[0:1], s[0:1], exec
	s_waitcnt vmcnt(0)
	v_and_b32_e32 v4, 0x7fff7fff, v4
	v_cmp_ne_u32_e32 vcc, 0, v4
	s_and_b64 s[4:5], vcc, exec
	s_or_b64 s[0:1], s[0:1], s[4:5]
.LBB150_1340:
	s_mov_b64 s[4:5], 0
.LBB150_1341:
	s_andn2_b64 vcc, exec, s[4:5]
	s_cbranch_vccnz .LBB150_1352
; %bb.1342:
	s_cmp_lt_i32 s15, 6
	s_cbranch_scc1 .LBB150_1345
; %bb.1343:
	s_cmp_gt_i32 s15, 6
	s_cbranch_scc0 .LBB150_1346
; %bb.1344:
	global_load_dwordx2 v[4:5], v[0:1], off
	s_mov_b64 s[4:5], 0
	s_waitcnt vmcnt(0)
	v_cmp_neq_f64_e64 s[0:1], 0, v[4:5]
	s_branch .LBB150_1347
.LBB150_1345:
	s_mov_b64 s[4:5], -1
                                        ; implicit-def: $sgpr0_sgpr1
	s_branch .LBB150_1350
.LBB150_1346:
	s_mov_b64 s[4:5], -1
                                        ; implicit-def: $sgpr0_sgpr1
.LBB150_1347:
	s_andn2_b64 vcc, exec, s[4:5]
	s_cbranch_vccnz .LBB150_1349
; %bb.1348:
	global_load_dword v4, v[0:1], off
	s_andn2_b64 s[0:1], s[0:1], exec
	s_waitcnt vmcnt(0)
	v_cmp_neq_f32_e32 vcc, 0, v4
	s_and_b64 s[4:5], vcc, exec
	s_or_b64 s[0:1], s[0:1], s[4:5]
.LBB150_1349:
	s_mov_b64 s[4:5], 0
.LBB150_1350:
	s_andn2_b64 vcc, exec, s[4:5]
	s_cbranch_vccnz .LBB150_1352
; %bb.1351:
	global_load_ushort v4, v[0:1], off
	s_andn2_b64 s[0:1], s[0:1], exec
	s_waitcnt vmcnt(0)
	v_and_b32_e32 v4, 0x7fff, v4
	v_cmp_ne_u16_e32 vcc, 0, v4
	s_and_b64 s[4:5], vcc, exec
	s_or_b64 s[0:1], s[0:1], s[4:5]
.LBB150_1352:
	s_mov_b64 s[4:5], 0
.LBB150_1353:
	s_andn2_b64 vcc, exec, s[4:5]
	s_cbranch_vccnz .LBB150_1373
; %bb.1354:
	s_cmp_lt_i32 s15, 2
	s_cbranch_scc1 .LBB150_1358
; %bb.1355:
	s_cmp_lt_i32 s15, 3
	s_cbranch_scc1 .LBB150_1359
; %bb.1356:
	s_cmp_gt_i32 s15, 3
	s_cbranch_scc0 .LBB150_1360
; %bb.1357:
	global_load_dwordx2 v[4:5], v[0:1], off
	s_mov_b64 s[4:5], 0
	s_waitcnt vmcnt(0)
	v_cmp_ne_u64_e64 s[0:1], 0, v[4:5]
	s_branch .LBB150_1361
.LBB150_1358:
	s_mov_b64 s[4:5], -1
                                        ; implicit-def: $sgpr0_sgpr1
	s_branch .LBB150_1367
.LBB150_1359:
	s_mov_b64 s[4:5], -1
                                        ; implicit-def: $sgpr0_sgpr1
	s_branch .LBB150_1364
.LBB150_1360:
	s_mov_b64 s[4:5], -1
                                        ; implicit-def: $sgpr0_sgpr1
.LBB150_1361:
	s_andn2_b64 vcc, exec, s[4:5]
	s_cbranch_vccnz .LBB150_1363
; %bb.1362:
	global_load_dword v4, v[0:1], off
	s_andn2_b64 s[0:1], s[0:1], exec
	s_waitcnt vmcnt(0)
	v_cmp_ne_u32_e32 vcc, 0, v4
	s_and_b64 s[4:5], vcc, exec
	s_or_b64 s[0:1], s[0:1], s[4:5]
.LBB150_1363:
	s_mov_b64 s[4:5], 0
.LBB150_1364:
	s_andn2_b64 vcc, exec, s[4:5]
	s_cbranch_vccnz .LBB150_1366
; %bb.1365:
	global_load_ushort v4, v[0:1], off
	s_andn2_b64 s[0:1], s[0:1], exec
	s_waitcnt vmcnt(0)
	v_cmp_ne_u16_e32 vcc, 0, v4
	s_and_b64 s[4:5], vcc, exec
	s_or_b64 s[0:1], s[0:1], s[4:5]
.LBB150_1366:
	s_mov_b64 s[4:5], 0
.LBB150_1367:
	s_andn2_b64 vcc, exec, s[4:5]
	s_cbranch_vccnz .LBB150_1373
; %bb.1368:
	s_cmp_gt_i32 s15, 0
	s_cbranch_scc0 .LBB150_1370
; %bb.1369:
	global_load_ubyte v4, v[0:1], off
	s_mov_b64 s[4:5], 0
	s_waitcnt vmcnt(0)
	v_cmp_ne_u16_e64 s[0:1], 0, v4
	s_branch .LBB150_1371
.LBB150_1370:
	s_mov_b64 s[4:5], -1
                                        ; implicit-def: $sgpr0_sgpr1
.LBB150_1371:
	s_andn2_b64 vcc, exec, s[4:5]
	s_cbranch_vccnz .LBB150_1373
; %bb.1372:
	global_load_ubyte v0, v[0:1], off
	s_andn2_b64 s[0:1], s[0:1], exec
	s_waitcnt vmcnt(0)
	v_cmp_ne_u16_e32 vcc, 0, v0
	s_and_b64 s[4:5], vcc, exec
	s_or_b64 s[0:1], s[0:1], s[4:5]
.LBB150_1373:
.LBB150_1374:
	s_cmp_lt_i32 s14, 1
	s_mov_b64 s[20:21], 0
	s_cbranch_scc1 .LBB150_1378
; %bb.1375:
	s_cmp_gt_i32 s14, 1
	s_cbranch_scc0 .LBB150_1381
; %bb.1376:
	s_cmp_eq_u32 s14, 2
	s_cbranch_scc0 .LBB150_1382
; %bb.1377:
	s_xor_b64 s[4:5], s[0:1], -1
	s_or_b64 s[4:5], s[26:27], s[4:5]
	s_mov_b64 s[28:29], 0
	s_branch .LBB150_1383
.LBB150_1378:
                                        ; implicit-def: $sgpr4_sgpr5
	s_mov_b64 s[28:29], 0
	s_cbranch_execnz .LBB150_1387
.LBB150_1379:
	s_andn2_b64 vcc, exec, s[28:29]
	s_cbranch_vccnz .LBB150_1388
.LBB150_1380:
	s_xor_b64 s[20:21], s[0:1], -1
	s_and_b64 s[28:29], s[26:27], s[20:21]
	s_andn2_b64 s[4:5], s[4:5], exec
	s_and_b64 s[28:29], s[28:29], exec
	s_or_b64 s[4:5], s[4:5], s[28:29]
	s_cbranch_execz .LBB150_1389
	s_branch .LBB150_1390
.LBB150_1381:
	s_mov_b64 s[30:31], -1
	s_mov_b64 s[28:29], 0
                                        ; implicit-def: $sgpr4_sgpr5
	s_branch .LBB150_1384
.LBB150_1382:
	s_mov_b64 s[28:29], -1
                                        ; implicit-def: $sgpr4_sgpr5
.LBB150_1383:
	s_mov_b64 s[30:31], 0
.LBB150_1384:
	s_and_b64 vcc, exec, s[30:31]
	s_cbranch_vccz .LBB150_1386
; %bb.1385:
	s_xor_b64 s[30:31], s[26:27], -1
	s_and_b64 s[30:31], s[0:1], s[30:31]
	s_andn2_b64 s[4:5], s[4:5], exec
	s_and_b64 s[30:31], s[30:31], exec
	s_or_b64 s[4:5], s[4:5], s[30:31]
.LBB150_1386:
	s_branch .LBB150_1379
.LBB150_1387:
	s_cmp_lg_u32 s14, 0
	s_mov_b64 s[20:21], -1
	s_cselect_b64 s[28:29], -1, 0
	s_andn2_b64 vcc, exec, s[28:29]
	s_cbranch_vccz .LBB150_1380
.LBB150_1388:
	s_andn2_b64 vcc, exec, s[20:21]
	s_cbranch_vccnz .LBB150_1390
.LBB150_1389:
	s_xor_b64 s[20:21], s[26:27], -1
	s_or_b64 s[0:1], s[0:1], s[20:21]
	s_andn2_b64 s[4:5], s[4:5], exec
	s_and_b64 s[0:1], s[0:1], exec
	s_or_b64 s[4:5], s[4:5], s[0:1]
.LBB150_1390:
	v_add_u32_e32 v0, s2, v3
	v_ashrrev_i32_e32 v1, 31, v0
	v_mov_b32_e32 v3, s11
	v_add_co_u32_e32 v0, vcc, s10, v0
	s_cmp_lt_i32 s15, 11
	v_addc_co_u32_e32 v1, vcc, v3, v1, vcc
	s_cbranch_scc1 .LBB150_1397
; %bb.1391:
	s_cmp_gt_i32 s15, 25
	s_mov_b64 s[28:29], 0
	s_cbranch_scc0 .LBB150_1398
; %bb.1392:
	s_cmp_gt_i32 s15, 28
	s_cbranch_scc0 .LBB150_1399
; %bb.1393:
	s_cmp_gt_i32 s15, 43
	s_cbranch_scc0 .LBB150_1400
; %bb.1394:
	s_cmp_gt_i32 s15, 45
	s_cbranch_scc0 .LBB150_1402
; %bb.1395:
	s_cmp_eq_u32 s15, 46
	s_mov_b64 s[30:31], 0
	s_cbranch_scc0 .LBB150_1403
; %bb.1396:
	global_load_dword v3, v[0:1], off
	s_mov_b64 s[10:11], 0
	s_mov_b64 s[20:21], -1
	s_waitcnt vmcnt(0)
	v_and_b32_e32 v3, 0x7fff7fff, v3
	v_cmp_ne_u32_e64 s[0:1], 0, v3
	s_branch .LBB150_1404
.LBB150_1397:
	s_mov_b64 s[10:11], -1
	s_mov_b64 s[20:21], 0
                                        ; implicit-def: $sgpr0_sgpr1
	s_branch .LBB150_1452
.LBB150_1398:
	s_mov_b64 s[30:31], -1
	s_mov_b64 s[20:21], 0
	s_mov_b64 s[10:11], 0
                                        ; implicit-def: $sgpr0_sgpr1
	s_branch .LBB150_1425
.LBB150_1399:
	s_mov_b64 s[30:31], -1
	s_mov_b64 s[20:21], 0
	s_mov_b64 s[10:11], 0
                                        ; implicit-def: $sgpr0_sgpr1
	s_branch .LBB150_1412
.LBB150_1400:
	s_mov_b64 s[30:31], -1
	s_mov_b64 s[20:21], 0
	s_mov_b64 s[10:11], 0
                                        ; implicit-def: $sgpr0_sgpr1
	s_branch .LBB150_1407
.LBB150_1401:
	s_trap 2
	s_mov_b64 s[20:21], 0
	s_or_b64 s[18:19], s[18:19], exec
	s_cbranch_execz .LBB150_1324
	s_branch .LBB150_1325
.LBB150_1402:
	s_mov_b64 s[30:31], -1
	s_mov_b64 s[20:21], 0
	s_mov_b64 s[10:11], 0
                                        ; implicit-def: $sgpr0_sgpr1
	s_branch .LBB150_1404
.LBB150_1403:
	s_mov_b64 s[10:11], -1
                                        ; implicit-def: $sgpr0_sgpr1
	s_mov_b64 s[20:21], 0
.LBB150_1404:
	s_and_b64 vcc, exec, s[30:31]
	s_cbranch_vccz .LBB150_1406
; %bb.1405:
	s_cmp_lg_u32 s15, 44
	s_mov_b64 s[20:21], -1
	s_cselect_b64 s[10:11], -1, 0
	s_or_b64 s[0:1], s[0:1], exec
.LBB150_1406:
	s_mov_b64 s[30:31], 0
.LBB150_1407:
	s_and_b64 vcc, exec, s[30:31]
	s_cbranch_vccz .LBB150_1411
; %bb.1408:
	s_cmp_eq_u32 s15, 29
	s_cbranch_scc0 .LBB150_1410
; %bb.1409:
	global_load_dwordx2 v[3:4], v[0:1], off
	s_mov_b64 s[10:11], 0
	s_mov_b64 s[20:21], -1
	s_mov_b64 s[30:31], 0
	s_waitcnt vmcnt(0)
	v_cmp_ne_u64_e64 s[0:1], 0, v[3:4]
	s_branch .LBB150_1412
.LBB150_1410:
	s_mov_b64 s[10:11], -1
                                        ; implicit-def: $sgpr0_sgpr1
.LBB150_1411:
	s_mov_b64 s[30:31], 0
.LBB150_1412:
	s_and_b64 vcc, exec, s[30:31]
	s_cbranch_vccz .LBB150_1424
; %bb.1413:
	s_cmp_lt_i32 s15, 27
	s_cbranch_scc1 .LBB150_1416
; %bb.1414:
	s_cmp_gt_i32 s15, 27
	s_cbranch_scc0 .LBB150_1417
; %bb.1415:
	global_load_dword v3, v[0:1], off
	s_mov_b64 s[20:21], 0
	s_waitcnt vmcnt(0)
	v_cmp_ne_u32_e64 s[0:1], 0, v3
	s_branch .LBB150_1418
.LBB150_1416:
	s_mov_b64 s[20:21], -1
                                        ; implicit-def: $sgpr0_sgpr1
	s_branch .LBB150_1421
.LBB150_1417:
	s_mov_b64 s[20:21], -1
                                        ; implicit-def: $sgpr0_sgpr1
.LBB150_1418:
	s_andn2_b64 vcc, exec, s[20:21]
	s_cbranch_vccnz .LBB150_1420
; %bb.1419:
	global_load_ushort v3, v[0:1], off
	s_andn2_b64 s[0:1], s[0:1], exec
	s_waitcnt vmcnt(0)
	v_cmp_ne_u16_e32 vcc, 0, v3
	s_and_b64 s[20:21], vcc, exec
	s_or_b64 s[0:1], s[0:1], s[20:21]
.LBB150_1420:
	s_mov_b64 s[20:21], 0
.LBB150_1421:
	s_andn2_b64 vcc, exec, s[20:21]
	s_cbranch_vccnz .LBB150_1423
; %bb.1422:
	global_load_ubyte v3, v[0:1], off
	s_andn2_b64 s[0:1], s[0:1], exec
	s_waitcnt vmcnt(0)
	v_cmp_ne_u16_e32 vcc, 0, v3
	s_and_b64 s[20:21], vcc, exec
	s_or_b64 s[0:1], s[0:1], s[20:21]
.LBB150_1423:
	s_mov_b64 s[20:21], -1
.LBB150_1424:
	s_mov_b64 s[30:31], 0
.LBB150_1425:
	s_and_b64 vcc, exec, s[30:31]
	s_cbranch_vccz .LBB150_1448
; %bb.1426:
	s_cmp_gt_i32 s15, 22
	s_cbranch_scc0 .LBB150_1430
; %bb.1427:
	s_cmp_lt_i32 s15, 24
	s_cbranch_scc1 .LBB150_1431
; %bb.1428:
	s_cmp_gt_i32 s15, 24
	s_cbranch_scc0 .LBB150_1432
; %bb.1429:
	global_load_ubyte v3, v[0:1], off
	s_mov_b64 s[20:21], 0
	s_waitcnt vmcnt(0)
	v_cmp_ne_u16_e64 s[0:1], 0, v3
	s_branch .LBB150_1433
.LBB150_1430:
	s_mov_b64 s[28:29], -1
                                        ; implicit-def: $sgpr0_sgpr1
	s_branch .LBB150_1439
.LBB150_1431:
	s_mov_b64 s[20:21], -1
                                        ; implicit-def: $sgpr0_sgpr1
	s_branch .LBB150_1436
.LBB150_1432:
	s_mov_b64 s[20:21], -1
                                        ; implicit-def: $sgpr0_sgpr1
.LBB150_1433:
	s_andn2_b64 vcc, exec, s[20:21]
	s_cbranch_vccnz .LBB150_1435
; %bb.1434:
	global_load_ubyte v3, v[0:1], off
	s_andn2_b64 s[0:1], s[0:1], exec
	s_waitcnt vmcnt(0)
	v_and_b32_e32 v3, 0x7f, v3
	v_cmp_ne_u16_e32 vcc, 0, v3
	s_and_b64 s[20:21], vcc, exec
	s_or_b64 s[0:1], s[0:1], s[20:21]
.LBB150_1435:
	s_mov_b64 s[20:21], 0
.LBB150_1436:
	s_andn2_b64 vcc, exec, s[20:21]
	s_cbranch_vccnz .LBB150_1438
; %bb.1437:
	global_load_ubyte v3, v[0:1], off
	s_movk_i32 s2, 0x7f00
	s_brev_b32 s13, 16
	s_andn2_b64 s[0:1], s[0:1], exec
	s_waitcnt vmcnt(0)
	v_lshlrev_b32_e32 v4, 8, v3
	v_lshlrev_b32_e32 v3, 25, v3
	v_lshrrev_b32_e32 v5, 4, v3
	v_and_or_b32 v4, v4, s2, 0.5
	v_or_b32_e32 v5, 0x70000000, v5
	v_add_f32_e32 v4, -0.5, v4
	v_mul_f32_e32 v5, 0x7800000, v5
	v_cmp_gt_u32_e32 vcc, s13, v3
	v_cndmask_b32_e32 v3, v5, v4, vcc
	v_cmp_neq_f32_e32 vcc, 0, v3
	s_and_b64 s[20:21], vcc, exec
	s_or_b64 s[0:1], s[0:1], s[20:21]
.LBB150_1438:
	s_mov_b64 s[20:21], -1
.LBB150_1439:
	s_andn2_b64 vcc, exec, s[28:29]
	s_mov_b64 s[28:29], 0
	s_cbranch_vccnz .LBB150_1448
; %bb.1440:
	s_cmp_gt_i32 s15, 14
	s_cbranch_scc0 .LBB150_1443
; %bb.1441:
	s_cmp_eq_u32 s15, 15
	s_cbranch_scc0 .LBB150_1444
; %bb.1442:
	global_load_ushort v3, v[0:1], off
	s_mov_b64 s[10:11], 0
	s_mov_b64 s[20:21], -1
	s_waitcnt vmcnt(0)
	v_and_b32_e32 v3, 0x7fff, v3
	v_cmp_ne_u16_e64 s[0:1], 0, v3
	s_branch .LBB150_1445
.LBB150_1443:
	s_mov_b64 s[30:31], -1
                                        ; implicit-def: $sgpr0_sgpr1
	s_branch .LBB150_1446
.LBB150_1444:
	s_mov_b64 s[10:11], -1
                                        ; implicit-def: $sgpr0_sgpr1
.LBB150_1445:
	s_mov_b64 s[30:31], 0
.LBB150_1446:
	s_and_b64 vcc, exec, s[30:31]
	s_cbranch_vccz .LBB150_1448
; %bb.1447:
	s_cmp_lg_u32 s15, 11
	s_mov_b64 s[28:29], -1
	s_cselect_b64 s[10:11], -1, 0
.LBB150_1448:
	s_and_b64 vcc, exec, s[10:11]
	s_cbranch_vccnz .LBB150_2000
; %bb.1449:
	s_andn2_b64 vcc, exec, s[28:29]
	s_cbranch_vccnz .LBB150_1451
.LBB150_1450:
	global_load_ubyte v3, v[0:1], off
	s_andn2_b64 s[0:1], s[0:1], exec
	s_mov_b64 s[20:21], -1
	s_waitcnt vmcnt(0)
	v_cmp_ne_u16_e32 vcc, 0, v3
	s_and_b64 s[10:11], vcc, exec
	s_or_b64 s[0:1], s[0:1], s[10:11]
.LBB150_1451:
	s_mov_b64 s[10:11], 0
.LBB150_1452:
	s_and_b64 vcc, exec, s[10:11]
	s_cbranch_vccz .LBB150_1501
; %bb.1453:
	s_cmp_lt_i32 s15, 5
	s_cbranch_scc1 .LBB150_1458
; %bb.1454:
	s_cmp_lt_i32 s15, 8
	s_cbranch_scc1 .LBB150_1459
	;; [unrolled: 3-line block ×3, first 2 shown]
; %bb.1456:
	s_cmp_gt_i32 s15, 9
	s_cbranch_scc0 .LBB150_1461
; %bb.1457:
	global_load_dwordx4 v[3:6], v[0:1], off
	s_mov_b64 s[10:11], 0
	s_waitcnt vmcnt(0)
	v_cmp_neq_f64_e32 vcc, 0, v[3:4]
	v_cmp_neq_f64_e64 s[0:1], 0, v[5:6]
	s_or_b64 s[0:1], vcc, s[0:1]
	s_branch .LBB150_1462
.LBB150_1458:
	s_mov_b64 s[10:11], -1
                                        ; implicit-def: $sgpr0_sgpr1
	s_branch .LBB150_1480
.LBB150_1459:
	s_mov_b64 s[10:11], -1
                                        ; implicit-def: $sgpr0_sgpr1
	s_branch .LBB150_1468
.LBB150_1460:
	s_mov_b64 s[10:11], -1
                                        ; implicit-def: $sgpr0_sgpr1
	s_branch .LBB150_1465
.LBB150_1461:
	s_mov_b64 s[10:11], -1
                                        ; implicit-def: $sgpr0_sgpr1
.LBB150_1462:
	s_andn2_b64 vcc, exec, s[10:11]
	s_cbranch_vccnz .LBB150_1464
; %bb.1463:
	global_load_dwordx2 v[3:4], v[0:1], off
	s_andn2_b64 s[0:1], s[0:1], exec
	s_waitcnt vmcnt(0)
	v_or_b32_e32 v3, v3, v4
	v_and_b32_e32 v3, 0x7fffffff, v3
	v_cmp_ne_u32_e32 vcc, 0, v3
	s_and_b64 s[10:11], vcc, exec
	s_or_b64 s[0:1], s[0:1], s[10:11]
.LBB150_1464:
	s_mov_b64 s[10:11], 0
.LBB150_1465:
	s_andn2_b64 vcc, exec, s[10:11]
	s_cbranch_vccnz .LBB150_1467
; %bb.1466:
	global_load_dword v3, v[0:1], off
	s_andn2_b64 s[0:1], s[0:1], exec
	s_waitcnt vmcnt(0)
	v_and_b32_e32 v3, 0x7fff7fff, v3
	v_cmp_ne_u32_e32 vcc, 0, v3
	s_and_b64 s[10:11], vcc, exec
	s_or_b64 s[0:1], s[0:1], s[10:11]
.LBB150_1467:
	s_mov_b64 s[10:11], 0
.LBB150_1468:
	s_andn2_b64 vcc, exec, s[10:11]
	s_cbranch_vccnz .LBB150_1479
; %bb.1469:
	s_cmp_lt_i32 s15, 6
	s_cbranch_scc1 .LBB150_1472
; %bb.1470:
	s_cmp_gt_i32 s15, 6
	s_cbranch_scc0 .LBB150_1473
; %bb.1471:
	global_load_dwordx2 v[3:4], v[0:1], off
	s_mov_b64 s[10:11], 0
	s_waitcnt vmcnt(0)
	v_cmp_neq_f64_e64 s[0:1], 0, v[3:4]
	s_branch .LBB150_1474
.LBB150_1472:
	s_mov_b64 s[10:11], -1
                                        ; implicit-def: $sgpr0_sgpr1
	s_branch .LBB150_1477
.LBB150_1473:
	s_mov_b64 s[10:11], -1
                                        ; implicit-def: $sgpr0_sgpr1
.LBB150_1474:
	s_andn2_b64 vcc, exec, s[10:11]
	s_cbranch_vccnz .LBB150_1476
; %bb.1475:
	global_load_dword v3, v[0:1], off
	s_andn2_b64 s[0:1], s[0:1], exec
	s_waitcnt vmcnt(0)
	v_cmp_neq_f32_e32 vcc, 0, v3
	s_and_b64 s[10:11], vcc, exec
	s_or_b64 s[0:1], s[0:1], s[10:11]
.LBB150_1476:
	s_mov_b64 s[10:11], 0
.LBB150_1477:
	s_andn2_b64 vcc, exec, s[10:11]
	s_cbranch_vccnz .LBB150_1479
; %bb.1478:
	global_load_ushort v3, v[0:1], off
	s_andn2_b64 s[0:1], s[0:1], exec
	s_waitcnt vmcnt(0)
	v_and_b32_e32 v3, 0x7fff, v3
	v_cmp_ne_u16_e32 vcc, 0, v3
	s_and_b64 s[10:11], vcc, exec
	s_or_b64 s[0:1], s[0:1], s[10:11]
.LBB150_1479:
	s_mov_b64 s[10:11], 0
.LBB150_1480:
	s_andn2_b64 vcc, exec, s[10:11]
	s_cbranch_vccnz .LBB150_1500
; %bb.1481:
	s_cmp_lt_i32 s15, 2
	s_cbranch_scc1 .LBB150_1485
; %bb.1482:
	s_cmp_lt_i32 s15, 3
	s_cbranch_scc1 .LBB150_1486
; %bb.1483:
	s_cmp_gt_i32 s15, 3
	s_cbranch_scc0 .LBB150_1487
; %bb.1484:
	global_load_dwordx2 v[3:4], v[0:1], off
	s_mov_b64 s[10:11], 0
	s_waitcnt vmcnt(0)
	v_cmp_ne_u64_e64 s[0:1], 0, v[3:4]
	s_branch .LBB150_1488
.LBB150_1485:
	s_mov_b64 s[10:11], -1
                                        ; implicit-def: $sgpr0_sgpr1
	s_branch .LBB150_1494
.LBB150_1486:
	s_mov_b64 s[10:11], -1
                                        ; implicit-def: $sgpr0_sgpr1
	s_branch .LBB150_1491
.LBB150_1487:
	s_mov_b64 s[10:11], -1
                                        ; implicit-def: $sgpr0_sgpr1
.LBB150_1488:
	s_andn2_b64 vcc, exec, s[10:11]
	s_cbranch_vccnz .LBB150_1490
; %bb.1489:
	global_load_dword v3, v[0:1], off
	s_andn2_b64 s[0:1], s[0:1], exec
	s_waitcnt vmcnt(0)
	v_cmp_ne_u32_e32 vcc, 0, v3
	s_and_b64 s[10:11], vcc, exec
	s_or_b64 s[0:1], s[0:1], s[10:11]
.LBB150_1490:
	s_mov_b64 s[10:11], 0
.LBB150_1491:
	s_andn2_b64 vcc, exec, s[10:11]
	s_cbranch_vccnz .LBB150_1493
; %bb.1492:
	global_load_ushort v3, v[0:1], off
	s_andn2_b64 s[0:1], s[0:1], exec
	s_waitcnt vmcnt(0)
	v_cmp_ne_u16_e32 vcc, 0, v3
	s_and_b64 s[10:11], vcc, exec
	s_or_b64 s[0:1], s[0:1], s[10:11]
.LBB150_1493:
	s_mov_b64 s[10:11], 0
.LBB150_1494:
	s_andn2_b64 vcc, exec, s[10:11]
	s_cbranch_vccnz .LBB150_1500
; %bb.1495:
	s_cmp_gt_i32 s15, 0
	s_cbranch_scc0 .LBB150_1497
; %bb.1496:
	global_load_ubyte v3, v[0:1], off
	s_mov_b64 s[10:11], 0
	s_waitcnt vmcnt(0)
	v_cmp_ne_u16_e64 s[0:1], 0, v3
	s_branch .LBB150_1498
.LBB150_1497:
	s_mov_b64 s[10:11], -1
                                        ; implicit-def: $sgpr0_sgpr1
.LBB150_1498:
	s_andn2_b64 vcc, exec, s[10:11]
	s_cbranch_vccnz .LBB150_1500
; %bb.1499:
	global_load_ubyte v0, v[0:1], off
	s_andn2_b64 s[0:1], s[0:1], exec
	s_waitcnt vmcnt(0)
	v_cmp_ne_u16_e32 vcc, 0, v0
	s_and_b64 s[10:11], vcc, exec
	s_or_b64 s[0:1], s[0:1], s[10:11]
.LBB150_1500:
	s_mov_b64 s[20:21], -1
.LBB150_1501:
	s_andn2_b64 vcc, exec, s[20:21]
	s_cbranch_vccnz .LBB150_1506
; %bb.1502:
	s_cmp_lt_i32 s14, 1
	s_mov_b64 s[10:11], 0
	s_cbranch_scc1 .LBB150_1552
; %bb.1503:
	s_cmp_gt_i32 s14, 1
	s_cbranch_scc0 .LBB150_1553
; %bb.1504:
	s_cmp_eq_u32 s14, 2
	s_cbranch_scc0 .LBB150_1554
; %bb.1505:
	s_xor_b64 s[20:21], s[0:1], -1
	s_or_b64 s[20:21], s[26:27], s[20:21]
	s_mov_b64 s[28:29], 0
	s_branch .LBB150_1555
.LBB150_1506:
	s_mov_b64 s[0:1], 0
                                        ; implicit-def: $sgpr20_sgpr21
.LBB150_1507:
	s_mov_b64 s[2:3], 0
                                        ; implicit-def: $sgpr28
                                        ; implicit-def: $vgpr0_vgpr1
.LBB150_1508:
	s_and_b64 s[4:5], s[2:3], exec
	s_andn2_b64 s[2:3], s[16:17], exec
	s_and_b64 s[8:9], s[18:19], exec
	s_and_b64 s[0:1], s[0:1], exec
	s_or_b64 s[16:17], s[2:3], s[8:9]
.LBB150_1509:
	s_or_b64 exec, exec, s[6:7]
	s_and_saveexec_b64 s[2:3], s[16:17]
	s_cbranch_execz .LBB150_1512
; %bb.1510:
	; divergent unreachable
	s_or_b64 exec, exec, s[2:3]
	s_and_saveexec_b64 s[2:3], s[4:5]
	s_xor_b64 s[2:3], exec, s[2:3]
	s_cbranch_execnz .LBB150_1513
.LBB150_1511:
	s_or_b64 exec, exec, s[2:3]
	s_and_saveexec_b64 s[2:3], s[0:1]
	s_cbranch_execnz .LBB150_1514
	s_branch .LBB150_1551
.LBB150_1512:
	s_or_b64 exec, exec, s[2:3]
	s_and_saveexec_b64 s[2:3], s[4:5]
	s_xor_b64 s[2:3], exec, s[2:3]
	s_cbranch_execz .LBB150_1511
.LBB150_1513:
	v_cndmask_b32_e64 v2, 0, 1, s[20:21]
	global_store_byte v[0:1], v2, off
	s_or_b64 exec, exec, s[2:3]
	s_and_saveexec_b64 s[2:3], s[0:1]
	s_cbranch_execz .LBB150_1551
.LBB150_1514:
	s_sext_i32_i16 s2, s28
	s_cmp_lt_i32 s2, 5
	s_mov_b64 s[0:1], -1
	s_cbranch_scc1 .LBB150_1535
; %bb.1515:
	s_cmp_lt_i32 s2, 8
	s_cbranch_scc1 .LBB150_1525
; %bb.1516:
	s_cmp_lt_i32 s2, 9
	s_cbranch_scc1 .LBB150_1522
; %bb.1517:
	s_cmp_gt_i32 s2, 9
	s_cbranch_scc0 .LBB150_1519
; %bb.1518:
	v_cndmask_b32_e64 v2, 0, 1, s[20:21]
	v_cvt_f64_u32_e32 v[2:3], v2
	v_mov_b32_e32 v4, 0
	v_mov_b32_e32 v5, v4
	s_mov_b64 s[0:1], 0
	global_store_dwordx4 v[0:1], v[2:5], off
.LBB150_1519:
	s_andn2_b64 vcc, exec, s[0:1]
	s_cbranch_vccnz .LBB150_1521
; %bb.1520:
	v_cndmask_b32_e64 v2, 0, 1.0, s[20:21]
	v_mov_b32_e32 v3, 0
	global_store_dwordx2 v[0:1], v[2:3], off
.LBB150_1521:
	s_mov_b64 s[0:1], 0
.LBB150_1522:
	s_andn2_b64 vcc, exec, s[0:1]
	s_cbranch_vccnz .LBB150_1524
; %bb.1523:
	v_cndmask_b32_e64 v2, 0, 1.0, s[20:21]
	v_cvt_f16_f32_e32 v2, v2
	global_store_dword v[0:1], v2, off
.LBB150_1524:
	s_mov_b64 s[0:1], 0
.LBB150_1525:
	s_andn2_b64 vcc, exec, s[0:1]
	s_cbranch_vccnz .LBB150_1534
; %bb.1526:
	s_sext_i32_i16 s2, s28
	s_cmp_lt_i32 s2, 6
	s_mov_b64 s[0:1], -1
	s_cbranch_scc1 .LBB150_1532
; %bb.1527:
	s_cmp_gt_i32 s2, 6
	s_cbranch_scc0 .LBB150_1529
; %bb.1528:
	v_cndmask_b32_e64 v2, 0, 1, s[20:21]
	v_cvt_f64_u32_e32 v[2:3], v2
	s_mov_b64 s[0:1], 0
	global_store_dwordx2 v[0:1], v[2:3], off
.LBB150_1529:
	s_andn2_b64 vcc, exec, s[0:1]
	s_cbranch_vccnz .LBB150_1531
; %bb.1530:
	v_cndmask_b32_e64 v2, 0, 1.0, s[20:21]
	global_store_dword v[0:1], v2, off
.LBB150_1531:
	s_mov_b64 s[0:1], 0
.LBB150_1532:
	s_andn2_b64 vcc, exec, s[0:1]
	s_cbranch_vccnz .LBB150_1534
; %bb.1533:
	v_cndmask_b32_e64 v2, 0, 1.0, s[20:21]
	v_cvt_f16_f32_e32 v2, v2
	global_store_short v[0:1], v2, off
.LBB150_1534:
	s_mov_b64 s[0:1], 0
.LBB150_1535:
	s_andn2_b64 vcc, exec, s[0:1]
	s_cbranch_vccnz .LBB150_1551
; %bb.1536:
	s_sext_i32_i16 s2, s28
	s_cmp_lt_i32 s2, 2
	s_mov_b64 s[0:1], -1
	s_cbranch_scc1 .LBB150_1546
; %bb.1537:
	s_cmp_lt_i32 s2, 3
	s_cbranch_scc1 .LBB150_1543
; %bb.1538:
	s_cmp_gt_i32 s2, 3
	s_cbranch_scc0 .LBB150_1540
; %bb.1539:
	s_mov_b32 s0, 0
	v_cndmask_b32_e64 v2, 0, 1, s[20:21]
	v_mov_b32_e32 v3, s0
	global_store_dwordx2 v[0:1], v[2:3], off
	s_mov_b64 s[0:1], 0
.LBB150_1540:
	s_andn2_b64 vcc, exec, s[0:1]
	s_cbranch_vccnz .LBB150_1542
; %bb.1541:
	v_cndmask_b32_e64 v2, 0, 1, s[20:21]
	global_store_dword v[0:1], v2, off
.LBB150_1542:
	s_mov_b64 s[0:1], 0
.LBB150_1543:
	s_andn2_b64 vcc, exec, s[0:1]
	s_cbranch_vccnz .LBB150_1545
; %bb.1544:
	v_cndmask_b32_e64 v2, 0, 1, s[20:21]
	global_store_short v[0:1], v2, off
.LBB150_1545:
	s_mov_b64 s[0:1], 0
.LBB150_1546:
	s_andn2_b64 vcc, exec, s[0:1]
	s_cbranch_vccnz .LBB150_1551
; %bb.1547:
	s_sext_i32_i16 s2, s28
	s_mov_b64 s[0:1], -1
	s_cmp_gt_i32 s2, 0
	v_cndmask_b32_e64 v2, 0, 1, s[20:21]
	s_cbranch_scc0 .LBB150_1549
; %bb.1548:
	global_store_byte v[0:1], v2, off
	s_mov_b64 s[0:1], 0
.LBB150_1549:
	s_andn2_b64 vcc, exec, s[0:1]
	s_cbranch_vccnz .LBB150_1551
; %bb.1550:
	global_store_byte v[0:1], v2, off
	s_endpgm
.LBB150_1551:
	s_endpgm
.LBB150_1552:
	s_mov_b64 s[30:31], -1
                                        ; implicit-def: $sgpr20_sgpr21
	s_mov_b64 s[28:29], 0
	s_branch .LBB150_1559
.LBB150_1553:
	s_mov_b64 s[30:31], -1
	s_mov_b64 s[28:29], 0
                                        ; implicit-def: $sgpr20_sgpr21
	s_branch .LBB150_1556
.LBB150_1554:
	s_mov_b64 s[28:29], -1
                                        ; implicit-def: $sgpr20_sgpr21
.LBB150_1555:
	s_mov_b64 s[30:31], 0
.LBB150_1556:
	s_and_b64 vcc, exec, s[30:31]
	s_cbranch_vccz .LBB150_1558
; %bb.1557:
	s_xor_b64 s[30:31], s[26:27], -1
	s_and_b64 s[30:31], s[0:1], s[30:31]
	s_andn2_b64 s[20:21], s[20:21], exec
	s_and_b64 s[30:31], s[30:31], exec
	s_or_b64 s[20:21], s[20:21], s[30:31]
.LBB150_1558:
	s_mov_b64 s[30:31], 0
.LBB150_1559:
	s_and_b64 vcc, exec, s[30:31]
	s_cbranch_vccz .LBB150_1641
; %bb.1560:
	s_cmp_lg_u32 s14, 0
	s_mov_b64 s[10:11], -1
	s_cselect_b64 s[28:29], -1, 0
	s_andn2_b64 vcc, exec, s[28:29]
	s_cbranch_vccz .LBB150_1642
.LBB150_1561:
	s_andn2_b64 vcc, exec, s[10:11]
	s_cbranch_vccnz .LBB150_1563
.LBB150_1562:
	s_xor_b64 s[10:11], s[26:27], -1
	s_or_b64 s[0:1], s[0:1], s[10:11]
	s_andn2_b64 s[10:11], s[20:21], exec
	s_and_b64 s[0:1], s[0:1], exec
	s_or_b64 s[20:21], s[10:11], s[0:1]
.LBB150_1563:
	v_mul_lo_u32 v2, s12, v2
	v_mov_b32_e32 v1, s9
	s_and_b32 s28, s3, 0xff
	s_cmp_lt_i32 s28, 11
	v_ashrrev_i32_e32 v3, 31, v2
	v_add_co_u32_e32 v0, vcc, s8, v2
	v_addc_co_u32_e32 v1, vcc, v1, v3, vcc
	s_cbranch_scc1 .LBB150_1643
; %bb.1564:
	s_and_b32 s13, 0xffff, s28
	s_mov_b64 s[14:15], -1
	s_mov_b64 s[2:3], 0
	s_cmp_gt_i32 s13, 25
	s_mov_b64 s[10:11], 0
	s_mov_b64 s[0:1], 0
	s_cbranch_scc0 .LBB150_1597
; %bb.1565:
	s_cmp_gt_i32 s13, 28
	s_cbranch_scc0 .LBB150_1580
; %bb.1566:
	s_cmp_gt_i32 s13, 43
	;; [unrolled: 3-line block ×3, first 2 shown]
	s_cbranch_scc0 .LBB150_1570
; %bb.1568:
	s_mov_b64 s[0:1], -1
	s_mov_b64 s[14:15], 0
	s_cmp_eq_u32 s13, 46
	s_cbranch_scc0 .LBB150_1570
; %bb.1569:
	v_cndmask_b32_e64 v3, 0, 1.0, s[24:25]
	v_bfe_u32 v4, v3, 16, 1
	s_movk_i32 s0, 0x7fff
	v_add3_u32 v3, v3, v4, s0
	v_lshrrev_b32_e32 v3, 16, v3
	global_store_dword v[0:1], v3, off
	s_mov_b64 s[0:1], 0
	s_mov_b64 s[10:11], -1
.LBB150_1570:
	s_and_b64 vcc, exec, s[14:15]
	s_cbranch_vccz .LBB150_1575
; %bb.1571:
	s_cmp_eq_u32 s13, 44
	s_mov_b64 s[0:1], -1
	s_cbranch_scc0 .LBB150_1575
; %bb.1572:
	v_cndmask_b32_e64 v4, 0, 1.0, s[24:25]
	v_lshrrev_b32_e32 v3, 23, v4
	s_movk_i32 s0, 0xff
	v_cmp_ne_u32_e32 vcc, s0, v3
	v_mov_b32_e32 v5, 0xff
	s_and_saveexec_b64 s[10:11], vcc
; %bb.1573:
	s_mov_b32 s0, 0x3fffff
	v_and_b32_e32 v5, 0x400000, v4
	v_and_or_b32 v4, v4, s0, v3
	v_cmp_ne_u32_e32 vcc, 0, v5
	v_cmp_ne_u32_e64 s[0:1], 0, v4
	s_and_b64 s[0:1], vcc, s[0:1]
	v_cndmask_b32_e64 v4, 0, 1, s[0:1]
	v_add_u32_e32 v5, v3, v4
; %bb.1574:
	s_or_b64 exec, exec, s[10:11]
	s_mov_b64 s[0:1], 0
	s_mov_b64 s[10:11], -1
	global_store_byte v[0:1], v5, off
.LBB150_1575:
	s_mov_b64 s[14:15], 0
.LBB150_1576:
	s_and_b64 vcc, exec, s[14:15]
	s_cbranch_vccz .LBB150_1579
; %bb.1577:
	s_cmp_eq_u32 s13, 29
	s_mov_b64 s[0:1], -1
	s_cbranch_scc0 .LBB150_1579
; %bb.1578:
	s_mov_b32 s0, 0
	v_cndmask_b32_e64 v3, 0, 1, s[24:25]
	v_mov_b32_e32 v4, s0
	global_store_dwordx2 v[0:1], v[3:4], off
	s_mov_b64 s[0:1], 0
	s_mov_b64 s[10:11], -1
.LBB150_1579:
	s_mov_b64 s[14:15], 0
.LBB150_1580:
	s_and_b64 vcc, exec, s[14:15]
	s_cbranch_vccz .LBB150_1596
; %bb.1581:
	s_cmp_lt_i32 s13, 27
	s_mov_b64 s[10:11], -1
	s_cbranch_scc1 .LBB150_1587
; %bb.1582:
	s_cmp_gt_i32 s13, 27
	s_cbranch_scc0 .LBB150_1584
; %bb.1583:
	v_cndmask_b32_e64 v3, 0, 1, s[24:25]
	s_mov_b64 s[10:11], 0
	global_store_dword v[0:1], v3, off
.LBB150_1584:
	s_andn2_b64 vcc, exec, s[10:11]
	s_cbranch_vccnz .LBB150_1586
; %bb.1585:
	v_cndmask_b32_e64 v3, 0, 1, s[24:25]
	global_store_short v[0:1], v3, off
.LBB150_1586:
	s_mov_b64 s[10:11], 0
.LBB150_1587:
	s_andn2_b64 vcc, exec, s[10:11]
	s_cbranch_vccnz .LBB150_1595
; %bb.1588:
	v_cndmask_b32_e64 v4, 0, 1.0, s[24:25]
	s_mov_b32 s10, 0x43800000
	v_cmp_gt_u32_e32 vcc, s10, v4
	v_mov_b32_e32 v5, 0x80
	s_and_saveexec_b64 s[10:11], vcc
	s_cbranch_execz .LBB150_1594
; %bb.1589:
	s_mov_b32 s14, 0x3bffffff
	v_cmp_lt_u32_e32 vcc, s14, v4
	s_mov_b64 s[14:15], 0
                                        ; implicit-def: $vgpr3
	s_and_saveexec_b64 s[26:27], vcc
	s_xor_b64 s[26:27], exec, s[26:27]
	s_cbranch_execz .LBB150_2001
; %bb.1590:
	v_bfe_u32 v3, v4, 20, 1
	s_mov_b32 s29, 0x487ffff
	v_add3_u32 v3, v4, v3, s29
	s_mov_b64 s[14:15], exec
	v_lshrrev_b32_e32 v3, 20, v3
                                        ; implicit-def: $vgpr4
	s_andn2_saveexec_b64 s[26:27], s[26:27]
	s_cbranch_execnz .LBB150_2002
.LBB150_1591:
	s_or_b64 exec, exec, s[26:27]
	v_mov_b32_e32 v5, 0
	s_and_saveexec_b64 s[26:27], s[14:15]
.LBB150_1592:
	v_mov_b32_e32 v5, v3
.LBB150_1593:
	s_or_b64 exec, exec, s[26:27]
.LBB150_1594:
	s_or_b64 exec, exec, s[10:11]
	global_store_byte v[0:1], v5, off
.LBB150_1595:
	s_mov_b64 s[10:11], -1
.LBB150_1596:
	s_mov_b64 s[14:15], 0
.LBB150_1597:
	s_and_b64 vcc, exec, s[14:15]
	s_cbranch_vccz .LBB150_1637
; %bb.1598:
	s_cmp_gt_i32 s13, 22
	s_mov_b64 s[2:3], -1
	s_cbranch_scc0 .LBB150_1630
; %bb.1599:
	s_cmp_lt_i32 s13, 24
	s_cbranch_scc1 .LBB150_1619
; %bb.1600:
	s_cmp_gt_i32 s13, 24
	s_cbranch_scc0 .LBB150_1608
; %bb.1601:
	v_cndmask_b32_e64 v4, 0, 1.0, s[24:25]
	s_mov_b32 s2, 0x47800000
	v_cmp_gt_u32_e32 vcc, s2, v4
	v_mov_b32_e32 v5, 0x80
	s_and_saveexec_b64 s[2:3], vcc
	s_cbranch_execz .LBB150_1607
; %bb.1602:
	s_mov_b32 s10, 0x37ffffff
	v_cmp_lt_u32_e32 vcc, s10, v4
	s_mov_b64 s[10:11], 0
                                        ; implicit-def: $vgpr3
	s_and_saveexec_b64 s[14:15], vcc
	s_xor_b64 s[14:15], exec, s[14:15]
	s_cbranch_execz .LBB150_2004
; %bb.1603:
	v_bfe_u32 v3, v4, 21, 1
	s_mov_b32 s26, 0x88fffff
	v_add3_u32 v3, v4, v3, s26
	s_mov_b64 s[10:11], exec
	v_lshrrev_b32_e32 v3, 21, v3
                                        ; implicit-def: $vgpr4
	s_andn2_saveexec_b64 s[14:15], s[14:15]
	s_cbranch_execnz .LBB150_2005
.LBB150_1604:
	s_or_b64 exec, exec, s[14:15]
	v_mov_b32_e32 v5, 0
	s_and_saveexec_b64 s[14:15], s[10:11]
.LBB150_1605:
	v_mov_b32_e32 v5, v3
.LBB150_1606:
	s_or_b64 exec, exec, s[14:15]
.LBB150_1607:
	s_or_b64 exec, exec, s[2:3]
	s_mov_b64 s[2:3], 0
	global_store_byte v[0:1], v5, off
.LBB150_1608:
	s_and_b64 vcc, exec, s[2:3]
	s_cbranch_vccz .LBB150_1618
; %bb.1609:
	v_cndmask_b32_e64 v3, 0, 1.0, s[24:25]
	s_mov_b32 s2, 0x43f00000
	v_cmp_gt_u32_e32 vcc, s2, v3
                                        ; implicit-def: $vgpr4
	s_and_saveexec_b64 s[2:3], vcc
	s_xor_b64 s[2:3], exec, s[2:3]
	s_cbranch_execz .LBB150_1615
; %bb.1610:
	s_mov_b32 s10, 0x3c7fffff
	v_cmp_lt_u32_e32 vcc, s10, v3
                                        ; implicit-def: $vgpr4
	s_and_saveexec_b64 s[10:11], vcc
	s_xor_b64 s[10:11], exec, s[10:11]
; %bb.1611:
	v_bfe_u32 v4, v3, 20, 1
	s_mov_b32 s14, 0x407ffff
	v_add3_u32 v3, v3, v4, s14
	v_lshrrev_b32_e32 v4, 20, v3
	v_and_b32_e32 v3, 0xff00000, v3
	s_mov_b32 s14, 0x7f00000
	v_mov_b32_e32 v5, 0x7e
	v_cmp_ne_u32_e32 vcc, s14, v3
	v_cndmask_b32_e32 v4, v5, v4, vcc
                                        ; implicit-def: $vgpr3
; %bb.1612:
	s_andn2_saveexec_b64 s[10:11], s[10:11]
; %bb.1613:
	v_add_f32_e32 v4, 0x46800000, v3
; %bb.1614:
	s_or_b64 exec, exec, s[10:11]
                                        ; implicit-def: $vgpr3
.LBB150_1615:
	s_andn2_saveexec_b64 s[2:3], s[2:3]
; %bb.1616:
	s_mov_b32 s10, 0x7f800000
	v_mov_b32_e32 v4, 0x7e
	v_mov_b32_e32 v5, 0x7f
	v_cmp_lt_u32_e32 vcc, s10, v3
	v_cndmask_b32_e32 v4, v4, v5, vcc
; %bb.1617:
	s_or_b64 exec, exec, s[2:3]
	global_store_byte v[0:1], v4, off
.LBB150_1618:
	s_mov_b64 s[2:3], 0
.LBB150_1619:
	s_andn2_b64 vcc, exec, s[2:3]
	s_cbranch_vccnz .LBB150_1629
; %bb.1620:
	v_cndmask_b32_e64 v3, 0, 1.0, s[24:25]
	s_mov_b32 s2, 0x47800000
	v_cmp_gt_u32_e32 vcc, s2, v3
                                        ; implicit-def: $vgpr4
	s_and_saveexec_b64 s[2:3], vcc
	s_xor_b64 s[2:3], exec, s[2:3]
	s_cbranch_execz .LBB150_1626
; %bb.1621:
	s_mov_b32 s10, 0x387fffff
	v_cmp_lt_u32_e32 vcc, s10, v3
                                        ; implicit-def: $vgpr4
	s_and_saveexec_b64 s[10:11], vcc
	s_xor_b64 s[10:11], exec, s[10:11]
; %bb.1622:
	v_bfe_u32 v4, v3, 21, 1
	s_mov_b32 s14, 0x80fffff
	v_add3_u32 v3, v3, v4, s14
	v_lshrrev_b32_e32 v4, 21, v3
                                        ; implicit-def: $vgpr3
; %bb.1623:
	s_andn2_saveexec_b64 s[10:11], s[10:11]
; %bb.1624:
	v_add_f32_e32 v4, 0x43000000, v3
; %bb.1625:
	s_or_b64 exec, exec, s[10:11]
                                        ; implicit-def: $vgpr3
.LBB150_1626:
	s_andn2_saveexec_b64 s[2:3], s[2:3]
; %bb.1627:
	s_mov_b32 s10, 0x7f800000
	v_mov_b32_e32 v4, 0x7c
	v_mov_b32_e32 v5, 0x7f
	v_cmp_lt_u32_e32 vcc, s10, v3
	v_cndmask_b32_e32 v4, v4, v5, vcc
; %bb.1628:
	s_or_b64 exec, exec, s[2:3]
	global_store_byte v[0:1], v4, off
.LBB150_1629:
	s_mov_b64 s[2:3], 0
	s_mov_b64 s[10:11], -1
.LBB150_1630:
	s_andn2_b64 vcc, exec, s[2:3]
	s_mov_b64 s[2:3], 0
	s_cbranch_vccnz .LBB150_1637
; %bb.1631:
	s_cmp_gt_i32 s13, 14
	s_mov_b64 s[14:15], -1
	s_cbranch_scc0 .LBB150_1635
; %bb.1632:
	s_cmp_eq_u32 s13, 15
	s_mov_b64 s[0:1], -1
	s_cbranch_scc0 .LBB150_1634
; %bb.1633:
	v_cndmask_b32_e64 v3, 0, 1.0, s[24:25]
	v_bfe_u32 v4, v3, 16, 1
	s_movk_i32 s0, 0x7fff
	v_add3_u32 v3, v3, v4, s0
	global_store_short_d16_hi v[0:1], v3, off
	s_mov_b64 s[0:1], 0
	s_mov_b64 s[10:11], -1
.LBB150_1634:
	s_mov_b64 s[14:15], 0
.LBB150_1635:
	s_and_b64 vcc, exec, s[14:15]
	s_cbranch_vccz .LBB150_1637
; %bb.1636:
	s_cmp_lg_u32 s13, 11
	s_mov_b64 s[2:3], -1
	s_cselect_b64 s[0:1], -1, 0
.LBB150_1637:
	s_and_b64 vcc, exec, s[0:1]
	s_cbranch_vccnz .LBB150_2003
; %bb.1638:
	s_andn2_b64 vcc, exec, s[2:3]
	s_cbranch_vccnz .LBB150_1640
.LBB150_1639:
	v_cndmask_b32_e64 v3, 0, 1, s[24:25]
	s_mov_b64 s[10:11], -1
	global_store_byte v[0:1], v3, off
.LBB150_1640:
	s_mov_b64 s[0:1], 0
	s_branch .LBB150_1644
.LBB150_1641:
	s_andn2_b64 vcc, exec, s[28:29]
	s_cbranch_vccnz .LBB150_1561
.LBB150_1642:
	s_xor_b64 s[10:11], s[0:1], -1
	s_and_b64 s[14:15], s[26:27], s[10:11]
	s_andn2_b64 s[20:21], s[20:21], exec
	s_and_b64 s[14:15], s[14:15], exec
	s_or_b64 s[20:21], s[20:21], s[14:15]
	s_cbranch_execz .LBB150_1562
	s_branch .LBB150_1563
.LBB150_1643:
	s_mov_b64 s[0:1], -1
	s_mov_b64 s[10:11], 0
.LBB150_1644:
	s_and_b64 vcc, exec, s[0:1]
	s_cbranch_vccz .LBB150_1683
; %bb.1645:
	s_and_b32 s2, 0xffff, s28
	s_cmp_lt_i32 s2, 5
	s_mov_b64 s[0:1], -1
	s_cbranch_scc1 .LBB150_1666
; %bb.1646:
	s_cmp_lt_i32 s2, 8
	s_cbranch_scc1 .LBB150_1656
; %bb.1647:
	s_cmp_lt_i32 s2, 9
	s_cbranch_scc1 .LBB150_1653
; %bb.1648:
	s_cmp_gt_i32 s2, 9
	s_cbranch_scc0 .LBB150_1650
; %bb.1649:
	v_cndmask_b32_e64 v3, 0, 1, s[24:25]
	v_cvt_f64_u32_e32 v[3:4], v3
	v_mov_b32_e32 v5, 0
	v_mov_b32_e32 v6, v5
	s_mov_b64 s[0:1], 0
	global_store_dwordx4 v[0:1], v[3:6], off
.LBB150_1650:
	s_andn2_b64 vcc, exec, s[0:1]
	s_cbranch_vccnz .LBB150_1652
; %bb.1651:
	v_cndmask_b32_e64 v3, 0, 1.0, s[24:25]
	v_mov_b32_e32 v4, 0
	global_store_dwordx2 v[0:1], v[3:4], off
.LBB150_1652:
	s_mov_b64 s[0:1], 0
.LBB150_1653:
	s_andn2_b64 vcc, exec, s[0:1]
	s_cbranch_vccnz .LBB150_1655
; %bb.1654:
	v_cndmask_b32_e64 v3, 0, 1.0, s[24:25]
	v_cvt_f16_f32_e32 v3, v3
	global_store_dword v[0:1], v3, off
.LBB150_1655:
	s_mov_b64 s[0:1], 0
.LBB150_1656:
	s_andn2_b64 vcc, exec, s[0:1]
	s_cbranch_vccnz .LBB150_1665
; %bb.1657:
	s_cmp_lt_i32 s2, 6
	s_mov_b64 s[0:1], -1
	s_cbranch_scc1 .LBB150_1663
; %bb.1658:
	s_cmp_gt_i32 s2, 6
	s_cbranch_scc0 .LBB150_1660
; %bb.1659:
	v_cndmask_b32_e64 v3, 0, 1, s[24:25]
	v_cvt_f64_u32_e32 v[3:4], v3
	s_mov_b64 s[0:1], 0
	global_store_dwordx2 v[0:1], v[3:4], off
.LBB150_1660:
	s_andn2_b64 vcc, exec, s[0:1]
	s_cbranch_vccnz .LBB150_1662
; %bb.1661:
	v_cndmask_b32_e64 v3, 0, 1.0, s[24:25]
	global_store_dword v[0:1], v3, off
.LBB150_1662:
	s_mov_b64 s[0:1], 0
.LBB150_1663:
	s_andn2_b64 vcc, exec, s[0:1]
	s_cbranch_vccnz .LBB150_1665
; %bb.1664:
	v_cndmask_b32_e64 v3, 0, 1.0, s[24:25]
	v_cvt_f16_f32_e32 v3, v3
	global_store_short v[0:1], v3, off
.LBB150_1665:
	s_mov_b64 s[0:1], 0
.LBB150_1666:
	s_andn2_b64 vcc, exec, s[0:1]
	s_cbranch_vccnz .LBB150_1682
; %bb.1667:
	s_cmp_lt_i32 s2, 2
	s_mov_b64 s[0:1], -1
	s_cbranch_scc1 .LBB150_1677
; %bb.1668:
	s_cmp_lt_i32 s2, 3
	s_cbranch_scc1 .LBB150_1674
; %bb.1669:
	s_cmp_gt_i32 s2, 3
	s_cbranch_scc0 .LBB150_1671
; %bb.1670:
	s_mov_b32 s0, 0
	v_cndmask_b32_e64 v3, 0, 1, s[24:25]
	v_mov_b32_e32 v4, s0
	global_store_dwordx2 v[0:1], v[3:4], off
	s_mov_b64 s[0:1], 0
.LBB150_1671:
	s_andn2_b64 vcc, exec, s[0:1]
	s_cbranch_vccnz .LBB150_1673
; %bb.1672:
	v_cndmask_b32_e64 v3, 0, 1, s[24:25]
	global_store_dword v[0:1], v3, off
.LBB150_1673:
	s_mov_b64 s[0:1], 0
.LBB150_1674:
	s_andn2_b64 vcc, exec, s[0:1]
	s_cbranch_vccnz .LBB150_1676
; %bb.1675:
	v_cndmask_b32_e64 v3, 0, 1, s[24:25]
	global_store_short v[0:1], v3, off
.LBB150_1676:
	s_mov_b64 s[0:1], 0
.LBB150_1677:
	s_andn2_b64 vcc, exec, s[0:1]
	s_cbranch_vccnz .LBB150_1682
; %bb.1678:
	s_mov_b64 s[0:1], -1
	s_cmp_gt_i32 s2, 0
	v_cndmask_b32_e64 v3, 0, 1, s[24:25]
	s_cbranch_scc0 .LBB150_1680
; %bb.1679:
	global_store_byte v[0:1], v3, off
	s_mov_b64 s[0:1], 0
.LBB150_1680:
	s_andn2_b64 vcc, exec, s[0:1]
	s_cbranch_vccnz .LBB150_1682
; %bb.1681:
	global_store_byte v[0:1], v3, off
.LBB150_1682:
	s_mov_b64 s[10:11], -1
.LBB150_1683:
	s_andn2_b64 vcc, exec, s[10:11]
	s_cbranch_vccnz .LBB150_1998
; %bb.1684:
	s_lshl_b32 s24, s12, 7
	v_add_u32_e32 v2, s24, v2
	v_ashrrev_i32_e32 v1, 31, v2
	v_mov_b32_e32 v3, s9
	v_add_co_u32_e32 v0, vcc, s8, v2
	s_cmp_lt_i32 s28, 11
	v_addc_co_u32_e32 v1, vcc, v3, v1, vcc
	s_cbranch_scc1 .LBB150_1762
; %bb.1685:
	s_and_b32 s25, 0xffff, s28
	s_mov_b64 s[12:13], -1
	s_mov_b64 s[2:3], 0
	s_cmp_gt_i32 s25, 25
	s_mov_b64 s[10:11], 0
	s_mov_b64 s[0:1], 0
	s_cbranch_scc0 .LBB150_1718
; %bb.1686:
	s_cmp_gt_i32 s25, 28
	s_cbranch_scc0 .LBB150_1701
; %bb.1687:
	s_cmp_gt_i32 s25, 43
	;; [unrolled: 3-line block ×3, first 2 shown]
	s_cbranch_scc0 .LBB150_1691
; %bb.1689:
	s_mov_b64 s[0:1], -1
	s_mov_b64 s[12:13], 0
	s_cmp_eq_u32 s25, 46
	s_cbranch_scc0 .LBB150_1691
; %bb.1690:
	v_cndmask_b32_e64 v3, 0, 1.0, s[22:23]
	v_bfe_u32 v4, v3, 16, 1
	s_movk_i32 s0, 0x7fff
	v_add3_u32 v3, v3, v4, s0
	v_lshrrev_b32_e32 v3, 16, v3
	global_store_dword v[0:1], v3, off
	s_mov_b64 s[0:1], 0
	s_mov_b64 s[10:11], -1
.LBB150_1691:
	s_and_b64 vcc, exec, s[12:13]
	s_cbranch_vccz .LBB150_1696
; %bb.1692:
	s_cmp_eq_u32 s25, 44
	s_mov_b64 s[0:1], -1
	s_cbranch_scc0 .LBB150_1696
; %bb.1693:
	v_cndmask_b32_e64 v4, 0, 1.0, s[22:23]
	v_lshrrev_b32_e32 v3, 23, v4
	s_movk_i32 s0, 0xff
	v_cmp_ne_u32_e32 vcc, s0, v3
	v_mov_b32_e32 v5, 0xff
	s_and_saveexec_b64 s[10:11], vcc
; %bb.1694:
	s_mov_b32 s0, 0x3fffff
	v_and_b32_e32 v5, 0x400000, v4
	v_and_or_b32 v4, v4, s0, v3
	v_cmp_ne_u32_e32 vcc, 0, v5
	v_cmp_ne_u32_e64 s[0:1], 0, v4
	s_and_b64 s[0:1], vcc, s[0:1]
	v_cndmask_b32_e64 v4, 0, 1, s[0:1]
	v_add_u32_e32 v5, v3, v4
; %bb.1695:
	s_or_b64 exec, exec, s[10:11]
	s_mov_b64 s[0:1], 0
	s_mov_b64 s[10:11], -1
	global_store_byte v[0:1], v5, off
.LBB150_1696:
	s_mov_b64 s[12:13], 0
.LBB150_1697:
	s_and_b64 vcc, exec, s[12:13]
	s_cbranch_vccz .LBB150_1700
; %bb.1698:
	s_cmp_eq_u32 s25, 29
	s_mov_b64 s[0:1], -1
	s_cbranch_scc0 .LBB150_1700
; %bb.1699:
	s_mov_b32 s0, 0
	v_cndmask_b32_e64 v3, 0, 1, s[22:23]
	v_mov_b32_e32 v4, s0
	global_store_dwordx2 v[0:1], v[3:4], off
	s_mov_b64 s[0:1], 0
	s_mov_b64 s[10:11], -1
.LBB150_1700:
	s_mov_b64 s[12:13], 0
.LBB150_1701:
	s_and_b64 vcc, exec, s[12:13]
	s_cbranch_vccz .LBB150_1717
; %bb.1702:
	s_cmp_lt_i32 s25, 27
	s_mov_b64 s[10:11], -1
	s_cbranch_scc1 .LBB150_1708
; %bb.1703:
	s_cmp_gt_i32 s25, 27
	s_cbranch_scc0 .LBB150_1705
; %bb.1704:
	v_cndmask_b32_e64 v3, 0, 1, s[22:23]
	s_mov_b64 s[10:11], 0
	global_store_dword v[0:1], v3, off
.LBB150_1705:
	s_andn2_b64 vcc, exec, s[10:11]
	s_cbranch_vccnz .LBB150_1707
; %bb.1706:
	v_cndmask_b32_e64 v3, 0, 1, s[22:23]
	global_store_short v[0:1], v3, off
.LBB150_1707:
	s_mov_b64 s[10:11], 0
.LBB150_1708:
	s_andn2_b64 vcc, exec, s[10:11]
	s_cbranch_vccnz .LBB150_1716
; %bb.1709:
	v_cndmask_b32_e64 v4, 0, 1.0, s[22:23]
	s_mov_b32 s10, 0x43800000
	v_cmp_gt_u32_e32 vcc, s10, v4
	v_mov_b32_e32 v5, 0x80
	s_and_saveexec_b64 s[10:11], vcc
	s_cbranch_execz .LBB150_1715
; %bb.1710:
	s_mov_b32 s12, 0x3bffffff
	v_cmp_lt_u32_e32 vcc, s12, v4
	s_mov_b64 s[12:13], 0
                                        ; implicit-def: $vgpr3
	s_and_saveexec_b64 s[14:15], vcc
	s_xor_b64 s[14:15], exec, s[14:15]
	s_cbranch_execz .LBB150_2006
; %bb.1711:
	v_bfe_u32 v3, v4, 20, 1
	s_mov_b32 s26, 0x487ffff
	v_add3_u32 v3, v4, v3, s26
	s_mov_b64 s[12:13], exec
	v_lshrrev_b32_e32 v3, 20, v3
                                        ; implicit-def: $vgpr4
	s_andn2_saveexec_b64 s[14:15], s[14:15]
	s_cbranch_execnz .LBB150_2007
.LBB150_1712:
	s_or_b64 exec, exec, s[14:15]
	v_mov_b32_e32 v5, 0
	s_and_saveexec_b64 s[14:15], s[12:13]
.LBB150_1713:
	v_mov_b32_e32 v5, v3
.LBB150_1714:
	s_or_b64 exec, exec, s[14:15]
.LBB150_1715:
	s_or_b64 exec, exec, s[10:11]
	global_store_byte v[0:1], v5, off
.LBB150_1716:
	s_mov_b64 s[10:11], -1
.LBB150_1717:
	s_mov_b64 s[12:13], 0
.LBB150_1718:
	s_and_b64 vcc, exec, s[12:13]
	s_cbranch_vccz .LBB150_1758
; %bb.1719:
	s_cmp_gt_i32 s25, 22
	s_mov_b64 s[2:3], -1
	s_cbranch_scc0 .LBB150_1751
; %bb.1720:
	s_cmp_lt_i32 s25, 24
	s_cbranch_scc1 .LBB150_1740
; %bb.1721:
	s_cmp_gt_i32 s25, 24
	s_cbranch_scc0 .LBB150_1729
; %bb.1722:
	v_cndmask_b32_e64 v4, 0, 1.0, s[22:23]
	s_mov_b32 s2, 0x47800000
	v_cmp_gt_u32_e32 vcc, s2, v4
	v_mov_b32_e32 v5, 0x80
	s_and_saveexec_b64 s[2:3], vcc
	s_cbranch_execz .LBB150_1728
; %bb.1723:
	s_mov_b32 s10, 0x37ffffff
	v_cmp_lt_u32_e32 vcc, s10, v4
	s_mov_b64 s[10:11], 0
                                        ; implicit-def: $vgpr3
	s_and_saveexec_b64 s[12:13], vcc
	s_xor_b64 s[12:13], exec, s[12:13]
	s_cbranch_execz .LBB150_2009
; %bb.1724:
	v_bfe_u32 v3, v4, 21, 1
	s_mov_b32 s14, 0x88fffff
	v_add3_u32 v3, v4, v3, s14
	s_mov_b64 s[10:11], exec
	v_lshrrev_b32_e32 v3, 21, v3
                                        ; implicit-def: $vgpr4
	s_andn2_saveexec_b64 s[12:13], s[12:13]
	s_cbranch_execnz .LBB150_2010
.LBB150_1725:
	s_or_b64 exec, exec, s[12:13]
	v_mov_b32_e32 v5, 0
	s_and_saveexec_b64 s[12:13], s[10:11]
.LBB150_1726:
	v_mov_b32_e32 v5, v3
.LBB150_1727:
	s_or_b64 exec, exec, s[12:13]
.LBB150_1728:
	s_or_b64 exec, exec, s[2:3]
	s_mov_b64 s[2:3], 0
	global_store_byte v[0:1], v5, off
.LBB150_1729:
	s_and_b64 vcc, exec, s[2:3]
	s_cbranch_vccz .LBB150_1739
; %bb.1730:
	v_cndmask_b32_e64 v3, 0, 1.0, s[22:23]
	s_mov_b32 s2, 0x43f00000
	v_cmp_gt_u32_e32 vcc, s2, v3
                                        ; implicit-def: $vgpr4
	s_and_saveexec_b64 s[2:3], vcc
	s_xor_b64 s[2:3], exec, s[2:3]
	s_cbranch_execz .LBB150_1736
; %bb.1731:
	s_mov_b32 s10, 0x3c7fffff
	v_cmp_lt_u32_e32 vcc, s10, v3
                                        ; implicit-def: $vgpr4
	s_and_saveexec_b64 s[10:11], vcc
	s_xor_b64 s[10:11], exec, s[10:11]
; %bb.1732:
	v_bfe_u32 v4, v3, 20, 1
	s_mov_b32 s12, 0x407ffff
	v_add3_u32 v3, v3, v4, s12
	v_lshrrev_b32_e32 v4, 20, v3
	v_and_b32_e32 v3, 0xff00000, v3
	s_mov_b32 s12, 0x7f00000
	v_mov_b32_e32 v5, 0x7e
	v_cmp_ne_u32_e32 vcc, s12, v3
	v_cndmask_b32_e32 v4, v5, v4, vcc
                                        ; implicit-def: $vgpr3
; %bb.1733:
	s_andn2_saveexec_b64 s[10:11], s[10:11]
; %bb.1734:
	v_add_f32_e32 v4, 0x46800000, v3
; %bb.1735:
	s_or_b64 exec, exec, s[10:11]
                                        ; implicit-def: $vgpr3
.LBB150_1736:
	s_andn2_saveexec_b64 s[2:3], s[2:3]
; %bb.1737:
	s_mov_b32 s10, 0x7f800000
	v_mov_b32_e32 v4, 0x7e
	v_mov_b32_e32 v5, 0x7f
	v_cmp_lt_u32_e32 vcc, s10, v3
	v_cndmask_b32_e32 v4, v4, v5, vcc
; %bb.1738:
	s_or_b64 exec, exec, s[2:3]
	global_store_byte v[0:1], v4, off
.LBB150_1739:
	s_mov_b64 s[2:3], 0
.LBB150_1740:
	s_andn2_b64 vcc, exec, s[2:3]
	s_cbranch_vccnz .LBB150_1750
; %bb.1741:
	v_cndmask_b32_e64 v3, 0, 1.0, s[22:23]
	s_mov_b32 s2, 0x47800000
	v_cmp_gt_u32_e32 vcc, s2, v3
                                        ; implicit-def: $vgpr4
	s_and_saveexec_b64 s[2:3], vcc
	s_xor_b64 s[2:3], exec, s[2:3]
	s_cbranch_execz .LBB150_1747
; %bb.1742:
	s_mov_b32 s10, 0x387fffff
	v_cmp_lt_u32_e32 vcc, s10, v3
                                        ; implicit-def: $vgpr4
	s_and_saveexec_b64 s[10:11], vcc
	s_xor_b64 s[10:11], exec, s[10:11]
; %bb.1743:
	v_bfe_u32 v4, v3, 21, 1
	s_mov_b32 s12, 0x80fffff
	v_add3_u32 v3, v3, v4, s12
	v_lshrrev_b32_e32 v4, 21, v3
                                        ; implicit-def: $vgpr3
; %bb.1744:
	s_andn2_saveexec_b64 s[10:11], s[10:11]
; %bb.1745:
	v_add_f32_e32 v4, 0x43000000, v3
; %bb.1746:
	s_or_b64 exec, exec, s[10:11]
                                        ; implicit-def: $vgpr3
.LBB150_1747:
	s_andn2_saveexec_b64 s[2:3], s[2:3]
; %bb.1748:
	s_mov_b32 s10, 0x7f800000
	v_mov_b32_e32 v4, 0x7c
	v_mov_b32_e32 v5, 0x7f
	v_cmp_lt_u32_e32 vcc, s10, v3
	v_cndmask_b32_e32 v4, v4, v5, vcc
; %bb.1749:
	s_or_b64 exec, exec, s[2:3]
	global_store_byte v[0:1], v4, off
.LBB150_1750:
	s_mov_b64 s[2:3], 0
	s_mov_b64 s[10:11], -1
.LBB150_1751:
	s_andn2_b64 vcc, exec, s[2:3]
	s_mov_b64 s[2:3], 0
	s_cbranch_vccnz .LBB150_1758
; %bb.1752:
	s_cmp_gt_i32 s25, 14
	s_mov_b64 s[12:13], -1
	s_cbranch_scc0 .LBB150_1756
; %bb.1753:
	s_cmp_eq_u32 s25, 15
	s_mov_b64 s[0:1], -1
	s_cbranch_scc0 .LBB150_1755
; %bb.1754:
	v_cndmask_b32_e64 v3, 0, 1.0, s[22:23]
	v_bfe_u32 v4, v3, 16, 1
	s_movk_i32 s0, 0x7fff
	v_add3_u32 v3, v3, v4, s0
	global_store_short_d16_hi v[0:1], v3, off
	s_mov_b64 s[0:1], 0
	s_mov_b64 s[10:11], -1
.LBB150_1755:
	s_mov_b64 s[12:13], 0
.LBB150_1756:
	s_and_b64 vcc, exec, s[12:13]
	s_cbranch_vccz .LBB150_1758
; %bb.1757:
	s_cmp_lg_u32 s25, 11
	s_mov_b64 s[2:3], -1
	s_cselect_b64 s[0:1], -1, 0
.LBB150_1758:
	s_and_b64 vcc, exec, s[0:1]
	s_cbranch_vccnz .LBB150_2008
; %bb.1759:
	s_andn2_b64 vcc, exec, s[2:3]
	s_cbranch_vccnz .LBB150_1761
.LBB150_1760:
	v_cndmask_b32_e64 v3, 0, 1, s[22:23]
	s_mov_b64 s[10:11], -1
	global_store_byte v[0:1], v3, off
.LBB150_1761:
	s_mov_b64 s[0:1], 0
	s_branch .LBB150_1763
.LBB150_1762:
	s_mov_b64 s[0:1], -1
	s_mov_b64 s[10:11], 0
.LBB150_1763:
	s_and_b64 vcc, exec, s[0:1]
	s_cbranch_vccz .LBB150_1802
; %bb.1764:
	s_and_b32 s2, 0xffff, s28
	s_cmp_lt_i32 s2, 5
	s_mov_b64 s[0:1], -1
	s_cbranch_scc1 .LBB150_1785
; %bb.1765:
	s_cmp_lt_i32 s2, 8
	s_cbranch_scc1 .LBB150_1775
; %bb.1766:
	s_cmp_lt_i32 s2, 9
	s_cbranch_scc1 .LBB150_1772
; %bb.1767:
	s_cmp_gt_i32 s2, 9
	s_cbranch_scc0 .LBB150_1769
; %bb.1768:
	v_cndmask_b32_e64 v3, 0, 1, s[22:23]
	v_cvt_f64_u32_e32 v[3:4], v3
	v_mov_b32_e32 v5, 0
	v_mov_b32_e32 v6, v5
	s_mov_b64 s[0:1], 0
	global_store_dwordx4 v[0:1], v[3:6], off
.LBB150_1769:
	s_andn2_b64 vcc, exec, s[0:1]
	s_cbranch_vccnz .LBB150_1771
; %bb.1770:
	v_cndmask_b32_e64 v3, 0, 1.0, s[22:23]
	v_mov_b32_e32 v4, 0
	global_store_dwordx2 v[0:1], v[3:4], off
.LBB150_1771:
	s_mov_b64 s[0:1], 0
.LBB150_1772:
	s_andn2_b64 vcc, exec, s[0:1]
	s_cbranch_vccnz .LBB150_1774
; %bb.1773:
	v_cndmask_b32_e64 v3, 0, 1.0, s[22:23]
	v_cvt_f16_f32_e32 v3, v3
	global_store_dword v[0:1], v3, off
.LBB150_1774:
	s_mov_b64 s[0:1], 0
.LBB150_1775:
	s_andn2_b64 vcc, exec, s[0:1]
	s_cbranch_vccnz .LBB150_1784
; %bb.1776:
	s_cmp_lt_i32 s2, 6
	s_mov_b64 s[0:1], -1
	s_cbranch_scc1 .LBB150_1782
; %bb.1777:
	s_cmp_gt_i32 s2, 6
	s_cbranch_scc0 .LBB150_1779
; %bb.1778:
	v_cndmask_b32_e64 v3, 0, 1, s[22:23]
	v_cvt_f64_u32_e32 v[3:4], v3
	s_mov_b64 s[0:1], 0
	global_store_dwordx2 v[0:1], v[3:4], off
.LBB150_1779:
	s_andn2_b64 vcc, exec, s[0:1]
	s_cbranch_vccnz .LBB150_1781
; %bb.1780:
	v_cndmask_b32_e64 v3, 0, 1.0, s[22:23]
	global_store_dword v[0:1], v3, off
.LBB150_1781:
	s_mov_b64 s[0:1], 0
.LBB150_1782:
	s_andn2_b64 vcc, exec, s[0:1]
	s_cbranch_vccnz .LBB150_1784
; %bb.1783:
	v_cndmask_b32_e64 v3, 0, 1.0, s[22:23]
	v_cvt_f16_f32_e32 v3, v3
	global_store_short v[0:1], v3, off
.LBB150_1784:
	s_mov_b64 s[0:1], 0
.LBB150_1785:
	s_andn2_b64 vcc, exec, s[0:1]
	s_cbranch_vccnz .LBB150_1801
; %bb.1786:
	s_cmp_lt_i32 s2, 2
	s_mov_b64 s[0:1], -1
	s_cbranch_scc1 .LBB150_1796
; %bb.1787:
	s_cmp_lt_i32 s2, 3
	s_cbranch_scc1 .LBB150_1793
; %bb.1788:
	s_cmp_gt_i32 s2, 3
	s_cbranch_scc0 .LBB150_1790
; %bb.1789:
	s_mov_b32 s0, 0
	v_cndmask_b32_e64 v3, 0, 1, s[22:23]
	v_mov_b32_e32 v4, s0
	global_store_dwordx2 v[0:1], v[3:4], off
	s_mov_b64 s[0:1], 0
.LBB150_1790:
	s_andn2_b64 vcc, exec, s[0:1]
	s_cbranch_vccnz .LBB150_1792
; %bb.1791:
	v_cndmask_b32_e64 v3, 0, 1, s[22:23]
	global_store_dword v[0:1], v3, off
.LBB150_1792:
	s_mov_b64 s[0:1], 0
.LBB150_1793:
	s_andn2_b64 vcc, exec, s[0:1]
	s_cbranch_vccnz .LBB150_1795
; %bb.1794:
	v_cndmask_b32_e64 v3, 0, 1, s[22:23]
	global_store_short v[0:1], v3, off
.LBB150_1795:
	s_mov_b64 s[0:1], 0
.LBB150_1796:
	s_andn2_b64 vcc, exec, s[0:1]
	s_cbranch_vccnz .LBB150_1801
; %bb.1797:
	s_mov_b64 s[0:1], -1
	s_cmp_gt_i32 s2, 0
	v_cndmask_b32_e64 v3, 0, 1, s[22:23]
	s_cbranch_scc0 .LBB150_1799
; %bb.1798:
	global_store_byte v[0:1], v3, off
	s_mov_b64 s[0:1], 0
.LBB150_1799:
	s_andn2_b64 vcc, exec, s[0:1]
	s_cbranch_vccnz .LBB150_1801
; %bb.1800:
	global_store_byte v[0:1], v3, off
.LBB150_1801:
	s_mov_b64 s[10:11], -1
.LBB150_1802:
	s_andn2_b64 vcc, exec, s[10:11]
	s_cbranch_vccnz .LBB150_1998
; %bb.1803:
	v_add_u32_e32 v2, s24, v2
	v_ashrrev_i32_e32 v1, 31, v2
	v_mov_b32_e32 v3, s9
	v_add_co_u32_e32 v0, vcc, s8, v2
	s_cmp_lt_i32 s28, 11
	v_addc_co_u32_e32 v1, vcc, v3, v1, vcc
	s_cbranch_scc1 .LBB150_1881
; %bb.1804:
	s_and_b32 s22, 0xffff, s28
	s_mov_b64 s[12:13], -1
	s_mov_b64 s[2:3], 0
	s_cmp_gt_i32 s22, 25
	s_mov_b64 s[10:11], 0
	s_mov_b64 s[0:1], 0
	s_cbranch_scc0 .LBB150_1837
; %bb.1805:
	s_cmp_gt_i32 s22, 28
	s_cbranch_scc0 .LBB150_1820
; %bb.1806:
	s_cmp_gt_i32 s22, 43
	;; [unrolled: 3-line block ×3, first 2 shown]
	s_cbranch_scc0 .LBB150_1810
; %bb.1808:
	s_mov_b64 s[0:1], -1
	s_mov_b64 s[12:13], 0
	s_cmp_eq_u32 s22, 46
	s_cbranch_scc0 .LBB150_1810
; %bb.1809:
	v_cndmask_b32_e64 v3, 0, 1.0, s[4:5]
	v_bfe_u32 v4, v3, 16, 1
	s_movk_i32 s0, 0x7fff
	v_add3_u32 v3, v3, v4, s0
	v_lshrrev_b32_e32 v3, 16, v3
	global_store_dword v[0:1], v3, off
	s_mov_b64 s[0:1], 0
	s_mov_b64 s[10:11], -1
.LBB150_1810:
	s_and_b64 vcc, exec, s[12:13]
	s_cbranch_vccz .LBB150_1815
; %bb.1811:
	s_cmp_eq_u32 s22, 44
	s_mov_b64 s[0:1], -1
	s_cbranch_scc0 .LBB150_1815
; %bb.1812:
	v_cndmask_b32_e64 v4, 0, 1.0, s[4:5]
	v_lshrrev_b32_e32 v3, 23, v4
	s_movk_i32 s0, 0xff
	v_cmp_ne_u32_e32 vcc, s0, v3
	v_mov_b32_e32 v5, 0xff
	s_and_saveexec_b64 s[10:11], vcc
; %bb.1813:
	s_mov_b32 s0, 0x3fffff
	v_and_b32_e32 v5, 0x400000, v4
	v_and_or_b32 v4, v4, s0, v3
	v_cmp_ne_u32_e32 vcc, 0, v5
	v_cmp_ne_u32_e64 s[0:1], 0, v4
	s_and_b64 s[0:1], vcc, s[0:1]
	v_cndmask_b32_e64 v4, 0, 1, s[0:1]
	v_add_u32_e32 v5, v3, v4
; %bb.1814:
	s_or_b64 exec, exec, s[10:11]
	s_mov_b64 s[0:1], 0
	s_mov_b64 s[10:11], -1
	global_store_byte v[0:1], v5, off
.LBB150_1815:
	s_mov_b64 s[12:13], 0
.LBB150_1816:
	s_and_b64 vcc, exec, s[12:13]
	s_cbranch_vccz .LBB150_1819
; %bb.1817:
	s_cmp_eq_u32 s22, 29
	s_mov_b64 s[0:1], -1
	s_cbranch_scc0 .LBB150_1819
; %bb.1818:
	s_mov_b32 s0, 0
	v_cndmask_b32_e64 v3, 0, 1, s[4:5]
	v_mov_b32_e32 v4, s0
	global_store_dwordx2 v[0:1], v[3:4], off
	s_mov_b64 s[0:1], 0
	s_mov_b64 s[10:11], -1
.LBB150_1819:
	s_mov_b64 s[12:13], 0
.LBB150_1820:
	s_and_b64 vcc, exec, s[12:13]
	s_cbranch_vccz .LBB150_1836
; %bb.1821:
	s_cmp_lt_i32 s22, 27
	s_mov_b64 s[10:11], -1
	s_cbranch_scc1 .LBB150_1827
; %bb.1822:
	s_cmp_gt_i32 s22, 27
	s_cbranch_scc0 .LBB150_1824
; %bb.1823:
	v_cndmask_b32_e64 v3, 0, 1, s[4:5]
	s_mov_b64 s[10:11], 0
	global_store_dword v[0:1], v3, off
.LBB150_1824:
	s_andn2_b64 vcc, exec, s[10:11]
	s_cbranch_vccnz .LBB150_1826
; %bb.1825:
	v_cndmask_b32_e64 v3, 0, 1, s[4:5]
	global_store_short v[0:1], v3, off
.LBB150_1826:
	s_mov_b64 s[10:11], 0
.LBB150_1827:
	s_andn2_b64 vcc, exec, s[10:11]
	s_cbranch_vccnz .LBB150_1835
; %bb.1828:
	v_cndmask_b32_e64 v4, 0, 1.0, s[4:5]
	s_mov_b32 s10, 0x43800000
	v_cmp_gt_u32_e32 vcc, s10, v4
	v_mov_b32_e32 v5, 0x80
	s_and_saveexec_b64 s[10:11], vcc
	s_cbranch_execz .LBB150_1834
; %bb.1829:
	s_mov_b32 s12, 0x3bffffff
	v_cmp_lt_u32_e32 vcc, s12, v4
	s_mov_b64 s[12:13], 0
                                        ; implicit-def: $vgpr3
	s_and_saveexec_b64 s[14:15], vcc
	s_xor_b64 s[14:15], exec, s[14:15]
	s_cbranch_execz .LBB150_2011
; %bb.1830:
	v_bfe_u32 v3, v4, 20, 1
	s_mov_b32 s23, 0x487ffff
	v_add3_u32 v3, v4, v3, s23
	s_mov_b64 s[12:13], exec
	v_lshrrev_b32_e32 v3, 20, v3
                                        ; implicit-def: $vgpr4
	s_andn2_saveexec_b64 s[14:15], s[14:15]
	s_cbranch_execnz .LBB150_2012
.LBB150_1831:
	s_or_b64 exec, exec, s[14:15]
	v_mov_b32_e32 v5, 0
	s_and_saveexec_b64 s[14:15], s[12:13]
.LBB150_1832:
	v_mov_b32_e32 v5, v3
.LBB150_1833:
	s_or_b64 exec, exec, s[14:15]
.LBB150_1834:
	s_or_b64 exec, exec, s[10:11]
	global_store_byte v[0:1], v5, off
.LBB150_1835:
	s_mov_b64 s[10:11], -1
.LBB150_1836:
	s_mov_b64 s[12:13], 0
.LBB150_1837:
	s_and_b64 vcc, exec, s[12:13]
	s_cbranch_vccz .LBB150_1877
; %bb.1838:
	s_cmp_gt_i32 s22, 22
	s_mov_b64 s[2:3], -1
	s_cbranch_scc0 .LBB150_1870
; %bb.1839:
	s_cmp_lt_i32 s22, 24
	s_cbranch_scc1 .LBB150_1859
; %bb.1840:
	s_cmp_gt_i32 s22, 24
	s_cbranch_scc0 .LBB150_1848
; %bb.1841:
	v_cndmask_b32_e64 v4, 0, 1.0, s[4:5]
	s_mov_b32 s2, 0x47800000
	v_cmp_gt_u32_e32 vcc, s2, v4
	v_mov_b32_e32 v5, 0x80
	s_and_saveexec_b64 s[2:3], vcc
	s_cbranch_execz .LBB150_1847
; %bb.1842:
	s_mov_b32 s10, 0x37ffffff
	v_cmp_lt_u32_e32 vcc, s10, v4
	s_mov_b64 s[10:11], 0
                                        ; implicit-def: $vgpr3
	s_and_saveexec_b64 s[12:13], vcc
	s_xor_b64 s[12:13], exec, s[12:13]
	s_cbranch_execz .LBB150_2014
; %bb.1843:
	v_bfe_u32 v3, v4, 21, 1
	s_mov_b32 s14, 0x88fffff
	v_add3_u32 v3, v4, v3, s14
	s_mov_b64 s[10:11], exec
	v_lshrrev_b32_e32 v3, 21, v3
                                        ; implicit-def: $vgpr4
	s_andn2_saveexec_b64 s[12:13], s[12:13]
	s_cbranch_execnz .LBB150_2015
.LBB150_1844:
	s_or_b64 exec, exec, s[12:13]
	v_mov_b32_e32 v5, 0
	s_and_saveexec_b64 s[12:13], s[10:11]
.LBB150_1845:
	v_mov_b32_e32 v5, v3
.LBB150_1846:
	s_or_b64 exec, exec, s[12:13]
.LBB150_1847:
	s_or_b64 exec, exec, s[2:3]
	s_mov_b64 s[2:3], 0
	global_store_byte v[0:1], v5, off
.LBB150_1848:
	s_and_b64 vcc, exec, s[2:3]
	s_cbranch_vccz .LBB150_1858
; %bb.1849:
	v_cndmask_b32_e64 v3, 0, 1.0, s[4:5]
	s_mov_b32 s2, 0x43f00000
	v_cmp_gt_u32_e32 vcc, s2, v3
                                        ; implicit-def: $vgpr4
	s_and_saveexec_b64 s[2:3], vcc
	s_xor_b64 s[2:3], exec, s[2:3]
	s_cbranch_execz .LBB150_1855
; %bb.1850:
	s_mov_b32 s10, 0x3c7fffff
	v_cmp_lt_u32_e32 vcc, s10, v3
                                        ; implicit-def: $vgpr4
	s_and_saveexec_b64 s[10:11], vcc
	s_xor_b64 s[10:11], exec, s[10:11]
; %bb.1851:
	v_bfe_u32 v4, v3, 20, 1
	s_mov_b32 s12, 0x407ffff
	v_add3_u32 v3, v3, v4, s12
	v_lshrrev_b32_e32 v4, 20, v3
	v_and_b32_e32 v3, 0xff00000, v3
	s_mov_b32 s12, 0x7f00000
	v_mov_b32_e32 v5, 0x7e
	v_cmp_ne_u32_e32 vcc, s12, v3
	v_cndmask_b32_e32 v4, v5, v4, vcc
                                        ; implicit-def: $vgpr3
; %bb.1852:
	s_andn2_saveexec_b64 s[10:11], s[10:11]
; %bb.1853:
	v_add_f32_e32 v4, 0x46800000, v3
; %bb.1854:
	s_or_b64 exec, exec, s[10:11]
                                        ; implicit-def: $vgpr3
.LBB150_1855:
	s_andn2_saveexec_b64 s[2:3], s[2:3]
; %bb.1856:
	s_mov_b32 s10, 0x7f800000
	v_mov_b32_e32 v4, 0x7e
	v_mov_b32_e32 v5, 0x7f
	v_cmp_lt_u32_e32 vcc, s10, v3
	v_cndmask_b32_e32 v4, v4, v5, vcc
; %bb.1857:
	s_or_b64 exec, exec, s[2:3]
	global_store_byte v[0:1], v4, off
.LBB150_1858:
	s_mov_b64 s[2:3], 0
.LBB150_1859:
	s_andn2_b64 vcc, exec, s[2:3]
	s_cbranch_vccnz .LBB150_1869
; %bb.1860:
	v_cndmask_b32_e64 v3, 0, 1.0, s[4:5]
	s_mov_b32 s2, 0x47800000
	v_cmp_gt_u32_e32 vcc, s2, v3
                                        ; implicit-def: $vgpr4
	s_and_saveexec_b64 s[2:3], vcc
	s_xor_b64 s[2:3], exec, s[2:3]
	s_cbranch_execz .LBB150_1866
; %bb.1861:
	s_mov_b32 s10, 0x387fffff
	v_cmp_lt_u32_e32 vcc, s10, v3
                                        ; implicit-def: $vgpr4
	s_and_saveexec_b64 s[10:11], vcc
	s_xor_b64 s[10:11], exec, s[10:11]
; %bb.1862:
	v_bfe_u32 v4, v3, 21, 1
	s_mov_b32 s12, 0x80fffff
	v_add3_u32 v3, v3, v4, s12
	v_lshrrev_b32_e32 v4, 21, v3
                                        ; implicit-def: $vgpr3
; %bb.1863:
	s_andn2_saveexec_b64 s[10:11], s[10:11]
; %bb.1864:
	v_add_f32_e32 v4, 0x43000000, v3
; %bb.1865:
	s_or_b64 exec, exec, s[10:11]
                                        ; implicit-def: $vgpr3
.LBB150_1866:
	s_andn2_saveexec_b64 s[2:3], s[2:3]
; %bb.1867:
	s_mov_b32 s10, 0x7f800000
	v_mov_b32_e32 v4, 0x7c
	v_mov_b32_e32 v5, 0x7f
	v_cmp_lt_u32_e32 vcc, s10, v3
	v_cndmask_b32_e32 v4, v4, v5, vcc
; %bb.1868:
	s_or_b64 exec, exec, s[2:3]
	global_store_byte v[0:1], v4, off
.LBB150_1869:
	s_mov_b64 s[2:3], 0
	s_mov_b64 s[10:11], -1
.LBB150_1870:
	s_andn2_b64 vcc, exec, s[2:3]
	s_mov_b64 s[2:3], 0
	s_cbranch_vccnz .LBB150_1877
; %bb.1871:
	s_cmp_gt_i32 s22, 14
	s_mov_b64 s[12:13], -1
	s_cbranch_scc0 .LBB150_1875
; %bb.1872:
	s_cmp_eq_u32 s22, 15
	s_mov_b64 s[0:1], -1
	s_cbranch_scc0 .LBB150_1874
; %bb.1873:
	v_cndmask_b32_e64 v3, 0, 1.0, s[4:5]
	v_bfe_u32 v4, v3, 16, 1
	s_movk_i32 s0, 0x7fff
	v_add3_u32 v3, v3, v4, s0
	global_store_short_d16_hi v[0:1], v3, off
	s_mov_b64 s[0:1], 0
	s_mov_b64 s[10:11], -1
.LBB150_1874:
	s_mov_b64 s[12:13], 0
.LBB150_1875:
	s_and_b64 vcc, exec, s[12:13]
	s_cbranch_vccz .LBB150_1877
; %bb.1876:
	s_cmp_lg_u32 s22, 11
	s_mov_b64 s[2:3], -1
	s_cselect_b64 s[0:1], -1, 0
.LBB150_1877:
	s_and_b64 vcc, exec, s[0:1]
	s_cbranch_vccnz .LBB150_2013
; %bb.1878:
	s_andn2_b64 vcc, exec, s[2:3]
	s_cbranch_vccnz .LBB150_1880
.LBB150_1879:
	v_cndmask_b32_e64 v3, 0, 1, s[4:5]
	s_mov_b64 s[10:11], -1
	global_store_byte v[0:1], v3, off
.LBB150_1880:
	s_mov_b64 s[0:1], 0
	s_branch .LBB150_1882
.LBB150_1881:
	s_mov_b64 s[0:1], -1
	s_mov_b64 s[10:11], 0
.LBB150_1882:
	s_and_b64 vcc, exec, s[0:1]
	s_cbranch_vccz .LBB150_1921
; %bb.1883:
	s_and_b32 s2, 0xffff, s28
	s_cmp_lt_i32 s2, 5
	s_mov_b64 s[0:1], -1
	s_cbranch_scc1 .LBB150_1904
; %bb.1884:
	s_cmp_lt_i32 s2, 8
	s_cbranch_scc1 .LBB150_1894
; %bb.1885:
	s_cmp_lt_i32 s2, 9
	s_cbranch_scc1 .LBB150_1891
; %bb.1886:
	s_cmp_gt_i32 s2, 9
	s_cbranch_scc0 .LBB150_1888
; %bb.1887:
	v_cndmask_b32_e64 v3, 0, 1, s[4:5]
	v_cvt_f64_u32_e32 v[3:4], v3
	v_mov_b32_e32 v5, 0
	v_mov_b32_e32 v6, v5
	s_mov_b64 s[0:1], 0
	global_store_dwordx4 v[0:1], v[3:6], off
.LBB150_1888:
	s_andn2_b64 vcc, exec, s[0:1]
	s_cbranch_vccnz .LBB150_1890
; %bb.1889:
	v_cndmask_b32_e64 v3, 0, 1.0, s[4:5]
	v_mov_b32_e32 v4, 0
	global_store_dwordx2 v[0:1], v[3:4], off
.LBB150_1890:
	s_mov_b64 s[0:1], 0
.LBB150_1891:
	s_andn2_b64 vcc, exec, s[0:1]
	s_cbranch_vccnz .LBB150_1893
; %bb.1892:
	v_cndmask_b32_e64 v3, 0, 1.0, s[4:5]
	v_cvt_f16_f32_e32 v3, v3
	global_store_dword v[0:1], v3, off
.LBB150_1893:
	s_mov_b64 s[0:1], 0
.LBB150_1894:
	s_andn2_b64 vcc, exec, s[0:1]
	s_cbranch_vccnz .LBB150_1903
; %bb.1895:
	s_cmp_lt_i32 s2, 6
	s_mov_b64 s[0:1], -1
	s_cbranch_scc1 .LBB150_1901
; %bb.1896:
	s_cmp_gt_i32 s2, 6
	s_cbranch_scc0 .LBB150_1898
; %bb.1897:
	v_cndmask_b32_e64 v3, 0, 1, s[4:5]
	v_cvt_f64_u32_e32 v[3:4], v3
	s_mov_b64 s[0:1], 0
	global_store_dwordx2 v[0:1], v[3:4], off
.LBB150_1898:
	s_andn2_b64 vcc, exec, s[0:1]
	s_cbranch_vccnz .LBB150_1900
; %bb.1899:
	v_cndmask_b32_e64 v3, 0, 1.0, s[4:5]
	global_store_dword v[0:1], v3, off
.LBB150_1900:
	s_mov_b64 s[0:1], 0
.LBB150_1901:
	s_andn2_b64 vcc, exec, s[0:1]
	s_cbranch_vccnz .LBB150_1903
; %bb.1902:
	v_cndmask_b32_e64 v3, 0, 1.0, s[4:5]
	v_cvt_f16_f32_e32 v3, v3
	global_store_short v[0:1], v3, off
.LBB150_1903:
	s_mov_b64 s[0:1], 0
.LBB150_1904:
	s_andn2_b64 vcc, exec, s[0:1]
	s_cbranch_vccnz .LBB150_1920
; %bb.1905:
	s_cmp_lt_i32 s2, 2
	s_mov_b64 s[0:1], -1
	s_cbranch_scc1 .LBB150_1915
; %bb.1906:
	s_cmp_lt_i32 s2, 3
	s_cbranch_scc1 .LBB150_1912
; %bb.1907:
	s_cmp_gt_i32 s2, 3
	s_cbranch_scc0 .LBB150_1909
; %bb.1908:
	s_mov_b32 s0, 0
	v_cndmask_b32_e64 v3, 0, 1, s[4:5]
	v_mov_b32_e32 v4, s0
	global_store_dwordx2 v[0:1], v[3:4], off
	s_mov_b64 s[0:1], 0
.LBB150_1909:
	s_andn2_b64 vcc, exec, s[0:1]
	s_cbranch_vccnz .LBB150_1911
; %bb.1910:
	v_cndmask_b32_e64 v3, 0, 1, s[4:5]
	global_store_dword v[0:1], v3, off
.LBB150_1911:
	s_mov_b64 s[0:1], 0
.LBB150_1912:
	s_andn2_b64 vcc, exec, s[0:1]
	s_cbranch_vccnz .LBB150_1914
; %bb.1913:
	v_cndmask_b32_e64 v3, 0, 1, s[4:5]
	global_store_short v[0:1], v3, off
.LBB150_1914:
	s_mov_b64 s[0:1], 0
.LBB150_1915:
	s_andn2_b64 vcc, exec, s[0:1]
	s_cbranch_vccnz .LBB150_1920
; %bb.1916:
	s_mov_b64 s[0:1], -1
	s_cmp_gt_i32 s2, 0
	v_cndmask_b32_e64 v3, 0, 1, s[4:5]
	s_cbranch_scc0 .LBB150_1918
; %bb.1917:
	global_store_byte v[0:1], v3, off
	s_mov_b64 s[0:1], 0
.LBB150_1918:
	s_andn2_b64 vcc, exec, s[0:1]
	s_cbranch_vccnz .LBB150_1920
; %bb.1919:
	global_store_byte v[0:1], v3, off
.LBB150_1920:
	s_mov_b64 s[10:11], -1
.LBB150_1921:
	s_andn2_b64 vcc, exec, s[10:11]
	s_cbranch_vccnz .LBB150_1998
; %bb.1922:
	v_add_u32_e32 v0, s24, v2
	v_ashrrev_i32_e32 v1, 31, v0
	v_mov_b32_e32 v2, s9
	v_add_co_u32_e32 v0, vcc, s8, v0
	s_cmp_lt_i32 s28, 11
	v_addc_co_u32_e32 v1, vcc, v2, v1, vcc
	s_cbranch_scc1 .LBB150_1999
; %bb.1923:
	s_and_b32 s12, 0xffff, s28
	s_mov_b64 s[4:5], -1
	s_mov_b64 s[2:3], 0
	s_cmp_gt_i32 s12, 25
	s_mov_b64 s[0:1], 0
	s_cbranch_scc0 .LBB150_1956
; %bb.1924:
	s_cmp_gt_i32 s12, 28
	s_cbranch_scc0 .LBB150_1940
; %bb.1925:
	s_cmp_gt_i32 s12, 43
	;; [unrolled: 3-line block ×3, first 2 shown]
	s_cbranch_scc0 .LBB150_1930
; %bb.1927:
	s_cmp_eq_u32 s12, 46
	s_mov_b64 s[0:1], -1
	s_cbranch_scc0 .LBB150_1929
; %bb.1928:
	v_cndmask_b32_e64 v2, 0, 1.0, s[20:21]
	v_bfe_u32 v3, v2, 16, 1
	s_movk_i32 s0, 0x7fff
	v_add3_u32 v2, v2, v3, s0
	v_lshrrev_b32_e32 v2, 16, v2
	global_store_dword v[0:1], v2, off
	s_mov_b64 s[0:1], 0
.LBB150_1929:
	s_mov_b64 s[4:5], 0
.LBB150_1930:
	s_and_b64 vcc, exec, s[4:5]
	s_cbranch_vccz .LBB150_1935
; %bb.1931:
	s_cmp_eq_u32 s12, 44
	s_mov_b64 s[0:1], -1
	s_cbranch_scc0 .LBB150_1935
; %bb.1932:
	v_cndmask_b32_e64 v3, 0, 1.0, s[20:21]
	v_lshrrev_b32_e32 v2, 23, v3
	s_movk_i32 s0, 0xff
	v_cmp_ne_u32_e32 vcc, s0, v2
	v_mov_b32_e32 v4, 0xff
	s_and_saveexec_b64 s[4:5], vcc
; %bb.1933:
	s_mov_b32 s0, 0x3fffff
	v_and_b32_e32 v4, 0x400000, v3
	v_and_or_b32 v3, v3, s0, v2
	v_cmp_ne_u32_e32 vcc, 0, v4
	v_cmp_ne_u32_e64 s[0:1], 0, v3
	s_and_b64 s[0:1], vcc, s[0:1]
	v_cndmask_b32_e64 v3, 0, 1, s[0:1]
	v_add_u32_e32 v4, v2, v3
; %bb.1934:
	s_or_b64 exec, exec, s[4:5]
	s_mov_b64 s[0:1], 0
	global_store_byte v[0:1], v4, off
.LBB150_1935:
	s_mov_b64 s[4:5], 0
.LBB150_1936:
	s_and_b64 vcc, exec, s[4:5]
	s_cbranch_vccz .LBB150_1939
; %bb.1937:
	s_cmp_eq_u32 s12, 29
	s_mov_b64 s[0:1], -1
	s_cbranch_scc0 .LBB150_1939
; %bb.1938:
	s_mov_b32 s0, 0
	v_cndmask_b32_e64 v2, 0, 1, s[20:21]
	v_mov_b32_e32 v3, s0
	global_store_dwordx2 v[0:1], v[2:3], off
	s_mov_b64 s[0:1], 0
.LBB150_1939:
	s_mov_b64 s[4:5], 0
.LBB150_1940:
	s_and_b64 vcc, exec, s[4:5]
	s_cbranch_vccz .LBB150_1955
; %bb.1941:
	s_cmp_lt_i32 s12, 27
	s_mov_b64 s[4:5], -1
	s_cbranch_scc1 .LBB150_1947
; %bb.1942:
	s_cmp_gt_i32 s12, 27
	v_cndmask_b32_e64 v2, 0, 1, s[20:21]
	s_cbranch_scc0 .LBB150_1944
; %bb.1943:
	global_store_dword v[0:1], v2, off
	s_mov_b64 s[4:5], 0
.LBB150_1944:
	s_andn2_b64 vcc, exec, s[4:5]
	s_cbranch_vccnz .LBB150_1946
; %bb.1945:
	global_store_short v[0:1], v2, off
.LBB150_1946:
	s_mov_b64 s[4:5], 0
.LBB150_1947:
	s_andn2_b64 vcc, exec, s[4:5]
	s_cbranch_vccnz .LBB150_1955
; %bb.1948:
	v_cndmask_b32_e64 v3, 0, 1.0, s[20:21]
	s_mov_b32 s4, 0x43800000
	v_cmp_gt_u32_e32 vcc, s4, v3
	v_mov_b32_e32 v4, 0x80
	s_and_saveexec_b64 s[4:5], vcc
	s_cbranch_execz .LBB150_1954
; %bb.1949:
	s_mov_b32 s8, 0x3bffffff
	v_cmp_lt_u32_e32 vcc, s8, v3
	s_mov_b64 s[8:9], 0
                                        ; implicit-def: $vgpr2
	s_and_saveexec_b64 s[10:11], vcc
	s_xor_b64 s[10:11], exec, s[10:11]
	s_cbranch_execz .LBB150_2016
; %bb.1950:
	v_bfe_u32 v2, v3, 20, 1
	s_mov_b32 s13, 0x487ffff
	v_add3_u32 v2, v3, v2, s13
	s_mov_b64 s[8:9], exec
	v_lshrrev_b32_e32 v2, 20, v2
                                        ; implicit-def: $vgpr3
	s_andn2_saveexec_b64 s[10:11], s[10:11]
	s_cbranch_execnz .LBB150_2017
.LBB150_1951:
	s_or_b64 exec, exec, s[10:11]
	v_mov_b32_e32 v4, 0
	s_and_saveexec_b64 s[10:11], s[8:9]
.LBB150_1952:
	v_mov_b32_e32 v4, v2
.LBB150_1953:
	s_or_b64 exec, exec, s[10:11]
.LBB150_1954:
	s_or_b64 exec, exec, s[4:5]
	global_store_byte v[0:1], v4, off
.LBB150_1955:
	s_mov_b64 s[4:5], 0
.LBB150_1956:
	s_and_b64 vcc, exec, s[4:5]
	s_cbranch_vccz .LBB150_1996
; %bb.1957:
	s_cmp_gt_i32 s12, 22
	s_mov_b64 s[2:3], -1
	s_cbranch_scc0 .LBB150_1989
; %bb.1958:
	s_cmp_lt_i32 s12, 24
	s_cbranch_scc1 .LBB150_1978
; %bb.1959:
	s_cmp_gt_i32 s12, 24
	s_cbranch_scc0 .LBB150_1967
; %bb.1960:
	v_cndmask_b32_e64 v3, 0, 1.0, s[20:21]
	s_mov_b32 s2, 0x47800000
	v_cmp_gt_u32_e32 vcc, s2, v3
	v_mov_b32_e32 v4, 0x80
	s_and_saveexec_b64 s[2:3], vcc
	s_cbranch_execz .LBB150_1966
; %bb.1961:
	s_mov_b32 s4, 0x37ffffff
	v_cmp_lt_u32_e32 vcc, s4, v3
	s_mov_b64 s[4:5], 0
                                        ; implicit-def: $vgpr2
	s_and_saveexec_b64 s[8:9], vcc
	s_xor_b64 s[8:9], exec, s[8:9]
	s_cbranch_execz .LBB150_2019
; %bb.1962:
	v_bfe_u32 v2, v3, 21, 1
	s_mov_b32 s10, 0x88fffff
	v_add3_u32 v2, v3, v2, s10
	s_mov_b64 s[4:5], exec
	v_lshrrev_b32_e32 v2, 21, v2
                                        ; implicit-def: $vgpr3
	s_andn2_saveexec_b64 s[8:9], s[8:9]
	s_cbranch_execnz .LBB150_2020
.LBB150_1963:
	s_or_b64 exec, exec, s[8:9]
	v_mov_b32_e32 v4, 0
	s_and_saveexec_b64 s[8:9], s[4:5]
.LBB150_1964:
	v_mov_b32_e32 v4, v2
.LBB150_1965:
	s_or_b64 exec, exec, s[8:9]
.LBB150_1966:
	s_or_b64 exec, exec, s[2:3]
	s_mov_b64 s[2:3], 0
	global_store_byte v[0:1], v4, off
.LBB150_1967:
	s_and_b64 vcc, exec, s[2:3]
	s_cbranch_vccz .LBB150_1977
; %bb.1968:
	v_cndmask_b32_e64 v2, 0, 1.0, s[20:21]
	s_mov_b32 s2, 0x43f00000
	v_cmp_gt_u32_e32 vcc, s2, v2
                                        ; implicit-def: $vgpr3
	s_and_saveexec_b64 s[2:3], vcc
	s_xor_b64 s[2:3], exec, s[2:3]
	s_cbranch_execz .LBB150_1974
; %bb.1969:
	s_mov_b32 s4, 0x3c7fffff
	v_cmp_lt_u32_e32 vcc, s4, v2
                                        ; implicit-def: $vgpr3
	s_and_saveexec_b64 s[4:5], vcc
	s_xor_b64 s[4:5], exec, s[4:5]
; %bb.1970:
	v_bfe_u32 v3, v2, 20, 1
	s_mov_b32 s8, 0x407ffff
	v_add3_u32 v2, v2, v3, s8
	v_lshrrev_b32_e32 v3, 20, v2
	v_and_b32_e32 v2, 0xff00000, v2
	s_mov_b32 s8, 0x7f00000
	v_mov_b32_e32 v4, 0x7e
	v_cmp_ne_u32_e32 vcc, s8, v2
	v_cndmask_b32_e32 v3, v4, v3, vcc
                                        ; implicit-def: $vgpr2
; %bb.1971:
	s_andn2_saveexec_b64 s[4:5], s[4:5]
; %bb.1972:
	v_add_f32_e32 v3, 0x46800000, v2
; %bb.1973:
	s_or_b64 exec, exec, s[4:5]
                                        ; implicit-def: $vgpr2
.LBB150_1974:
	s_andn2_saveexec_b64 s[2:3], s[2:3]
; %bb.1975:
	s_mov_b32 s4, 0x7f800000
	v_mov_b32_e32 v3, 0x7e
	v_mov_b32_e32 v4, 0x7f
	v_cmp_lt_u32_e32 vcc, s4, v2
	v_cndmask_b32_e32 v3, v3, v4, vcc
; %bb.1976:
	s_or_b64 exec, exec, s[2:3]
	global_store_byte v[0:1], v3, off
.LBB150_1977:
	s_mov_b64 s[2:3], 0
.LBB150_1978:
	s_andn2_b64 vcc, exec, s[2:3]
	s_cbranch_vccnz .LBB150_1988
; %bb.1979:
	v_cndmask_b32_e64 v2, 0, 1.0, s[20:21]
	s_mov_b32 s2, 0x47800000
	v_cmp_gt_u32_e32 vcc, s2, v2
                                        ; implicit-def: $vgpr3
	s_and_saveexec_b64 s[2:3], vcc
	s_xor_b64 s[2:3], exec, s[2:3]
	s_cbranch_execz .LBB150_1985
; %bb.1980:
	s_mov_b32 s4, 0x387fffff
	v_cmp_lt_u32_e32 vcc, s4, v2
                                        ; implicit-def: $vgpr3
	s_and_saveexec_b64 s[4:5], vcc
	s_xor_b64 s[4:5], exec, s[4:5]
; %bb.1981:
	v_bfe_u32 v3, v2, 21, 1
	s_mov_b32 s8, 0x80fffff
	v_add3_u32 v2, v2, v3, s8
	v_lshrrev_b32_e32 v3, 21, v2
                                        ; implicit-def: $vgpr2
; %bb.1982:
	s_andn2_saveexec_b64 s[4:5], s[4:5]
; %bb.1983:
	v_add_f32_e32 v3, 0x43000000, v2
; %bb.1984:
	s_or_b64 exec, exec, s[4:5]
                                        ; implicit-def: $vgpr2
.LBB150_1985:
	s_andn2_saveexec_b64 s[2:3], s[2:3]
; %bb.1986:
	s_mov_b32 s4, 0x7f800000
	v_mov_b32_e32 v3, 0x7c
	v_mov_b32_e32 v4, 0x7f
	v_cmp_lt_u32_e32 vcc, s4, v2
	v_cndmask_b32_e32 v3, v3, v4, vcc
; %bb.1987:
	s_or_b64 exec, exec, s[2:3]
	global_store_byte v[0:1], v3, off
.LBB150_1988:
	s_mov_b64 s[2:3], 0
.LBB150_1989:
	s_andn2_b64 vcc, exec, s[2:3]
	s_mov_b64 s[2:3], 0
	s_cbranch_vccnz .LBB150_1996
; %bb.1990:
	s_cmp_gt_i32 s12, 14
	s_mov_b64 s[4:5], -1
	s_cbranch_scc0 .LBB150_1994
; %bb.1991:
	s_cmp_eq_u32 s12, 15
	s_mov_b64 s[0:1], -1
	s_cbranch_scc0 .LBB150_1993
; %bb.1992:
	v_cndmask_b32_e64 v2, 0, 1.0, s[20:21]
	v_bfe_u32 v3, v2, 16, 1
	s_movk_i32 s0, 0x7fff
	v_add3_u32 v2, v2, v3, s0
	global_store_short_d16_hi v[0:1], v2, off
	s_mov_b64 s[0:1], 0
.LBB150_1993:
	s_mov_b64 s[4:5], 0
.LBB150_1994:
	s_and_b64 vcc, exec, s[4:5]
	s_cbranch_vccz .LBB150_1996
; %bb.1995:
	s_cmp_lg_u32 s12, 11
	s_mov_b64 s[2:3], -1
	s_cselect_b64 s[0:1], -1, 0
.LBB150_1996:
	s_and_b64 vcc, exec, s[0:1]
	s_cbranch_vccnz .LBB150_2018
.LBB150_1997:
	s_mov_b64 s[0:1], 0
	s_branch .LBB150_1508
.LBB150_1998:
	s_mov_b64 s[0:1], 0
	s_branch .LBB150_1507
.LBB150_1999:
	s_mov_b64 s[2:3], 0
	s_mov_b64 s[0:1], -1
	s_branch .LBB150_1508
.LBB150_2000:
	s_trap 2
	s_mov_b64 s[20:21], 0
	s_or_b64 s[18:19], s[18:19], exec
	s_cbranch_execz .LBB150_1450
	s_branch .LBB150_1451
.LBB150_2001:
	s_andn2_saveexec_b64 s[26:27], s[26:27]
	s_cbranch_execz .LBB150_1591
.LBB150_2002:
	v_add_f32_e32 v3, 0x46000000, v4
	v_and_b32_e32 v3, 0xff, v3
	v_cmp_ne_u32_e32 vcc, 0, v3
	s_andn2_b64 s[14:15], s[14:15], exec
	s_and_b64 s[30:31], vcc, exec
	s_or_b64 s[14:15], s[14:15], s[30:31]
	s_or_b64 exec, exec, s[26:27]
	v_mov_b32_e32 v5, 0
	s_and_saveexec_b64 s[26:27], s[14:15]
	s_cbranch_execnz .LBB150_1592
	s_branch .LBB150_1593
.LBB150_2003:
	s_trap 2
	s_or_b64 s[18:19], s[18:19], exec
	s_cbranch_execz .LBB150_1639
	s_branch .LBB150_1640
.LBB150_2004:
	s_andn2_saveexec_b64 s[14:15], s[14:15]
	s_cbranch_execz .LBB150_1604
.LBB150_2005:
	v_add_f32_e32 v3, 0x42800000, v4
	v_and_b32_e32 v3, 0xff, v3
	v_cmp_ne_u32_e32 vcc, 0, v3
	s_andn2_b64 s[10:11], s[10:11], exec
	s_and_b64 s[26:27], vcc, exec
	s_or_b64 s[10:11], s[10:11], s[26:27]
	s_or_b64 exec, exec, s[14:15]
	v_mov_b32_e32 v5, 0
	s_and_saveexec_b64 s[14:15], s[10:11]
	s_cbranch_execnz .LBB150_1605
	s_branch .LBB150_1606
.LBB150_2006:
	s_andn2_saveexec_b64 s[14:15], s[14:15]
	s_cbranch_execz .LBB150_1712
.LBB150_2007:
	v_add_f32_e32 v3, 0x46000000, v4
	v_and_b32_e32 v3, 0xff, v3
	v_cmp_ne_u32_e32 vcc, 0, v3
	s_andn2_b64 s[12:13], s[12:13], exec
	s_and_b64 s[26:27], vcc, exec
	s_or_b64 s[12:13], s[12:13], s[26:27]
	s_or_b64 exec, exec, s[14:15]
	v_mov_b32_e32 v5, 0
	s_and_saveexec_b64 s[14:15], s[12:13]
	s_cbranch_execnz .LBB150_1713
	s_branch .LBB150_1714
.LBB150_2008:
	s_trap 2
	s_or_b64 s[18:19], s[18:19], exec
	s_cbranch_execz .LBB150_1760
	s_branch .LBB150_1761
.LBB150_2009:
	s_andn2_saveexec_b64 s[12:13], s[12:13]
	s_cbranch_execz .LBB150_1725
.LBB150_2010:
	v_add_f32_e32 v3, 0x42800000, v4
	v_and_b32_e32 v3, 0xff, v3
	v_cmp_ne_u32_e32 vcc, 0, v3
	s_andn2_b64 s[10:11], s[10:11], exec
	s_and_b64 s[14:15], vcc, exec
	s_or_b64 s[10:11], s[10:11], s[14:15]
	s_or_b64 exec, exec, s[12:13]
	v_mov_b32_e32 v5, 0
	s_and_saveexec_b64 s[12:13], s[10:11]
	s_cbranch_execnz .LBB150_1726
	s_branch .LBB150_1727
.LBB150_2011:
	s_andn2_saveexec_b64 s[14:15], s[14:15]
	s_cbranch_execz .LBB150_1831
.LBB150_2012:
	v_add_f32_e32 v3, 0x46000000, v4
	v_and_b32_e32 v3, 0xff, v3
	v_cmp_ne_u32_e32 vcc, 0, v3
	s_andn2_b64 s[12:13], s[12:13], exec
	s_and_b64 s[26:27], vcc, exec
	s_or_b64 s[12:13], s[12:13], s[26:27]
	s_or_b64 exec, exec, s[14:15]
	v_mov_b32_e32 v5, 0
	s_and_saveexec_b64 s[14:15], s[12:13]
	s_cbranch_execnz .LBB150_1832
	s_branch .LBB150_1833
.LBB150_2013:
	s_trap 2
	s_or_b64 s[18:19], s[18:19], exec
	s_cbranch_execz .LBB150_1879
	s_branch .LBB150_1880
.LBB150_2014:
	s_andn2_saveexec_b64 s[12:13], s[12:13]
	s_cbranch_execz .LBB150_1844
.LBB150_2015:
	v_add_f32_e32 v3, 0x42800000, v4
	v_and_b32_e32 v3, 0xff, v3
	v_cmp_ne_u32_e32 vcc, 0, v3
	s_andn2_b64 s[10:11], s[10:11], exec
	s_and_b64 s[14:15], vcc, exec
	s_or_b64 s[10:11], s[10:11], s[14:15]
	s_or_b64 exec, exec, s[12:13]
	v_mov_b32_e32 v5, 0
	s_and_saveexec_b64 s[12:13], s[10:11]
	s_cbranch_execnz .LBB150_1845
	s_branch .LBB150_1846
.LBB150_2016:
	s_andn2_saveexec_b64 s[10:11], s[10:11]
	s_cbranch_execz .LBB150_1951
.LBB150_2017:
	v_add_f32_e32 v2, 0x46000000, v3
	v_and_b32_e32 v2, 0xff, v2
	v_cmp_ne_u32_e32 vcc, 0, v2
	s_andn2_b64 s[8:9], s[8:9], exec
	s_and_b64 s[14:15], vcc, exec
	s_or_b64 s[8:9], s[8:9], s[14:15]
	s_or_b64 exec, exec, s[10:11]
	v_mov_b32_e32 v4, 0
	s_and_saveexec_b64 s[10:11], s[8:9]
	s_cbranch_execnz .LBB150_1952
	s_branch .LBB150_1953
.LBB150_2018:
	s_mov_b64 s[2:3], 0
	s_or_b64 s[18:19], s[18:19], exec
	s_trap 2
	s_branch .LBB150_1997
.LBB150_2019:
	s_andn2_saveexec_b64 s[8:9], s[8:9]
	s_cbranch_execz .LBB150_1963
.LBB150_2020:
	v_add_f32_e32 v2, 0x42800000, v3
	v_and_b32_e32 v2, 0xff, v2
	v_cmp_ne_u32_e32 vcc, 0, v2
	s_andn2_b64 s[4:5], s[4:5], exec
	s_and_b64 s[10:11], vcc, exec
	s_or_b64 s[4:5], s[4:5], s[10:11]
	s_or_b64 exec, exec, s[8:9]
	v_mov_b32_e32 v4, 0
	s_and_saveexec_b64 s[8:9], s[4:5]
	s_cbranch_execnz .LBB150_1964
	s_branch .LBB150_1965
	.section	.rodata,"a",@progbits
	.p2align	6, 0x0
	.amdhsa_kernel _ZN2at6native32elementwise_kernel_manual_unrollILi128ELi4EZNS0_15gpu_kernel_implIZNS0_21compare_scalar_kernelIbEEvRNS_18TensorIteratorBaseENS0_12_GLOBAL__N_16OpTypeET_EUlbE_EEvS5_RKS8_EUlibE_EEviT1_
		.amdhsa_group_segment_fixed_size 0
		.amdhsa_private_segment_fixed_size 0
		.amdhsa_kernarg_size 48
		.amdhsa_user_sgpr_count 6
		.amdhsa_user_sgpr_private_segment_buffer 1
		.amdhsa_user_sgpr_dispatch_ptr 0
		.amdhsa_user_sgpr_queue_ptr 0
		.amdhsa_user_sgpr_kernarg_segment_ptr 1
		.amdhsa_user_sgpr_dispatch_id 0
		.amdhsa_user_sgpr_flat_scratch_init 0
		.amdhsa_user_sgpr_private_segment_size 0
		.amdhsa_uses_dynamic_stack 0
		.amdhsa_system_sgpr_private_segment_wavefront_offset 0
		.amdhsa_system_sgpr_workgroup_id_x 1
		.amdhsa_system_sgpr_workgroup_id_y 0
		.amdhsa_system_sgpr_workgroup_id_z 0
		.amdhsa_system_sgpr_workgroup_info 0
		.amdhsa_system_vgpr_workitem_id 0
		.amdhsa_next_free_vgpr 8
		.amdhsa_next_free_sgpr 52
		.amdhsa_reserve_vcc 1
		.amdhsa_reserve_flat_scratch 0
		.amdhsa_float_round_mode_32 0
		.amdhsa_float_round_mode_16_64 0
		.amdhsa_float_denorm_mode_32 3
		.amdhsa_float_denorm_mode_16_64 3
		.amdhsa_dx10_clamp 1
		.amdhsa_ieee_mode 1
		.amdhsa_fp16_overflow 0
		.amdhsa_exception_fp_ieee_invalid_op 0
		.amdhsa_exception_fp_denorm_src 0
		.amdhsa_exception_fp_ieee_div_zero 0
		.amdhsa_exception_fp_ieee_overflow 0
		.amdhsa_exception_fp_ieee_underflow 0
		.amdhsa_exception_fp_ieee_inexact 0
		.amdhsa_exception_int_div_zero 0
	.end_amdhsa_kernel
	.section	.text._ZN2at6native32elementwise_kernel_manual_unrollILi128ELi4EZNS0_15gpu_kernel_implIZNS0_21compare_scalar_kernelIbEEvRNS_18TensorIteratorBaseENS0_12_GLOBAL__N_16OpTypeET_EUlbE_EEvS5_RKS8_EUlibE_EEviT1_,"axG",@progbits,_ZN2at6native32elementwise_kernel_manual_unrollILi128ELi4EZNS0_15gpu_kernel_implIZNS0_21compare_scalar_kernelIbEEvRNS_18TensorIteratorBaseENS0_12_GLOBAL__N_16OpTypeET_EUlbE_EEvS5_RKS8_EUlibE_EEviT1_,comdat
.Lfunc_end150:
	.size	_ZN2at6native32elementwise_kernel_manual_unrollILi128ELi4EZNS0_15gpu_kernel_implIZNS0_21compare_scalar_kernelIbEEvRNS_18TensorIteratorBaseENS0_12_GLOBAL__N_16OpTypeET_EUlbE_EEvS5_RKS8_EUlibE_EEviT1_, .Lfunc_end150-_ZN2at6native32elementwise_kernel_manual_unrollILi128ELi4EZNS0_15gpu_kernel_implIZNS0_21compare_scalar_kernelIbEEvRNS_18TensorIteratorBaseENS0_12_GLOBAL__N_16OpTypeET_EUlbE_EEvS5_RKS8_EUlibE_EEviT1_
                                        ; -- End function
	.set _ZN2at6native32elementwise_kernel_manual_unrollILi128ELi4EZNS0_15gpu_kernel_implIZNS0_21compare_scalar_kernelIbEEvRNS_18TensorIteratorBaseENS0_12_GLOBAL__N_16OpTypeET_EUlbE_EEvS5_RKS8_EUlibE_EEviT1_.num_vgpr, 8
	.set _ZN2at6native32elementwise_kernel_manual_unrollILi128ELi4EZNS0_15gpu_kernel_implIZNS0_21compare_scalar_kernelIbEEvRNS_18TensorIteratorBaseENS0_12_GLOBAL__N_16OpTypeET_EUlbE_EEvS5_RKS8_EUlibE_EEviT1_.num_agpr, 0
	.set _ZN2at6native32elementwise_kernel_manual_unrollILi128ELi4EZNS0_15gpu_kernel_implIZNS0_21compare_scalar_kernelIbEEvRNS_18TensorIteratorBaseENS0_12_GLOBAL__N_16OpTypeET_EUlbE_EEvS5_RKS8_EUlibE_EEviT1_.numbered_sgpr, 52
	.set _ZN2at6native32elementwise_kernel_manual_unrollILi128ELi4EZNS0_15gpu_kernel_implIZNS0_21compare_scalar_kernelIbEEvRNS_18TensorIteratorBaseENS0_12_GLOBAL__N_16OpTypeET_EUlbE_EEvS5_RKS8_EUlibE_EEviT1_.num_named_barrier, 0
	.set _ZN2at6native32elementwise_kernel_manual_unrollILi128ELi4EZNS0_15gpu_kernel_implIZNS0_21compare_scalar_kernelIbEEvRNS_18TensorIteratorBaseENS0_12_GLOBAL__N_16OpTypeET_EUlbE_EEvS5_RKS8_EUlibE_EEviT1_.private_seg_size, 0
	.set _ZN2at6native32elementwise_kernel_manual_unrollILi128ELi4EZNS0_15gpu_kernel_implIZNS0_21compare_scalar_kernelIbEEvRNS_18TensorIteratorBaseENS0_12_GLOBAL__N_16OpTypeET_EUlbE_EEvS5_RKS8_EUlibE_EEviT1_.uses_vcc, 1
	.set _ZN2at6native32elementwise_kernel_manual_unrollILi128ELi4EZNS0_15gpu_kernel_implIZNS0_21compare_scalar_kernelIbEEvRNS_18TensorIteratorBaseENS0_12_GLOBAL__N_16OpTypeET_EUlbE_EEvS5_RKS8_EUlibE_EEviT1_.uses_flat_scratch, 0
	.set _ZN2at6native32elementwise_kernel_manual_unrollILi128ELi4EZNS0_15gpu_kernel_implIZNS0_21compare_scalar_kernelIbEEvRNS_18TensorIteratorBaseENS0_12_GLOBAL__N_16OpTypeET_EUlbE_EEvS5_RKS8_EUlibE_EEviT1_.has_dyn_sized_stack, 0
	.set _ZN2at6native32elementwise_kernel_manual_unrollILi128ELi4EZNS0_15gpu_kernel_implIZNS0_21compare_scalar_kernelIbEEvRNS_18TensorIteratorBaseENS0_12_GLOBAL__N_16OpTypeET_EUlbE_EEvS5_RKS8_EUlibE_EEviT1_.has_recursion, 0
	.set _ZN2at6native32elementwise_kernel_manual_unrollILi128ELi4EZNS0_15gpu_kernel_implIZNS0_21compare_scalar_kernelIbEEvRNS_18TensorIteratorBaseENS0_12_GLOBAL__N_16OpTypeET_EUlbE_EEvS5_RKS8_EUlibE_EEviT1_.has_indirect_call, 0
	.section	.AMDGPU.csdata,"",@progbits
; Kernel info:
; codeLenInByte = 28260
; TotalNumSgprs: 56
; NumVgprs: 8
; ScratchSize: 0
; MemoryBound: 1
; FloatMode: 240
; IeeeMode: 1
; LDSByteSize: 0 bytes/workgroup (compile time only)
; SGPRBlocks: 6
; VGPRBlocks: 1
; NumSGPRsForWavesPerEU: 56
; NumVGPRsForWavesPerEU: 8
; Occupancy: 10
; WaveLimiterHint : 0
; COMPUTE_PGM_RSRC2:SCRATCH_EN: 0
; COMPUTE_PGM_RSRC2:USER_SGPR: 6
; COMPUTE_PGM_RSRC2:TRAP_HANDLER: 0
; COMPUTE_PGM_RSRC2:TGID_X_EN: 1
; COMPUTE_PGM_RSRC2:TGID_Y_EN: 0
; COMPUTE_PGM_RSRC2:TGID_Z_EN: 0
; COMPUTE_PGM_RSRC2:TIDIG_COMP_CNT: 0
	.section	.text._ZN2at6native32elementwise_kernel_manual_unrollILi128ELi4EZNS0_15gpu_kernel_implIZNS0_21compare_scalar_kernelIbEEvRNS_18TensorIteratorBaseENS0_12_GLOBAL__N_16OpTypeET_EUlbE_EEvS5_RKS8_EUlibE0_EEviT1_,"axG",@progbits,_ZN2at6native32elementwise_kernel_manual_unrollILi128ELi4EZNS0_15gpu_kernel_implIZNS0_21compare_scalar_kernelIbEEvRNS_18TensorIteratorBaseENS0_12_GLOBAL__N_16OpTypeET_EUlbE_EEvS5_RKS8_EUlibE0_EEviT1_,comdat
	.globl	_ZN2at6native32elementwise_kernel_manual_unrollILi128ELi4EZNS0_15gpu_kernel_implIZNS0_21compare_scalar_kernelIbEEvRNS_18TensorIteratorBaseENS0_12_GLOBAL__N_16OpTypeET_EUlbE_EEvS5_RKS8_EUlibE0_EEviT1_ ; -- Begin function _ZN2at6native32elementwise_kernel_manual_unrollILi128ELi4EZNS0_15gpu_kernel_implIZNS0_21compare_scalar_kernelIbEEvRNS_18TensorIteratorBaseENS0_12_GLOBAL__N_16OpTypeET_EUlbE_EEvS5_RKS8_EUlibE0_EEviT1_
	.p2align	8
	.type	_ZN2at6native32elementwise_kernel_manual_unrollILi128ELi4EZNS0_15gpu_kernel_implIZNS0_21compare_scalar_kernelIbEEvRNS_18TensorIteratorBaseENS0_12_GLOBAL__N_16OpTypeET_EUlbE_EEvS5_RKS8_EUlibE0_EEviT1_,@function
_ZN2at6native32elementwise_kernel_manual_unrollILi128ELi4EZNS0_15gpu_kernel_implIZNS0_21compare_scalar_kernelIbEEvRNS_18TensorIteratorBaseENS0_12_GLOBAL__N_16OpTypeET_EUlbE_EEvS5_RKS8_EUlibE0_EEviT1_: ; @_ZN2at6native32elementwise_kernel_manual_unrollILi128ELi4EZNS0_15gpu_kernel_implIZNS0_21compare_scalar_kernelIbEEvRNS_18TensorIteratorBaseENS0_12_GLOBAL__N_16OpTypeET_EUlbE_EEvS5_RKS8_EUlibE0_EEviT1_
; %bb.0:
	s_load_dword s76, s[4:5], 0x0
	s_load_dword s33, s[4:5], 0x8
	s_add_u32 s34, s4, 8
	s_addc_u32 s35, s5, 0
	v_lshl_or_b32 v8, s6, 9, v0
	v_or_b32_e32 v15, 0x180, v8
	s_waitcnt lgkmcnt(0)
	s_add_i32 s78, s33, -1
	s_cmp_gt_u32 s78, 1
	v_cmp_le_i32_e32 vcc, s76, v15
	s_cselect_b64 s[40:41], -1, 0
	s_mov_b64 s[6:7], 0
	s_mov_b64 s[28:29], 0
	s_and_saveexec_b64 s[0:1], vcc
	s_xor_b64 s[42:43], exec, s[0:1]
	s_cbranch_execz .LBB151_1074
; %bb.1:
	s_load_dwordx4 s[28:31], s[34:35], 0x4
	s_load_dwordx2 s[50:51], s[34:35], 0x14
	s_load_dwordx2 s[48:49], s[34:35], 0x158
	s_load_dword s79, s[34:35], 0x160
	s_cmp_lg_u32 s33, 0
	s_cselect_b64 s[56:57], -1, 0
	s_add_u32 s54, s34, 0xc4
	s_addc_u32 s55, s35, 0
	s_min_u32 s81, s78, 15
	s_cmp_gt_u32 s33, 1
	s_load_dwordx4 s[36:39], s[34:35], 0xc4
	s_load_dwordx4 s[24:27], s[34:35], 0x148
	s_cselect_b64 s[52:53], -1, 0
	s_waitcnt lgkmcnt(0)
	s_bfe_u32 s80, s79, 0x80008
	s_bitcmp1_b32 s49, 0
	s_cselect_b64 s[46:47], -1, 0
	s_mov_b64 s[2:3], -1
	s_xor_b64 s[44:45], s[46:47], -1
	v_cmp_gt_i32_e32 vcc, s76, v8
	s_mov_b64 s[66:67], 0
	s_mov_b64 s[60:61], 0
	;; [unrolled: 1-line block ×3, first 2 shown]
	s_and_saveexec_b64 s[62:63], vcc
	s_cbranch_execz .LBB151_263
; %bb.2:
	s_andn2_b64 vcc, exec, s[40:41]
	s_cbranch_vccnz .LBB151_7
; %bb.3:
	s_andn2_b64 vcc, exec, s[56:57]
	s_cbranch_vccnz .LBB151_8
; %bb.4:
	s_add_i32 s64, s81, 1
	s_cmp_eq_u32 s78, 2
	s_cbranch_scc1 .LBB151_9
; %bb.5:
	s_and_b32 s49, s64, 28
	v_mov_b32_e32 v2, 0
	s_mov_b32 s65, 0
	s_mov_b64 s[58:59], s[34:35]
	s_mov_b64 s[60:61], s[54:55]
	v_mov_b32_e32 v0, 0
	v_mov_b32_e32 v1, v8
.LBB151_6:                              ; =>This Inner Loop Header: Depth=1
	s_load_dwordx8 s[16:23], s[58:59], 0x4
	s_load_dwordx4 s[0:3], s[58:59], 0x24
	s_load_dwordx8 s[8:15], s[60:61], 0x0
	s_add_u32 s58, s58, 48
	s_addc_u32 s59, s59, 0
	s_waitcnt lgkmcnt(0)
	v_mul_hi_u32 v3, s17, v1
	s_add_i32 s65, s65, 4
	s_add_u32 s60, s60, 32
	s_addc_u32 s61, s61, 0
	v_add_u32_e32 v3, v1, v3
	v_lshrrev_b32_e32 v3, s18, v3
	v_mul_lo_u32 v4, v3, s16
	v_mul_hi_u32 v5, s20, v3
	s_cmp_lg_u32 s49, s65
	v_sub_u32_e32 v1, v1, v4
	v_add_u32_e32 v4, v3, v5
	v_mul_lo_u32 v5, v1, s8
	v_mul_lo_u32 v6, v1, s9
	v_lshrrev_b32_e32 v1, s21, v4
	v_mul_lo_u32 v4, v1, s19
	v_mul_hi_u32 v7, s23, v1
	v_sub_u32_e32 v3, v3, v4
	v_add_u32_e32 v4, v1, v7
	v_lshrrev_b32_e32 v4, s0, v4
	v_mul_hi_u32 v9, s2, v4
	v_mul_lo_u32 v10, v4, s22
	v_mul_lo_u32 v7, v3, s10
	v_mul_lo_u32 v3, v3, s11
	v_sub_u32_e32 v10, v1, v10
	v_add_u32_e32 v1, v4, v9
	v_lshrrev_b32_e32 v1, s3, v1
	v_mul_lo_u32 v9, v1, s1
	v_mul_lo_u32 v11, v10, s12
	;; [unrolled: 1-line block ×3, first 2 shown]
	v_add3_u32 v0, v5, v0, v7
	v_sub_u32_e32 v4, v4, v9
	v_mul_lo_u32 v9, v4, s14
	v_mul_lo_u32 v4, v4, s15
	v_add3_u32 v2, v6, v2, v3
	v_add3_u32 v0, v11, v0, v9
	;; [unrolled: 1-line block ×3, first 2 shown]
	s_cbranch_scc1 .LBB151_6
	s_branch .LBB151_10
.LBB151_7:
                                        ; implicit-def: $vgpr0
                                        ; implicit-def: $vgpr2
	s_branch .LBB151_14
.LBB151_8:
	v_mov_b32_e32 v0, 0
	v_mov_b32_e32 v2, 0
	s_branch .LBB151_13
.LBB151_9:
	s_mov_b32 s49, 0
	v_mov_b32_e32 v0, 0
	v_mov_b32_e32 v2, 0
	v_mov_b32_e32 v1, v8
.LBB151_10:
	s_and_b32 s8, s64, 3
	s_cmp_eq_u32 s8, 0
	s_cbranch_scc1 .LBB151_13
; %bb.11:
	s_lshl_b32 s0, s49, 3
	s_add_u32 s0, s34, s0
	s_addc_u32 s1, s35, 0
	s_add_u32 s0, s0, 0xc4
	s_addc_u32 s1, s1, 0
	s_mul_i32 s2, s49, 12
	s_add_u32 s2, s34, s2
	s_addc_u32 s3, s35, 0
.LBB151_12:                             ; =>This Inner Loop Header: Depth=1
	s_load_dwordx2 s[10:11], s[2:3], 0x4
	s_load_dword s9, s[2:3], 0xc
	s_load_dwordx2 s[12:13], s[0:1], 0x0
	s_add_u32 s2, s2, 12
	s_addc_u32 s3, s3, 0
	s_waitcnt lgkmcnt(0)
	v_mul_hi_u32 v3, s11, v1
	s_add_u32 s0, s0, 8
	s_addc_u32 s1, s1, 0
	s_add_i32 s8, s8, -1
	v_add_u32_e32 v3, v1, v3
	v_lshrrev_b32_e32 v4, s9, v3
	v_mul_lo_u32 v3, v4, s10
	s_cmp_lg_u32 s8, 0
	v_sub_u32_e32 v3, v1, v3
	v_mad_u64_u32 v[0:1], s[10:11], v3, s12, v[0:1]
	v_mad_u64_u32 v[2:3], s[10:11], v3, s13, v[2:3]
	v_mov_b32_e32 v1, v4
	s_cbranch_scc1 .LBB151_12
.LBB151_13:
	s_cbranch_execnz .LBB151_16
.LBB151_14:
	v_mul_hi_u32 v0, s29, v8
	s_andn2_b64 vcc, exec, s[52:53]
	v_add_u32_e32 v0, v8, v0
	v_lshrrev_b32_e32 v1, s30, v0
	v_mul_lo_u32 v0, v1, s28
	v_sub_u32_e32 v2, v8, v0
	v_mul_lo_u32 v0, v2, s36
	v_mul_lo_u32 v2, v2, s37
	s_cbranch_vccnz .LBB151_16
; %bb.15:
	v_mul_hi_u32 v3, s50, v1
	v_add_u32_e32 v3, v1, v3
	v_lshrrev_b32_e32 v3, s51, v3
	v_mul_lo_u32 v3, v3, s31
	v_sub_u32_e32 v3, v1, v3
	v_mad_u64_u32 v[0:1], s[0:1], v3, s38, v[0:1]
	v_mad_u64_u32 v[2:3], s[0:1], v3, s39, v[2:3]
.LBB151_16:
	v_mov_b32_e32 v3, s27
	s_and_b32 s12, 0xffff, s80
	v_add_co_u32_e32 v1, vcc, s26, v2
	s_cmp_lt_i32 s12, 11
	v_addc_co_u32_e32 v2, vcc, 0, v3, vcc
	s_cbranch_scc1 .LBB151_23
; %bb.17:
	s_cmp_gt_i32 s12, 25
	s_cbranch_scc0 .LBB151_29
; %bb.18:
	s_cmp_gt_i32 s12, 28
	s_cbranch_scc0 .LBB151_31
	;; [unrolled: 3-line block ×4, first 2 shown]
; %bb.21:
	s_cmp_eq_u32 s12, 46
	s_mov_b64 s[10:11], 0
	s_cbranch_scc0 .LBB151_56
; %bb.22:
	global_load_dword v3, v[1:2], off
	s_mov_b64 s[8:9], -1
	s_mov_b64 s[2:3], 0
	s_waitcnt vmcnt(0)
	v_and_b32_e32 v3, 0x7fff7fff, v3
	v_cmp_ne_u32_e64 s[0:1], 0, v3
	s_branch .LBB151_58
.LBB151_23:
	s_mov_b64 s[2:3], 0
                                        ; implicit-def: $sgpr0_sgpr1
	s_mov_b64 s[8:9], 0
	s_cbranch_execnz .LBB151_104
.LBB151_24:
	s_andn2_b64 vcc, exec, s[8:9]
	s_cbranch_vccnz .LBB151_151
.LBB151_25:
	s_cmp_lt_i32 s48, 1
	s_mov_b64 s[8:9], 0
	s_cbranch_scc1 .LBB151_30
; %bb.26:
	s_cmp_gt_i32 s48, 1
	s_cbranch_scc0 .LBB151_32
; %bb.27:
	s_cmp_eq_u32 s48, 2
	s_cbranch_scc0 .LBB151_34
; %bb.28:
	s_xor_b64 s[2:3], s[0:1], -1
	s_or_b64 s[2:3], s[46:47], s[2:3]
	s_mov_b64 s[10:11], 0
	s_branch .LBB151_35
.LBB151_29:
	s_mov_b64 s[2:3], 0
	s_mov_b64 s[8:9], 0
                                        ; implicit-def: $sgpr0_sgpr1
	s_cbranch_execnz .LBB151_79
	s_branch .LBB151_103
.LBB151_30:
                                        ; implicit-def: $sgpr2_sgpr3
	s_mov_b64 s[10:11], 0
	s_cbranch_execnz .LBB151_39
	s_branch .LBB151_40
.LBB151_31:
	s_mov_b64 s[10:11], -1
	s_mov_b64 s[2:3], 0
	s_mov_b64 s[8:9], 0
                                        ; implicit-def: $sgpr0_sgpr1
	s_branch .LBB151_66
.LBB151_32:
	s_mov_b64 s[12:13], -1
	s_mov_b64 s[10:11], 0
                                        ; implicit-def: $sgpr2_sgpr3
	s_branch .LBB151_36
.LBB151_33:
	s_mov_b64 s[10:11], -1
	s_mov_b64 s[2:3], 0
	s_mov_b64 s[8:9], 0
                                        ; implicit-def: $sgpr0_sgpr1
	s_branch .LBB151_61
.LBB151_34:
	s_mov_b64 s[10:11], -1
                                        ; implicit-def: $sgpr2_sgpr3
.LBB151_35:
	s_mov_b64 s[12:13], 0
.LBB151_36:
	s_and_b64 vcc, exec, s[12:13]
	s_cbranch_vccz .LBB151_38
; %bb.37:
	s_and_b64 s[12:13], s[0:1], s[44:45]
	s_andn2_b64 s[2:3], s[2:3], exec
	s_and_b64 s[12:13], s[12:13], exec
	s_or_b64 s[2:3], s[2:3], s[12:13]
.LBB151_38:
	s_branch .LBB151_40
.LBB151_39:
	s_cmp_lg_u32 s48, 0
	s_mov_b64 s[8:9], -1
	s_cselect_b64 s[10:11], -1, 0
.LBB151_40:
	s_andn2_b64 vcc, exec, s[10:11]
	s_cbranch_vccnz .LBB151_42
; %bb.41:
	s_xor_b64 s[8:9], s[0:1], -1
	s_and_b64 s[10:11], s[46:47], s[8:9]
	s_andn2_b64 s[2:3], s[2:3], exec
	s_and_b64 s[10:11], s[10:11], exec
	s_or_b64 s[2:3], s[2:3], s[10:11]
	s_cbranch_execz .LBB151_43
	s_branch .LBB151_44
.LBB151_42:
	s_andn2_b64 vcc, exec, s[8:9]
	s_cbranch_vccnz .LBB151_44
.LBB151_43:
	s_or_b64 s[0:1], s[0:1], s[44:45]
	s_andn2_b64 s[2:3], s[2:3], exec
	s_and_b64 s[0:1], s[0:1], exec
	s_or_b64 s[2:3], s[2:3], s[0:1]
.LBB151_44:
	v_mov_b32_e32 v1, s25
	s_and_b32 s14, s79, 0xff
	v_add_co_u32_e32 v0, vcc, s24, v0
	s_cmp_lt_i32 s14, 11
	v_addc_co_u32_e32 v1, vcc, 0, v1, vcc
	s_cbranch_scc1 .LBB151_51
; %bb.45:
	s_and_b32 s15, 0xffff, s14
	s_cmp_gt_i32 s15, 25
	s_cbranch_scc0 .LBB151_52
; %bb.46:
	s_cmp_gt_i32 s15, 28
	s_cbranch_scc0 .LBB151_53
; %bb.47:
	;; [unrolled: 3-line block ×4, first 2 shown]
	s_mov_b64 s[10:11], 0
	s_mov_b64 s[0:1], -1
	s_cmp_eq_u32 s15, 46
	s_mov_b64 s[8:9], 0
	s_cbranch_scc0 .LBB151_153
; %bb.50:
	v_cndmask_b32_e64 v2, 0, 1.0, s[2:3]
	v_bfe_u32 v3, v2, 16, 1
	s_movk_i32 s0, 0x7fff
	v_add3_u32 v2, v2, v3, s0
	v_lshrrev_b32_e32 v2, 16, v2
	global_store_dword v[0:1], v2, off
	s_mov_b64 s[8:9], -1
	s_mov_b64 s[0:1], 0
	s_branch .LBB151_153
.LBB151_51:
	s_mov_b64 s[0:1], 0
	s_mov_b64 s[8:9], 0
	s_cbranch_execnz .LBB151_222
	s_branch .LBB151_260
.LBB151_52:
	s_mov_b64 s[10:11], -1
	s_mov_b64 s[0:1], 0
	s_mov_b64 s[8:9], 0
	s_branch .LBB151_180
.LBB151_53:
	s_mov_b64 s[10:11], -1
	s_mov_b64 s[0:1], 0
	s_mov_b64 s[8:9], 0
	s_branch .LBB151_163
.LBB151_54:
	s_mov_b64 s[10:11], -1
	s_mov_b64 s[2:3], 0
	s_branch .LBB151_57
.LBB151_55:
	s_mov_b64 s[10:11], -1
	s_mov_b64 s[0:1], 0
	s_mov_b64 s[8:9], 0
	s_branch .LBB151_159
.LBB151_56:
	s_mov_b64 s[2:3], -1
.LBB151_57:
	s_mov_b64 s[8:9], 0
                                        ; implicit-def: $sgpr0_sgpr1
.LBB151_58:
	s_and_b64 vcc, exec, s[10:11]
	s_cbranch_vccz .LBB151_60
; %bb.59:
	s_cmp_eq_u32 s12, 44
	s_mov_b64 s[2:3], -1
	s_cselect_b64 s[8:9], -1, 0
	s_or_b64 s[0:1], s[0:1], exec
.LBB151_60:
	s_mov_b64 s[10:11], 0
.LBB151_61:
	s_and_b64 vcc, exec, s[10:11]
	s_cbranch_vccz .LBB151_65
; %bb.62:
	s_cmp_eq_u32 s12, 29
	s_cbranch_scc0 .LBB151_64
; %bb.63:
	global_load_dwordx2 v[3:4], v[1:2], off
	s_mov_b64 s[2:3], 0
	s_mov_b64 s[8:9], -1
	s_mov_b64 s[10:11], 0
	s_waitcnt vmcnt(0)
	v_cmp_ne_u64_e64 s[0:1], 0, v[3:4]
	s_branch .LBB151_66
.LBB151_64:
	s_mov_b64 s[2:3], -1
                                        ; implicit-def: $sgpr0_sgpr1
.LBB151_65:
	s_mov_b64 s[10:11], 0
.LBB151_66:
	s_and_b64 vcc, exec, s[10:11]
	s_cbranch_vccz .LBB151_78
; %bb.67:
	s_cmp_lt_i32 s12, 27
	s_cbranch_scc1 .LBB151_70
; %bb.68:
	s_cmp_gt_i32 s12, 27
	s_cbranch_scc0 .LBB151_71
; %bb.69:
	global_load_dword v3, v[1:2], off
	s_mov_b64 s[8:9], 0
	s_waitcnt vmcnt(0)
	v_cmp_ne_u32_e64 s[0:1], 0, v3
	s_branch .LBB151_72
.LBB151_70:
	s_mov_b64 s[8:9], -1
                                        ; implicit-def: $sgpr0_sgpr1
	s_branch .LBB151_75
.LBB151_71:
	s_mov_b64 s[8:9], -1
                                        ; implicit-def: $sgpr0_sgpr1
.LBB151_72:
	s_andn2_b64 vcc, exec, s[8:9]
	s_cbranch_vccnz .LBB151_74
; %bb.73:
	global_load_ushort v3, v[1:2], off
	s_andn2_b64 s[0:1], s[0:1], exec
	s_waitcnt vmcnt(0)
	v_cmp_ne_u16_e32 vcc, 0, v3
	s_and_b64 s[8:9], vcc, exec
	s_or_b64 s[0:1], s[0:1], s[8:9]
.LBB151_74:
	s_mov_b64 s[8:9], 0
.LBB151_75:
	s_andn2_b64 vcc, exec, s[8:9]
	s_cbranch_vccnz .LBB151_77
; %bb.76:
	global_load_ubyte v3, v[1:2], off
	s_andn2_b64 s[0:1], s[0:1], exec
	s_waitcnt vmcnt(0)
	v_cmp_ne_u16_e32 vcc, 0, v3
	s_and_b64 s[8:9], vcc, exec
	s_or_b64 s[0:1], s[0:1], s[8:9]
.LBB151_77:
	s_mov_b64 s[8:9], -1
.LBB151_78:
	s_branch .LBB151_103
.LBB151_79:
	s_cmp_gt_i32 s12, 22
	s_cbranch_scc0 .LBB151_83
; %bb.80:
	s_cmp_lt_i32 s12, 24
	s_cbranch_scc1 .LBB151_84
; %bb.81:
	s_cmp_gt_i32 s12, 24
	s_cbranch_scc0 .LBB151_85
; %bb.82:
	global_load_ubyte v3, v[1:2], off
	s_mov_b64 s[8:9], 0
	s_waitcnt vmcnt(0)
	v_cmp_ne_u16_e64 s[0:1], 0, v3
	s_branch .LBB151_86
.LBB151_83:
	s_mov_b64 s[10:11], -1
                                        ; implicit-def: $sgpr0_sgpr1
	s_branch .LBB151_92
.LBB151_84:
	s_mov_b64 s[8:9], -1
                                        ; implicit-def: $sgpr0_sgpr1
	s_branch .LBB151_89
.LBB151_85:
	s_mov_b64 s[8:9], -1
                                        ; implicit-def: $sgpr0_sgpr1
.LBB151_86:
	s_andn2_b64 vcc, exec, s[8:9]
	s_cbranch_vccnz .LBB151_88
; %bb.87:
	global_load_ubyte v3, v[1:2], off
	s_andn2_b64 s[0:1], s[0:1], exec
	s_waitcnt vmcnt(0)
	v_and_b32_e32 v3, 0x7f, v3
	v_cmp_ne_u16_e32 vcc, 0, v3
	s_and_b64 s[8:9], vcc, exec
	s_or_b64 s[0:1], s[0:1], s[8:9]
.LBB151_88:
	s_mov_b64 s[8:9], 0
.LBB151_89:
	s_andn2_b64 vcc, exec, s[8:9]
	s_cbranch_vccnz .LBB151_91
; %bb.90:
	global_load_ubyte v3, v[1:2], off
	s_movk_i32 s8, 0x7f00
	s_brev_b32 s9, 16
	s_andn2_b64 s[0:1], s[0:1], exec
	s_waitcnt vmcnt(0)
	v_lshlrev_b32_e32 v4, 8, v3
	v_lshlrev_b32_e32 v3, 25, v3
	v_lshrrev_b32_e32 v5, 4, v3
	v_and_or_b32 v4, v4, s8, 0.5
	v_or_b32_e32 v5, 0x70000000, v5
	v_add_f32_e32 v4, -0.5, v4
	v_mul_f32_e32 v5, 0x7800000, v5
	v_cmp_gt_u32_e32 vcc, s9, v3
	v_cndmask_b32_e32 v3, v5, v4, vcc
	v_cmp_neq_f32_e32 vcc, 0, v3
	s_and_b64 s[8:9], vcc, exec
	s_or_b64 s[0:1], s[0:1], s[8:9]
.LBB151_91:
	s_mov_b64 s[10:11], 0
	s_mov_b64 s[8:9], -1
.LBB151_92:
	s_andn2_b64 vcc, exec, s[10:11]
	s_cbranch_vccnz .LBB151_103
; %bb.93:
	s_cmp_gt_i32 s12, 14
	s_cbranch_scc0 .LBB151_96
; %bb.94:
	s_cmp_eq_u32 s12, 15
	s_cbranch_scc0 .LBB151_97
; %bb.95:
	global_load_ushort v3, v[1:2], off
	s_mov_b64 s[8:9], -1
	s_mov_b64 s[2:3], 0
	s_waitcnt vmcnt(0)
	v_and_b32_e32 v3, 0x7fff, v3
	v_cmp_ne_u16_e64 s[0:1], 0, v3
	s_branch .LBB151_98
.LBB151_96:
	s_mov_b64 s[10:11], -1
                                        ; implicit-def: $sgpr0_sgpr1
	s_branch .LBB151_99
.LBB151_97:
	s_mov_b64 s[2:3], -1
                                        ; implicit-def: $sgpr0_sgpr1
.LBB151_98:
	s_mov_b64 s[10:11], 0
.LBB151_99:
	s_and_b64 vcc, exec, s[10:11]
	s_cbranch_vccz .LBB151_103
; %bb.100:
	s_cmp_eq_u32 s12, 11
	s_cbranch_scc0 .LBB151_102
; %bb.101:
	global_load_ubyte v3, v[1:2], off
	s_mov_b64 s[8:9], -1
	s_mov_b64 s[2:3], 0
	s_waitcnt vmcnt(0)
	v_cmp_ne_u16_e64 s[0:1], 0, v3
	s_branch .LBB151_103
.LBB151_102:
	s_mov_b64 s[2:3], -1
                                        ; implicit-def: $sgpr0_sgpr1
.LBB151_103:
	s_branch .LBB151_24
.LBB151_104:
	s_cmp_lt_i32 s12, 5
	s_cbranch_scc1 .LBB151_109
; %bb.105:
	s_cmp_lt_i32 s12, 8
	s_cbranch_scc1 .LBB151_110
; %bb.106:
	;; [unrolled: 3-line block ×3, first 2 shown]
	s_cmp_gt_i32 s12, 9
	s_cbranch_scc0 .LBB151_112
; %bb.108:
	global_load_dwordx4 v[3:6], v[1:2], off
	s_mov_b64 s[8:9], 0
	s_waitcnt vmcnt(0)
	v_cmp_neq_f64_e32 vcc, 0, v[3:4]
	v_cmp_neq_f64_e64 s[0:1], 0, v[5:6]
	s_or_b64 s[0:1], vcc, s[0:1]
	s_branch .LBB151_113
.LBB151_109:
                                        ; implicit-def: $sgpr0_sgpr1
	s_branch .LBB151_131
.LBB151_110:
	s_mov_b64 s[8:9], -1
                                        ; implicit-def: $sgpr0_sgpr1
	s_branch .LBB151_119
.LBB151_111:
	s_mov_b64 s[8:9], -1
                                        ; implicit-def: $sgpr0_sgpr1
	s_branch .LBB151_116
.LBB151_112:
	s_mov_b64 s[8:9], -1
                                        ; implicit-def: $sgpr0_sgpr1
.LBB151_113:
	s_andn2_b64 vcc, exec, s[8:9]
	s_cbranch_vccnz .LBB151_115
; %bb.114:
	global_load_dwordx2 v[3:4], v[1:2], off
	s_andn2_b64 s[0:1], s[0:1], exec
	s_waitcnt vmcnt(0)
	v_or_b32_e32 v3, v3, v4
	v_and_b32_e32 v3, 0x7fffffff, v3
	v_cmp_ne_u32_e32 vcc, 0, v3
	s_and_b64 s[8:9], vcc, exec
	s_or_b64 s[0:1], s[0:1], s[8:9]
.LBB151_115:
	s_mov_b64 s[8:9], 0
.LBB151_116:
	s_andn2_b64 vcc, exec, s[8:9]
	s_cbranch_vccnz .LBB151_118
; %bb.117:
	global_load_dword v3, v[1:2], off
	s_andn2_b64 s[0:1], s[0:1], exec
	s_waitcnt vmcnt(0)
	v_and_b32_e32 v3, 0x7fff7fff, v3
	v_cmp_ne_u32_e32 vcc, 0, v3
	s_and_b64 s[8:9], vcc, exec
	s_or_b64 s[0:1], s[0:1], s[8:9]
.LBB151_118:
	s_mov_b64 s[8:9], 0
.LBB151_119:
	s_andn2_b64 vcc, exec, s[8:9]
	s_cbranch_vccnz .LBB151_130
; %bb.120:
	s_cmp_lt_i32 s12, 6
	s_cbranch_scc1 .LBB151_123
; %bb.121:
	s_cmp_gt_i32 s12, 6
	s_cbranch_scc0 .LBB151_124
; %bb.122:
	global_load_dwordx2 v[3:4], v[1:2], off
	s_mov_b64 s[8:9], 0
	s_waitcnt vmcnt(0)
	v_cmp_neq_f64_e64 s[0:1], 0, v[3:4]
	s_branch .LBB151_125
.LBB151_123:
	s_mov_b64 s[8:9], -1
                                        ; implicit-def: $sgpr0_sgpr1
	s_branch .LBB151_128
.LBB151_124:
	s_mov_b64 s[8:9], -1
                                        ; implicit-def: $sgpr0_sgpr1
.LBB151_125:
	s_andn2_b64 vcc, exec, s[8:9]
	s_cbranch_vccnz .LBB151_127
; %bb.126:
	global_load_dword v3, v[1:2], off
	s_andn2_b64 s[0:1], s[0:1], exec
	s_waitcnt vmcnt(0)
	v_cmp_neq_f32_e32 vcc, 0, v3
	s_and_b64 s[8:9], vcc, exec
	s_or_b64 s[0:1], s[0:1], s[8:9]
.LBB151_127:
	s_mov_b64 s[8:9], 0
.LBB151_128:
	s_andn2_b64 vcc, exec, s[8:9]
	s_cbranch_vccnz .LBB151_130
; %bb.129:
	global_load_ushort v3, v[1:2], off
	s_andn2_b64 s[0:1], s[0:1], exec
	s_waitcnt vmcnt(0)
	v_and_b32_e32 v3, 0x7fff, v3
	v_cmp_ne_u16_e32 vcc, 0, v3
	s_and_b64 s[8:9], vcc, exec
	s_or_b64 s[0:1], s[0:1], s[8:9]
.LBB151_130:
	s_cbranch_execnz .LBB151_150
.LBB151_131:
	s_cmp_lt_i32 s12, 2
	s_cbranch_scc1 .LBB151_135
; %bb.132:
	s_cmp_lt_i32 s12, 3
	s_cbranch_scc1 .LBB151_136
; %bb.133:
	s_cmp_gt_i32 s12, 3
	s_cbranch_scc0 .LBB151_137
; %bb.134:
	global_load_dwordx2 v[3:4], v[1:2], off
	s_mov_b64 s[8:9], 0
	s_waitcnt vmcnt(0)
	v_cmp_ne_u64_e64 s[0:1], 0, v[3:4]
	s_branch .LBB151_138
.LBB151_135:
	s_mov_b64 s[8:9], -1
                                        ; implicit-def: $sgpr0_sgpr1
	s_branch .LBB151_144
.LBB151_136:
	s_mov_b64 s[8:9], -1
                                        ; implicit-def: $sgpr0_sgpr1
	s_branch .LBB151_141
.LBB151_137:
	s_mov_b64 s[8:9], -1
                                        ; implicit-def: $sgpr0_sgpr1
.LBB151_138:
	s_andn2_b64 vcc, exec, s[8:9]
	s_cbranch_vccnz .LBB151_140
; %bb.139:
	global_load_dword v3, v[1:2], off
	s_andn2_b64 s[0:1], s[0:1], exec
	s_waitcnt vmcnt(0)
	v_cmp_ne_u32_e32 vcc, 0, v3
	s_and_b64 s[8:9], vcc, exec
	s_or_b64 s[0:1], s[0:1], s[8:9]
.LBB151_140:
	s_mov_b64 s[8:9], 0
.LBB151_141:
	s_andn2_b64 vcc, exec, s[8:9]
	s_cbranch_vccnz .LBB151_143
; %bb.142:
	global_load_ushort v3, v[1:2], off
	s_andn2_b64 s[0:1], s[0:1], exec
	s_waitcnt vmcnt(0)
	v_cmp_ne_u16_e32 vcc, 0, v3
	s_and_b64 s[8:9], vcc, exec
	s_or_b64 s[0:1], s[0:1], s[8:9]
.LBB151_143:
	s_mov_b64 s[8:9], 0
.LBB151_144:
	s_andn2_b64 vcc, exec, s[8:9]
	s_cbranch_vccnz .LBB151_150
; %bb.145:
	s_cmp_gt_i32 s12, 0
	s_cbranch_scc0 .LBB151_147
; %bb.146:
	global_load_ubyte v3, v[1:2], off
	s_mov_b64 s[8:9], 0
	s_waitcnt vmcnt(0)
	v_cmp_ne_u16_e64 s[0:1], 0, v3
	s_branch .LBB151_148
.LBB151_147:
	s_mov_b64 s[8:9], -1
                                        ; implicit-def: $sgpr0_sgpr1
.LBB151_148:
	s_andn2_b64 vcc, exec, s[8:9]
	s_cbranch_vccnz .LBB151_150
; %bb.149:
	global_load_ubyte v1, v[1:2], off
	s_andn2_b64 s[0:1], s[0:1], exec
	s_waitcnt vmcnt(0)
	v_cmp_ne_u16_e32 vcc, 0, v1
	s_and_b64 s[8:9], vcc, exec
	s_or_b64 s[0:1], s[0:1], s[8:9]
.LBB151_150:
	s_branch .LBB151_25
.LBB151_151:
	s_mov_b64 s[0:1], 0
	s_mov_b64 s[8:9], 0
                                        ; implicit-def: $vgpr8
	s_branch .LBB151_262
.LBB151_152:
	s_mov_b64 s[10:11], -1
	s_mov_b64 s[0:1], 0
	s_mov_b64 s[8:9], 0
.LBB151_153:
	s_and_b64 vcc, exec, s[10:11]
	s_cbranch_vccz .LBB151_158
; %bb.154:
	s_cmp_eq_u32 s15, 44
	s_mov_b64 s[0:1], -1
	s_cbranch_scc0 .LBB151_158
; %bb.155:
	v_cndmask_b32_e64 v3, 0, 1.0, s[2:3]
	v_lshrrev_b32_e32 v2, 23, v3
	s_movk_i32 s0, 0xff
	v_cmp_ne_u32_e32 vcc, s0, v2
	v_mov_b32_e32 v4, 0xff
	s_and_saveexec_b64 s[8:9], vcc
; %bb.156:
	s_mov_b32 s0, 0x3fffff
	v_and_b32_e32 v4, 0x400000, v3
	v_and_or_b32 v3, v3, s0, v2
	v_cmp_ne_u32_e32 vcc, 0, v4
	v_cmp_ne_u32_e64 s[0:1], 0, v3
	s_and_b64 s[0:1], vcc, s[0:1]
	v_cndmask_b32_e64 v3, 0, 1, s[0:1]
	v_add_u32_e32 v4, v2, v3
; %bb.157:
	s_or_b64 exec, exec, s[8:9]
	s_mov_b64 s[8:9], -1
	s_mov_b64 s[0:1], 0
	global_store_byte v[0:1], v4, off
.LBB151_158:
	s_mov_b64 s[10:11], 0
.LBB151_159:
	s_and_b64 vcc, exec, s[10:11]
	s_cbranch_vccz .LBB151_162
; %bb.160:
	s_cmp_eq_u32 s15, 29
	s_mov_b64 s[0:1], -1
	s_cbranch_scc0 .LBB151_162
; %bb.161:
	s_mov_b32 s0, 0
	v_cndmask_b32_e64 v2, 0, 1, s[2:3]
	v_mov_b32_e32 v3, s0
	global_store_dwordx2 v[0:1], v[2:3], off
	s_mov_b64 s[8:9], -1
	s_mov_b64 s[0:1], 0
.LBB151_162:
	s_mov_b64 s[10:11], 0
.LBB151_163:
	s_and_b64 vcc, exec, s[10:11]
	s_cbranch_vccz .LBB151_179
; %bb.164:
	s_cmp_lt_i32 s15, 27
	s_mov_b64 s[8:9], -1
	s_cbranch_scc1 .LBB151_170
; %bb.165:
	s_cmp_gt_i32 s15, 27
	s_cbranch_scc0 .LBB151_167
; %bb.166:
	v_cndmask_b32_e64 v2, 0, 1, s[2:3]
	s_mov_b64 s[8:9], 0
	global_store_dword v[0:1], v2, off
.LBB151_167:
	s_andn2_b64 vcc, exec, s[8:9]
	s_cbranch_vccnz .LBB151_169
; %bb.168:
	v_cndmask_b32_e64 v2, 0, 1, s[2:3]
	global_store_short v[0:1], v2, off
.LBB151_169:
	s_mov_b64 s[8:9], 0
.LBB151_170:
	s_andn2_b64 vcc, exec, s[8:9]
	s_cbranch_vccnz .LBB151_178
; %bb.171:
	v_cndmask_b32_e64 v3, 0, 1.0, s[2:3]
	s_mov_b32 s8, 0x43800000
	v_cmp_gt_u32_e32 vcc, s8, v3
	v_mov_b32_e32 v4, 0x80
	s_and_saveexec_b64 s[8:9], vcc
	s_cbranch_execz .LBB151_177
; %bb.172:
	s_mov_b32 s10, 0x3bffffff
	v_cmp_lt_u32_e32 vcc, s10, v3
	s_mov_b64 s[10:11], 0
                                        ; implicit-def: $vgpr2
	s_and_saveexec_b64 s[12:13], vcc
	s_xor_b64 s[12:13], exec, s[12:13]
	s_cbranch_execz .LBB151_320
; %bb.173:
	v_bfe_u32 v2, v3, 20, 1
	s_mov_b32 s16, 0x487ffff
	v_add3_u32 v2, v3, v2, s16
	s_mov_b64 s[10:11], exec
	v_lshrrev_b32_e32 v2, 20, v2
                                        ; implicit-def: $vgpr3
	s_andn2_saveexec_b64 s[12:13], s[12:13]
	s_cbranch_execnz .LBB151_321
.LBB151_174:
	s_or_b64 exec, exec, s[12:13]
	v_mov_b32_e32 v4, 0
	s_and_saveexec_b64 s[12:13], s[10:11]
.LBB151_175:
	v_mov_b32_e32 v4, v2
.LBB151_176:
	s_or_b64 exec, exec, s[12:13]
.LBB151_177:
	s_or_b64 exec, exec, s[8:9]
	global_store_byte v[0:1], v4, off
.LBB151_178:
	s_mov_b64 s[8:9], -1
.LBB151_179:
	s_mov_b64 s[10:11], 0
.LBB151_180:
	s_and_b64 vcc, exec, s[10:11]
	s_cbranch_vccz .LBB151_221
; %bb.181:
	s_cmp_gt_i32 s15, 22
	s_mov_b64 s[10:11], -1
	s_cbranch_scc0 .LBB151_213
; %bb.182:
	s_cmp_lt_i32 s15, 24
	s_mov_b64 s[8:9], -1
	s_cbranch_scc1 .LBB151_202
; %bb.183:
	s_cmp_gt_i32 s15, 24
	s_cbranch_scc0 .LBB151_191
; %bb.184:
	v_cndmask_b32_e64 v3, 0, 1.0, s[2:3]
	s_mov_b32 s8, 0x47800000
	v_cmp_gt_u32_e32 vcc, s8, v3
	v_mov_b32_e32 v4, 0x80
	s_and_saveexec_b64 s[8:9], vcc
	s_cbranch_execz .LBB151_190
; %bb.185:
	s_mov_b32 s10, 0x37ffffff
	v_cmp_lt_u32_e32 vcc, s10, v3
	s_mov_b64 s[10:11], 0
                                        ; implicit-def: $vgpr2
	s_and_saveexec_b64 s[12:13], vcc
	s_xor_b64 s[12:13], exec, s[12:13]
	s_cbranch_execz .LBB151_324
; %bb.186:
	v_bfe_u32 v2, v3, 21, 1
	s_mov_b32 s16, 0x88fffff
	v_add3_u32 v2, v3, v2, s16
	s_mov_b64 s[10:11], exec
	v_lshrrev_b32_e32 v2, 21, v2
                                        ; implicit-def: $vgpr3
	s_andn2_saveexec_b64 s[12:13], s[12:13]
	s_cbranch_execnz .LBB151_325
.LBB151_187:
	s_or_b64 exec, exec, s[12:13]
	v_mov_b32_e32 v4, 0
	s_and_saveexec_b64 s[12:13], s[10:11]
.LBB151_188:
	v_mov_b32_e32 v4, v2
.LBB151_189:
	s_or_b64 exec, exec, s[12:13]
.LBB151_190:
	s_or_b64 exec, exec, s[8:9]
	s_mov_b64 s[8:9], 0
	global_store_byte v[0:1], v4, off
.LBB151_191:
	s_and_b64 vcc, exec, s[8:9]
	s_cbranch_vccz .LBB151_201
; %bb.192:
	v_cndmask_b32_e64 v2, 0, 1.0, s[2:3]
	s_mov_b32 s8, 0x43f00000
	v_cmp_gt_u32_e32 vcc, s8, v2
                                        ; implicit-def: $vgpr3
	s_and_saveexec_b64 s[8:9], vcc
	s_xor_b64 s[8:9], exec, s[8:9]
	s_cbranch_execz .LBB151_198
; %bb.193:
	s_mov_b32 s10, 0x3c7fffff
	v_cmp_lt_u32_e32 vcc, s10, v2
                                        ; implicit-def: $vgpr3
	s_and_saveexec_b64 s[10:11], vcc
	s_xor_b64 s[10:11], exec, s[10:11]
; %bb.194:
	v_bfe_u32 v3, v2, 20, 1
	s_mov_b32 s12, 0x407ffff
	v_add3_u32 v2, v2, v3, s12
	v_lshrrev_b32_e32 v3, 20, v2
	v_and_b32_e32 v2, 0xff00000, v2
	s_mov_b32 s12, 0x7f00000
	v_mov_b32_e32 v4, 0x7e
	v_cmp_ne_u32_e32 vcc, s12, v2
	v_cndmask_b32_e32 v3, v4, v3, vcc
                                        ; implicit-def: $vgpr2
; %bb.195:
	s_andn2_saveexec_b64 s[10:11], s[10:11]
; %bb.196:
	v_add_f32_e32 v3, 0x46800000, v2
; %bb.197:
	s_or_b64 exec, exec, s[10:11]
                                        ; implicit-def: $vgpr2
.LBB151_198:
	s_andn2_saveexec_b64 s[8:9], s[8:9]
; %bb.199:
	s_mov_b32 s10, 0x7f800000
	v_mov_b32_e32 v3, 0x7e
	v_mov_b32_e32 v4, 0x7f
	v_cmp_lt_u32_e32 vcc, s10, v2
	v_cndmask_b32_e32 v3, v3, v4, vcc
; %bb.200:
	s_or_b64 exec, exec, s[8:9]
	global_store_byte v[0:1], v3, off
.LBB151_201:
	s_mov_b64 s[8:9], 0
.LBB151_202:
	s_andn2_b64 vcc, exec, s[8:9]
	s_cbranch_vccnz .LBB151_212
; %bb.203:
	v_cndmask_b32_e64 v2, 0, 1.0, s[2:3]
	s_mov_b32 s8, 0x47800000
	v_cmp_gt_u32_e32 vcc, s8, v2
                                        ; implicit-def: $vgpr3
	s_and_saveexec_b64 s[8:9], vcc
	s_xor_b64 s[8:9], exec, s[8:9]
	s_cbranch_execz .LBB151_209
; %bb.204:
	s_mov_b32 s10, 0x387fffff
	v_cmp_lt_u32_e32 vcc, s10, v2
                                        ; implicit-def: $vgpr3
	s_and_saveexec_b64 s[10:11], vcc
	s_xor_b64 s[10:11], exec, s[10:11]
; %bb.205:
	v_bfe_u32 v3, v2, 21, 1
	s_mov_b32 s12, 0x80fffff
	v_add3_u32 v2, v2, v3, s12
	v_lshrrev_b32_e32 v3, 21, v2
                                        ; implicit-def: $vgpr2
; %bb.206:
	s_andn2_saveexec_b64 s[10:11], s[10:11]
; %bb.207:
	v_add_f32_e32 v3, 0x43000000, v2
; %bb.208:
	s_or_b64 exec, exec, s[10:11]
                                        ; implicit-def: $vgpr2
.LBB151_209:
	s_andn2_saveexec_b64 s[8:9], s[8:9]
; %bb.210:
	s_mov_b32 s10, 0x7f800000
	v_mov_b32_e32 v3, 0x7c
	v_mov_b32_e32 v4, 0x7f
	v_cmp_lt_u32_e32 vcc, s10, v2
	v_cndmask_b32_e32 v3, v3, v4, vcc
; %bb.211:
	s_or_b64 exec, exec, s[8:9]
	global_store_byte v[0:1], v3, off
.LBB151_212:
	s_mov_b64 s[10:11], 0
	s_mov_b64 s[8:9], -1
.LBB151_213:
	s_andn2_b64 vcc, exec, s[10:11]
	s_cbranch_vccnz .LBB151_221
; %bb.214:
	s_cmp_gt_i32 s15, 14
	s_mov_b64 s[10:11], -1
	s_cbranch_scc0 .LBB151_218
; %bb.215:
	s_cmp_eq_u32 s15, 15
	s_mov_b64 s[0:1], -1
	s_cbranch_scc0 .LBB151_217
; %bb.216:
	v_cndmask_b32_e64 v2, 0, 1.0, s[2:3]
	v_bfe_u32 v3, v2, 16, 1
	s_movk_i32 s0, 0x7fff
	v_add3_u32 v2, v2, v3, s0
	global_store_short_d16_hi v[0:1], v2, off
	s_mov_b64 s[8:9], -1
	s_mov_b64 s[0:1], 0
.LBB151_217:
	s_mov_b64 s[10:11], 0
.LBB151_218:
	s_and_b64 vcc, exec, s[10:11]
	s_cbranch_vccz .LBB151_221
; %bb.219:
	s_cmp_eq_u32 s15, 11
	s_mov_b64 s[0:1], -1
	s_cbranch_scc0 .LBB151_221
; %bb.220:
	v_cndmask_b32_e64 v2, 0, 1, s[2:3]
	s_mov_b64 s[8:9], -1
	s_mov_b64 s[0:1], 0
	global_store_byte v[0:1], v2, off
.LBB151_221:
	s_branch .LBB151_260
.LBB151_222:
	s_and_b32 s10, 0xffff, s14
	s_cmp_lt_i32 s10, 5
	s_mov_b64 s[8:9], -1
	s_cbranch_scc1 .LBB151_243
; %bb.223:
	s_cmp_lt_i32 s10, 8
	s_cbranch_scc1 .LBB151_233
; %bb.224:
	s_cmp_lt_i32 s10, 9
	s_cbranch_scc1 .LBB151_230
; %bb.225:
	s_cmp_gt_i32 s10, 9
	s_cbranch_scc0 .LBB151_227
; %bb.226:
	v_cndmask_b32_e64 v2, 0, 1, s[2:3]
	v_cvt_f64_u32_e32 v[2:3], v2
	v_mov_b32_e32 v4, 0
	v_mov_b32_e32 v5, v4
	s_mov_b64 s[8:9], 0
	global_store_dwordx4 v[0:1], v[2:5], off
.LBB151_227:
	s_andn2_b64 vcc, exec, s[8:9]
	s_cbranch_vccnz .LBB151_229
; %bb.228:
	v_cndmask_b32_e64 v2, 0, 1.0, s[2:3]
	v_mov_b32_e32 v3, 0
	global_store_dwordx2 v[0:1], v[2:3], off
.LBB151_229:
	s_mov_b64 s[8:9], 0
.LBB151_230:
	s_andn2_b64 vcc, exec, s[8:9]
	s_cbranch_vccnz .LBB151_232
; %bb.231:
	v_cndmask_b32_e64 v2, 0, 1.0, s[2:3]
	v_cvt_f16_f32_e32 v2, v2
	global_store_dword v[0:1], v2, off
.LBB151_232:
	s_mov_b64 s[8:9], 0
.LBB151_233:
	s_andn2_b64 vcc, exec, s[8:9]
	s_cbranch_vccnz .LBB151_242
; %bb.234:
	s_cmp_lt_i32 s10, 6
	s_mov_b64 s[8:9], -1
	s_cbranch_scc1 .LBB151_240
; %bb.235:
	s_cmp_gt_i32 s10, 6
	s_cbranch_scc0 .LBB151_237
; %bb.236:
	v_cndmask_b32_e64 v2, 0, 1, s[2:3]
	v_cvt_f64_u32_e32 v[2:3], v2
	s_mov_b64 s[8:9], 0
	global_store_dwordx2 v[0:1], v[2:3], off
.LBB151_237:
	s_andn2_b64 vcc, exec, s[8:9]
	s_cbranch_vccnz .LBB151_239
; %bb.238:
	v_cndmask_b32_e64 v2, 0, 1.0, s[2:3]
	global_store_dword v[0:1], v2, off
.LBB151_239:
	s_mov_b64 s[8:9], 0
.LBB151_240:
	s_andn2_b64 vcc, exec, s[8:9]
	s_cbranch_vccnz .LBB151_242
; %bb.241:
	v_cndmask_b32_e64 v2, 0, 1.0, s[2:3]
	v_cvt_f16_f32_e32 v2, v2
	global_store_short v[0:1], v2, off
.LBB151_242:
	s_mov_b64 s[8:9], 0
.LBB151_243:
	s_andn2_b64 vcc, exec, s[8:9]
	s_cbranch_vccnz .LBB151_259
; %bb.244:
	s_cmp_lt_i32 s10, 2
	s_mov_b64 s[8:9], -1
	s_cbranch_scc1 .LBB151_254
; %bb.245:
	s_cmp_lt_i32 s10, 3
	s_cbranch_scc1 .LBB151_251
; %bb.246:
	s_cmp_gt_i32 s10, 3
	s_cbranch_scc0 .LBB151_248
; %bb.247:
	s_mov_b32 s8, 0
	v_cndmask_b32_e64 v2, 0, 1, s[2:3]
	v_mov_b32_e32 v3, s8
	global_store_dwordx2 v[0:1], v[2:3], off
	s_mov_b64 s[8:9], 0
.LBB151_248:
	s_andn2_b64 vcc, exec, s[8:9]
	s_cbranch_vccnz .LBB151_250
; %bb.249:
	v_cndmask_b32_e64 v2, 0, 1, s[2:3]
	global_store_dword v[0:1], v2, off
.LBB151_250:
	s_mov_b64 s[8:9], 0
.LBB151_251:
	s_andn2_b64 vcc, exec, s[8:9]
	s_cbranch_vccnz .LBB151_253
; %bb.252:
	v_cndmask_b32_e64 v2, 0, 1, s[2:3]
	global_store_short v[0:1], v2, off
.LBB151_253:
	s_mov_b64 s[8:9], 0
.LBB151_254:
	s_andn2_b64 vcc, exec, s[8:9]
	s_cbranch_vccnz .LBB151_259
; %bb.255:
	s_cmp_gt_i32 s10, 0
	s_mov_b64 s[8:9], -1
	s_cbranch_scc0 .LBB151_257
; %bb.256:
	v_cndmask_b32_e64 v2, 0, 1, s[2:3]
	global_store_byte v[0:1], v2, off
	s_mov_b64 s[8:9], 0
.LBB151_257:
	s_andn2_b64 vcc, exec, s[8:9]
	s_cbranch_vccnz .LBB151_259
; %bb.258:
	v_cndmask_b32_e64 v2, 0, 1, s[2:3]
	global_store_byte v[0:1], v2, off
.LBB151_259:
	s_mov_b64 s[8:9], -1
.LBB151_260:
	s_mov_b64 s[2:3], 0
	s_andn2_b64 vcc, exec, s[8:9]
	s_mov_b64 s[8:9], 0
	s_cbranch_vccnz .LBB151_262
; %bb.261:
	v_add_u32_e32 v8, 0x80, v8
	s_mov_b64 s[8:9], -1
.LBB151_262:
	s_and_b64 s[58:59], s[0:1], exec
	s_and_b64 s[60:61], s[2:3], exec
	s_orn2_b64 s[2:3], s[8:9], exec
.LBB151_263:
	s_or_b64 exec, exec, s[62:63]
	s_mov_b64 s[0:1], 0
	s_mov_b64 s[14:15], 0
                                        ; implicit-def: $sgpr10_sgpr11
                                        ; implicit-def: $vgpr1_vgpr2
                                        ; implicit-def: $vgpr0
	s_and_saveexec_b64 s[62:63], s[2:3]
	s_cbranch_execz .LBB151_270
; %bb.264:
	v_cmp_gt_i32_e32 vcc, s76, v8
	s_mov_b64 s[12:13], -1
	s_mov_b64 s[64:65], s[60:61]
	s_mov_b64 s[66:67], s[58:59]
	s_and_saveexec_b64 s[68:69], vcc
	s_cbranch_execz .LBB151_535
; %bb.265:
	s_andn2_b64 vcc, exec, s[40:41]
	s_cbranch_vccnz .LBB151_273
; %bb.266:
	s_andn2_b64 vcc, exec, s[56:57]
	s_cbranch_vccnz .LBB151_274
; %bb.267:
	s_add_i32 s70, s81, 1
	s_cmp_eq_u32 s78, 2
	s_cbranch_scc1 .LBB151_275
; %bb.268:
	s_and_b32 s49, s70, 28
	v_mov_b32_e32 v2, 0
	s_mov_b32 s71, 0
	s_mov_b64 s[64:65], s[34:35]
	s_mov_b64 s[66:67], s[54:55]
	v_mov_b32_e32 v0, 0
	v_mov_b32_e32 v1, v8
.LBB151_269:                            ; =>This Inner Loop Header: Depth=1
	s_load_dwordx8 s[16:23], s[64:65], 0x4
	s_load_dwordx4 s[0:3], s[64:65], 0x24
	s_load_dwordx8 s[8:15], s[66:67], 0x0
	s_add_u32 s64, s64, 48
	s_addc_u32 s65, s65, 0
	s_waitcnt lgkmcnt(0)
	v_mul_hi_u32 v3, s17, v1
	s_add_i32 s71, s71, 4
	s_add_u32 s66, s66, 32
	s_addc_u32 s67, s67, 0
	v_add_u32_e32 v3, v1, v3
	v_lshrrev_b32_e32 v3, s18, v3
	v_mul_lo_u32 v4, v3, s16
	v_mul_hi_u32 v5, s20, v3
	s_cmp_eq_u32 s49, s71
	v_sub_u32_e32 v1, v1, v4
	v_add_u32_e32 v4, v3, v5
	v_mul_lo_u32 v5, v1, s8
	v_mul_lo_u32 v6, v1, s9
	v_lshrrev_b32_e32 v1, s21, v4
	v_mul_lo_u32 v4, v1, s19
	v_mul_hi_u32 v7, s23, v1
	v_sub_u32_e32 v3, v3, v4
	v_add_u32_e32 v4, v1, v7
	v_lshrrev_b32_e32 v4, s0, v4
	v_mul_hi_u32 v9, s2, v4
	v_mul_lo_u32 v10, v4, s22
	v_mul_lo_u32 v7, v3, s10
	;; [unrolled: 1-line block ×3, first 2 shown]
	v_sub_u32_e32 v10, v1, v10
	v_add_u32_e32 v1, v4, v9
	v_lshrrev_b32_e32 v1, s3, v1
	v_mul_lo_u32 v9, v1, s1
	v_mul_lo_u32 v11, v10, s12
	v_mul_lo_u32 v10, v10, s13
	v_add3_u32 v0, v5, v0, v7
	v_sub_u32_e32 v4, v4, v9
	v_mul_lo_u32 v9, v4, s14
	v_mul_lo_u32 v4, v4, s15
	v_add3_u32 v2, v6, v2, v3
	v_add3_u32 v0, v11, v0, v9
	;; [unrolled: 1-line block ×3, first 2 shown]
	s_cbranch_scc0 .LBB151_269
	s_branch .LBB151_276
.LBB151_270:
	s_or_b64 exec, exec, s[62:63]
	s_mov_b64 s[2:3], 0
	s_and_saveexec_b64 s[8:9], s[60:61]
	s_cbranch_execnz .LBB151_890
.LBB151_271:
	s_or_b64 exec, exec, s[8:9]
	s_and_saveexec_b64 s[8:9], s[66:67]
	s_xor_b64 s[8:9], exec, s[8:9]
	s_cbranch_execz .LBB151_891
.LBB151_272:
	global_load_ubyte v3, v[1:2], off
	s_andn2_b64 s[10:11], s[10:11], exec
	s_or_b64 s[14:15], s[14:15], exec
	s_waitcnt vmcnt(0)
	v_cmp_ne_u16_e32 vcc, 0, v3
	s_and_b64 s[12:13], vcc, exec
	s_or_b64 s[10:11], s[10:11], s[12:13]
	s_or_b64 exec, exec, s[8:9]
	s_and_saveexec_b64 s[8:9], s[0:1]
	s_cbranch_execz .LBB151_937
	s_branch .LBB151_892
.LBB151_273:
                                        ; implicit-def: $vgpr0
                                        ; implicit-def: $vgpr2
	s_branch .LBB151_280
.LBB151_274:
	v_mov_b32_e32 v0, 0
	v_mov_b32_e32 v2, 0
	s_branch .LBB151_279
.LBB151_275:
	s_mov_b32 s49, 0
	v_mov_b32_e32 v0, 0
	v_mov_b32_e32 v2, 0
	;; [unrolled: 1-line block ×3, first 2 shown]
.LBB151_276:
	s_and_b32 s8, s70, 3
	s_cmp_eq_u32 s8, 0
	s_cbranch_scc1 .LBB151_279
; %bb.277:
	s_lshl_b32 s0, s49, 3
	s_add_u32 s0, s34, s0
	s_addc_u32 s1, s35, 0
	s_add_u32 s0, s0, 0xc4
	s_addc_u32 s1, s1, 0
	s_mul_i32 s2, s49, 12
	s_add_u32 s2, s34, s2
	s_addc_u32 s3, s35, 0
.LBB151_278:                            ; =>This Inner Loop Header: Depth=1
	s_load_dwordx2 s[10:11], s[2:3], 0x4
	s_load_dword s9, s[2:3], 0xc
	s_load_dwordx2 s[12:13], s[0:1], 0x0
	s_add_u32 s2, s2, 12
	s_addc_u32 s3, s3, 0
	s_waitcnt lgkmcnt(0)
	v_mul_hi_u32 v3, s11, v1
	s_add_u32 s0, s0, 8
	s_addc_u32 s1, s1, 0
	s_add_i32 s8, s8, -1
	v_add_u32_e32 v3, v1, v3
	v_lshrrev_b32_e32 v4, s9, v3
	v_mul_lo_u32 v3, v4, s10
	s_cmp_lg_u32 s8, 0
	v_sub_u32_e32 v3, v1, v3
	v_mad_u64_u32 v[0:1], s[10:11], v3, s12, v[0:1]
	v_mad_u64_u32 v[2:3], s[10:11], v3, s13, v[2:3]
	v_mov_b32_e32 v1, v4
	s_cbranch_scc1 .LBB151_278
.LBB151_279:
	s_cbranch_execnz .LBB151_282
.LBB151_280:
	v_mul_hi_u32 v0, s29, v8
	s_andn2_b64 vcc, exec, s[52:53]
	v_add_u32_e32 v0, v8, v0
	v_lshrrev_b32_e32 v1, s30, v0
	v_mul_lo_u32 v0, v1, s28
	v_sub_u32_e32 v2, v8, v0
	v_mul_lo_u32 v0, v2, s36
	v_mul_lo_u32 v2, v2, s37
	s_cbranch_vccnz .LBB151_282
; %bb.281:
	v_mul_hi_u32 v3, s50, v1
	v_add_u32_e32 v3, v1, v3
	v_lshrrev_b32_e32 v3, s51, v3
	v_mul_lo_u32 v3, v3, s31
	v_sub_u32_e32 v3, v1, v3
	v_mad_u64_u32 v[0:1], s[0:1], v3, s38, v[0:1]
	v_mad_u64_u32 v[2:3], s[0:1], v3, s39, v[2:3]
.LBB151_282:
	v_mov_b32_e32 v3, s27
	s_and_b32 s12, 0xffff, s80
	v_add_co_u32_e32 v1, vcc, s26, v2
	s_cmp_lt_i32 s12, 11
	v_addc_co_u32_e32 v2, vcc, 0, v3, vcc
	s_cbranch_scc1 .LBB151_289
; %bb.283:
	s_cmp_gt_i32 s12, 25
	s_cbranch_scc0 .LBB151_295
; %bb.284:
	s_cmp_gt_i32 s12, 28
	s_cbranch_scc0 .LBB151_299
	;; [unrolled: 3-line block ×4, first 2 shown]
; %bb.287:
	s_cmp_eq_u32 s12, 46
	s_mov_b64 s[10:11], 0
	s_cbranch_scc0 .LBB151_326
; %bb.288:
	global_load_dword v3, v[1:2], off
	s_mov_b64 s[8:9], -1
	s_mov_b64 s[2:3], 0
	s_waitcnt vmcnt(0)
	v_and_b32_e32 v3, 0x7fff7fff, v3
	v_cmp_ne_u32_e64 s[0:1], 0, v3
	s_branch .LBB151_327
.LBB151_289:
	s_mov_b64 s[8:9], 0
                                        ; implicit-def: $sgpr0_sgpr1
	s_mov_b64 s[2:3], s[60:61]
	s_cbranch_execnz .LBB151_374
.LBB151_290:
	s_andn2_b64 vcc, exec, s[8:9]
	s_cbranch_vccnz .LBB151_422
.LBB151_291:
	s_cmp_lt_i32 s48, 1
	s_mov_b64 s[8:9], 0
	s_cbranch_scc1 .LBB151_296
; %bb.292:
	s_cmp_gt_i32 s48, 1
	s_cbranch_scc0 .LBB151_300
; %bb.293:
	s_cmp_eq_u32 s48, 2
	s_cbranch_scc0 .LBB151_302
; %bb.294:
	s_xor_b64 s[2:3], s[0:1], -1
	s_or_b64 s[2:3], s[46:47], s[2:3]
	s_mov_b64 s[10:11], 0
	s_branch .LBB151_303
.LBB151_295:
	s_mov_b64 s[10:11], -1
	s_mov_b64 s[8:9], 0
	s_mov_b64 s[2:3], s[60:61]
                                        ; implicit-def: $sgpr0_sgpr1
	s_branch .LBB151_348
.LBB151_296:
                                        ; implicit-def: $sgpr2_sgpr3
	s_mov_b64 s[10:11], 0
	s_cbranch_execnz .LBB151_307
.LBB151_297:
	s_andn2_b64 vcc, exec, s[10:11]
	s_cbranch_vccnz .LBB151_308
.LBB151_298:
	s_xor_b64 s[8:9], s[0:1], -1
	s_and_b64 s[10:11], s[46:47], s[8:9]
	s_andn2_b64 s[2:3], s[2:3], exec
	s_and_b64 s[10:11], s[10:11], exec
	s_or_b64 s[2:3], s[2:3], s[10:11]
	s_cbranch_execz .LBB151_309
	s_branch .LBB151_310
.LBB151_299:
	s_mov_b64 s[10:11], -1
	s_mov_b64 s[8:9], 0
	s_mov_b64 s[2:3], s[60:61]
                                        ; implicit-def: $sgpr0_sgpr1
	s_branch .LBB151_335
.LBB151_300:
	s_mov_b64 s[12:13], -1
	s_mov_b64 s[10:11], 0
                                        ; implicit-def: $sgpr2_sgpr3
	s_branch .LBB151_304
.LBB151_301:
	s_mov_b64 s[10:11], -1
	s_mov_b64 s[8:9], 0
	s_mov_b64 s[2:3], s[60:61]
                                        ; implicit-def: $sgpr0_sgpr1
	s_branch .LBB151_330
.LBB151_302:
	s_mov_b64 s[10:11], -1
                                        ; implicit-def: $sgpr2_sgpr3
.LBB151_303:
	s_mov_b64 s[12:13], 0
.LBB151_304:
	s_and_b64 vcc, exec, s[12:13]
	s_cbranch_vccz .LBB151_306
; %bb.305:
	s_and_b64 s[12:13], s[0:1], s[44:45]
	s_andn2_b64 s[2:3], s[2:3], exec
	s_and_b64 s[12:13], s[12:13], exec
	s_or_b64 s[2:3], s[2:3], s[12:13]
.LBB151_306:
	s_branch .LBB151_297
.LBB151_307:
	s_cmp_lg_u32 s48, 0
	s_mov_b64 s[8:9], -1
	s_cselect_b64 s[10:11], -1, 0
	s_andn2_b64 vcc, exec, s[10:11]
	s_cbranch_vccz .LBB151_298
.LBB151_308:
	s_andn2_b64 vcc, exec, s[8:9]
	s_cbranch_vccnz .LBB151_310
.LBB151_309:
	s_or_b64 s[0:1], s[0:1], s[44:45]
	s_andn2_b64 s[2:3], s[2:3], exec
	s_and_b64 s[0:1], s[0:1], exec
	s_or_b64 s[2:3], s[2:3], s[0:1]
.LBB151_310:
	v_mov_b32_e32 v1, s25
	s_and_b32 s14, s79, 0xff
	v_add_co_u32_e32 v0, vcc, s24, v0
	s_cmp_lt_i32 s14, 11
	v_addc_co_u32_e32 v1, vcc, 0, v1, vcc
	s_cbranch_scc1 .LBB151_317
; %bb.311:
	s_and_b32 s15, 0xffff, s14
	s_cmp_gt_i32 s15, 25
	s_cbranch_scc0 .LBB151_318
; %bb.312:
	s_cmp_gt_i32 s15, 28
	s_cbranch_scc0 .LBB151_319
; %bb.313:
	;; [unrolled: 3-line block ×4, first 2 shown]
	s_mov_b64 s[10:11], 0
	s_mov_b64 s[0:1], -1
	s_cmp_eq_u32 s15, 46
	s_mov_b64 s[8:9], 0
	s_cbranch_scc0 .LBB151_424
; %bb.316:
	v_cndmask_b32_e64 v2, 0, 1.0, s[2:3]
	v_bfe_u32 v3, v2, 16, 1
	s_movk_i32 s0, 0x7fff
	v_add3_u32 v2, v2, v3, s0
	v_lshrrev_b32_e32 v2, 16, v2
	global_store_dword v[0:1], v2, off
	s_mov_b64 s[8:9], -1
	s_mov_b64 s[0:1], 0
	s_branch .LBB151_424
.LBB151_317:
	s_mov_b64 s[10:11], -1
	s_mov_b64 s[8:9], 0
	s_mov_b64 s[0:1], s[58:59]
	s_branch .LBB151_493
.LBB151_318:
	s_mov_b64 s[10:11], -1
	s_mov_b64 s[8:9], 0
	s_mov_b64 s[0:1], s[58:59]
	s_branch .LBB151_451
.LBB151_319:
	s_mov_b64 s[10:11], -1
	s_mov_b64 s[8:9], 0
	s_mov_b64 s[0:1], s[58:59]
	s_branch .LBB151_434
.LBB151_320:
	s_andn2_saveexec_b64 s[12:13], s[12:13]
	s_cbranch_execz .LBB151_174
.LBB151_321:
	v_add_f32_e32 v2, 0x46000000, v3
	v_and_b32_e32 v2, 0xff, v2
	v_cmp_ne_u32_e32 vcc, 0, v2
	s_andn2_b64 s[10:11], s[10:11], exec
	s_and_b64 s[16:17], vcc, exec
	s_or_b64 s[10:11], s[10:11], s[16:17]
	s_or_b64 exec, exec, s[12:13]
	v_mov_b32_e32 v4, 0
	s_and_saveexec_b64 s[12:13], s[10:11]
	s_cbranch_execnz .LBB151_175
	s_branch .LBB151_176
.LBB151_322:
	s_mov_b64 s[10:11], -1
	s_mov_b64 s[8:9], 0
	s_mov_b64 s[2:3], s[60:61]
                                        ; implicit-def: $sgpr0_sgpr1
	s_branch .LBB151_327
.LBB151_323:
	s_mov_b64 s[10:11], -1
	s_mov_b64 s[8:9], 0
	s_mov_b64 s[0:1], s[58:59]
	s_branch .LBB151_430
.LBB151_324:
	s_andn2_saveexec_b64 s[12:13], s[12:13]
	s_cbranch_execz .LBB151_187
.LBB151_325:
	v_add_f32_e32 v2, 0x42800000, v3
	v_and_b32_e32 v2, 0xff, v2
	v_cmp_ne_u32_e32 vcc, 0, v2
	s_andn2_b64 s[10:11], s[10:11], exec
	s_and_b64 s[16:17], vcc, exec
	s_or_b64 s[10:11], s[10:11], s[16:17]
	s_or_b64 exec, exec, s[12:13]
	v_mov_b32_e32 v4, 0
	s_and_saveexec_b64 s[12:13], s[10:11]
	s_cbranch_execnz .LBB151_188
	s_branch .LBB151_189
.LBB151_326:
	s_mov_b64 s[2:3], -1
                                        ; implicit-def: $sgpr0_sgpr1
	s_mov_b64 s[8:9], 0
.LBB151_327:
	s_and_b64 vcc, exec, s[10:11]
	s_cbranch_vccz .LBB151_329
; %bb.328:
	s_cmp_eq_u32 s12, 44
	s_cselect_b64 s[8:9], -1, 0
	s_or_b64 s[0:1], s[0:1], exec
	s_or_b64 s[2:3], s[2:3], exec
.LBB151_329:
	s_mov_b64 s[10:11], 0
.LBB151_330:
	s_and_b64 vcc, exec, s[10:11]
	s_cbranch_vccz .LBB151_334
; %bb.331:
	s_cmp_eq_u32 s12, 29
	s_cbranch_scc0 .LBB151_333
; %bb.332:
	global_load_dwordx2 v[3:4], v[1:2], off
	s_mov_b64 s[2:3], 0
	s_mov_b64 s[8:9], -1
	s_mov_b64 s[10:11], 0
	s_waitcnt vmcnt(0)
	v_cmp_ne_u64_e64 s[0:1], 0, v[3:4]
	s_branch .LBB151_335
.LBB151_333:
	s_mov_b64 s[2:3], -1
                                        ; implicit-def: $sgpr0_sgpr1
.LBB151_334:
	s_mov_b64 s[10:11], 0
.LBB151_335:
	s_and_b64 vcc, exec, s[10:11]
	s_cbranch_vccz .LBB151_347
; %bb.336:
	s_cmp_lt_i32 s12, 27
	s_cbranch_scc1 .LBB151_339
; %bb.337:
	s_cmp_gt_i32 s12, 27
	s_cbranch_scc0 .LBB151_340
; %bb.338:
	global_load_dword v3, v[1:2], off
	s_mov_b64 s[8:9], 0
	s_waitcnt vmcnt(0)
	v_cmp_ne_u32_e64 s[0:1], 0, v3
	s_branch .LBB151_341
.LBB151_339:
	s_mov_b64 s[8:9], -1
                                        ; implicit-def: $sgpr0_sgpr1
	s_branch .LBB151_344
.LBB151_340:
	s_mov_b64 s[8:9], -1
                                        ; implicit-def: $sgpr0_sgpr1
.LBB151_341:
	s_andn2_b64 vcc, exec, s[8:9]
	s_cbranch_vccnz .LBB151_343
; %bb.342:
	global_load_ushort v3, v[1:2], off
	s_andn2_b64 s[0:1], s[0:1], exec
	s_waitcnt vmcnt(0)
	v_cmp_ne_u16_e32 vcc, 0, v3
	s_and_b64 s[8:9], vcc, exec
	s_or_b64 s[0:1], s[0:1], s[8:9]
.LBB151_343:
	s_mov_b64 s[8:9], 0
.LBB151_344:
	s_andn2_b64 vcc, exec, s[8:9]
	s_cbranch_vccnz .LBB151_346
; %bb.345:
	global_load_ubyte v3, v[1:2], off
	s_andn2_b64 s[0:1], s[0:1], exec
	s_waitcnt vmcnt(0)
	v_cmp_ne_u16_e32 vcc, 0, v3
	s_and_b64 s[8:9], vcc, exec
	s_or_b64 s[0:1], s[0:1], s[8:9]
.LBB151_346:
	s_mov_b64 s[8:9], -1
.LBB151_347:
	s_mov_b64 s[10:11], 0
.LBB151_348:
	s_and_b64 vcc, exec, s[10:11]
	s_cbranch_vccz .LBB151_373
; %bb.349:
	s_cmp_gt_i32 s12, 22
	s_cbranch_scc0 .LBB151_353
; %bb.350:
	s_cmp_lt_i32 s12, 24
	s_cbranch_scc1 .LBB151_354
; %bb.351:
	s_cmp_gt_i32 s12, 24
	s_cbranch_scc0 .LBB151_355
; %bb.352:
	global_load_ubyte v3, v[1:2], off
	s_mov_b64 s[8:9], 0
	s_waitcnt vmcnt(0)
	v_cmp_ne_u16_e64 s[0:1], 0, v3
	s_branch .LBB151_356
.LBB151_353:
	s_mov_b64 s[10:11], -1
                                        ; implicit-def: $sgpr0_sgpr1
	s_branch .LBB151_362
.LBB151_354:
	s_mov_b64 s[8:9], -1
                                        ; implicit-def: $sgpr0_sgpr1
	s_branch .LBB151_359
.LBB151_355:
	s_mov_b64 s[8:9], -1
                                        ; implicit-def: $sgpr0_sgpr1
.LBB151_356:
	s_andn2_b64 vcc, exec, s[8:9]
	s_cbranch_vccnz .LBB151_358
; %bb.357:
	global_load_ubyte v3, v[1:2], off
	s_andn2_b64 s[0:1], s[0:1], exec
	s_waitcnt vmcnt(0)
	v_and_b32_e32 v3, 0x7f, v3
	v_cmp_ne_u16_e32 vcc, 0, v3
	s_and_b64 s[8:9], vcc, exec
	s_or_b64 s[0:1], s[0:1], s[8:9]
.LBB151_358:
	s_mov_b64 s[8:9], 0
.LBB151_359:
	s_andn2_b64 vcc, exec, s[8:9]
	s_cbranch_vccnz .LBB151_361
; %bb.360:
	global_load_ubyte v3, v[1:2], off
	s_movk_i32 s8, 0x7f00
	s_brev_b32 s9, 16
	s_andn2_b64 s[0:1], s[0:1], exec
	s_waitcnt vmcnt(0)
	v_lshlrev_b32_e32 v4, 8, v3
	v_lshlrev_b32_e32 v3, 25, v3
	v_lshrrev_b32_e32 v5, 4, v3
	v_and_or_b32 v4, v4, s8, 0.5
	v_or_b32_e32 v5, 0x70000000, v5
	v_add_f32_e32 v4, -0.5, v4
	v_mul_f32_e32 v5, 0x7800000, v5
	v_cmp_gt_u32_e32 vcc, s9, v3
	v_cndmask_b32_e32 v3, v5, v4, vcc
	v_cmp_neq_f32_e32 vcc, 0, v3
	s_and_b64 s[8:9], vcc, exec
	s_or_b64 s[0:1], s[0:1], s[8:9]
.LBB151_361:
	s_mov_b64 s[10:11], 0
	s_mov_b64 s[8:9], -1
.LBB151_362:
	s_andn2_b64 vcc, exec, s[10:11]
	s_cbranch_vccnz .LBB151_373
; %bb.363:
	s_cmp_gt_i32 s12, 14
	s_cbranch_scc0 .LBB151_366
; %bb.364:
	s_cmp_eq_u32 s12, 15
	s_cbranch_scc0 .LBB151_367
; %bb.365:
	global_load_ushort v3, v[1:2], off
	s_mov_b64 s[8:9], -1
	s_mov_b64 s[2:3], 0
	s_waitcnt vmcnt(0)
	v_and_b32_e32 v3, 0x7fff, v3
	v_cmp_ne_u16_e64 s[0:1], 0, v3
	s_branch .LBB151_368
.LBB151_366:
	s_mov_b64 s[10:11], -1
                                        ; implicit-def: $sgpr0_sgpr1
	s_branch .LBB151_369
.LBB151_367:
	s_mov_b64 s[2:3], -1
                                        ; implicit-def: $sgpr0_sgpr1
.LBB151_368:
	s_mov_b64 s[10:11], 0
.LBB151_369:
	s_and_b64 vcc, exec, s[10:11]
	s_cbranch_vccz .LBB151_373
; %bb.370:
	s_cmp_eq_u32 s12, 11
	s_cbranch_scc0 .LBB151_372
; %bb.371:
	global_load_ubyte v3, v[1:2], off
	s_mov_b64 s[8:9], -1
	s_mov_b64 s[2:3], 0
	s_waitcnt vmcnt(0)
	v_cmp_ne_u16_e64 s[0:1], 0, v3
	s_branch .LBB151_373
.LBB151_372:
	s_mov_b64 s[2:3], -1
                                        ; implicit-def: $sgpr0_sgpr1
.LBB151_373:
	s_branch .LBB151_290
.LBB151_374:
	s_cmp_lt_i32 s12, 5
	s_cbranch_scc1 .LBB151_379
; %bb.375:
	s_cmp_lt_i32 s12, 8
	s_cbranch_scc1 .LBB151_380
; %bb.376:
	;; [unrolled: 3-line block ×3, first 2 shown]
	s_cmp_gt_i32 s12, 9
	s_cbranch_scc0 .LBB151_382
; %bb.378:
	global_load_dwordx4 v[3:6], v[1:2], off
	s_mov_b64 s[8:9], 0
	s_waitcnt vmcnt(0)
	v_cmp_neq_f64_e32 vcc, 0, v[3:4]
	v_cmp_neq_f64_e64 s[0:1], 0, v[5:6]
	s_or_b64 s[0:1], vcc, s[0:1]
	s_branch .LBB151_383
.LBB151_379:
	s_mov_b64 s[8:9], -1
                                        ; implicit-def: $sgpr0_sgpr1
	s_branch .LBB151_401
.LBB151_380:
	s_mov_b64 s[8:9], -1
                                        ; implicit-def: $sgpr0_sgpr1
	s_branch .LBB151_389
.LBB151_381:
	s_mov_b64 s[8:9], -1
                                        ; implicit-def: $sgpr0_sgpr1
	s_branch .LBB151_386
.LBB151_382:
	s_mov_b64 s[8:9], -1
                                        ; implicit-def: $sgpr0_sgpr1
.LBB151_383:
	s_andn2_b64 vcc, exec, s[8:9]
	s_cbranch_vccnz .LBB151_385
; %bb.384:
	global_load_dwordx2 v[3:4], v[1:2], off
	s_andn2_b64 s[0:1], s[0:1], exec
	s_waitcnt vmcnt(0)
	v_or_b32_e32 v3, v3, v4
	v_and_b32_e32 v3, 0x7fffffff, v3
	v_cmp_ne_u32_e32 vcc, 0, v3
	s_and_b64 s[8:9], vcc, exec
	s_or_b64 s[0:1], s[0:1], s[8:9]
.LBB151_385:
	s_mov_b64 s[8:9], 0
.LBB151_386:
	s_andn2_b64 vcc, exec, s[8:9]
	s_cbranch_vccnz .LBB151_388
; %bb.387:
	global_load_dword v3, v[1:2], off
	s_andn2_b64 s[0:1], s[0:1], exec
	s_waitcnt vmcnt(0)
	v_and_b32_e32 v3, 0x7fff7fff, v3
	v_cmp_ne_u32_e32 vcc, 0, v3
	s_and_b64 s[8:9], vcc, exec
	s_or_b64 s[0:1], s[0:1], s[8:9]
.LBB151_388:
	s_mov_b64 s[8:9], 0
.LBB151_389:
	s_andn2_b64 vcc, exec, s[8:9]
	s_cbranch_vccnz .LBB151_400
; %bb.390:
	s_cmp_lt_i32 s12, 6
	s_cbranch_scc1 .LBB151_393
; %bb.391:
	s_cmp_gt_i32 s12, 6
	s_cbranch_scc0 .LBB151_394
; %bb.392:
	global_load_dwordx2 v[3:4], v[1:2], off
	s_mov_b64 s[8:9], 0
	s_waitcnt vmcnt(0)
	v_cmp_neq_f64_e64 s[0:1], 0, v[3:4]
	s_branch .LBB151_395
.LBB151_393:
	s_mov_b64 s[8:9], -1
                                        ; implicit-def: $sgpr0_sgpr1
	s_branch .LBB151_398
.LBB151_394:
	s_mov_b64 s[8:9], -1
                                        ; implicit-def: $sgpr0_sgpr1
.LBB151_395:
	s_andn2_b64 vcc, exec, s[8:9]
	s_cbranch_vccnz .LBB151_397
; %bb.396:
	global_load_dword v3, v[1:2], off
	s_andn2_b64 s[0:1], s[0:1], exec
	s_waitcnt vmcnt(0)
	v_cmp_neq_f32_e32 vcc, 0, v3
	s_and_b64 s[8:9], vcc, exec
	s_or_b64 s[0:1], s[0:1], s[8:9]
.LBB151_397:
	s_mov_b64 s[8:9], 0
.LBB151_398:
	s_andn2_b64 vcc, exec, s[8:9]
	s_cbranch_vccnz .LBB151_400
; %bb.399:
	global_load_ushort v3, v[1:2], off
	s_andn2_b64 s[0:1], s[0:1], exec
	s_waitcnt vmcnt(0)
	v_and_b32_e32 v3, 0x7fff, v3
	v_cmp_ne_u16_e32 vcc, 0, v3
	s_and_b64 s[8:9], vcc, exec
	s_or_b64 s[0:1], s[0:1], s[8:9]
.LBB151_400:
	s_mov_b64 s[8:9], 0
.LBB151_401:
	s_andn2_b64 vcc, exec, s[8:9]
	s_cbranch_vccnz .LBB151_421
; %bb.402:
	s_cmp_lt_i32 s12, 2
	s_cbranch_scc1 .LBB151_406
; %bb.403:
	s_cmp_lt_i32 s12, 3
	s_cbranch_scc1 .LBB151_407
; %bb.404:
	s_cmp_gt_i32 s12, 3
	s_cbranch_scc0 .LBB151_408
; %bb.405:
	global_load_dwordx2 v[3:4], v[1:2], off
	s_mov_b64 s[8:9], 0
	s_waitcnt vmcnt(0)
	v_cmp_ne_u64_e64 s[0:1], 0, v[3:4]
	s_branch .LBB151_409
.LBB151_406:
	s_mov_b64 s[8:9], -1
                                        ; implicit-def: $sgpr0_sgpr1
	s_branch .LBB151_415
.LBB151_407:
	s_mov_b64 s[8:9], -1
                                        ; implicit-def: $sgpr0_sgpr1
	s_branch .LBB151_412
.LBB151_408:
	s_mov_b64 s[8:9], -1
                                        ; implicit-def: $sgpr0_sgpr1
.LBB151_409:
	s_andn2_b64 vcc, exec, s[8:9]
	s_cbranch_vccnz .LBB151_411
; %bb.410:
	global_load_dword v3, v[1:2], off
	s_andn2_b64 s[0:1], s[0:1], exec
	s_waitcnt vmcnt(0)
	v_cmp_ne_u32_e32 vcc, 0, v3
	s_and_b64 s[8:9], vcc, exec
	s_or_b64 s[0:1], s[0:1], s[8:9]
.LBB151_411:
	s_mov_b64 s[8:9], 0
.LBB151_412:
	s_andn2_b64 vcc, exec, s[8:9]
	s_cbranch_vccnz .LBB151_414
; %bb.413:
	global_load_ushort v3, v[1:2], off
	s_andn2_b64 s[0:1], s[0:1], exec
	s_waitcnt vmcnt(0)
	v_cmp_ne_u16_e32 vcc, 0, v3
	s_and_b64 s[8:9], vcc, exec
	s_or_b64 s[0:1], s[0:1], s[8:9]
.LBB151_414:
	s_mov_b64 s[8:9], 0
.LBB151_415:
	s_andn2_b64 vcc, exec, s[8:9]
	s_cbranch_vccnz .LBB151_421
; %bb.416:
	s_cmp_gt_i32 s12, 0
	s_cbranch_scc0 .LBB151_418
; %bb.417:
	global_load_ubyte v3, v[1:2], off
	s_mov_b64 s[8:9], 0
	s_waitcnt vmcnt(0)
	v_cmp_ne_u16_e64 s[0:1], 0, v3
	s_branch .LBB151_419
.LBB151_418:
	s_mov_b64 s[8:9], -1
                                        ; implicit-def: $sgpr0_sgpr1
.LBB151_419:
	s_andn2_b64 vcc, exec, s[8:9]
	s_cbranch_vccnz .LBB151_421
; %bb.420:
	global_load_ubyte v1, v[1:2], off
	s_andn2_b64 s[0:1], s[0:1], exec
	s_waitcnt vmcnt(0)
	v_cmp_ne_u16_e32 vcc, 0, v1
	s_and_b64 s[8:9], vcc, exec
	s_or_b64 s[0:1], s[0:1], s[8:9]
.LBB151_421:
	s_branch .LBB151_291
.LBB151_422:
	s_mov_b64 s[8:9], 0
	s_mov_b64 s[0:1], s[58:59]
                                        ; implicit-def: $vgpr8
	s_branch .LBB151_534
.LBB151_423:
	s_mov_b64 s[10:11], -1
	s_mov_b64 s[8:9], 0
	s_mov_b64 s[0:1], s[58:59]
.LBB151_424:
	s_and_b64 vcc, exec, s[10:11]
	s_cbranch_vccz .LBB151_429
; %bb.425:
	s_cmp_eq_u32 s15, 44
	s_mov_b64 s[0:1], -1
	s_cbranch_scc0 .LBB151_429
; %bb.426:
	v_cndmask_b32_e64 v3, 0, 1.0, s[2:3]
	v_lshrrev_b32_e32 v2, 23, v3
	s_movk_i32 s0, 0xff
	v_cmp_ne_u32_e32 vcc, s0, v2
	v_mov_b32_e32 v4, 0xff
	s_and_saveexec_b64 s[8:9], vcc
; %bb.427:
	s_mov_b32 s0, 0x3fffff
	v_and_b32_e32 v4, 0x400000, v3
	v_and_or_b32 v3, v3, s0, v2
	v_cmp_ne_u32_e32 vcc, 0, v4
	v_cmp_ne_u32_e64 s[0:1], 0, v3
	s_and_b64 s[0:1], vcc, s[0:1]
	v_cndmask_b32_e64 v3, 0, 1, s[0:1]
	v_add_u32_e32 v4, v2, v3
; %bb.428:
	s_or_b64 exec, exec, s[8:9]
	s_mov_b64 s[8:9], -1
	s_mov_b64 s[0:1], 0
	global_store_byte v[0:1], v4, off
.LBB151_429:
	s_mov_b64 s[10:11], 0
.LBB151_430:
	s_and_b64 vcc, exec, s[10:11]
	s_cbranch_vccz .LBB151_433
; %bb.431:
	s_cmp_eq_u32 s15, 29
	s_mov_b64 s[0:1], -1
	s_cbranch_scc0 .LBB151_433
; %bb.432:
	s_mov_b32 s0, 0
	v_cndmask_b32_e64 v2, 0, 1, s[2:3]
	v_mov_b32_e32 v3, s0
	global_store_dwordx2 v[0:1], v[2:3], off
	s_mov_b64 s[8:9], -1
	s_mov_b64 s[0:1], 0
.LBB151_433:
	s_mov_b64 s[10:11], 0
.LBB151_434:
	s_and_b64 vcc, exec, s[10:11]
	s_cbranch_vccz .LBB151_450
; %bb.435:
	s_cmp_lt_i32 s15, 27
	s_mov_b64 s[8:9], -1
	s_cbranch_scc1 .LBB151_441
; %bb.436:
	s_cmp_gt_i32 s15, 27
	s_cbranch_scc0 .LBB151_438
; %bb.437:
	v_cndmask_b32_e64 v2, 0, 1, s[2:3]
	s_mov_b64 s[8:9], 0
	global_store_dword v[0:1], v2, off
.LBB151_438:
	s_andn2_b64 vcc, exec, s[8:9]
	s_cbranch_vccnz .LBB151_440
; %bb.439:
	v_cndmask_b32_e64 v2, 0, 1, s[2:3]
	global_store_short v[0:1], v2, off
.LBB151_440:
	s_mov_b64 s[8:9], 0
.LBB151_441:
	s_andn2_b64 vcc, exec, s[8:9]
	s_cbranch_vccnz .LBB151_449
; %bb.442:
	v_cndmask_b32_e64 v3, 0, 1.0, s[2:3]
	s_mov_b32 s8, 0x43800000
	v_cmp_gt_u32_e32 vcc, s8, v3
	v_mov_b32_e32 v4, 0x80
	s_and_saveexec_b64 s[8:9], vcc
	s_cbranch_execz .LBB151_448
; %bb.443:
	s_mov_b32 s10, 0x3bffffff
	v_cmp_lt_u32_e32 vcc, s10, v3
	s_mov_b64 s[10:11], 0
                                        ; implicit-def: $vgpr2
	s_and_saveexec_b64 s[12:13], vcc
	s_xor_b64 s[12:13], exec, s[12:13]
	s_cbranch_execz .LBB151_563
; %bb.444:
	v_bfe_u32 v2, v3, 20, 1
	s_mov_b32 s16, 0x487ffff
	v_add3_u32 v2, v3, v2, s16
	s_mov_b64 s[10:11], exec
	v_lshrrev_b32_e32 v2, 20, v2
                                        ; implicit-def: $vgpr3
	s_andn2_saveexec_b64 s[12:13], s[12:13]
	s_cbranch_execnz .LBB151_564
.LBB151_445:
	s_or_b64 exec, exec, s[12:13]
	v_mov_b32_e32 v4, 0
	s_and_saveexec_b64 s[12:13], s[10:11]
.LBB151_446:
	v_mov_b32_e32 v4, v2
.LBB151_447:
	s_or_b64 exec, exec, s[12:13]
.LBB151_448:
	s_or_b64 exec, exec, s[8:9]
	global_store_byte v[0:1], v4, off
.LBB151_449:
	s_mov_b64 s[8:9], -1
.LBB151_450:
	s_mov_b64 s[10:11], 0
.LBB151_451:
	s_and_b64 vcc, exec, s[10:11]
	s_cbranch_vccz .LBB151_492
; %bb.452:
	s_cmp_gt_i32 s15, 22
	s_mov_b64 s[10:11], -1
	s_cbranch_scc0 .LBB151_484
; %bb.453:
	s_cmp_lt_i32 s15, 24
	s_mov_b64 s[8:9], -1
	s_cbranch_scc1 .LBB151_473
; %bb.454:
	s_cmp_gt_i32 s15, 24
	s_cbranch_scc0 .LBB151_462
; %bb.455:
	v_cndmask_b32_e64 v3, 0, 1.0, s[2:3]
	s_mov_b32 s8, 0x47800000
	v_cmp_gt_u32_e32 vcc, s8, v3
	v_mov_b32_e32 v4, 0x80
	s_and_saveexec_b64 s[8:9], vcc
	s_cbranch_execz .LBB151_461
; %bb.456:
	s_mov_b32 s10, 0x37ffffff
	v_cmp_lt_u32_e32 vcc, s10, v3
	s_mov_b64 s[10:11], 0
                                        ; implicit-def: $vgpr2
	s_and_saveexec_b64 s[12:13], vcc
	s_xor_b64 s[12:13], exec, s[12:13]
	s_cbranch_execz .LBB151_566
; %bb.457:
	v_bfe_u32 v2, v3, 21, 1
	s_mov_b32 s16, 0x88fffff
	v_add3_u32 v2, v3, v2, s16
	s_mov_b64 s[10:11], exec
	v_lshrrev_b32_e32 v2, 21, v2
                                        ; implicit-def: $vgpr3
	s_andn2_saveexec_b64 s[12:13], s[12:13]
	s_cbranch_execnz .LBB151_567
.LBB151_458:
	s_or_b64 exec, exec, s[12:13]
	v_mov_b32_e32 v4, 0
	s_and_saveexec_b64 s[12:13], s[10:11]
.LBB151_459:
	v_mov_b32_e32 v4, v2
.LBB151_460:
	s_or_b64 exec, exec, s[12:13]
.LBB151_461:
	s_or_b64 exec, exec, s[8:9]
	s_mov_b64 s[8:9], 0
	global_store_byte v[0:1], v4, off
.LBB151_462:
	s_and_b64 vcc, exec, s[8:9]
	s_cbranch_vccz .LBB151_472
; %bb.463:
	v_cndmask_b32_e64 v2, 0, 1.0, s[2:3]
	s_mov_b32 s8, 0x43f00000
	v_cmp_gt_u32_e32 vcc, s8, v2
                                        ; implicit-def: $vgpr3
	s_and_saveexec_b64 s[8:9], vcc
	s_xor_b64 s[8:9], exec, s[8:9]
	s_cbranch_execz .LBB151_469
; %bb.464:
	s_mov_b32 s10, 0x3c7fffff
	v_cmp_lt_u32_e32 vcc, s10, v2
                                        ; implicit-def: $vgpr3
	s_and_saveexec_b64 s[10:11], vcc
	s_xor_b64 s[10:11], exec, s[10:11]
; %bb.465:
	v_bfe_u32 v3, v2, 20, 1
	s_mov_b32 s12, 0x407ffff
	v_add3_u32 v2, v2, v3, s12
	v_lshrrev_b32_e32 v3, 20, v2
	v_and_b32_e32 v2, 0xff00000, v2
	s_mov_b32 s12, 0x7f00000
	v_mov_b32_e32 v4, 0x7e
	v_cmp_ne_u32_e32 vcc, s12, v2
	v_cndmask_b32_e32 v3, v4, v3, vcc
                                        ; implicit-def: $vgpr2
; %bb.466:
	s_andn2_saveexec_b64 s[10:11], s[10:11]
; %bb.467:
	v_add_f32_e32 v3, 0x46800000, v2
; %bb.468:
	s_or_b64 exec, exec, s[10:11]
                                        ; implicit-def: $vgpr2
.LBB151_469:
	s_andn2_saveexec_b64 s[8:9], s[8:9]
; %bb.470:
	s_mov_b32 s10, 0x7f800000
	v_mov_b32_e32 v3, 0x7e
	v_mov_b32_e32 v4, 0x7f
	v_cmp_lt_u32_e32 vcc, s10, v2
	v_cndmask_b32_e32 v3, v3, v4, vcc
; %bb.471:
	s_or_b64 exec, exec, s[8:9]
	global_store_byte v[0:1], v3, off
.LBB151_472:
	s_mov_b64 s[8:9], 0
.LBB151_473:
	s_andn2_b64 vcc, exec, s[8:9]
	s_cbranch_vccnz .LBB151_483
; %bb.474:
	v_cndmask_b32_e64 v2, 0, 1.0, s[2:3]
	s_mov_b32 s8, 0x47800000
	v_cmp_gt_u32_e32 vcc, s8, v2
                                        ; implicit-def: $vgpr3
	s_and_saveexec_b64 s[8:9], vcc
	s_xor_b64 s[8:9], exec, s[8:9]
	s_cbranch_execz .LBB151_480
; %bb.475:
	s_mov_b32 s10, 0x387fffff
	v_cmp_lt_u32_e32 vcc, s10, v2
                                        ; implicit-def: $vgpr3
	s_and_saveexec_b64 s[10:11], vcc
	s_xor_b64 s[10:11], exec, s[10:11]
; %bb.476:
	v_bfe_u32 v3, v2, 21, 1
	s_mov_b32 s12, 0x80fffff
	v_add3_u32 v2, v2, v3, s12
	v_lshrrev_b32_e32 v3, 21, v2
                                        ; implicit-def: $vgpr2
; %bb.477:
	s_andn2_saveexec_b64 s[10:11], s[10:11]
; %bb.478:
	v_add_f32_e32 v3, 0x43000000, v2
; %bb.479:
	s_or_b64 exec, exec, s[10:11]
                                        ; implicit-def: $vgpr2
.LBB151_480:
	s_andn2_saveexec_b64 s[8:9], s[8:9]
; %bb.481:
	s_mov_b32 s10, 0x7f800000
	v_mov_b32_e32 v3, 0x7c
	v_mov_b32_e32 v4, 0x7f
	v_cmp_lt_u32_e32 vcc, s10, v2
	v_cndmask_b32_e32 v3, v3, v4, vcc
; %bb.482:
	s_or_b64 exec, exec, s[8:9]
	global_store_byte v[0:1], v3, off
.LBB151_483:
	s_mov_b64 s[10:11], 0
	s_mov_b64 s[8:9], -1
.LBB151_484:
	s_andn2_b64 vcc, exec, s[10:11]
	s_cbranch_vccnz .LBB151_492
; %bb.485:
	s_cmp_gt_i32 s15, 14
	s_mov_b64 s[10:11], -1
	s_cbranch_scc0 .LBB151_489
; %bb.486:
	s_cmp_eq_u32 s15, 15
	s_mov_b64 s[0:1], -1
	s_cbranch_scc0 .LBB151_488
; %bb.487:
	v_cndmask_b32_e64 v2, 0, 1.0, s[2:3]
	v_bfe_u32 v3, v2, 16, 1
	s_movk_i32 s0, 0x7fff
	v_add3_u32 v2, v2, v3, s0
	global_store_short_d16_hi v[0:1], v2, off
	s_mov_b64 s[8:9], -1
	s_mov_b64 s[0:1], 0
.LBB151_488:
	s_mov_b64 s[10:11], 0
.LBB151_489:
	s_and_b64 vcc, exec, s[10:11]
	s_cbranch_vccz .LBB151_492
; %bb.490:
	s_cmp_eq_u32 s15, 11
	s_mov_b64 s[0:1], -1
	s_cbranch_scc0 .LBB151_492
; %bb.491:
	v_cndmask_b32_e64 v2, 0, 1, s[2:3]
	s_mov_b64 s[8:9], -1
	s_mov_b64 s[0:1], 0
	global_store_byte v[0:1], v2, off
.LBB151_492:
	s_mov_b64 s[10:11], 0
.LBB151_493:
	s_and_b64 vcc, exec, s[10:11]
	s_cbranch_vccz .LBB151_532
; %bb.494:
	s_and_b32 s10, 0xffff, s14
	s_cmp_lt_i32 s10, 5
	s_mov_b64 s[8:9], -1
	s_cbranch_scc1 .LBB151_515
; %bb.495:
	s_cmp_lt_i32 s10, 8
	s_cbranch_scc1 .LBB151_505
; %bb.496:
	s_cmp_lt_i32 s10, 9
	s_cbranch_scc1 .LBB151_502
; %bb.497:
	s_cmp_gt_i32 s10, 9
	s_cbranch_scc0 .LBB151_499
; %bb.498:
	v_cndmask_b32_e64 v2, 0, 1, s[2:3]
	v_cvt_f64_u32_e32 v[2:3], v2
	v_mov_b32_e32 v4, 0
	v_mov_b32_e32 v5, v4
	s_mov_b64 s[8:9], 0
	global_store_dwordx4 v[0:1], v[2:5], off
.LBB151_499:
	s_andn2_b64 vcc, exec, s[8:9]
	s_cbranch_vccnz .LBB151_501
; %bb.500:
	v_cndmask_b32_e64 v2, 0, 1.0, s[2:3]
	v_mov_b32_e32 v3, 0
	global_store_dwordx2 v[0:1], v[2:3], off
.LBB151_501:
	s_mov_b64 s[8:9], 0
.LBB151_502:
	s_andn2_b64 vcc, exec, s[8:9]
	s_cbranch_vccnz .LBB151_504
; %bb.503:
	v_cndmask_b32_e64 v2, 0, 1.0, s[2:3]
	v_cvt_f16_f32_e32 v2, v2
	global_store_dword v[0:1], v2, off
.LBB151_504:
	s_mov_b64 s[8:9], 0
.LBB151_505:
	s_andn2_b64 vcc, exec, s[8:9]
	s_cbranch_vccnz .LBB151_514
; %bb.506:
	s_cmp_lt_i32 s10, 6
	s_mov_b64 s[8:9], -1
	s_cbranch_scc1 .LBB151_512
; %bb.507:
	s_cmp_gt_i32 s10, 6
	s_cbranch_scc0 .LBB151_509
; %bb.508:
	v_cndmask_b32_e64 v2, 0, 1, s[2:3]
	v_cvt_f64_u32_e32 v[2:3], v2
	s_mov_b64 s[8:9], 0
	global_store_dwordx2 v[0:1], v[2:3], off
.LBB151_509:
	s_andn2_b64 vcc, exec, s[8:9]
	s_cbranch_vccnz .LBB151_511
; %bb.510:
	v_cndmask_b32_e64 v2, 0, 1.0, s[2:3]
	global_store_dword v[0:1], v2, off
.LBB151_511:
	s_mov_b64 s[8:9], 0
.LBB151_512:
	s_andn2_b64 vcc, exec, s[8:9]
	s_cbranch_vccnz .LBB151_514
; %bb.513:
	v_cndmask_b32_e64 v2, 0, 1.0, s[2:3]
	v_cvt_f16_f32_e32 v2, v2
	global_store_short v[0:1], v2, off
.LBB151_514:
	s_mov_b64 s[8:9], 0
.LBB151_515:
	s_andn2_b64 vcc, exec, s[8:9]
	s_cbranch_vccnz .LBB151_531
; %bb.516:
	s_cmp_lt_i32 s10, 2
	s_mov_b64 s[8:9], -1
	s_cbranch_scc1 .LBB151_526
; %bb.517:
	s_cmp_lt_i32 s10, 3
	s_cbranch_scc1 .LBB151_523
; %bb.518:
	s_cmp_gt_i32 s10, 3
	s_cbranch_scc0 .LBB151_520
; %bb.519:
	s_mov_b32 s8, 0
	v_cndmask_b32_e64 v2, 0, 1, s[2:3]
	v_mov_b32_e32 v3, s8
	s_mov_b64 s[8:9], 0
	global_store_dwordx2 v[0:1], v[2:3], off
.LBB151_520:
	s_andn2_b64 vcc, exec, s[8:9]
	s_cbranch_vccnz .LBB151_522
; %bb.521:
	v_cndmask_b32_e64 v2, 0, 1, s[2:3]
	global_store_dword v[0:1], v2, off
.LBB151_522:
	s_mov_b64 s[8:9], 0
.LBB151_523:
	s_andn2_b64 vcc, exec, s[8:9]
	s_cbranch_vccnz .LBB151_525
; %bb.524:
	v_cndmask_b32_e64 v2, 0, 1, s[2:3]
	global_store_short v[0:1], v2, off
.LBB151_525:
	s_mov_b64 s[8:9], 0
.LBB151_526:
	s_andn2_b64 vcc, exec, s[8:9]
	s_cbranch_vccnz .LBB151_531
; %bb.527:
	s_mov_b64 s[8:9], -1
	s_cmp_gt_i32 s10, 0
	v_cndmask_b32_e64 v2, 0, 1, s[2:3]
	s_cbranch_scc0 .LBB151_529
; %bb.528:
	s_mov_b64 s[8:9], 0
	global_store_byte v[0:1], v2, off
.LBB151_529:
	s_andn2_b64 vcc, exec, s[8:9]
	s_cbranch_vccnz .LBB151_531
; %bb.530:
	global_store_byte v[0:1], v2, off
.LBB151_531:
	s_mov_b64 s[8:9], -1
.LBB151_532:
	s_mov_b64 s[2:3], 0
	s_andn2_b64 vcc, exec, s[8:9]
	s_mov_b64 s[8:9], 0
	s_cbranch_vccnz .LBB151_534
; %bb.533:
	v_add_u32_e32 v8, 0x80, v8
	s_mov_b64 s[8:9], -1
.LBB151_534:
	s_andn2_b64 s[10:11], s[58:59], exec
	s_and_b64 s[0:1], s[0:1], exec
	s_or_b64 s[66:67], s[10:11], s[0:1]
	s_andn2_b64 s[0:1], s[60:61], exec
	s_and_b64 s[2:3], s[2:3], exec
	s_or_b64 s[64:65], s[0:1], s[2:3]
	s_orn2_b64 s[12:13], s[8:9], exec
.LBB151_535:
	s_or_b64 exec, exec, s[68:69]
	s_mov_b64 s[2:3], 0
	s_mov_b64 s[0:1], 0
	;; [unrolled: 1-line block ×3, first 2 shown]
                                        ; implicit-def: $sgpr10_sgpr11
                                        ; implicit-def: $vgpr1_vgpr2
                                        ; implicit-def: $vgpr0
	s_and_saveexec_b64 s[68:69], s[12:13]
	s_cbranch_execz .LBB151_889
; %bb.536:
	v_cmp_gt_i32_e32 vcc, s76, v8
	s_mov_b64 s[12:13], -1
	s_mov_b64 s[72:73], s[64:65]
	s_mov_b64 s[74:75], s[66:67]
	s_and_saveexec_b64 s[70:71], vcc
	s_cbranch_execz .LBB151_807
; %bb.537:
	s_andn2_b64 vcc, exec, s[40:41]
	s_cbranch_vccnz .LBB151_542
; %bb.538:
	s_andn2_b64 vcc, exec, s[56:57]
	s_cbranch_vccnz .LBB151_543
; %bb.539:
	s_add_i32 s77, s81, 1
	s_cmp_eq_u32 s78, 2
	s_cbranch_scc1 .LBB151_544
; %bb.540:
	s_and_b32 s49, s77, 28
	v_mov_b32_e32 v2, 0
	s_mov_b32 s82, 0
	s_mov_b64 s[72:73], s[34:35]
	s_mov_b64 s[74:75], s[54:55]
	v_mov_b32_e32 v0, 0
	v_mov_b32_e32 v1, v8
.LBB151_541:                            ; =>This Inner Loop Header: Depth=1
	s_load_dwordx8 s[16:23], s[72:73], 0x4
	s_load_dwordx4 s[0:3], s[72:73], 0x24
	s_load_dwordx8 s[8:15], s[74:75], 0x0
	s_add_u32 s72, s72, 48
	s_addc_u32 s73, s73, 0
	s_waitcnt lgkmcnt(0)
	v_mul_hi_u32 v3, s17, v1
	s_add_i32 s82, s82, 4
	s_add_u32 s74, s74, 32
	s_addc_u32 s75, s75, 0
	v_add_u32_e32 v3, v1, v3
	v_lshrrev_b32_e32 v3, s18, v3
	v_mul_lo_u32 v4, v3, s16
	v_mul_hi_u32 v5, s20, v3
	s_cmp_eq_u32 s49, s82
	v_sub_u32_e32 v1, v1, v4
	v_add_u32_e32 v4, v3, v5
	v_mul_lo_u32 v5, v1, s8
	v_mul_lo_u32 v6, v1, s9
	v_lshrrev_b32_e32 v1, s21, v4
	v_mul_lo_u32 v4, v1, s19
	v_mul_hi_u32 v7, s23, v1
	v_sub_u32_e32 v3, v3, v4
	v_add_u32_e32 v4, v1, v7
	v_lshrrev_b32_e32 v4, s0, v4
	v_mul_hi_u32 v9, s2, v4
	v_mul_lo_u32 v10, v4, s22
	v_mul_lo_u32 v7, v3, s10
	;; [unrolled: 1-line block ×3, first 2 shown]
	v_sub_u32_e32 v10, v1, v10
	v_add_u32_e32 v1, v4, v9
	v_lshrrev_b32_e32 v1, s3, v1
	v_mul_lo_u32 v9, v1, s1
	v_mul_lo_u32 v11, v10, s12
	;; [unrolled: 1-line block ×3, first 2 shown]
	v_add3_u32 v0, v5, v0, v7
	v_sub_u32_e32 v4, v4, v9
	v_mul_lo_u32 v9, v4, s14
	v_mul_lo_u32 v4, v4, s15
	v_add3_u32 v2, v6, v2, v3
	v_add3_u32 v0, v11, v0, v9
	v_add3_u32 v2, v10, v2, v4
	s_cbranch_scc0 .LBB151_541
	s_branch .LBB151_545
.LBB151_542:
	s_mov_b64 s[0:1], -1
                                        ; implicit-def: $vgpr0
                                        ; implicit-def: $vgpr2
	s_branch .LBB151_549
.LBB151_543:
	v_mov_b32_e32 v0, 0
	v_mov_b32_e32 v2, 0
	s_branch .LBB151_548
.LBB151_544:
	s_mov_b32 s49, 0
	v_mov_b32_e32 v0, 0
	v_mov_b32_e32 v2, 0
	;; [unrolled: 1-line block ×3, first 2 shown]
.LBB151_545:
	s_and_b32 s8, s77, 3
	s_cmp_eq_u32 s8, 0
	s_cbranch_scc1 .LBB151_548
; %bb.546:
	s_lshl_b32 s0, s49, 3
	s_add_u32 s0, s34, s0
	s_addc_u32 s1, s35, 0
	s_add_u32 s0, s0, 0xc4
	s_addc_u32 s1, s1, 0
	s_mul_i32 s2, s49, 12
	s_add_u32 s2, s34, s2
	s_addc_u32 s3, s35, 0
.LBB151_547:                            ; =>This Inner Loop Header: Depth=1
	s_load_dwordx2 s[10:11], s[2:3], 0x4
	s_load_dword s9, s[2:3], 0xc
	s_load_dwordx2 s[12:13], s[0:1], 0x0
	s_add_u32 s2, s2, 12
	s_addc_u32 s3, s3, 0
	s_waitcnt lgkmcnt(0)
	v_mul_hi_u32 v3, s11, v1
	s_add_u32 s0, s0, 8
	s_addc_u32 s1, s1, 0
	s_add_i32 s8, s8, -1
	v_add_u32_e32 v3, v1, v3
	v_lshrrev_b32_e32 v4, s9, v3
	v_mul_lo_u32 v3, v4, s10
	s_cmp_lg_u32 s8, 0
	v_sub_u32_e32 v3, v1, v3
	v_mad_u64_u32 v[0:1], s[10:11], v3, s12, v[0:1]
	v_mad_u64_u32 v[2:3], s[10:11], v3, s13, v[2:3]
	v_mov_b32_e32 v1, v4
	s_cbranch_scc1 .LBB151_547
.LBB151_548:
	s_mov_b64 s[0:1], 0
.LBB151_549:
	s_andn2_b64 vcc, exec, s[0:1]
	s_cbranch_vccnz .LBB151_552
; %bb.550:
	v_mul_hi_u32 v0, s29, v8
	s_andn2_b64 vcc, exec, s[52:53]
	v_add_u32_e32 v0, v8, v0
	v_lshrrev_b32_e32 v1, s30, v0
	v_mul_lo_u32 v0, v1, s28
	v_sub_u32_e32 v2, v8, v0
	v_mul_lo_u32 v0, v2, s36
	v_mul_lo_u32 v2, v2, s37
	s_cbranch_vccnz .LBB151_552
; %bb.551:
	v_mul_hi_u32 v3, s50, v1
	v_add_u32_e32 v3, v1, v3
	v_lshrrev_b32_e32 v3, s51, v3
	v_mul_lo_u32 v3, v3, s31
	v_sub_u32_e32 v3, v1, v3
	v_mad_u64_u32 v[0:1], s[0:1], v3, s38, v[0:1]
	v_mad_u64_u32 v[2:3], s[0:1], v3, s39, v[2:3]
.LBB151_552:
	v_mov_b32_e32 v3, s27
	s_and_b32 s12, 0xffff, s80
	v_add_co_u32_e32 v1, vcc, s26, v2
	s_cmp_lt_i32 s12, 11
	v_addc_co_u32_e32 v2, vcc, 0, v3, vcc
	s_cbranch_scc1 .LBB151_559
; %bb.553:
	s_cmp_gt_i32 s12, 25
	s_cbranch_scc0 .LBB151_560
; %bb.554:
	s_cmp_gt_i32 s12, 28
	s_cbranch_scc0 .LBB151_561
	;; [unrolled: 3-line block ×4, first 2 shown]
; %bb.557:
	s_cmp_eq_u32 s12, 46
	s_mov_b64 s[10:11], 0
	s_cbranch_scc0 .LBB151_568
; %bb.558:
	global_load_dword v3, v[1:2], off
	s_mov_b64 s[8:9], -1
	s_mov_b64 s[2:3], 0
	s_waitcnt vmcnt(0)
	v_and_b32_e32 v3, 0x7fff7fff, v3
	v_cmp_ne_u32_e64 s[0:1], 0, v3
	s_branch .LBB151_569
.LBB151_559:
	s_mov_b64 s[10:11], -1
	s_mov_b64 s[8:9], 0
                                        ; implicit-def: $sgpr0_sgpr1
	s_mov_b64 s[2:3], s[64:65]
	s_branch .LBB151_616
.LBB151_560:
	s_mov_b64 s[10:11], -1
	s_mov_b64 s[8:9], 0
	s_mov_b64 s[2:3], s[64:65]
                                        ; implicit-def: $sgpr0_sgpr1
	s_branch .LBB151_590
.LBB151_561:
	s_mov_b64 s[10:11], -1
	s_mov_b64 s[8:9], 0
	s_mov_b64 s[2:3], s[64:65]
                                        ; implicit-def: $sgpr0_sgpr1
	s_branch .LBB151_577
.LBB151_562:
	s_mov_b64 s[10:11], -1
	s_mov_b64 s[8:9], 0
	s_mov_b64 s[2:3], s[64:65]
                                        ; implicit-def: $sgpr0_sgpr1
	s_branch .LBB151_572
.LBB151_563:
	s_andn2_saveexec_b64 s[12:13], s[12:13]
	s_cbranch_execz .LBB151_445
.LBB151_564:
	v_add_f32_e32 v2, 0x46000000, v3
	v_and_b32_e32 v2, 0xff, v2
	v_cmp_ne_u32_e32 vcc, 0, v2
	s_andn2_b64 s[10:11], s[10:11], exec
	s_and_b64 s[16:17], vcc, exec
	s_or_b64 s[10:11], s[10:11], s[16:17]
	s_or_b64 exec, exec, s[12:13]
	v_mov_b32_e32 v4, 0
	s_and_saveexec_b64 s[12:13], s[10:11]
	s_cbranch_execnz .LBB151_446
	s_branch .LBB151_447
.LBB151_565:
	s_mov_b64 s[10:11], -1
	s_mov_b64 s[8:9], 0
	s_mov_b64 s[2:3], s[64:65]
                                        ; implicit-def: $sgpr0_sgpr1
	s_branch .LBB151_569
.LBB151_566:
	s_andn2_saveexec_b64 s[12:13], s[12:13]
	s_cbranch_execz .LBB151_458
.LBB151_567:
	v_add_f32_e32 v2, 0x42800000, v3
	v_and_b32_e32 v2, 0xff, v2
	v_cmp_ne_u32_e32 vcc, 0, v2
	s_andn2_b64 s[10:11], s[10:11], exec
	s_and_b64 s[16:17], vcc, exec
	s_or_b64 s[10:11], s[10:11], s[16:17]
	s_or_b64 exec, exec, s[12:13]
	v_mov_b32_e32 v4, 0
	s_and_saveexec_b64 s[12:13], s[10:11]
	s_cbranch_execnz .LBB151_459
	s_branch .LBB151_460
.LBB151_568:
	s_mov_b64 s[2:3], -1
                                        ; implicit-def: $sgpr0_sgpr1
	s_mov_b64 s[8:9], 0
.LBB151_569:
	s_and_b64 vcc, exec, s[10:11]
	s_cbranch_vccz .LBB151_571
; %bb.570:
	s_cmp_eq_u32 s12, 44
	s_cselect_b64 s[8:9], -1, 0
	s_or_b64 s[0:1], s[0:1], exec
	s_or_b64 s[2:3], s[2:3], exec
.LBB151_571:
	s_mov_b64 s[10:11], 0
.LBB151_572:
	s_and_b64 vcc, exec, s[10:11]
	s_cbranch_vccz .LBB151_576
; %bb.573:
	s_cmp_eq_u32 s12, 29
	s_cbranch_scc0 .LBB151_575
; %bb.574:
	global_load_dwordx2 v[3:4], v[1:2], off
	s_mov_b64 s[2:3], 0
	s_mov_b64 s[8:9], -1
	s_mov_b64 s[10:11], 0
	s_waitcnt vmcnt(0)
	v_cmp_ne_u64_e64 s[0:1], 0, v[3:4]
	s_branch .LBB151_577
.LBB151_575:
	s_mov_b64 s[2:3], -1
                                        ; implicit-def: $sgpr0_sgpr1
.LBB151_576:
	s_mov_b64 s[10:11], 0
.LBB151_577:
	s_and_b64 vcc, exec, s[10:11]
	s_cbranch_vccz .LBB151_589
; %bb.578:
	s_cmp_lt_i32 s12, 27
	s_cbranch_scc1 .LBB151_581
; %bb.579:
	s_cmp_gt_i32 s12, 27
	s_cbranch_scc0 .LBB151_582
; %bb.580:
	global_load_dword v3, v[1:2], off
	s_mov_b64 s[8:9], 0
	s_waitcnt vmcnt(0)
	v_cmp_ne_u32_e64 s[0:1], 0, v3
	s_branch .LBB151_583
.LBB151_581:
	s_mov_b64 s[8:9], -1
                                        ; implicit-def: $sgpr0_sgpr1
	s_branch .LBB151_586
.LBB151_582:
	s_mov_b64 s[8:9], -1
                                        ; implicit-def: $sgpr0_sgpr1
.LBB151_583:
	s_andn2_b64 vcc, exec, s[8:9]
	s_cbranch_vccnz .LBB151_585
; %bb.584:
	global_load_ushort v3, v[1:2], off
	s_andn2_b64 s[0:1], s[0:1], exec
	s_waitcnt vmcnt(0)
	v_cmp_ne_u16_e32 vcc, 0, v3
	s_and_b64 s[8:9], vcc, exec
	s_or_b64 s[0:1], s[0:1], s[8:9]
.LBB151_585:
	s_mov_b64 s[8:9], 0
.LBB151_586:
	s_andn2_b64 vcc, exec, s[8:9]
	s_cbranch_vccnz .LBB151_588
; %bb.587:
	global_load_ubyte v3, v[1:2], off
	s_andn2_b64 s[0:1], s[0:1], exec
	s_waitcnt vmcnt(0)
	v_cmp_ne_u16_e32 vcc, 0, v3
	s_and_b64 s[8:9], vcc, exec
	s_or_b64 s[0:1], s[0:1], s[8:9]
.LBB151_588:
	s_mov_b64 s[8:9], -1
.LBB151_589:
	s_mov_b64 s[10:11], 0
.LBB151_590:
	s_and_b64 vcc, exec, s[10:11]
	s_cbranch_vccz .LBB151_615
; %bb.591:
	s_cmp_gt_i32 s12, 22
	s_cbranch_scc0 .LBB151_595
; %bb.592:
	s_cmp_lt_i32 s12, 24
	s_cbranch_scc1 .LBB151_596
; %bb.593:
	s_cmp_gt_i32 s12, 24
	s_cbranch_scc0 .LBB151_597
; %bb.594:
	global_load_ubyte v3, v[1:2], off
	s_mov_b64 s[8:9], 0
	s_waitcnt vmcnt(0)
	v_cmp_ne_u16_e64 s[0:1], 0, v3
	s_branch .LBB151_598
.LBB151_595:
	s_mov_b64 s[10:11], -1
                                        ; implicit-def: $sgpr0_sgpr1
	s_branch .LBB151_604
.LBB151_596:
	s_mov_b64 s[8:9], -1
                                        ; implicit-def: $sgpr0_sgpr1
	s_branch .LBB151_601
.LBB151_597:
	s_mov_b64 s[8:9], -1
                                        ; implicit-def: $sgpr0_sgpr1
.LBB151_598:
	s_andn2_b64 vcc, exec, s[8:9]
	s_cbranch_vccnz .LBB151_600
; %bb.599:
	global_load_ubyte v3, v[1:2], off
	s_andn2_b64 s[0:1], s[0:1], exec
	s_waitcnt vmcnt(0)
	v_and_b32_e32 v3, 0x7f, v3
	v_cmp_ne_u16_e32 vcc, 0, v3
	s_and_b64 s[8:9], vcc, exec
	s_or_b64 s[0:1], s[0:1], s[8:9]
.LBB151_600:
	s_mov_b64 s[8:9], 0
.LBB151_601:
	s_andn2_b64 vcc, exec, s[8:9]
	s_cbranch_vccnz .LBB151_603
; %bb.602:
	global_load_ubyte v3, v[1:2], off
	s_movk_i32 s8, 0x7f00
	s_brev_b32 s9, 16
	s_andn2_b64 s[0:1], s[0:1], exec
	s_waitcnt vmcnt(0)
	v_lshlrev_b32_e32 v4, 8, v3
	v_lshlrev_b32_e32 v3, 25, v3
	v_lshrrev_b32_e32 v5, 4, v3
	v_and_or_b32 v4, v4, s8, 0.5
	v_or_b32_e32 v5, 0x70000000, v5
	v_add_f32_e32 v4, -0.5, v4
	v_mul_f32_e32 v5, 0x7800000, v5
	v_cmp_gt_u32_e32 vcc, s9, v3
	v_cndmask_b32_e32 v3, v5, v4, vcc
	v_cmp_neq_f32_e32 vcc, 0, v3
	s_and_b64 s[8:9], vcc, exec
	s_or_b64 s[0:1], s[0:1], s[8:9]
.LBB151_603:
	s_mov_b64 s[10:11], 0
	s_mov_b64 s[8:9], -1
.LBB151_604:
	s_andn2_b64 vcc, exec, s[10:11]
	s_cbranch_vccnz .LBB151_615
; %bb.605:
	s_cmp_gt_i32 s12, 14
	s_cbranch_scc0 .LBB151_608
; %bb.606:
	s_cmp_eq_u32 s12, 15
	s_cbranch_scc0 .LBB151_609
; %bb.607:
	global_load_ushort v3, v[1:2], off
	s_mov_b64 s[8:9], -1
	s_mov_b64 s[2:3], 0
	s_waitcnt vmcnt(0)
	v_and_b32_e32 v3, 0x7fff, v3
	v_cmp_ne_u16_e64 s[0:1], 0, v3
	s_branch .LBB151_610
.LBB151_608:
	s_mov_b64 s[10:11], -1
                                        ; implicit-def: $sgpr0_sgpr1
	s_branch .LBB151_611
.LBB151_609:
	s_mov_b64 s[2:3], -1
                                        ; implicit-def: $sgpr0_sgpr1
.LBB151_610:
	s_mov_b64 s[10:11], 0
.LBB151_611:
	s_and_b64 vcc, exec, s[10:11]
	s_cbranch_vccz .LBB151_615
; %bb.612:
	s_cmp_eq_u32 s12, 11
	s_cbranch_scc0 .LBB151_614
; %bb.613:
	global_load_ubyte v3, v[1:2], off
	s_mov_b64 s[8:9], -1
	s_mov_b64 s[2:3], 0
	s_waitcnt vmcnt(0)
	v_cmp_ne_u16_e64 s[0:1], 0, v3
	s_branch .LBB151_615
.LBB151_614:
	s_mov_b64 s[2:3], -1
                                        ; implicit-def: $sgpr0_sgpr1
.LBB151_615:
	s_mov_b64 s[10:11], 0
.LBB151_616:
	s_and_b64 vcc, exec, s[10:11]
	s_cbranch_vccz .LBB151_665
; %bb.617:
	s_cmp_lt_i32 s12, 5
	s_cbranch_scc1 .LBB151_622
; %bb.618:
	s_cmp_lt_i32 s12, 8
	s_cbranch_scc1 .LBB151_623
	;; [unrolled: 3-line block ×3, first 2 shown]
; %bb.620:
	s_cmp_gt_i32 s12, 9
	s_cbranch_scc0 .LBB151_625
; %bb.621:
	global_load_dwordx4 v[3:6], v[1:2], off
	s_mov_b64 s[8:9], 0
	s_waitcnt vmcnt(0)
	v_cmp_neq_f64_e32 vcc, 0, v[3:4]
	v_cmp_neq_f64_e64 s[0:1], 0, v[5:6]
	s_or_b64 s[0:1], vcc, s[0:1]
	s_branch .LBB151_626
.LBB151_622:
	s_mov_b64 s[8:9], -1
                                        ; implicit-def: $sgpr0_sgpr1
	s_branch .LBB151_644
.LBB151_623:
	s_mov_b64 s[8:9], -1
                                        ; implicit-def: $sgpr0_sgpr1
	s_branch .LBB151_632
.LBB151_624:
	s_mov_b64 s[8:9], -1
                                        ; implicit-def: $sgpr0_sgpr1
	s_branch .LBB151_629
.LBB151_625:
	s_mov_b64 s[8:9], -1
                                        ; implicit-def: $sgpr0_sgpr1
.LBB151_626:
	s_andn2_b64 vcc, exec, s[8:9]
	s_cbranch_vccnz .LBB151_628
; %bb.627:
	global_load_dwordx2 v[3:4], v[1:2], off
	s_andn2_b64 s[0:1], s[0:1], exec
	s_waitcnt vmcnt(0)
	v_or_b32_e32 v3, v3, v4
	v_and_b32_e32 v3, 0x7fffffff, v3
	v_cmp_ne_u32_e32 vcc, 0, v3
	s_and_b64 s[8:9], vcc, exec
	s_or_b64 s[0:1], s[0:1], s[8:9]
.LBB151_628:
	s_mov_b64 s[8:9], 0
.LBB151_629:
	s_andn2_b64 vcc, exec, s[8:9]
	s_cbranch_vccnz .LBB151_631
; %bb.630:
	global_load_dword v3, v[1:2], off
	s_andn2_b64 s[0:1], s[0:1], exec
	s_waitcnt vmcnt(0)
	v_and_b32_e32 v3, 0x7fff7fff, v3
	v_cmp_ne_u32_e32 vcc, 0, v3
	s_and_b64 s[8:9], vcc, exec
	s_or_b64 s[0:1], s[0:1], s[8:9]
.LBB151_631:
	s_mov_b64 s[8:9], 0
.LBB151_632:
	s_andn2_b64 vcc, exec, s[8:9]
	s_cbranch_vccnz .LBB151_643
; %bb.633:
	s_cmp_lt_i32 s12, 6
	s_cbranch_scc1 .LBB151_636
; %bb.634:
	s_cmp_gt_i32 s12, 6
	s_cbranch_scc0 .LBB151_637
; %bb.635:
	global_load_dwordx2 v[3:4], v[1:2], off
	s_mov_b64 s[8:9], 0
	s_waitcnt vmcnt(0)
	v_cmp_neq_f64_e64 s[0:1], 0, v[3:4]
	s_branch .LBB151_638
.LBB151_636:
	s_mov_b64 s[8:9], -1
                                        ; implicit-def: $sgpr0_sgpr1
	s_branch .LBB151_641
.LBB151_637:
	s_mov_b64 s[8:9], -1
                                        ; implicit-def: $sgpr0_sgpr1
.LBB151_638:
	s_andn2_b64 vcc, exec, s[8:9]
	s_cbranch_vccnz .LBB151_640
; %bb.639:
	global_load_dword v3, v[1:2], off
	s_andn2_b64 s[0:1], s[0:1], exec
	s_waitcnt vmcnt(0)
	v_cmp_neq_f32_e32 vcc, 0, v3
	s_and_b64 s[8:9], vcc, exec
	s_or_b64 s[0:1], s[0:1], s[8:9]
.LBB151_640:
	s_mov_b64 s[8:9], 0
.LBB151_641:
	s_andn2_b64 vcc, exec, s[8:9]
	s_cbranch_vccnz .LBB151_643
; %bb.642:
	global_load_ushort v3, v[1:2], off
	s_andn2_b64 s[0:1], s[0:1], exec
	s_waitcnt vmcnt(0)
	v_and_b32_e32 v3, 0x7fff, v3
	v_cmp_ne_u16_e32 vcc, 0, v3
	s_and_b64 s[8:9], vcc, exec
	s_or_b64 s[0:1], s[0:1], s[8:9]
.LBB151_643:
	s_mov_b64 s[8:9], 0
.LBB151_644:
	s_andn2_b64 vcc, exec, s[8:9]
	s_cbranch_vccnz .LBB151_664
; %bb.645:
	s_cmp_lt_i32 s12, 2
	s_cbranch_scc1 .LBB151_649
; %bb.646:
	s_cmp_lt_i32 s12, 3
	s_cbranch_scc1 .LBB151_650
; %bb.647:
	s_cmp_gt_i32 s12, 3
	s_cbranch_scc0 .LBB151_651
; %bb.648:
	global_load_dwordx2 v[3:4], v[1:2], off
	s_mov_b64 s[8:9], 0
	s_waitcnt vmcnt(0)
	v_cmp_ne_u64_e64 s[0:1], 0, v[3:4]
	s_branch .LBB151_652
.LBB151_649:
	s_mov_b64 s[8:9], -1
                                        ; implicit-def: $sgpr0_sgpr1
	s_branch .LBB151_658
.LBB151_650:
	s_mov_b64 s[8:9], -1
                                        ; implicit-def: $sgpr0_sgpr1
	s_branch .LBB151_655
.LBB151_651:
	s_mov_b64 s[8:9], -1
                                        ; implicit-def: $sgpr0_sgpr1
.LBB151_652:
	s_andn2_b64 vcc, exec, s[8:9]
	s_cbranch_vccnz .LBB151_654
; %bb.653:
	global_load_dword v3, v[1:2], off
	s_andn2_b64 s[0:1], s[0:1], exec
	s_waitcnt vmcnt(0)
	v_cmp_ne_u32_e32 vcc, 0, v3
	s_and_b64 s[8:9], vcc, exec
	s_or_b64 s[0:1], s[0:1], s[8:9]
.LBB151_654:
	s_mov_b64 s[8:9], 0
.LBB151_655:
	s_andn2_b64 vcc, exec, s[8:9]
	s_cbranch_vccnz .LBB151_657
; %bb.656:
	global_load_ushort v3, v[1:2], off
	s_andn2_b64 s[0:1], s[0:1], exec
	s_waitcnt vmcnt(0)
	v_cmp_ne_u16_e32 vcc, 0, v3
	s_and_b64 s[8:9], vcc, exec
	s_or_b64 s[0:1], s[0:1], s[8:9]
.LBB151_657:
	s_mov_b64 s[8:9], 0
.LBB151_658:
	s_andn2_b64 vcc, exec, s[8:9]
	s_cbranch_vccnz .LBB151_664
; %bb.659:
	s_cmp_gt_i32 s12, 0
	s_cbranch_scc0 .LBB151_661
; %bb.660:
	global_load_ubyte v3, v[1:2], off
	s_mov_b64 s[8:9], 0
	s_waitcnt vmcnt(0)
	v_cmp_ne_u16_e64 s[0:1], 0, v3
	s_branch .LBB151_662
.LBB151_661:
	s_mov_b64 s[8:9], -1
                                        ; implicit-def: $sgpr0_sgpr1
.LBB151_662:
	s_andn2_b64 vcc, exec, s[8:9]
	s_cbranch_vccnz .LBB151_664
; %bb.663:
	global_load_ubyte v1, v[1:2], off
	s_andn2_b64 s[0:1], s[0:1], exec
	s_waitcnt vmcnt(0)
	v_cmp_ne_u16_e32 vcc, 0, v1
	s_and_b64 s[8:9], vcc, exec
	s_or_b64 s[0:1], s[0:1], s[8:9]
.LBB151_664:
	s_mov_b64 s[8:9], -1
.LBB151_665:
	s_andn2_b64 vcc, exec, s[8:9]
	s_cbranch_vccnz .LBB151_670
; %bb.666:
	s_cmp_lt_i32 s48, 1
	s_mov_b64 s[8:9], 0
	s_cbranch_scc1 .LBB151_671
; %bb.667:
	s_cmp_gt_i32 s48, 1
	s_cbranch_scc0 .LBB151_672
; %bb.668:
	s_cmp_eq_u32 s48, 2
	s_cbranch_scc0 .LBB151_673
; %bb.669:
	s_xor_b64 s[2:3], s[0:1], -1
	s_or_b64 s[2:3], s[46:47], s[2:3]
	s_mov_b64 s[10:11], 0
	s_branch .LBB151_674
.LBB151_670:
	s_mov_b64 s[8:9], 0
	s_mov_b64 s[0:1], s[66:67]
                                        ; implicit-def: $vgpr8
	s_branch .LBB151_806
.LBB151_671:
	s_mov_b64 s[12:13], -1
                                        ; implicit-def: $sgpr2_sgpr3
	s_mov_b64 s[10:11], 0
	s_branch .LBB151_678
.LBB151_672:
	s_mov_b64 s[12:13], -1
	s_mov_b64 s[10:11], 0
                                        ; implicit-def: $sgpr2_sgpr3
	s_branch .LBB151_675
.LBB151_673:
	s_mov_b64 s[10:11], -1
                                        ; implicit-def: $sgpr2_sgpr3
.LBB151_674:
	s_mov_b64 s[12:13], 0
.LBB151_675:
	s_and_b64 vcc, exec, s[12:13]
	s_cbranch_vccz .LBB151_677
; %bb.676:
	s_and_b64 s[12:13], s[0:1], s[44:45]
	s_andn2_b64 s[2:3], s[2:3], exec
	s_and_b64 s[12:13], s[12:13], exec
	s_or_b64 s[2:3], s[2:3], s[12:13]
.LBB151_677:
	s_mov_b64 s[12:13], 0
.LBB151_678:
	s_and_b64 vcc, exec, s[12:13]
	s_cbranch_vccz .LBB151_689
; %bb.679:
	s_cmp_lg_u32 s48, 0
	s_mov_b64 s[8:9], -1
	s_cselect_b64 s[10:11], -1, 0
	s_andn2_b64 vcc, exec, s[10:11]
	s_cbranch_vccz .LBB151_690
.LBB151_680:
	s_andn2_b64 vcc, exec, s[8:9]
	s_cbranch_vccnz .LBB151_682
.LBB151_681:
	s_or_b64 s[0:1], s[0:1], s[44:45]
	s_andn2_b64 s[2:3], s[2:3], exec
	s_and_b64 s[0:1], s[0:1], exec
	s_or_b64 s[2:3], s[2:3], s[0:1]
.LBB151_682:
	v_mov_b32_e32 v1, s25
	s_and_b32 s14, s79, 0xff
	v_add_co_u32_e32 v0, vcc, s24, v0
	s_cmp_lt_i32 s14, 11
	v_addc_co_u32_e32 v1, vcc, 0, v1, vcc
	s_cbranch_scc1 .LBB151_691
; %bb.683:
	s_and_b32 s15, 0xffff, s14
	s_cmp_gt_i32 s15, 25
	s_cbranch_scc0 .LBB151_692
; %bb.684:
	s_cmp_gt_i32 s15, 28
	s_cbranch_scc0 .LBB151_693
; %bb.685:
	;; [unrolled: 3-line block ×4, first 2 shown]
	s_mov_b64 s[10:11], 0
	s_mov_b64 s[0:1], -1
	s_cmp_eq_u32 s15, 46
	s_mov_b64 s[8:9], 0
	s_cbranch_scc0 .LBB151_696
; %bb.688:
	v_cndmask_b32_e64 v2, 0, 1.0, s[2:3]
	v_bfe_u32 v3, v2, 16, 1
	s_movk_i32 s0, 0x7fff
	v_add3_u32 v2, v2, v3, s0
	v_lshrrev_b32_e32 v2, 16, v2
	global_store_dword v[0:1], v2, off
	s_mov_b64 s[8:9], -1
	s_mov_b64 s[0:1], 0
	s_branch .LBB151_696
.LBB151_689:
	s_andn2_b64 vcc, exec, s[10:11]
	s_cbranch_vccnz .LBB151_680
.LBB151_690:
	s_xor_b64 s[8:9], s[0:1], -1
	s_and_b64 s[10:11], s[46:47], s[8:9]
	s_andn2_b64 s[2:3], s[2:3], exec
	s_and_b64 s[10:11], s[10:11], exec
	s_or_b64 s[2:3], s[2:3], s[10:11]
	s_cbranch_execz .LBB151_681
	s_branch .LBB151_682
.LBB151_691:
	s_mov_b64 s[10:11], -1
	s_mov_b64 s[8:9], 0
	s_mov_b64 s[0:1], s[66:67]
	s_branch .LBB151_765
.LBB151_692:
	s_mov_b64 s[10:11], -1
	s_mov_b64 s[8:9], 0
	s_mov_b64 s[0:1], s[66:67]
	s_branch .LBB151_723
.LBB151_693:
	s_mov_b64 s[10:11], -1
	s_mov_b64 s[8:9], 0
	s_mov_b64 s[0:1], s[66:67]
	s_branch .LBB151_706
.LBB151_694:
	s_mov_b64 s[10:11], -1
	s_mov_b64 s[8:9], 0
	s_mov_b64 s[0:1], s[66:67]
	s_branch .LBB151_702
.LBB151_695:
	s_mov_b64 s[10:11], -1
	s_mov_b64 s[8:9], 0
	s_mov_b64 s[0:1], s[66:67]
.LBB151_696:
	s_and_b64 vcc, exec, s[10:11]
	s_cbranch_vccz .LBB151_701
; %bb.697:
	s_cmp_eq_u32 s15, 44
	s_mov_b64 s[0:1], -1
	s_cbranch_scc0 .LBB151_701
; %bb.698:
	v_cndmask_b32_e64 v3, 0, 1.0, s[2:3]
	v_lshrrev_b32_e32 v2, 23, v3
	s_movk_i32 s0, 0xff
	v_cmp_ne_u32_e32 vcc, s0, v2
	v_mov_b32_e32 v4, 0xff
	s_and_saveexec_b64 s[8:9], vcc
; %bb.699:
	s_mov_b32 s0, 0x3fffff
	v_and_b32_e32 v4, 0x400000, v3
	v_and_or_b32 v3, v3, s0, v2
	v_cmp_ne_u32_e32 vcc, 0, v4
	v_cmp_ne_u32_e64 s[0:1], 0, v3
	s_and_b64 s[0:1], vcc, s[0:1]
	v_cndmask_b32_e64 v3, 0, 1, s[0:1]
	v_add_u32_e32 v4, v2, v3
; %bb.700:
	s_or_b64 exec, exec, s[8:9]
	s_mov_b64 s[8:9], -1
	s_mov_b64 s[0:1], 0
	global_store_byte v[0:1], v4, off
.LBB151_701:
	s_mov_b64 s[10:11], 0
.LBB151_702:
	s_and_b64 vcc, exec, s[10:11]
	s_cbranch_vccz .LBB151_705
; %bb.703:
	s_cmp_eq_u32 s15, 29
	s_mov_b64 s[0:1], -1
	s_cbranch_scc0 .LBB151_705
; %bb.704:
	s_mov_b32 s0, 0
	v_cndmask_b32_e64 v2, 0, 1, s[2:3]
	v_mov_b32_e32 v3, s0
	global_store_dwordx2 v[0:1], v[2:3], off
	s_mov_b64 s[8:9], -1
	s_mov_b64 s[0:1], 0
.LBB151_705:
	s_mov_b64 s[10:11], 0
.LBB151_706:
	s_and_b64 vcc, exec, s[10:11]
	s_cbranch_vccz .LBB151_722
; %bb.707:
	s_cmp_lt_i32 s15, 27
	s_mov_b64 s[8:9], -1
	s_cbranch_scc1 .LBB151_713
; %bb.708:
	s_cmp_gt_i32 s15, 27
	s_cbranch_scc0 .LBB151_710
; %bb.709:
	v_cndmask_b32_e64 v2, 0, 1, s[2:3]
	s_mov_b64 s[8:9], 0
	global_store_dword v[0:1], v2, off
.LBB151_710:
	s_andn2_b64 vcc, exec, s[8:9]
	s_cbranch_vccnz .LBB151_712
; %bb.711:
	v_cndmask_b32_e64 v2, 0, 1, s[2:3]
	global_store_short v[0:1], v2, off
.LBB151_712:
	s_mov_b64 s[8:9], 0
.LBB151_713:
	s_andn2_b64 vcc, exec, s[8:9]
	s_cbranch_vccnz .LBB151_721
; %bb.714:
	v_cndmask_b32_e64 v3, 0, 1.0, s[2:3]
	s_mov_b32 s8, 0x43800000
	v_cmp_gt_u32_e32 vcc, s8, v3
	v_mov_b32_e32 v4, 0x80
	s_and_saveexec_b64 s[8:9], vcc
	s_cbranch_execz .LBB151_720
; %bb.715:
	s_mov_b32 s10, 0x3bffffff
	v_cmp_lt_u32_e32 vcc, s10, v3
	s_mov_b64 s[10:11], 0
                                        ; implicit-def: $vgpr2
	s_and_saveexec_b64 s[12:13], vcc
	s_xor_b64 s[12:13], exec, s[12:13]
	s_cbranch_execz .LBB151_835
; %bb.716:
	v_bfe_u32 v2, v3, 20, 1
	s_mov_b32 s16, 0x487ffff
	v_add3_u32 v2, v3, v2, s16
	s_mov_b64 s[10:11], exec
	v_lshrrev_b32_e32 v2, 20, v2
                                        ; implicit-def: $vgpr3
	s_andn2_saveexec_b64 s[12:13], s[12:13]
	s_cbranch_execnz .LBB151_836
.LBB151_717:
	s_or_b64 exec, exec, s[12:13]
	v_mov_b32_e32 v4, 0
	s_and_saveexec_b64 s[12:13], s[10:11]
.LBB151_718:
	v_mov_b32_e32 v4, v2
.LBB151_719:
	s_or_b64 exec, exec, s[12:13]
.LBB151_720:
	s_or_b64 exec, exec, s[8:9]
	global_store_byte v[0:1], v4, off
.LBB151_721:
	s_mov_b64 s[8:9], -1
.LBB151_722:
	s_mov_b64 s[10:11], 0
.LBB151_723:
	s_and_b64 vcc, exec, s[10:11]
	s_cbranch_vccz .LBB151_764
; %bb.724:
	s_cmp_gt_i32 s15, 22
	s_mov_b64 s[10:11], -1
	s_cbranch_scc0 .LBB151_756
; %bb.725:
	s_cmp_lt_i32 s15, 24
	s_mov_b64 s[8:9], -1
	s_cbranch_scc1 .LBB151_745
; %bb.726:
	s_cmp_gt_i32 s15, 24
	s_cbranch_scc0 .LBB151_734
; %bb.727:
	v_cndmask_b32_e64 v3, 0, 1.0, s[2:3]
	s_mov_b32 s8, 0x47800000
	v_cmp_gt_u32_e32 vcc, s8, v3
	v_mov_b32_e32 v4, 0x80
	s_and_saveexec_b64 s[8:9], vcc
	s_cbranch_execz .LBB151_733
; %bb.728:
	s_mov_b32 s10, 0x37ffffff
	v_cmp_lt_u32_e32 vcc, s10, v3
	s_mov_b64 s[10:11], 0
                                        ; implicit-def: $vgpr2
	s_and_saveexec_b64 s[12:13], vcc
	s_xor_b64 s[12:13], exec, s[12:13]
	s_cbranch_execz .LBB151_838
; %bb.729:
	v_bfe_u32 v2, v3, 21, 1
	s_mov_b32 s16, 0x88fffff
	v_add3_u32 v2, v3, v2, s16
	s_mov_b64 s[10:11], exec
	v_lshrrev_b32_e32 v2, 21, v2
                                        ; implicit-def: $vgpr3
	s_andn2_saveexec_b64 s[12:13], s[12:13]
	s_cbranch_execnz .LBB151_839
.LBB151_730:
	s_or_b64 exec, exec, s[12:13]
	v_mov_b32_e32 v4, 0
	s_and_saveexec_b64 s[12:13], s[10:11]
.LBB151_731:
	v_mov_b32_e32 v4, v2
.LBB151_732:
	s_or_b64 exec, exec, s[12:13]
.LBB151_733:
	s_or_b64 exec, exec, s[8:9]
	s_mov_b64 s[8:9], 0
	global_store_byte v[0:1], v4, off
.LBB151_734:
	s_and_b64 vcc, exec, s[8:9]
	s_cbranch_vccz .LBB151_744
; %bb.735:
	v_cndmask_b32_e64 v2, 0, 1.0, s[2:3]
	s_mov_b32 s8, 0x43f00000
	v_cmp_gt_u32_e32 vcc, s8, v2
                                        ; implicit-def: $vgpr3
	s_and_saveexec_b64 s[8:9], vcc
	s_xor_b64 s[8:9], exec, s[8:9]
	s_cbranch_execz .LBB151_741
; %bb.736:
	s_mov_b32 s10, 0x3c7fffff
	v_cmp_lt_u32_e32 vcc, s10, v2
                                        ; implicit-def: $vgpr3
	s_and_saveexec_b64 s[10:11], vcc
	s_xor_b64 s[10:11], exec, s[10:11]
; %bb.737:
	v_bfe_u32 v3, v2, 20, 1
	s_mov_b32 s12, 0x407ffff
	v_add3_u32 v2, v2, v3, s12
	v_lshrrev_b32_e32 v3, 20, v2
	v_and_b32_e32 v2, 0xff00000, v2
	s_mov_b32 s12, 0x7f00000
	v_mov_b32_e32 v4, 0x7e
	v_cmp_ne_u32_e32 vcc, s12, v2
	v_cndmask_b32_e32 v3, v4, v3, vcc
                                        ; implicit-def: $vgpr2
; %bb.738:
	s_andn2_saveexec_b64 s[10:11], s[10:11]
; %bb.739:
	v_add_f32_e32 v3, 0x46800000, v2
; %bb.740:
	s_or_b64 exec, exec, s[10:11]
                                        ; implicit-def: $vgpr2
.LBB151_741:
	s_andn2_saveexec_b64 s[8:9], s[8:9]
; %bb.742:
	s_mov_b32 s10, 0x7f800000
	v_mov_b32_e32 v3, 0x7e
	v_mov_b32_e32 v4, 0x7f
	v_cmp_lt_u32_e32 vcc, s10, v2
	v_cndmask_b32_e32 v3, v3, v4, vcc
; %bb.743:
	s_or_b64 exec, exec, s[8:9]
	global_store_byte v[0:1], v3, off
.LBB151_744:
	s_mov_b64 s[8:9], 0
.LBB151_745:
	s_andn2_b64 vcc, exec, s[8:9]
	s_cbranch_vccnz .LBB151_755
; %bb.746:
	v_cndmask_b32_e64 v2, 0, 1.0, s[2:3]
	s_mov_b32 s8, 0x47800000
	v_cmp_gt_u32_e32 vcc, s8, v2
                                        ; implicit-def: $vgpr3
	s_and_saveexec_b64 s[8:9], vcc
	s_xor_b64 s[8:9], exec, s[8:9]
	s_cbranch_execz .LBB151_752
; %bb.747:
	s_mov_b32 s10, 0x387fffff
	v_cmp_lt_u32_e32 vcc, s10, v2
                                        ; implicit-def: $vgpr3
	s_and_saveexec_b64 s[10:11], vcc
	s_xor_b64 s[10:11], exec, s[10:11]
; %bb.748:
	v_bfe_u32 v3, v2, 21, 1
	s_mov_b32 s12, 0x80fffff
	v_add3_u32 v2, v2, v3, s12
	v_lshrrev_b32_e32 v3, 21, v2
                                        ; implicit-def: $vgpr2
; %bb.749:
	s_andn2_saveexec_b64 s[10:11], s[10:11]
; %bb.750:
	v_add_f32_e32 v3, 0x43000000, v2
; %bb.751:
	s_or_b64 exec, exec, s[10:11]
                                        ; implicit-def: $vgpr2
.LBB151_752:
	s_andn2_saveexec_b64 s[8:9], s[8:9]
; %bb.753:
	s_mov_b32 s10, 0x7f800000
	v_mov_b32_e32 v3, 0x7c
	v_mov_b32_e32 v4, 0x7f
	v_cmp_lt_u32_e32 vcc, s10, v2
	v_cndmask_b32_e32 v3, v3, v4, vcc
; %bb.754:
	s_or_b64 exec, exec, s[8:9]
	global_store_byte v[0:1], v3, off
.LBB151_755:
	s_mov_b64 s[10:11], 0
	s_mov_b64 s[8:9], -1
.LBB151_756:
	s_andn2_b64 vcc, exec, s[10:11]
	s_cbranch_vccnz .LBB151_764
; %bb.757:
	s_cmp_gt_i32 s15, 14
	s_mov_b64 s[10:11], -1
	s_cbranch_scc0 .LBB151_761
; %bb.758:
	s_cmp_eq_u32 s15, 15
	s_mov_b64 s[0:1], -1
	s_cbranch_scc0 .LBB151_760
; %bb.759:
	v_cndmask_b32_e64 v2, 0, 1.0, s[2:3]
	v_bfe_u32 v3, v2, 16, 1
	s_movk_i32 s0, 0x7fff
	v_add3_u32 v2, v2, v3, s0
	global_store_short_d16_hi v[0:1], v2, off
	s_mov_b64 s[8:9], -1
	s_mov_b64 s[0:1], 0
.LBB151_760:
	s_mov_b64 s[10:11], 0
.LBB151_761:
	s_and_b64 vcc, exec, s[10:11]
	s_cbranch_vccz .LBB151_764
; %bb.762:
	s_cmp_eq_u32 s15, 11
	s_mov_b64 s[0:1], -1
	s_cbranch_scc0 .LBB151_764
; %bb.763:
	v_cndmask_b32_e64 v2, 0, 1, s[2:3]
	s_mov_b64 s[8:9], -1
	s_mov_b64 s[0:1], 0
	global_store_byte v[0:1], v2, off
.LBB151_764:
	s_mov_b64 s[10:11], 0
.LBB151_765:
	s_and_b64 vcc, exec, s[10:11]
	s_cbranch_vccz .LBB151_804
; %bb.766:
	s_and_b32 s10, 0xffff, s14
	s_cmp_lt_i32 s10, 5
	s_mov_b64 s[8:9], -1
	s_cbranch_scc1 .LBB151_787
; %bb.767:
	s_cmp_lt_i32 s10, 8
	s_cbranch_scc1 .LBB151_777
; %bb.768:
	s_cmp_lt_i32 s10, 9
	s_cbranch_scc1 .LBB151_774
; %bb.769:
	s_cmp_gt_i32 s10, 9
	s_cbranch_scc0 .LBB151_771
; %bb.770:
	v_cndmask_b32_e64 v2, 0, 1, s[2:3]
	v_cvt_f64_u32_e32 v[2:3], v2
	v_mov_b32_e32 v4, 0
	v_mov_b32_e32 v5, v4
	s_mov_b64 s[8:9], 0
	global_store_dwordx4 v[0:1], v[2:5], off
.LBB151_771:
	s_andn2_b64 vcc, exec, s[8:9]
	s_cbranch_vccnz .LBB151_773
; %bb.772:
	v_cndmask_b32_e64 v2, 0, 1.0, s[2:3]
	v_mov_b32_e32 v3, 0
	global_store_dwordx2 v[0:1], v[2:3], off
.LBB151_773:
	s_mov_b64 s[8:9], 0
.LBB151_774:
	s_andn2_b64 vcc, exec, s[8:9]
	s_cbranch_vccnz .LBB151_776
; %bb.775:
	v_cndmask_b32_e64 v2, 0, 1.0, s[2:3]
	v_cvt_f16_f32_e32 v2, v2
	global_store_dword v[0:1], v2, off
.LBB151_776:
	s_mov_b64 s[8:9], 0
.LBB151_777:
	s_andn2_b64 vcc, exec, s[8:9]
	s_cbranch_vccnz .LBB151_786
; %bb.778:
	s_cmp_lt_i32 s10, 6
	s_mov_b64 s[8:9], -1
	s_cbranch_scc1 .LBB151_784
; %bb.779:
	s_cmp_gt_i32 s10, 6
	s_cbranch_scc0 .LBB151_781
; %bb.780:
	v_cndmask_b32_e64 v2, 0, 1, s[2:3]
	v_cvt_f64_u32_e32 v[2:3], v2
	s_mov_b64 s[8:9], 0
	global_store_dwordx2 v[0:1], v[2:3], off
.LBB151_781:
	s_andn2_b64 vcc, exec, s[8:9]
	s_cbranch_vccnz .LBB151_783
; %bb.782:
	v_cndmask_b32_e64 v2, 0, 1.0, s[2:3]
	global_store_dword v[0:1], v2, off
.LBB151_783:
	s_mov_b64 s[8:9], 0
.LBB151_784:
	s_andn2_b64 vcc, exec, s[8:9]
	s_cbranch_vccnz .LBB151_786
; %bb.785:
	v_cndmask_b32_e64 v2, 0, 1.0, s[2:3]
	v_cvt_f16_f32_e32 v2, v2
	global_store_short v[0:1], v2, off
.LBB151_786:
	s_mov_b64 s[8:9], 0
.LBB151_787:
	s_andn2_b64 vcc, exec, s[8:9]
	s_cbranch_vccnz .LBB151_803
; %bb.788:
	s_cmp_lt_i32 s10, 2
	s_mov_b64 s[8:9], -1
	s_cbranch_scc1 .LBB151_798
; %bb.789:
	s_cmp_lt_i32 s10, 3
	s_cbranch_scc1 .LBB151_795
; %bb.790:
	s_cmp_gt_i32 s10, 3
	s_cbranch_scc0 .LBB151_792
; %bb.791:
	s_mov_b32 s8, 0
	v_cndmask_b32_e64 v2, 0, 1, s[2:3]
	v_mov_b32_e32 v3, s8
	s_mov_b64 s[8:9], 0
	global_store_dwordx2 v[0:1], v[2:3], off
.LBB151_792:
	s_andn2_b64 vcc, exec, s[8:9]
	s_cbranch_vccnz .LBB151_794
; %bb.793:
	v_cndmask_b32_e64 v2, 0, 1, s[2:3]
	global_store_dword v[0:1], v2, off
.LBB151_794:
	s_mov_b64 s[8:9], 0
.LBB151_795:
	s_andn2_b64 vcc, exec, s[8:9]
	s_cbranch_vccnz .LBB151_797
; %bb.796:
	v_cndmask_b32_e64 v2, 0, 1, s[2:3]
	global_store_short v[0:1], v2, off
.LBB151_797:
	s_mov_b64 s[8:9], 0
.LBB151_798:
	s_andn2_b64 vcc, exec, s[8:9]
	s_cbranch_vccnz .LBB151_803
; %bb.799:
	s_mov_b64 s[8:9], -1
	s_cmp_gt_i32 s10, 0
	v_cndmask_b32_e64 v2, 0, 1, s[2:3]
	s_cbranch_scc0 .LBB151_801
; %bb.800:
	s_mov_b64 s[8:9], 0
	global_store_byte v[0:1], v2, off
.LBB151_801:
	s_andn2_b64 vcc, exec, s[8:9]
	s_cbranch_vccnz .LBB151_803
; %bb.802:
	global_store_byte v[0:1], v2, off
.LBB151_803:
	s_mov_b64 s[8:9], -1
.LBB151_804:
	s_mov_b64 s[2:3], 0
	s_andn2_b64 vcc, exec, s[8:9]
	s_mov_b64 s[8:9], 0
	s_cbranch_vccnz .LBB151_806
; %bb.805:
	v_add_u32_e32 v8, 0x80, v8
	s_mov_b64 s[8:9], -1
.LBB151_806:
	s_andn2_b64 s[10:11], s[66:67], exec
	s_and_b64 s[0:1], s[0:1], exec
	s_or_b64 s[74:75], s[10:11], s[0:1]
	s_andn2_b64 s[0:1], s[64:65], exec
	s_and_b64 s[2:3], s[2:3], exec
	s_or_b64 s[72:73], s[0:1], s[2:3]
	s_orn2_b64 s[12:13], s[8:9], exec
.LBB151_807:
	s_or_b64 exec, exec, s[70:71]
	s_mov_b64 s[2:3], 0
	s_mov_b64 s[0:1], 0
	;; [unrolled: 1-line block ×3, first 2 shown]
                                        ; implicit-def: $sgpr10_sgpr11
                                        ; implicit-def: $vgpr1_vgpr2
                                        ; implicit-def: $vgpr0
	s_and_saveexec_b64 s[70:71], s[12:13]
	s_cbranch_execz .LBB151_888
; %bb.808:
	v_cmp_gt_i32_e32 vcc, s76, v8
	s_mov_b64 s[12:13], s[72:73]
	s_mov_b64 s[14:15], 0
                                        ; implicit-def: $sgpr10_sgpr11
                                        ; implicit-def: $vgpr1_vgpr2
                                        ; implicit-def: $vgpr0
	s_and_saveexec_b64 s[76:77], vcc
	s_cbranch_execz .LBB151_887
; %bb.809:
	s_andn2_b64 vcc, exec, s[40:41]
	s_cbranch_vccnz .LBB151_814
; %bb.810:
	s_andn2_b64 vcc, exec, s[56:57]
	s_cbranch_vccnz .LBB151_815
; %bb.811:
	s_add_i32 s81, s81, 1
	s_cmp_eq_u32 s78, 2
	s_cbranch_scc1 .LBB151_816
; %bb.812:
	s_and_b32 s49, s81, 28
	v_mov_b32_e32 v2, 0
	s_mov_b32 s82, 0
	s_mov_b64 s[56:57], s[34:35]
	v_mov_b32_e32 v0, 0
	v_mov_b32_e32 v1, v8
.LBB151_813:                            ; =>This Inner Loop Header: Depth=1
	s_load_dwordx8 s[16:23], s[56:57], 0x4
	s_load_dwordx4 s[0:3], s[56:57], 0x24
	s_load_dwordx8 s[8:15], s[54:55], 0x0
	s_add_u32 s56, s56, 48
	s_addc_u32 s57, s57, 0
	s_waitcnt lgkmcnt(0)
	v_mul_hi_u32 v3, s17, v1
	s_add_i32 s82, s82, 4
	s_add_u32 s54, s54, 32
	s_addc_u32 s55, s55, 0
	v_add_u32_e32 v3, v1, v3
	v_lshrrev_b32_e32 v3, s18, v3
	v_mul_lo_u32 v4, v3, s16
	v_mul_hi_u32 v5, s20, v3
	s_cmp_eq_u32 s49, s82
	v_sub_u32_e32 v1, v1, v4
	v_add_u32_e32 v4, v3, v5
	v_mul_lo_u32 v5, v1, s8
	v_mul_lo_u32 v6, v1, s9
	v_lshrrev_b32_e32 v1, s21, v4
	v_mul_lo_u32 v4, v1, s19
	v_mul_hi_u32 v7, s23, v1
	v_sub_u32_e32 v3, v3, v4
	v_add_u32_e32 v4, v1, v7
	v_lshrrev_b32_e32 v4, s0, v4
	v_mul_hi_u32 v9, s2, v4
	v_mul_lo_u32 v10, v4, s22
	v_mul_lo_u32 v7, v3, s10
	;; [unrolled: 1-line block ×3, first 2 shown]
	v_sub_u32_e32 v10, v1, v10
	v_add_u32_e32 v1, v4, v9
	v_lshrrev_b32_e32 v1, s3, v1
	v_mul_lo_u32 v9, v1, s1
	v_mul_lo_u32 v11, v10, s12
	;; [unrolled: 1-line block ×3, first 2 shown]
	v_add3_u32 v0, v5, v0, v7
	v_sub_u32_e32 v4, v4, v9
	v_mul_lo_u32 v9, v4, s14
	v_mul_lo_u32 v4, v4, s15
	v_add3_u32 v2, v6, v2, v3
	v_add3_u32 v0, v11, v0, v9
	;; [unrolled: 1-line block ×3, first 2 shown]
	s_cbranch_scc0 .LBB151_813
	s_branch .LBB151_817
.LBB151_814:
	s_mov_b64 s[0:1], -1
                                        ; implicit-def: $vgpr0
                                        ; implicit-def: $vgpr2
	s_branch .LBB151_821
.LBB151_815:
	v_mov_b32_e32 v0, 0
	v_mov_b32_e32 v2, 0
	s_branch .LBB151_820
.LBB151_816:
	s_mov_b32 s49, 0
	v_mov_b32_e32 v0, 0
	v_mov_b32_e32 v2, 0
	v_mov_b32_e32 v1, v8
.LBB151_817:
	s_and_b32 s8, s81, 3
	s_cmp_eq_u32 s8, 0
	s_cbranch_scc1 .LBB151_820
; %bb.818:
	s_lshl_b32 s0, s49, 3
	s_add_u32 s0, s34, s0
	s_addc_u32 s1, s35, 0
	s_add_u32 s0, s0, 0xc4
	s_addc_u32 s1, s1, 0
	s_mul_i32 s2, s49, 12
	s_add_u32 s2, s34, s2
	s_addc_u32 s3, s35, 0
.LBB151_819:                            ; =>This Inner Loop Header: Depth=1
	s_load_dwordx2 s[10:11], s[2:3], 0x4
	s_load_dword s9, s[2:3], 0xc
	s_load_dwordx2 s[12:13], s[0:1], 0x0
	s_add_u32 s2, s2, 12
	s_addc_u32 s3, s3, 0
	s_waitcnt lgkmcnt(0)
	v_mul_hi_u32 v3, s11, v1
	s_add_u32 s0, s0, 8
	s_addc_u32 s1, s1, 0
	s_add_i32 s8, s8, -1
	v_add_u32_e32 v3, v1, v3
	v_lshrrev_b32_e32 v4, s9, v3
	v_mul_lo_u32 v3, v4, s10
	s_cmp_lg_u32 s8, 0
	v_sub_u32_e32 v3, v1, v3
	v_mad_u64_u32 v[0:1], s[10:11], v3, s12, v[0:1]
	v_mad_u64_u32 v[2:3], s[10:11], v3, s13, v[2:3]
	v_mov_b32_e32 v1, v4
	s_cbranch_scc1 .LBB151_819
.LBB151_820:
	s_mov_b64 s[0:1], 0
.LBB151_821:
	s_andn2_b64 vcc, exec, s[0:1]
	s_cbranch_vccnz .LBB151_824
; %bb.822:
	v_mul_hi_u32 v0, s29, v8
	s_andn2_b64 vcc, exec, s[52:53]
	v_add_u32_e32 v0, v8, v0
	v_lshrrev_b32_e32 v1, s30, v0
	v_mul_lo_u32 v0, v1, s28
	v_sub_u32_e32 v2, v8, v0
	v_mul_lo_u32 v0, v2, s36
	v_mul_lo_u32 v2, v2, s37
	s_cbranch_vccnz .LBB151_824
; %bb.823:
	v_mul_hi_u32 v3, s50, v1
	v_add_u32_e32 v3, v1, v3
	v_lshrrev_b32_e32 v3, s51, v3
	v_mul_lo_u32 v3, v3, s31
	v_sub_u32_e32 v3, v1, v3
	v_mad_u64_u32 v[0:1], s[0:1], v3, s38, v[0:1]
	v_mad_u64_u32 v[2:3], s[0:1], v3, s39, v[2:3]
.LBB151_824:
	v_mov_b32_e32 v3, s27
	s_and_b32 s14, 0xffff, s80
	v_add_co_u32_e32 v1, vcc, s26, v2
	s_cmp_lt_i32 s14, 11
	v_addc_co_u32_e32 v2, vcc, 0, v3, vcc
	s_cbranch_scc1 .LBB151_831
; %bb.825:
	s_cmp_gt_i32 s14, 25
	s_mov_b64 s[2:3], 0
	s_cbranch_scc0 .LBB151_832
; %bb.826:
	s_cmp_gt_i32 s14, 28
	s_cbranch_scc0 .LBB151_833
; %bb.827:
	s_cmp_gt_i32 s14, 43
	s_cbranch_scc0 .LBB151_834
; %bb.828:
	s_cmp_gt_i32 s14, 45
	s_cbranch_scc0 .LBB151_837
; %bb.829:
	s_cmp_eq_u32 s14, 46
	s_mov_b64 s[12:13], 0
	s_cbranch_scc0 .LBB151_840
; %bb.830:
	global_load_dword v3, v[1:2], off
	s_mov_b64 s[0:1], 0
	s_mov_b64 s[8:9], -1
	s_waitcnt vmcnt(0)
	v_and_b32_e32 v3, 0x7fff7fff, v3
	v_cmp_ne_u32_e64 s[10:11], 0, v3
	s_branch .LBB151_841
.LBB151_831:
	s_mov_b64 s[12:13], -1
	s_mov_b64 s[8:9], 0
	s_mov_b64 s[2:3], 0
	;; [unrolled: 1-line block ×3, first 2 shown]
                                        ; implicit-def: $sgpr10_sgpr11
	s_branch .LBB151_886
.LBB151_832:
	s_mov_b64 s[12:13], -1
	s_mov_b64 s[8:9], 0
	s_mov_b64 s[0:1], s[72:73]
                                        ; implicit-def: $sgpr10_sgpr11
	s_branch .LBB151_862
.LBB151_833:
	s_mov_b64 s[12:13], -1
	s_mov_b64 s[8:9], 0
	s_mov_b64 s[0:1], s[72:73]
                                        ; implicit-def: $sgpr10_sgpr11
	s_branch .LBB151_849
.LBB151_834:
	s_mov_b64 s[12:13], -1
	s_mov_b64 s[8:9], 0
	s_mov_b64 s[0:1], s[72:73]
                                        ; implicit-def: $sgpr10_sgpr11
	s_branch .LBB151_844
.LBB151_835:
	s_andn2_saveexec_b64 s[12:13], s[12:13]
	s_cbranch_execz .LBB151_717
.LBB151_836:
	v_add_f32_e32 v2, 0x46000000, v3
	v_and_b32_e32 v2, 0xff, v2
	v_cmp_ne_u32_e32 vcc, 0, v2
	s_andn2_b64 s[10:11], s[10:11], exec
	s_and_b64 s[16:17], vcc, exec
	s_or_b64 s[10:11], s[10:11], s[16:17]
	s_or_b64 exec, exec, s[12:13]
	v_mov_b32_e32 v4, 0
	s_and_saveexec_b64 s[12:13], s[10:11]
	s_cbranch_execnz .LBB151_718
	s_branch .LBB151_719
.LBB151_837:
	s_mov_b64 s[12:13], -1
	s_mov_b64 s[8:9], 0
	s_mov_b64 s[0:1], s[72:73]
                                        ; implicit-def: $sgpr10_sgpr11
	s_branch .LBB151_841
.LBB151_838:
	s_andn2_saveexec_b64 s[12:13], s[12:13]
	s_cbranch_execz .LBB151_730
.LBB151_839:
	v_add_f32_e32 v2, 0x42800000, v3
	v_and_b32_e32 v2, 0xff, v2
	v_cmp_ne_u32_e32 vcc, 0, v2
	s_andn2_b64 s[10:11], s[10:11], exec
	s_and_b64 s[16:17], vcc, exec
	s_or_b64 s[10:11], s[10:11], s[16:17]
	s_or_b64 exec, exec, s[12:13]
	v_mov_b32_e32 v4, 0
	s_and_saveexec_b64 s[12:13], s[10:11]
	s_cbranch_execnz .LBB151_731
	s_branch .LBB151_732
.LBB151_840:
	s_mov_b64 s[0:1], -1
                                        ; implicit-def: $sgpr10_sgpr11
	s_mov_b64 s[8:9], 0
.LBB151_841:
	s_and_b64 vcc, exec, s[12:13]
	s_cbranch_vccz .LBB151_843
; %bb.842:
	s_cmp_lg_u32 s14, 44
	s_cselect_b64 s[12:13], -1, 0
	s_andn2_b64 s[0:1], s[0:1], exec
	s_and_b64 s[12:13], s[12:13], exec
	s_mov_b64 s[8:9], -1
	s_or_b64 s[10:11], s[10:11], exec
	s_or_b64 s[0:1], s[0:1], s[12:13]
.LBB151_843:
	s_mov_b64 s[12:13], 0
.LBB151_844:
	s_and_b64 vcc, exec, s[12:13]
	s_cbranch_vccz .LBB151_848
; %bb.845:
	s_cmp_eq_u32 s14, 29
	s_cbranch_scc0 .LBB151_847
; %bb.846:
	global_load_dwordx2 v[3:4], v[1:2], off
	s_mov_b64 s[0:1], 0
	s_mov_b64 s[8:9], -1
	s_mov_b64 s[12:13], 0
	s_waitcnt vmcnt(0)
	v_cmp_ne_u64_e64 s[10:11], 0, v[3:4]
	s_branch .LBB151_849
.LBB151_847:
	s_mov_b64 s[0:1], -1
                                        ; implicit-def: $sgpr10_sgpr11
.LBB151_848:
	s_mov_b64 s[12:13], 0
.LBB151_849:
	s_and_b64 vcc, exec, s[12:13]
	s_cbranch_vccz .LBB151_861
; %bb.850:
	s_cmp_lt_i32 s14, 27
	s_cbranch_scc1 .LBB151_853
; %bb.851:
	s_cmp_gt_i32 s14, 27
	s_cbranch_scc0 .LBB151_854
; %bb.852:
	global_load_dword v3, v[1:2], off
	s_mov_b64 s[8:9], 0
	s_waitcnt vmcnt(0)
	v_cmp_ne_u32_e64 s[10:11], 0, v3
	s_branch .LBB151_855
.LBB151_853:
	s_mov_b64 s[8:9], -1
                                        ; implicit-def: $sgpr10_sgpr11
	s_branch .LBB151_858
.LBB151_854:
	s_mov_b64 s[8:9], -1
                                        ; implicit-def: $sgpr10_sgpr11
.LBB151_855:
	s_andn2_b64 vcc, exec, s[8:9]
	s_cbranch_vccnz .LBB151_857
; %bb.856:
	global_load_ushort v3, v[1:2], off
	s_andn2_b64 s[8:9], s[10:11], exec
	s_waitcnt vmcnt(0)
	v_cmp_ne_u16_e32 vcc, 0, v3
	s_and_b64 s[10:11], vcc, exec
	s_or_b64 s[10:11], s[8:9], s[10:11]
.LBB151_857:
	s_mov_b64 s[8:9], 0
.LBB151_858:
	s_andn2_b64 vcc, exec, s[8:9]
	s_cbranch_vccnz .LBB151_860
; %bb.859:
	global_load_ubyte v3, v[1:2], off
	s_andn2_b64 s[8:9], s[10:11], exec
	s_waitcnt vmcnt(0)
	v_cmp_ne_u16_e32 vcc, 0, v3
	s_and_b64 s[10:11], vcc, exec
	s_or_b64 s[10:11], s[8:9], s[10:11]
.LBB151_860:
	s_mov_b64 s[8:9], -1
.LBB151_861:
	s_mov_b64 s[12:13], 0
.LBB151_862:
	s_and_b64 vcc, exec, s[12:13]
	s_cbranch_vccz .LBB151_885
; %bb.863:
	s_cmp_gt_i32 s14, 22
	s_cbranch_scc0 .LBB151_867
; %bb.864:
	s_cmp_lt_i32 s14, 24
	s_cbranch_scc1 .LBB151_868
; %bb.865:
	s_cmp_gt_i32 s14, 24
	s_cbranch_scc0 .LBB151_869
; %bb.866:
	global_load_ubyte v3, v[1:2], off
	s_waitcnt vmcnt(0)
	v_cmp_ne_u16_e64 s[10:11], 0, v3
	s_branch .LBB151_870
.LBB151_867:
	s_mov_b64 s[2:3], -1
                                        ; implicit-def: $sgpr10_sgpr11
	s_branch .LBB151_876
.LBB151_868:
	s_mov_b64 s[2:3], -1
                                        ; implicit-def: $sgpr10_sgpr11
	s_branch .LBB151_873
.LBB151_869:
	s_mov_b64 s[2:3], -1
                                        ; implicit-def: $sgpr10_sgpr11
.LBB151_870:
	s_andn2_b64 vcc, exec, s[2:3]
	s_cbranch_vccnz .LBB151_872
; %bb.871:
	global_load_ubyte v3, v[1:2], off
	s_andn2_b64 s[2:3], s[10:11], exec
	s_waitcnt vmcnt(0)
	v_and_b32_e32 v3, 0x7f, v3
	v_cmp_ne_u16_e32 vcc, 0, v3
	s_and_b64 s[8:9], vcc, exec
	s_or_b64 s[10:11], s[2:3], s[8:9]
.LBB151_872:
	s_mov_b64 s[2:3], 0
.LBB151_873:
	s_andn2_b64 vcc, exec, s[2:3]
	s_cbranch_vccnz .LBB151_875
; %bb.874:
	global_load_ubyte v3, v[1:2], off
	s_movk_i32 s2, 0x7f00
	s_brev_b32 s3, 16
	s_waitcnt vmcnt(0)
	v_lshlrev_b32_e32 v4, 8, v3
	v_lshlrev_b32_e32 v3, 25, v3
	v_lshrrev_b32_e32 v5, 4, v3
	v_and_or_b32 v4, v4, s2, 0.5
	v_or_b32_e32 v5, 0x70000000, v5
	v_add_f32_e32 v4, -0.5, v4
	v_mul_f32_e32 v5, 0x7800000, v5
	v_cmp_gt_u32_e32 vcc, s3, v3
	v_cndmask_b32_e32 v3, v5, v4, vcc
	v_cmp_neq_f32_e32 vcc, 0, v3
	s_andn2_b64 s[2:3], s[10:11], exec
	s_and_b64 s[8:9], vcc, exec
	s_or_b64 s[10:11], s[2:3], s[8:9]
.LBB151_875:
	s_mov_b64 s[2:3], 0
	s_mov_b64 s[8:9], -1
.LBB151_876:
	s_andn2_b64 vcc, exec, s[2:3]
	s_mov_b64 s[2:3], 0
	s_cbranch_vccnz .LBB151_885
; %bb.877:
	s_cmp_gt_i32 s14, 14
	s_cbranch_scc0 .LBB151_880
; %bb.878:
	s_cmp_eq_u32 s14, 15
	s_cbranch_scc0 .LBB151_881
; %bb.879:
	global_load_ushort v3, v[1:2], off
	s_mov_b64 s[0:1], 0
	s_mov_b64 s[8:9], -1
	s_waitcnt vmcnt(0)
	v_and_b32_e32 v3, 0x7fff, v3
	v_cmp_ne_u16_e64 s[10:11], 0, v3
	s_branch .LBB151_882
.LBB151_880:
	s_mov_b64 s[12:13], -1
                                        ; implicit-def: $sgpr10_sgpr11
	s_branch .LBB151_883
.LBB151_881:
	s_mov_b64 s[0:1], -1
                                        ; implicit-def: $sgpr10_sgpr11
.LBB151_882:
	s_mov_b64 s[12:13], 0
.LBB151_883:
	s_and_b64 vcc, exec, s[12:13]
	s_cbranch_vccz .LBB151_885
; %bb.884:
	s_cmp_lg_u32 s14, 11
	s_cselect_b64 s[12:13], -1, 0
	s_andn2_b64 s[0:1], s[0:1], exec
	s_and_b64 s[12:13], s[12:13], exec
	s_mov_b64 s[2:3], -1
	s_or_b64 s[0:1], s[0:1], s[12:13]
.LBB151_885:
	s_mov_b64 s[12:13], 0
.LBB151_886:
	s_and_b64 s[14:15], s[12:13], exec
	s_andn2_b64 s[12:13], s[72:73], exec
	s_and_b64 s[0:1], s[0:1], exec
	s_and_b64 s[8:9], s[8:9], exec
	s_and_b64 s[2:3], s[2:3], exec
	s_or_b64 s[12:13], s[12:13], s[0:1]
.LBB151_887:
	s_or_b64 exec, exec, s[76:77]
	s_and_b64 s[0:1], s[14:15], exec
	s_andn2_b64 s[14:15], s[72:73], exec
	s_and_b64 s[12:13], s[12:13], exec
	s_and_b64 s[8:9], s[8:9], exec
	;; [unrolled: 1-line block ×3, first 2 shown]
	s_or_b64 s[72:73], s[14:15], s[12:13]
.LBB151_888:
	s_or_b64 exec, exec, s[70:71]
	s_andn2_b64 s[12:13], s[66:67], exec
	s_and_b64 s[14:15], s[74:75], exec
	s_or_b64 s[66:67], s[12:13], s[14:15]
	s_andn2_b64 s[12:13], s[64:65], exec
	s_and_b64 s[14:15], s[72:73], exec
	s_and_b64 s[8:9], s[8:9], exec
	s_and_b64 s[0:1], s[0:1], exec
	s_and_b64 s[2:3], s[2:3], exec
	s_or_b64 s[64:65], s[12:13], s[14:15]
.LBB151_889:
	s_or_b64 exec, exec, s[68:69]
	s_andn2_b64 s[12:13], s[58:59], exec
	s_and_b64 s[14:15], s[66:67], exec
	s_or_b64 s[58:59], s[12:13], s[14:15]
	s_and_b64 s[14:15], s[8:9], exec
	s_and_b64 s[66:67], s[2:3], exec
	s_andn2_b64 s[2:3], s[60:61], exec
	s_and_b64 s[8:9], s[64:65], exec
	s_and_b64 s[0:1], s[0:1], exec
	s_or_b64 s[60:61], s[2:3], s[8:9]
	s_or_b64 exec, exec, s[62:63]
	s_mov_b64 s[2:3], 0
	s_and_saveexec_b64 s[8:9], s[60:61]
	s_cbranch_execz .LBB151_271
.LBB151_890:
	s_mov_b64 s[2:3], exec
	s_andn2_b64 s[14:15], s[14:15], exec
	s_andn2_b64 s[66:67], s[66:67], exec
	s_trap 2
	s_or_b64 exec, exec, s[8:9]
	s_and_saveexec_b64 s[8:9], s[66:67]
	s_xor_b64 s[8:9], exec, s[8:9]
	s_cbranch_execnz .LBB151_272
.LBB151_891:
	s_or_b64 exec, exec, s[8:9]
	s_and_saveexec_b64 s[8:9], s[0:1]
	s_cbranch_execz .LBB151_937
.LBB151_892:
	s_sext_i32_i16 s0, s80
	s_cmp_lt_i32 s0, 5
	s_cbranch_scc1 .LBB151_897
; %bb.893:
	s_cmp_lt_i32 s0, 8
	s_cbranch_scc1 .LBB151_898
; %bb.894:
	;; [unrolled: 3-line block ×3, first 2 shown]
	s_cmp_gt_i32 s0, 9
	s_cbranch_scc0 .LBB151_900
; %bb.896:
	global_load_dwordx4 v[3:6], v[1:2], off
	s_mov_b64 s[12:13], 0
	s_waitcnt vmcnt(0)
	v_cmp_neq_f64_e32 vcc, 0, v[3:4]
	v_cmp_neq_f64_e64 s[0:1], 0, v[5:6]
	s_or_b64 s[0:1], vcc, s[0:1]
	s_branch .LBB151_901
.LBB151_897:
                                        ; implicit-def: $sgpr0_sgpr1
	s_branch .LBB151_918
.LBB151_898:
                                        ; implicit-def: $sgpr0_sgpr1
	s_branch .LBB151_907
.LBB151_899:
	s_mov_b64 s[12:13], -1
                                        ; implicit-def: $sgpr0_sgpr1
	s_branch .LBB151_904
.LBB151_900:
	s_mov_b64 s[12:13], -1
                                        ; implicit-def: $sgpr0_sgpr1
.LBB151_901:
	s_andn2_b64 vcc, exec, s[12:13]
	s_cbranch_vccnz .LBB151_903
; %bb.902:
	global_load_dwordx2 v[3:4], v[1:2], off
	s_andn2_b64 s[0:1], s[0:1], exec
	s_waitcnt vmcnt(0)
	v_or_b32_e32 v3, v3, v4
	v_and_b32_e32 v3, 0x7fffffff, v3
	v_cmp_ne_u32_e32 vcc, 0, v3
	s_and_b64 s[12:13], vcc, exec
	s_or_b64 s[0:1], s[0:1], s[12:13]
.LBB151_903:
	s_mov_b64 s[12:13], 0
.LBB151_904:
	s_andn2_b64 vcc, exec, s[12:13]
	s_cbranch_vccnz .LBB151_906
; %bb.905:
	global_load_dword v3, v[1:2], off
	s_andn2_b64 s[0:1], s[0:1], exec
	s_waitcnt vmcnt(0)
	v_and_b32_e32 v3, 0x7fff7fff, v3
	v_cmp_ne_u32_e32 vcc, 0, v3
	s_and_b64 s[12:13], vcc, exec
	s_or_b64 s[0:1], s[0:1], s[12:13]
.LBB151_906:
	s_cbranch_execnz .LBB151_917
.LBB151_907:
	s_sext_i32_i16 s0, s80
	s_cmp_lt_i32 s0, 6
	s_cbranch_scc1 .LBB151_910
; %bb.908:
	s_cmp_gt_i32 s0, 6
	s_cbranch_scc0 .LBB151_911
; %bb.909:
	global_load_dwordx2 v[3:4], v[1:2], off
	s_mov_b64 s[12:13], 0
	s_waitcnt vmcnt(0)
	v_cmp_neq_f64_e64 s[0:1], 0, v[3:4]
	s_branch .LBB151_912
.LBB151_910:
	s_mov_b64 s[12:13], -1
                                        ; implicit-def: $sgpr0_sgpr1
	s_branch .LBB151_915
.LBB151_911:
	s_mov_b64 s[12:13], -1
                                        ; implicit-def: $sgpr0_sgpr1
.LBB151_912:
	s_andn2_b64 vcc, exec, s[12:13]
	s_cbranch_vccnz .LBB151_914
; %bb.913:
	global_load_dword v3, v[1:2], off
	s_andn2_b64 s[0:1], s[0:1], exec
	s_waitcnt vmcnt(0)
	v_cmp_neq_f32_e32 vcc, 0, v3
	s_and_b64 s[12:13], vcc, exec
	s_or_b64 s[0:1], s[0:1], s[12:13]
.LBB151_914:
	s_mov_b64 s[12:13], 0
.LBB151_915:
	s_andn2_b64 vcc, exec, s[12:13]
	s_cbranch_vccnz .LBB151_917
; %bb.916:
	global_load_ushort v3, v[1:2], off
	s_andn2_b64 s[0:1], s[0:1], exec
	s_waitcnt vmcnt(0)
	v_and_b32_e32 v3, 0x7fff, v3
	v_cmp_ne_u16_e32 vcc, 0, v3
	s_and_b64 s[12:13], vcc, exec
	s_or_b64 s[0:1], s[0:1], s[12:13]
.LBB151_917:
	s_cbranch_execnz .LBB151_936
.LBB151_918:
	s_sext_i32_i16 s0, s80
	s_cmp_lt_i32 s0, 2
	s_cbranch_scc1 .LBB151_922
; %bb.919:
	s_cmp_lt_i32 s0, 3
	s_cbranch_scc1 .LBB151_923
; %bb.920:
	s_cmp_gt_i32 s0, 3
	s_cbranch_scc0 .LBB151_924
; %bb.921:
	global_load_dwordx2 v[3:4], v[1:2], off
	s_mov_b64 s[12:13], 0
	s_waitcnt vmcnt(0)
	v_cmp_ne_u64_e64 s[0:1], 0, v[3:4]
	s_branch .LBB151_925
.LBB151_922:
                                        ; implicit-def: $sgpr0_sgpr1
	s_branch .LBB151_931
.LBB151_923:
	s_mov_b64 s[12:13], -1
                                        ; implicit-def: $sgpr0_sgpr1
	s_branch .LBB151_928
.LBB151_924:
	s_mov_b64 s[12:13], -1
                                        ; implicit-def: $sgpr0_sgpr1
.LBB151_925:
	s_andn2_b64 vcc, exec, s[12:13]
	s_cbranch_vccnz .LBB151_927
; %bb.926:
	global_load_dword v3, v[1:2], off
	s_andn2_b64 s[0:1], s[0:1], exec
	s_waitcnt vmcnt(0)
	v_cmp_ne_u32_e32 vcc, 0, v3
	s_and_b64 s[12:13], vcc, exec
	s_or_b64 s[0:1], s[0:1], s[12:13]
.LBB151_927:
	s_mov_b64 s[12:13], 0
.LBB151_928:
	s_andn2_b64 vcc, exec, s[12:13]
	s_cbranch_vccnz .LBB151_930
; %bb.929:
	global_load_ushort v3, v[1:2], off
	s_andn2_b64 s[0:1], s[0:1], exec
	s_waitcnt vmcnt(0)
	v_cmp_ne_u16_e32 vcc, 0, v3
	s_and_b64 s[12:13], vcc, exec
	s_or_b64 s[0:1], s[0:1], s[12:13]
.LBB151_930:
	s_cbranch_execnz .LBB151_936
.LBB151_931:
	s_sext_i32_i16 s0, s80
	s_cmp_gt_i32 s0, 0
	s_cbranch_scc0 .LBB151_933
; %bb.932:
	global_load_ubyte v3, v[1:2], off
	s_mov_b64 s[12:13], 0
	s_waitcnt vmcnt(0)
	v_cmp_ne_u16_e64 s[0:1], 0, v3
	s_branch .LBB151_934
.LBB151_933:
	s_mov_b64 s[12:13], -1
                                        ; implicit-def: $sgpr0_sgpr1
.LBB151_934:
	s_andn2_b64 vcc, exec, s[12:13]
	s_cbranch_vccnz .LBB151_936
; %bb.935:
	global_load_ubyte v1, v[1:2], off
	s_andn2_b64 s[0:1], s[0:1], exec
	s_waitcnt vmcnt(0)
	v_cmp_ne_u16_e32 vcc, 0, v1
	s_and_b64 s[12:13], vcc, exec
	s_or_b64 s[0:1], s[0:1], s[12:13]
.LBB151_936:
	s_andn2_b64 s[10:11], s[10:11], exec
	s_and_b64 s[0:1], s[0:1], exec
	s_or_b64 s[10:11], s[10:11], s[0:1]
	s_or_b64 s[14:15], s[14:15], exec
.LBB151_937:
	s_or_b64 exec, exec, s[8:9]
	s_mov_b64 s[18:19], 0
	s_mov_b64 s[16:17], 0
                                        ; implicit-def: $sgpr8_sgpr9
                                        ; implicit-def: $sgpr20
                                        ; implicit-def: $vgpr1_vgpr2
	s_and_saveexec_b64 s[12:13], s[14:15]
	s_cbranch_execz .LBB151_942
; %bb.938:
	s_cmp_lt_i32 s48, 1
	s_mov_b64 s[0:1], 0
	s_cbranch_scc1 .LBB151_945
; %bb.939:
	s_cmp_gt_i32 s48, 1
	s_cbranch_scc0 .LBB151_946
; %bb.940:
	s_cmp_eq_u32 s48, 2
	s_cbranch_scc0 .LBB151_947
; %bb.941:
	s_xor_b64 s[8:9], s[10:11], -1
	s_or_b64 s[8:9], s[46:47], s[8:9]
	s_mov_b64 s[14:15], 0
	s_branch .LBB151_949
.LBB151_942:
	s_or_b64 exec, exec, s[12:13]
	s_and_saveexec_b64 s[0:1], s[58:59]
	s_cbranch_execnz .LBB151_1034
.LBB151_943:
	s_or_b64 exec, exec, s[0:1]
	s_and_saveexec_b64 s[0:1], s[18:19]
	s_xor_b64 s[0:1], exec, s[0:1]
	s_cbranch_execz .LBB151_1035
.LBB151_944:
	v_cndmask_b32_e64 v0, 0, 1, s[8:9]
	global_store_byte v[1:2], v0, off
	s_or_b64 exec, exec, s[0:1]
	s_and_saveexec_b64 s[0:1], s[16:17]
	s_xor_b64 s[0:1], exec, s[0:1]
	s_cbranch_execz .LBB151_1073
	s_branch .LBB151_1036
.LBB151_945:
                                        ; implicit-def: $sgpr8_sgpr9
	s_mov_b64 s[14:15], 0
	s_cbranch_execnz .LBB151_952
	s_branch .LBB151_953
.LBB151_946:
	s_mov_b64 s[16:17], -1
	s_mov_b64 s[14:15], 0
	s_branch .LBB151_948
.LBB151_947:
	s_mov_b64 s[14:15], -1
.LBB151_948:
                                        ; implicit-def: $sgpr8_sgpr9
.LBB151_949:
	s_and_b64 vcc, exec, s[16:17]
	s_cbranch_vccz .LBB151_951
; %bb.950:
	s_and_b64 s[16:17], s[10:11], s[44:45]
	s_andn2_b64 s[8:9], s[8:9], exec
	s_and_b64 s[16:17], s[16:17], exec
	s_or_b64 s[8:9], s[8:9], s[16:17]
.LBB151_951:
	s_branch .LBB151_953
.LBB151_952:
	s_cmp_lg_u32 s48, 0
	s_mov_b64 s[0:1], -1
	s_cselect_b64 s[14:15], -1, 0
.LBB151_953:
	s_andn2_b64 vcc, exec, s[14:15]
	s_cbranch_vccnz .LBB151_955
; %bb.954:
	s_xor_b64 s[0:1], s[10:11], -1
	s_and_b64 s[14:15], s[46:47], s[0:1]
	s_andn2_b64 s[8:9], s[8:9], exec
	s_and_b64 s[14:15], s[14:15], exec
	s_or_b64 s[8:9], s[8:9], s[14:15]
	s_cbranch_execz .LBB151_956
	s_branch .LBB151_957
.LBB151_955:
	s_andn2_b64 vcc, exec, s[0:1]
	s_cbranch_vccnz .LBB151_957
.LBB151_956:
	s_or_b64 s[0:1], s[10:11], s[44:45]
	s_andn2_b64 s[8:9], s[8:9], exec
	s_and_b64 s[0:1], s[0:1], exec
	s_or_b64 s[8:9], s[8:9], s[0:1]
.LBB151_957:
	v_mov_b32_e32 v2, s25
	s_and_b32 s20, s79, 0xff
	v_add_co_u32_e32 v1, vcc, s24, v0
	s_cmp_lt_i32 s20, 11
	v_addc_co_u32_e32 v2, vcc, 0, v2, vcc
	s_cbranch_scc1 .LBB151_1031
; %bb.958:
	s_and_b32 s21, 0xffff, s20
	s_mov_b64 s[14:15], -1
	s_cmp_gt_i32 s21, 25
	s_mov_b64 s[0:1], s[58:59]
	s_cbranch_scc0 .LBB151_991
; %bb.959:
	s_mov_b64 s[10:11], -1
	s_cmp_gt_i32 s21, 28
	s_mov_b64 s[0:1], s[58:59]
	s_cbranch_scc0 .LBB151_975
; %bb.960:
	s_cmp_gt_i32 s21, 43
	s_mov_b64 s[0:1], s[58:59]
	s_cbranch_scc0 .LBB151_971
; %bb.961:
	;; [unrolled: 4-line block ×3, first 2 shown]
	s_cmp_eq_u32 s21, 46
	s_mov_b64 s[0:1], -1
	s_cbranch_scc0 .LBB151_964
; %bb.963:
	v_cndmask_b32_e64 v0, 0, 1.0, s[8:9]
	v_bfe_u32 v3, v0, 16, 1
	s_movk_i32 s0, 0x7fff
	v_add3_u32 v0, v0, v3, s0
	v_lshrrev_b32_e32 v0, 16, v0
	global_store_dword v[1:2], v0, off
	s_mov_b64 s[0:1], 0
.LBB151_964:
	s_mov_b64 s[10:11], 0
.LBB151_965:
	s_and_b64 vcc, exec, s[10:11]
	s_cbranch_vccz .LBB151_970
; %bb.966:
	s_cmp_eq_u32 s21, 44
	s_mov_b64 s[0:1], -1
	s_cbranch_scc0 .LBB151_970
; %bb.967:
	v_cndmask_b32_e64 v3, 0, 1.0, s[8:9]
	v_lshrrev_b32_e32 v0, 23, v3
	s_movk_i32 s0, 0xff
	v_cmp_ne_u32_e32 vcc, s0, v0
	v_mov_b32_e32 v4, 0xff
	s_and_saveexec_b64 s[10:11], vcc
; %bb.968:
	s_mov_b32 s0, 0x3fffff
	v_and_b32_e32 v4, 0x400000, v3
	v_and_or_b32 v3, v3, s0, v0
	v_cmp_ne_u32_e32 vcc, 0, v4
	v_cmp_ne_u32_e64 s[0:1], 0, v3
	s_and_b64 s[0:1], vcc, s[0:1]
	v_cndmask_b32_e64 v3, 0, 1, s[0:1]
	v_add_u32_e32 v4, v0, v3
; %bb.969:
	s_or_b64 exec, exec, s[10:11]
	s_mov_b64 s[0:1], 0
	global_store_byte v[1:2], v4, off
.LBB151_970:
	s_mov_b64 s[10:11], 0
.LBB151_971:
	s_and_b64 vcc, exec, s[10:11]
	s_cbranch_vccz .LBB151_974
; %bb.972:
	s_cmp_eq_u32 s21, 29
	s_mov_b64 s[0:1], -1
	s_cbranch_scc0 .LBB151_974
; %bb.973:
	s_mov_b32 s0, 0
	v_cndmask_b32_e64 v3, 0, 1, s[8:9]
	v_mov_b32_e32 v4, s0
	global_store_dwordx2 v[1:2], v[3:4], off
	s_mov_b64 s[0:1], 0
.LBB151_974:
	s_mov_b64 s[10:11], 0
.LBB151_975:
	s_and_b64 vcc, exec, s[10:11]
	s_cbranch_vccz .LBB151_990
; %bb.976:
	s_cmp_lt_i32 s21, 27
	s_mov_b64 s[10:11], -1
	s_cbranch_scc1 .LBB151_982
; %bb.977:
	s_cmp_gt_i32 s21, 27
	s_cbranch_scc0 .LBB151_979
; %bb.978:
	v_cndmask_b32_e64 v0, 0, 1, s[8:9]
	s_mov_b64 s[10:11], 0
	global_store_dword v[1:2], v0, off
.LBB151_979:
	s_andn2_b64 vcc, exec, s[10:11]
	s_cbranch_vccnz .LBB151_981
; %bb.980:
	v_cndmask_b32_e64 v0, 0, 1, s[8:9]
	global_store_short v[1:2], v0, off
.LBB151_981:
	s_mov_b64 s[10:11], 0
.LBB151_982:
	s_andn2_b64 vcc, exec, s[10:11]
	s_cbranch_vccnz .LBB151_990
; %bb.983:
	v_cndmask_b32_e64 v3, 0, 1.0, s[8:9]
	s_mov_b32 s10, 0x43800000
	v_cmp_gt_u32_e32 vcc, s10, v3
	v_mov_b32_e32 v4, 0x80
	s_and_saveexec_b64 s[10:11], vcc
	s_cbranch_execz .LBB151_989
; %bb.984:
	s_mov_b32 s14, 0x3bffffff
	v_cmp_lt_u32_e32 vcc, s14, v3
	s_mov_b64 s[14:15], 0
                                        ; implicit-def: $vgpr0
	s_and_saveexec_b64 s[16:17], vcc
	s_xor_b64 s[16:17], exec, s[16:17]
	s_cbranch_execz .LBB151_1144
; %bb.985:
	v_bfe_u32 v0, v3, 20, 1
	s_mov_b32 s18, 0x487ffff
	v_add3_u32 v0, v3, v0, s18
	s_mov_b64 s[14:15], exec
	v_lshrrev_b32_e32 v0, 20, v0
                                        ; implicit-def: $vgpr3
	s_andn2_saveexec_b64 s[16:17], s[16:17]
	s_cbranch_execnz .LBB151_1145
.LBB151_986:
	s_or_b64 exec, exec, s[16:17]
	v_mov_b32_e32 v4, 0
	s_and_saveexec_b64 s[16:17], s[14:15]
.LBB151_987:
	v_mov_b32_e32 v4, v0
.LBB151_988:
	s_or_b64 exec, exec, s[16:17]
.LBB151_989:
	s_or_b64 exec, exec, s[10:11]
	global_store_byte v[1:2], v4, off
.LBB151_990:
	s_mov_b64 s[14:15], 0
.LBB151_991:
	s_mov_b64 s[10:11], 0
	s_and_b64 vcc, exec, s[14:15]
	s_cbranch_vccz .LBB151_1032
; %bb.992:
	s_cmp_gt_i32 s21, 22
	s_mov_b64 s[14:15], -1
	s_cbranch_scc0 .LBB151_1024
; %bb.993:
	s_cmp_lt_i32 s21, 24
	s_cbranch_scc1 .LBB151_1013
; %bb.994:
	s_cmp_gt_i32 s21, 24
	s_cbranch_scc0 .LBB151_1002
; %bb.995:
	v_cndmask_b32_e64 v3, 0, 1.0, s[8:9]
	s_mov_b32 s14, 0x47800000
	v_cmp_gt_u32_e32 vcc, s14, v3
	v_mov_b32_e32 v4, 0x80
	s_and_saveexec_b64 s[14:15], vcc
	s_cbranch_execz .LBB151_1001
; %bb.996:
	s_mov_b32 s16, 0x37ffffff
	v_cmp_lt_u32_e32 vcc, s16, v3
	s_mov_b64 s[16:17], 0
                                        ; implicit-def: $vgpr0
	s_and_saveexec_b64 s[18:19], vcc
	s_xor_b64 s[18:19], exec, s[18:19]
	s_cbranch_execz .LBB151_1266
; %bb.997:
	v_bfe_u32 v0, v3, 21, 1
	s_mov_b32 s22, 0x88fffff
	v_add3_u32 v0, v3, v0, s22
	s_mov_b64 s[16:17], exec
	v_lshrrev_b32_e32 v0, 21, v0
                                        ; implicit-def: $vgpr3
	s_andn2_saveexec_b64 s[18:19], s[18:19]
	s_cbranch_execnz .LBB151_1267
.LBB151_998:
	s_or_b64 exec, exec, s[18:19]
	v_mov_b32_e32 v4, 0
	s_and_saveexec_b64 s[18:19], s[16:17]
.LBB151_999:
	v_mov_b32_e32 v4, v0
.LBB151_1000:
	s_or_b64 exec, exec, s[18:19]
.LBB151_1001:
	s_or_b64 exec, exec, s[14:15]
	s_mov_b64 s[14:15], 0
	global_store_byte v[1:2], v4, off
.LBB151_1002:
	s_and_b64 vcc, exec, s[14:15]
	s_cbranch_vccz .LBB151_1012
; %bb.1003:
	v_cndmask_b32_e64 v0, 0, 1.0, s[8:9]
	s_mov_b32 s14, 0x43f00000
	v_cmp_gt_u32_e32 vcc, s14, v0
                                        ; implicit-def: $vgpr3
	s_and_saveexec_b64 s[14:15], vcc
	s_xor_b64 s[14:15], exec, s[14:15]
	s_cbranch_execz .LBB151_1009
; %bb.1004:
	s_mov_b32 s16, 0x3c7fffff
	v_cmp_lt_u32_e32 vcc, s16, v0
                                        ; implicit-def: $vgpr3
	s_and_saveexec_b64 s[16:17], vcc
	s_xor_b64 s[16:17], exec, s[16:17]
; %bb.1005:
	v_bfe_u32 v3, v0, 20, 1
	s_mov_b32 s18, 0x407ffff
	v_add3_u32 v0, v0, v3, s18
	v_lshrrev_b32_e32 v3, 20, v0
	v_and_b32_e32 v0, 0xff00000, v0
	s_mov_b32 s18, 0x7f00000
	v_mov_b32_e32 v4, 0x7e
	v_cmp_ne_u32_e32 vcc, s18, v0
	v_cndmask_b32_e32 v3, v4, v3, vcc
                                        ; implicit-def: $vgpr0
; %bb.1006:
	s_andn2_saveexec_b64 s[16:17], s[16:17]
; %bb.1007:
	v_add_f32_e32 v3, 0x46800000, v0
; %bb.1008:
	s_or_b64 exec, exec, s[16:17]
                                        ; implicit-def: $vgpr0
.LBB151_1009:
	s_andn2_saveexec_b64 s[14:15], s[14:15]
; %bb.1010:
	s_mov_b32 s16, 0x7f800000
	v_mov_b32_e32 v3, 0x7e
	v_mov_b32_e32 v4, 0x7f
	v_cmp_lt_u32_e32 vcc, s16, v0
	v_cndmask_b32_e32 v3, v3, v4, vcc
; %bb.1011:
	s_or_b64 exec, exec, s[14:15]
	global_store_byte v[1:2], v3, off
.LBB151_1012:
	s_mov_b64 s[14:15], 0
.LBB151_1013:
	s_andn2_b64 vcc, exec, s[14:15]
	s_cbranch_vccnz .LBB151_1023
; %bb.1014:
	v_cndmask_b32_e64 v0, 0, 1.0, s[8:9]
	s_mov_b32 s14, 0x47800000
	v_cmp_gt_u32_e32 vcc, s14, v0
                                        ; implicit-def: $vgpr3
	s_and_saveexec_b64 s[14:15], vcc
	s_xor_b64 s[14:15], exec, s[14:15]
	s_cbranch_execz .LBB151_1020
; %bb.1015:
	s_mov_b32 s16, 0x387fffff
	v_cmp_lt_u32_e32 vcc, s16, v0
                                        ; implicit-def: $vgpr3
	s_and_saveexec_b64 s[16:17], vcc
	s_xor_b64 s[16:17], exec, s[16:17]
; %bb.1016:
	v_bfe_u32 v3, v0, 21, 1
	s_mov_b32 s18, 0x80fffff
	v_add3_u32 v0, v0, v3, s18
	v_lshrrev_b32_e32 v3, 21, v0
                                        ; implicit-def: $vgpr0
; %bb.1017:
	s_andn2_saveexec_b64 s[16:17], s[16:17]
; %bb.1018:
	v_add_f32_e32 v3, 0x43000000, v0
; %bb.1019:
	s_or_b64 exec, exec, s[16:17]
                                        ; implicit-def: $vgpr0
.LBB151_1020:
	s_andn2_saveexec_b64 s[14:15], s[14:15]
; %bb.1021:
	s_mov_b32 s16, 0x7f800000
	v_mov_b32_e32 v3, 0x7c
	v_mov_b32_e32 v4, 0x7f
	v_cmp_lt_u32_e32 vcc, s16, v0
	v_cndmask_b32_e32 v3, v3, v4, vcc
; %bb.1022:
	s_or_b64 exec, exec, s[14:15]
	global_store_byte v[1:2], v3, off
.LBB151_1023:
	s_mov_b64 s[14:15], 0
.LBB151_1024:
	s_andn2_b64 vcc, exec, s[14:15]
	s_mov_b64 s[14:15], 0
	s_cbranch_vccnz .LBB151_1033
; %bb.1025:
	s_cmp_gt_i32 s21, 14
	s_mov_b64 s[16:17], -1
	s_cbranch_scc0 .LBB151_1029
; %bb.1026:
	s_cmp_eq_u32 s21, 15
	s_mov_b64 s[0:1], -1
	s_cbranch_scc0 .LBB151_1028
; %bb.1027:
	v_cndmask_b32_e64 v0, 0, 1.0, s[8:9]
	v_bfe_u32 v3, v0, 16, 1
	s_movk_i32 s0, 0x7fff
	v_add3_u32 v0, v0, v3, s0
	global_store_short_d16_hi v[1:2], v0, off
	s_mov_b64 s[0:1], 0
.LBB151_1028:
	s_mov_b64 s[16:17], 0
.LBB151_1029:
	s_and_b64 vcc, exec, s[16:17]
	s_cbranch_vccz .LBB151_1033
; %bb.1030:
	s_cmp_lg_u32 s21, 11
	s_cselect_b64 s[16:17], -1, 0
	s_andn2_b64 s[0:1], s[0:1], exec
	s_and_b64 s[16:17], s[16:17], exec
	s_mov_b64 s[14:15], -1
	s_or_b64 s[0:1], s[0:1], s[16:17]
	s_branch .LBB151_1033
.LBB151_1031:
	s_mov_b64 s[14:15], 0
	s_mov_b64 s[10:11], -1
	s_mov_b64 s[0:1], s[58:59]
	s_branch .LBB151_1033
.LBB151_1032:
	s_mov_b64 s[14:15], 0
.LBB151_1033:
	s_and_b64 s[16:17], s[10:11], exec
	s_andn2_b64 s[10:11], s[58:59], exec
	s_and_b64 s[0:1], s[0:1], exec
	s_and_b64 s[18:19], s[14:15], exec
	s_or_b64 s[58:59], s[10:11], s[0:1]
	s_or_b64 exec, exec, s[12:13]
	s_and_saveexec_b64 s[0:1], s[58:59]
	s_cbranch_execz .LBB151_943
.LBB151_1034:
	s_or_b64 s[2:3], s[2:3], exec
	s_andn2_b64 s[18:19], s[18:19], exec
	s_trap 2
	s_or_b64 exec, exec, s[0:1]
	s_and_saveexec_b64 s[0:1], s[18:19]
	s_xor_b64 s[0:1], exec, s[0:1]
	s_cbranch_execnz .LBB151_944
.LBB151_1035:
	s_or_b64 exec, exec, s[0:1]
	s_and_saveexec_b64 s[0:1], s[16:17]
	s_xor_b64 s[0:1], exec, s[0:1]
	s_cbranch_execz .LBB151_1073
.LBB151_1036:
	s_sext_i32_i16 s12, s20
	s_cmp_lt_i32 s12, 5
	s_mov_b64 s[10:11], -1
	s_cbranch_scc1 .LBB151_1057
; %bb.1037:
	s_cmp_lt_i32 s12, 8
	s_cbranch_scc1 .LBB151_1047
; %bb.1038:
	s_cmp_lt_i32 s12, 9
	s_cbranch_scc1 .LBB151_1044
; %bb.1039:
	s_cmp_gt_i32 s12, 9
	s_cbranch_scc0 .LBB151_1041
; %bb.1040:
	v_cndmask_b32_e64 v0, 0, 1, s[8:9]
	v_cvt_f64_u32_e32 v[3:4], v0
	v_mov_b32_e32 v5, 0
	v_mov_b32_e32 v6, v5
	s_mov_b64 s[10:11], 0
	global_store_dwordx4 v[1:2], v[3:6], off
.LBB151_1041:
	s_andn2_b64 vcc, exec, s[10:11]
	s_cbranch_vccnz .LBB151_1043
; %bb.1042:
	v_cndmask_b32_e64 v3, 0, 1.0, s[8:9]
	v_mov_b32_e32 v4, 0
	global_store_dwordx2 v[1:2], v[3:4], off
.LBB151_1043:
	s_mov_b64 s[10:11], 0
.LBB151_1044:
	s_andn2_b64 vcc, exec, s[10:11]
	s_cbranch_vccnz .LBB151_1046
; %bb.1045:
	v_cndmask_b32_e64 v0, 0, 1.0, s[8:9]
	v_cvt_f16_f32_e32 v0, v0
	global_store_dword v[1:2], v0, off
.LBB151_1046:
	s_mov_b64 s[10:11], 0
.LBB151_1047:
	s_andn2_b64 vcc, exec, s[10:11]
	s_cbranch_vccnz .LBB151_1056
; %bb.1048:
	s_sext_i32_i16 s12, s20
	s_cmp_lt_i32 s12, 6
	s_mov_b64 s[10:11], -1
	s_cbranch_scc1 .LBB151_1054
; %bb.1049:
	s_cmp_gt_i32 s12, 6
	s_cbranch_scc0 .LBB151_1051
; %bb.1050:
	v_cndmask_b32_e64 v0, 0, 1, s[8:9]
	v_cvt_f64_u32_e32 v[3:4], v0
	s_mov_b64 s[10:11], 0
	global_store_dwordx2 v[1:2], v[3:4], off
.LBB151_1051:
	s_andn2_b64 vcc, exec, s[10:11]
	s_cbranch_vccnz .LBB151_1053
; %bb.1052:
	v_cndmask_b32_e64 v0, 0, 1.0, s[8:9]
	global_store_dword v[1:2], v0, off
.LBB151_1053:
	s_mov_b64 s[10:11], 0
.LBB151_1054:
	s_andn2_b64 vcc, exec, s[10:11]
	s_cbranch_vccnz .LBB151_1056
; %bb.1055:
	v_cndmask_b32_e64 v0, 0, 1.0, s[8:9]
	v_cvt_f16_f32_e32 v0, v0
	global_store_short v[1:2], v0, off
.LBB151_1056:
	s_mov_b64 s[10:11], 0
.LBB151_1057:
	s_andn2_b64 vcc, exec, s[10:11]
	s_cbranch_vccnz .LBB151_1073
; %bb.1058:
	s_sext_i32_i16 s12, s20
	s_cmp_lt_i32 s12, 2
	s_mov_b64 s[10:11], -1
	s_cbranch_scc1 .LBB151_1068
; %bb.1059:
	s_cmp_lt_i32 s12, 3
	s_cbranch_scc1 .LBB151_1065
; %bb.1060:
	s_cmp_gt_i32 s12, 3
	s_cbranch_scc0 .LBB151_1062
; %bb.1061:
	s_mov_b32 s10, 0
	v_cndmask_b32_e64 v3, 0, 1, s[8:9]
	v_mov_b32_e32 v4, s10
	s_mov_b64 s[10:11], 0
	global_store_dwordx2 v[1:2], v[3:4], off
.LBB151_1062:
	s_andn2_b64 vcc, exec, s[10:11]
	s_cbranch_vccnz .LBB151_1064
; %bb.1063:
	v_cndmask_b32_e64 v0, 0, 1, s[8:9]
	global_store_dword v[1:2], v0, off
.LBB151_1064:
	s_mov_b64 s[10:11], 0
.LBB151_1065:
	s_andn2_b64 vcc, exec, s[10:11]
	s_cbranch_vccnz .LBB151_1067
; %bb.1066:
	v_cndmask_b32_e64 v0, 0, 1, s[8:9]
	global_store_short v[1:2], v0, off
.LBB151_1067:
	s_mov_b64 s[10:11], 0
.LBB151_1068:
	s_andn2_b64 vcc, exec, s[10:11]
	s_cbranch_vccnz .LBB151_1073
; %bb.1069:
	s_sext_i32_i16 s10, s20
	s_cmp_gt_i32 s10, 0
	s_mov_b64 s[10:11], -1
	s_cbranch_scc0 .LBB151_1071
; %bb.1070:
	v_cndmask_b32_e64 v0, 0, 1, s[8:9]
	s_mov_b64 s[10:11], 0
	global_store_byte v[1:2], v0, off
.LBB151_1071:
	s_andn2_b64 vcc, exec, s[10:11]
	s_cbranch_vccnz .LBB151_1073
; %bb.1072:
	v_cndmask_b32_e64 v0, 0, 1, s[8:9]
	global_store_byte v[1:2], v0, off
.LBB151_1073:
	s_or_b64 exec, exec, s[0:1]
	s_and_b64 s[28:29], s[2:3], exec
                                        ; implicit-def: $vgpr15
                                        ; implicit-def: $vgpr8
.LBB151_1074:
	s_or_saveexec_b64 s[30:31], s[42:43]
	s_mov_b64 s[0:1], 0
                                        ; implicit-def: $sgpr10_sgpr11
                                        ; implicit-def: $vgpr0_vgpr1
                                        ; implicit-def: $sgpr22
	s_xor_b64 exec, exec, s[30:31]
	s_cbranch_execz .LBB151_1625
; %bb.1075:
	v_cndmask_b32_e64 v0, 0, 1, s[40:41]
	v_cmp_ne_u32_e64 s[0:1], 1, v0
	s_andn2_b64 vcc, exec, s[40:41]
	s_cbranch_vccnz .LBB151_1081
; %bb.1076:
	s_cmp_lg_u32 s33, 0
	s_mov_b32 s36, 0
	s_cbranch_scc0 .LBB151_1082
; %bb.1077:
	s_min_u32 s37, s78, 15
	s_add_i32 s37, s37, 1
	s_cmp_eq_u32 s78, 2
	s_cbranch_scc1 .LBB151_1083
; %bb.1078:
	s_and_b32 s36, s37, 28
	s_add_u32 s2, s34, 0xc4
	s_addc_u32 s3, s35, 0
	v_mov_b32_e32 v13, 0
	s_mov_b32 s38, 0
	s_mov_b64 s[6:7], s[34:35]
	v_mov_b32_e32 v6, 0
	v_mov_b32_e32 v0, v8
.LBB151_1079:                           ; =>This Inner Loop Header: Depth=1
	s_load_dwordx8 s[16:23], s[6:7], 0x4
	s_load_dwordx4 s[24:27], s[6:7], 0x24
	s_load_dwordx8 s[8:15], s[2:3], 0x0
	s_add_u32 s6, s6, 48
	s_addc_u32 s7, s7, 0
	s_waitcnt lgkmcnt(0)
	v_mul_hi_u32 v1, s17, v0
	s_add_i32 s38, s38, 4
	s_add_u32 s2, s2, 32
	s_addc_u32 s3, s3, 0
	v_add_u32_e32 v1, v0, v1
	v_lshrrev_b32_e32 v1, s18, v1
	v_mul_lo_u32 v2, v1, s16
	v_mul_hi_u32 v3, s20, v1
	s_cmp_lg_u32 s36, s38
	v_sub_u32_e32 v0, v0, v2
	v_add_u32_e32 v2, v1, v3
	v_mul_lo_u32 v3, v0, s8
	v_mul_lo_u32 v4, v0, s9
	v_lshrrev_b32_e32 v0, s21, v2
	v_mul_lo_u32 v2, v0, s19
	v_mul_hi_u32 v5, s23, v0
	v_sub_u32_e32 v1, v1, v2
	v_add_u32_e32 v2, v0, v5
	v_lshrrev_b32_e32 v2, s24, v2
	v_mul_hi_u32 v7, s26, v2
	v_mul_lo_u32 v9, v2, s22
	v_mul_lo_u32 v5, v1, s10
	;; [unrolled: 1-line block ×3, first 2 shown]
	v_sub_u32_e32 v9, v0, v9
	v_add_u32_e32 v0, v2, v7
	v_lshrrev_b32_e32 v0, s27, v0
	v_mul_lo_u32 v7, v0, s25
	v_mul_lo_u32 v10, v9, s12
	;; [unrolled: 1-line block ×3, first 2 shown]
	v_add3_u32 v3, v3, v6, v5
	v_sub_u32_e32 v2, v2, v7
	v_mul_lo_u32 v7, v2, s14
	v_mul_lo_u32 v2, v2, s15
	v_add3_u32 v1, v4, v13, v1
	v_add3_u32 v6, v10, v3, v7
	;; [unrolled: 1-line block ×3, first 2 shown]
	s_cbranch_scc1 .LBB151_1079
; %bb.1080:
	s_and_b32 s8, s37, 3
	s_cmp_eq_u32 s8, 0
	s_cbranch_scc0 .LBB151_1084
	s_branch .LBB151_1086
.LBB151_1081:
                                        ; implicit-def: $vgpr6
                                        ; implicit-def: $vgpr13
	s_branch .LBB151_1087
.LBB151_1082:
	v_mov_b32_e32 v6, 0
	v_mov_b32_e32 v13, 0
	s_branch .LBB151_1086
.LBB151_1083:
	v_mov_b32_e32 v6, 0
	v_mov_b32_e32 v13, 0
	;; [unrolled: 1-line block ×3, first 2 shown]
	s_and_b32 s8, s37, 3
	s_cmp_eq_u32 s8, 0
	s_cbranch_scc1 .LBB151_1086
.LBB151_1084:
	s_lshl_b32 s2, s36, 3
	s_add_u32 s2, s34, s2
	s_addc_u32 s3, s35, 0
	s_add_u32 s2, s2, 0xc4
	s_addc_u32 s3, s3, 0
	s_mul_i32 s6, s36, 12
	s_add_u32 s6, s34, s6
	s_addc_u32 s7, s35, 0
.LBB151_1085:                           ; =>This Inner Loop Header: Depth=1
	s_load_dwordx2 s[10:11], s[6:7], 0x4
	s_load_dword s9, s[6:7], 0xc
	s_load_dwordx2 s[12:13], s[2:3], 0x0
	s_add_u32 s6, s6, 12
	s_addc_u32 s7, s7, 0
	s_waitcnt lgkmcnt(0)
	v_mul_hi_u32 v1, s11, v0
	s_add_u32 s2, s2, 8
	s_addc_u32 s3, s3, 0
	s_add_i32 s8, s8, -1
	v_add_u32_e32 v1, v0, v1
	v_lshrrev_b32_e32 v1, s9, v1
	v_mul_lo_u32 v2, v1, s10
	s_cmp_lg_u32 s8, 0
	v_sub_u32_e32 v0, v0, v2
	v_mad_u64_u32 v[6:7], s[10:11], v0, s12, v[6:7]
	v_mad_u64_u32 v[13:14], s[10:11], v0, s13, v[13:14]
	v_mov_b32_e32 v0, v1
	s_cbranch_scc1 .LBB151_1085
.LBB151_1086:
	s_cbranch_execnz .LBB151_1089
.LBB151_1087:
	s_load_dwordx4 s[8:11], s[34:35], 0x4
	s_load_dwordx2 s[2:3], s[34:35], 0xc4
	s_cmp_lt_u32 s33, 2
	s_waitcnt lgkmcnt(0)
	v_mul_hi_u32 v0, s9, v8
	v_add_u32_e32 v0, v8, v0
	v_lshrrev_b32_e32 v0, s10, v0
	v_mul_lo_u32 v1, v0, s8
	v_sub_u32_e32 v1, v8, v1
	v_mul_lo_u32 v6, v1, s2
	v_mul_lo_u32 v13, v1, s3
	s_cbranch_scc1 .LBB151_1089
; %bb.1088:
	s_load_dwordx4 s[8:11], s[34:35], 0x10
	s_load_dwordx2 s[2:3], s[34:35], 0xcc
	s_waitcnt lgkmcnt(0)
	v_mul_hi_u32 v1, s9, v0
	v_add_u32_e32 v1, v0, v1
	v_lshrrev_b32_e32 v1, s10, v1
	v_mul_lo_u32 v1, v1, s8
	v_sub_u32_e32 v0, v0, v1
	v_mad_u64_u32 v[6:7], s[6:7], v0, s2, v[6:7]
	v_mad_u64_u32 v[13:14], s[2:3], v0, s3, v[13:14]
.LBB151_1089:
	s_and_b64 vcc, exec, s[0:1]
	v_add_u32_e32 v0, 0x80, v8
	s_cbranch_vccnz .LBB151_1095
; %bb.1090:
	s_cmp_lg_u32 s33, 0
	s_mov_b32 s36, 0
	s_cbranch_scc0 .LBB151_1096
; %bb.1091:
	s_min_u32 s37, s78, 15
	s_add_i32 s37, s37, 1
	s_cmp_eq_u32 s78, 2
	s_cbranch_scc1 .LBB151_1097
; %bb.1092:
	s_and_b32 s36, s37, 28
	s_add_u32 s2, s34, 0xc4
	s_addc_u32 s3, s35, 0
	v_mov_b32_e32 v11, 0
	s_mov_b32 s38, 0
	s_mov_b64 s[6:7], s[34:35]
	v_mov_b32_e32 v4, 0
	v_mov_b32_e32 v1, v0
.LBB151_1093:                           ; =>This Inner Loop Header: Depth=1
	s_load_dwordx8 s[16:23], s[6:7], 0x4
	s_load_dwordx4 s[24:27], s[6:7], 0x24
	s_load_dwordx8 s[8:15], s[2:3], 0x0
	s_add_u32 s6, s6, 48
	s_addc_u32 s7, s7, 0
	s_waitcnt lgkmcnt(0)
	v_mul_hi_u32 v2, s17, v1
	s_add_i32 s38, s38, 4
	s_add_u32 s2, s2, 32
	s_addc_u32 s3, s3, 0
	v_add_u32_e32 v2, v1, v2
	v_lshrrev_b32_e32 v2, s18, v2
	v_mul_lo_u32 v3, v2, s16
	v_mul_hi_u32 v5, s20, v2
	s_cmp_lg_u32 s36, s38
	v_sub_u32_e32 v1, v1, v3
	v_add_u32_e32 v3, v2, v5
	v_mul_lo_u32 v5, v1, s8
	v_mul_lo_u32 v7, v1, s9
	v_lshrrev_b32_e32 v1, s21, v3
	v_mul_lo_u32 v3, v1, s19
	v_mul_hi_u32 v9, s23, v1
	v_sub_u32_e32 v2, v2, v3
	v_add_u32_e32 v3, v1, v9
	v_lshrrev_b32_e32 v3, s24, v3
	v_mul_hi_u32 v10, s26, v3
	v_mul_lo_u32 v12, v3, s22
	v_mul_lo_u32 v9, v2, s10
	v_mul_lo_u32 v2, v2, s11
	v_sub_u32_e32 v12, v1, v12
	v_add_u32_e32 v1, v3, v10
	v_lshrrev_b32_e32 v1, s27, v1
	v_mul_lo_u32 v10, v1, s25
	v_mul_lo_u32 v14, v12, s12
	v_mul_lo_u32 v12, v12, s13
	v_add3_u32 v4, v5, v4, v9
	v_sub_u32_e32 v3, v3, v10
	v_mul_lo_u32 v10, v3, s14
	v_mul_lo_u32 v3, v3, s15
	v_add3_u32 v2, v7, v11, v2
	v_add3_u32 v4, v14, v4, v10
	v_add3_u32 v11, v12, v2, v3
	s_cbranch_scc1 .LBB151_1093
; %bb.1094:
	s_and_b32 s8, s37, 3
	s_cmp_eq_u32 s8, 0
	s_cbranch_scc0 .LBB151_1098
	s_branch .LBB151_1100
.LBB151_1095:
                                        ; implicit-def: $vgpr4
                                        ; implicit-def: $vgpr11
	s_branch .LBB151_1101
.LBB151_1096:
	v_mov_b32_e32 v4, 0
	v_mov_b32_e32 v11, 0
	s_branch .LBB151_1100
.LBB151_1097:
	v_mov_b32_e32 v4, 0
	v_mov_b32_e32 v11, 0
	;; [unrolled: 1-line block ×3, first 2 shown]
	s_and_b32 s8, s37, 3
	s_cmp_eq_u32 s8, 0
	s_cbranch_scc1 .LBB151_1100
.LBB151_1098:
	s_lshl_b32 s2, s36, 3
	s_add_u32 s2, s34, s2
	s_addc_u32 s3, s35, 0
	s_add_u32 s2, s2, 0xc4
	s_addc_u32 s3, s3, 0
	s_mul_i32 s6, s36, 12
	s_add_u32 s6, s34, s6
	s_addc_u32 s7, s35, 0
.LBB151_1099:                           ; =>This Inner Loop Header: Depth=1
	s_load_dwordx2 s[10:11], s[6:7], 0x4
	s_load_dword s9, s[6:7], 0xc
	s_load_dwordx2 s[12:13], s[2:3], 0x0
	s_add_u32 s6, s6, 12
	s_addc_u32 s7, s7, 0
	s_waitcnt lgkmcnt(0)
	v_mul_hi_u32 v2, s11, v1
	s_add_u32 s2, s2, 8
	s_addc_u32 s3, s3, 0
	s_add_i32 s8, s8, -1
	v_add_u32_e32 v2, v1, v2
	v_lshrrev_b32_e32 v2, s9, v2
	v_mul_lo_u32 v3, v2, s10
	s_cmp_lg_u32 s8, 0
	v_sub_u32_e32 v1, v1, v3
	v_mad_u64_u32 v[4:5], s[10:11], v1, s12, v[4:5]
	v_mad_u64_u32 v[11:12], s[10:11], v1, s13, v[11:12]
	v_mov_b32_e32 v1, v2
	s_cbranch_scc1 .LBB151_1099
.LBB151_1100:
	s_cbranch_execnz .LBB151_1103
.LBB151_1101:
	s_load_dwordx4 s[8:11], s[34:35], 0x4
	s_load_dwordx2 s[2:3], s[34:35], 0xc4
	s_cmp_lt_u32 s33, 2
	s_waitcnt lgkmcnt(0)
	v_mul_hi_u32 v1, s9, v0
	v_add_u32_e32 v1, v0, v1
	v_lshrrev_b32_e32 v1, s10, v1
	v_mul_lo_u32 v2, v1, s8
	v_sub_u32_e32 v0, v0, v2
	v_mul_lo_u32 v4, v0, s2
	v_mul_lo_u32 v11, v0, s3
	s_cbranch_scc1 .LBB151_1103
; %bb.1102:
	s_load_dwordx4 s[8:11], s[34:35], 0x10
	s_load_dwordx2 s[2:3], s[34:35], 0xcc
	s_waitcnt lgkmcnt(0)
	v_mul_hi_u32 v0, s9, v1
	v_add_u32_e32 v0, v1, v0
	v_lshrrev_b32_e32 v0, s10, v0
	v_mul_lo_u32 v0, v0, s8
	v_sub_u32_e32 v0, v1, v0
	v_mad_u64_u32 v[4:5], s[6:7], v0, s2, v[4:5]
	v_mad_u64_u32 v[11:12], s[2:3], v0, s3, v[11:12]
.LBB151_1103:
	s_and_b64 vcc, exec, s[0:1]
	v_add_u32_e32 v0, 0x100, v8
	s_cbranch_vccnz .LBB151_1109
; %bb.1104:
	s_cmp_lg_u32 s33, 0
	s_mov_b32 s36, 0
	s_cbranch_scc0 .LBB151_1110
; %bb.1105:
	s_min_u32 s37, s78, 15
	s_add_i32 s37, s37, 1
	s_cmp_eq_u32 s78, 2
	s_cbranch_scc1 .LBB151_1111
; %bb.1106:
	s_and_b32 s36, s37, 28
	s_add_u32 s2, s34, 0xc4
	s_addc_u32 s3, s35, 0
	v_mov_b32_e32 v9, 0
	s_mov_b32 s38, 0
	s_mov_b64 s[6:7], s[34:35]
	v_mov_b32_e32 v2, 0
	v_mov_b32_e32 v1, v0
.LBB151_1107:                           ; =>This Inner Loop Header: Depth=1
	s_load_dwordx8 s[16:23], s[6:7], 0x4
	s_load_dwordx4 s[24:27], s[6:7], 0x24
	s_load_dwordx8 s[8:15], s[2:3], 0x0
	s_add_u32 s6, s6, 48
	s_addc_u32 s7, s7, 0
	s_waitcnt lgkmcnt(0)
	v_mul_hi_u32 v3, s17, v1
	s_add_i32 s38, s38, 4
	s_add_u32 s2, s2, 32
	s_addc_u32 s3, s3, 0
	v_add_u32_e32 v3, v1, v3
	v_lshrrev_b32_e32 v3, s18, v3
	v_mul_lo_u32 v5, v3, s16
	v_mul_hi_u32 v7, s20, v3
	s_cmp_lg_u32 s36, s38
	v_sub_u32_e32 v1, v1, v5
	v_add_u32_e32 v5, v3, v7
	v_mul_lo_u32 v7, v1, s8
	v_mul_lo_u32 v8, v1, s9
	v_lshrrev_b32_e32 v1, s21, v5
	v_mul_lo_u32 v5, v1, s19
	v_mul_hi_u32 v10, s23, v1
	v_sub_u32_e32 v3, v3, v5
	v_add_u32_e32 v5, v1, v10
	v_lshrrev_b32_e32 v5, s24, v5
	v_mul_hi_u32 v12, s26, v5
	v_mul_lo_u32 v14, v5, s22
	v_mul_lo_u32 v10, v3, s10
	;; [unrolled: 1-line block ×3, first 2 shown]
	v_sub_u32_e32 v14, v1, v14
	v_add_u32_e32 v1, v5, v12
	v_lshrrev_b32_e32 v1, s27, v1
	v_mul_lo_u32 v12, v1, s25
	v_mul_lo_u32 v16, v14, s12
	;; [unrolled: 1-line block ×3, first 2 shown]
	v_add3_u32 v2, v7, v2, v10
	v_sub_u32_e32 v5, v5, v12
	v_mul_lo_u32 v12, v5, s14
	v_mul_lo_u32 v5, v5, s15
	v_add3_u32 v3, v8, v9, v3
	v_add3_u32 v2, v16, v2, v12
	;; [unrolled: 1-line block ×3, first 2 shown]
	s_cbranch_scc1 .LBB151_1107
; %bb.1108:
	s_and_b32 s8, s37, 3
	s_cmp_eq_u32 s8, 0
	s_cbranch_scc0 .LBB151_1112
	s_branch .LBB151_1114
.LBB151_1109:
                                        ; implicit-def: $vgpr2
                                        ; implicit-def: $vgpr9
	s_branch .LBB151_1115
.LBB151_1110:
	v_mov_b32_e32 v2, 0
	v_mov_b32_e32 v9, 0
	s_branch .LBB151_1114
.LBB151_1111:
	v_mov_b32_e32 v2, 0
	v_mov_b32_e32 v9, 0
	;; [unrolled: 1-line block ×3, first 2 shown]
	s_and_b32 s8, s37, 3
	s_cmp_eq_u32 s8, 0
	s_cbranch_scc1 .LBB151_1114
.LBB151_1112:
	s_lshl_b32 s2, s36, 3
	s_add_u32 s2, s34, s2
	s_addc_u32 s3, s35, 0
	s_add_u32 s2, s2, 0xc4
	s_addc_u32 s3, s3, 0
	s_mul_i32 s6, s36, 12
	s_add_u32 s6, s34, s6
	s_addc_u32 s7, s35, 0
.LBB151_1113:                           ; =>This Inner Loop Header: Depth=1
	s_load_dwordx2 s[10:11], s[6:7], 0x4
	s_load_dword s9, s[6:7], 0xc
	s_load_dwordx2 s[12:13], s[2:3], 0x0
	s_add_u32 s6, s6, 12
	s_addc_u32 s7, s7, 0
	s_waitcnt lgkmcnt(0)
	v_mul_hi_u32 v3, s11, v1
	s_add_u32 s2, s2, 8
	s_addc_u32 s3, s3, 0
	s_add_i32 s8, s8, -1
	v_add_u32_e32 v3, v1, v3
	v_lshrrev_b32_e32 v5, s9, v3
	v_mul_lo_u32 v3, v5, s10
	s_cmp_lg_u32 s8, 0
	v_sub_u32_e32 v1, v1, v3
	v_mad_u64_u32 v[2:3], s[10:11], v1, s12, v[2:3]
	v_mad_u64_u32 v[9:10], s[10:11], v1, s13, v[9:10]
	v_mov_b32_e32 v1, v5
	s_cbranch_scc1 .LBB151_1113
.LBB151_1114:
	s_cbranch_execnz .LBB151_1117
.LBB151_1115:
	s_load_dwordx4 s[8:11], s[34:35], 0x4
	s_load_dwordx2 s[2:3], s[34:35], 0xc4
	s_cmp_lt_u32 s33, 2
	s_waitcnt lgkmcnt(0)
	v_mul_hi_u32 v1, s9, v0
	v_add_u32_e32 v1, v0, v1
	v_lshrrev_b32_e32 v1, s10, v1
	v_mul_lo_u32 v2, v1, s8
	v_sub_u32_e32 v0, v0, v2
	v_mul_lo_u32 v2, v0, s2
	v_mul_lo_u32 v9, v0, s3
	s_cbranch_scc1 .LBB151_1117
; %bb.1116:
	s_load_dwordx4 s[8:11], s[34:35], 0x10
	s_load_dwordx2 s[2:3], s[34:35], 0xcc
	s_waitcnt lgkmcnt(0)
	v_mul_hi_u32 v0, s9, v1
	v_add_u32_e32 v0, v1, v0
	v_lshrrev_b32_e32 v0, s10, v0
	v_mul_lo_u32 v0, v0, s8
	v_sub_u32_e32 v0, v1, v0
	v_mad_u64_u32 v[2:3], s[6:7], v0, s2, v[2:3]
	v_mad_u64_u32 v[9:10], s[2:3], v0, s3, v[9:10]
.LBB151_1117:
	s_and_b64 vcc, exec, s[0:1]
	s_cbranch_vccnz .LBB151_1123
; %bb.1118:
	s_cmp_lg_u32 s33, 0
	s_mov_b32 s26, 0
	s_cbranch_scc0 .LBB151_1124
; %bb.1119:
	s_min_u32 s27, s78, 15
	s_add_i32 s27, s27, 1
	s_cmp_eq_u32 s78, 2
	s_cbranch_scc1 .LBB151_1125
; %bb.1120:
	s_and_b32 s26, s27, 28
	s_add_u32 s6, s34, 0xc4
	s_addc_u32 s7, s35, 0
	v_mov_b32_e32 v7, 0
	s_mov_b32 s36, 0
	s_mov_b64 s[24:25], s[34:35]
	v_mov_b32_e32 v0, 0
	v_mov_b32_e32 v1, v15
.LBB151_1121:                           ; =>This Inner Loop Header: Depth=1
	s_load_dwordx8 s[16:23], s[24:25], 0x4
	s_load_dwordx4 s[0:3], s[24:25], 0x24
	s_load_dwordx8 s[8:15], s[6:7], 0x0
	s_add_u32 s24, s24, 48
	s_addc_u32 s25, s25, 0
	s_waitcnt lgkmcnt(0)
	v_mul_hi_u32 v3, s17, v1
	s_add_i32 s36, s36, 4
	s_add_u32 s6, s6, 32
	s_addc_u32 s7, s7, 0
	v_add_u32_e32 v3, v1, v3
	v_lshrrev_b32_e32 v3, s18, v3
	v_mul_lo_u32 v5, v3, s16
	v_mul_hi_u32 v8, s20, v3
	s_cmp_lg_u32 s26, s36
	v_sub_u32_e32 v1, v1, v5
	v_add_u32_e32 v5, v3, v8
	v_mul_lo_u32 v8, v1, s8
	v_mul_lo_u32 v10, v1, s9
	v_lshrrev_b32_e32 v1, s21, v5
	v_mul_lo_u32 v5, v1, s19
	v_mul_hi_u32 v12, s23, v1
	v_sub_u32_e32 v3, v3, v5
	v_add_u32_e32 v5, v1, v12
	v_lshrrev_b32_e32 v5, s0, v5
	v_mul_hi_u32 v14, s2, v5
	v_mul_lo_u32 v16, v5, s22
	v_mul_lo_u32 v12, v3, s10
	;; [unrolled: 1-line block ×3, first 2 shown]
	v_sub_u32_e32 v16, v1, v16
	v_add_u32_e32 v1, v5, v14
	v_lshrrev_b32_e32 v1, s3, v1
	v_mul_lo_u32 v14, v1, s1
	v_mul_lo_u32 v17, v16, s12
	;; [unrolled: 1-line block ×3, first 2 shown]
	v_add3_u32 v0, v8, v0, v12
	v_sub_u32_e32 v5, v5, v14
	v_mul_lo_u32 v14, v5, s14
	v_mul_lo_u32 v5, v5, s15
	v_add3_u32 v3, v10, v7, v3
	v_add3_u32 v0, v17, v0, v14
	;; [unrolled: 1-line block ×3, first 2 shown]
	s_cbranch_scc1 .LBB151_1121
; %bb.1122:
	s_and_b32 s6, s27, 3
	s_cmp_eq_u32 s6, 0
	s_cbranch_scc0 .LBB151_1126
	s_branch .LBB151_1128
.LBB151_1123:
                                        ; implicit-def: $vgpr0
                                        ; implicit-def: $vgpr7
	s_branch .LBB151_1129
.LBB151_1124:
	v_mov_b32_e32 v0, 0
	v_mov_b32_e32 v7, 0
	s_branch .LBB151_1128
.LBB151_1125:
	v_mov_b32_e32 v0, 0
	v_mov_b32_e32 v7, 0
	;; [unrolled: 1-line block ×3, first 2 shown]
	s_and_b32 s6, s27, 3
	s_cmp_eq_u32 s6, 0
	s_cbranch_scc1 .LBB151_1128
.LBB151_1126:
	s_lshl_b32 s0, s26, 3
	s_add_u32 s0, s34, s0
	s_addc_u32 s1, s35, 0
	s_add_u32 s0, s0, 0xc4
	s_addc_u32 s1, s1, 0
	s_mul_i32 s2, s26, 12
	s_add_u32 s2, s34, s2
	s_addc_u32 s3, s35, 0
.LBB151_1127:                           ; =>This Inner Loop Header: Depth=1
	s_load_dwordx2 s[8:9], s[2:3], 0x4
	s_load_dword s7, s[2:3], 0xc
	s_load_dwordx2 s[10:11], s[0:1], 0x0
	s_add_u32 s2, s2, 12
	s_addc_u32 s3, s3, 0
	s_waitcnt lgkmcnt(0)
	v_mul_hi_u32 v3, s9, v1
	s_add_u32 s0, s0, 8
	s_addc_u32 s1, s1, 0
	s_add_i32 s6, s6, -1
	v_add_u32_e32 v3, v1, v3
	v_lshrrev_b32_e32 v3, s7, v3
	v_mul_lo_u32 v5, v3, s8
	s_cmp_lg_u32 s6, 0
	v_sub_u32_e32 v5, v1, v5
	v_mad_u64_u32 v[0:1], s[8:9], v5, s10, v[0:1]
	v_mad_u64_u32 v[7:8], s[8:9], v5, s11, v[7:8]
	v_mov_b32_e32 v1, v3
	s_cbranch_scc1 .LBB151_1127
.LBB151_1128:
	s_cbranch_execnz .LBB151_1131
.LBB151_1129:
	s_load_dwordx4 s[0:3], s[34:35], 0x4
	s_load_dwordx2 s[6:7], s[34:35], 0xc4
	s_cmp_lt_u32 s33, 2
	s_waitcnt lgkmcnt(0)
	v_mul_hi_u32 v0, s1, v15
	v_add_u32_e32 v0, v15, v0
	v_lshrrev_b32_e32 v1, s2, v0
	v_mul_lo_u32 v0, v1, s0
	v_sub_u32_e32 v3, v15, v0
	v_mul_lo_u32 v0, v3, s6
	v_mul_lo_u32 v7, v3, s7
	s_cbranch_scc1 .LBB151_1131
; %bb.1130:
	s_load_dwordx4 s[0:3], s[34:35], 0x10
	s_load_dwordx2 s[6:7], s[34:35], 0xcc
	s_waitcnt lgkmcnt(0)
	v_mul_hi_u32 v3, s1, v1
	v_add_u32_e32 v3, v1, v3
	v_lshrrev_b32_e32 v3, s2, v3
	v_mul_lo_u32 v3, v3, s0
	v_sub_u32_e32 v3, v1, v3
	v_mad_u64_u32 v[0:1], s[0:1], v3, s6, v[0:1]
	v_mad_u64_u32 v[7:8], s[0:1], v3, s7, v[7:8]
.LBB151_1131:
	s_load_dwordx4 s[8:11], s[34:35], 0x148
	s_load_dword s20, s[4:5], 0x168
	s_waitcnt lgkmcnt(0)
	v_mov_b32_e32 v1, s11
	s_bfe_u32 s14, s20, 0x80008
	v_add_co_u32_e32 v12, vcc, s10, v13
	s_cmp_lt_i32 s14, 11
	v_addc_co_u32_e32 v13, vcc, 0, v1, vcc
	s_cbranch_scc1 .LBB151_1138
; %bb.1132:
	s_and_b32 s15, 0xffff, s14
	s_cmp_gt_i32 s15, 25
	s_mov_b64 s[6:7], 0
	s_cbranch_scc0 .LBB151_1140
; %bb.1133:
	s_cmp_gt_i32 s15, 28
	s_cbranch_scc0 .LBB151_1141
; %bb.1134:
	s_cmp_gt_i32 s15, 43
	;; [unrolled: 3-line block ×3, first 2 shown]
	s_cbranch_scc0 .LBB151_1143
; %bb.1136:
	s_cmp_eq_u32 s15, 46
	s_mov_b64 s[12:13], 0
	s_cbranch_scc0 .LBB151_1146
; %bb.1137:
	global_load_dword v1, v[12:13], off
	s_mov_b64 s[2:3], 0
	s_mov_b64 s[4:5], -1
	s_waitcnt vmcnt(0)
	v_and_b32_e32 v1, 0x7fff7fff, v1
	v_cmp_ne_u32_e64 s[0:1], 0, v1
	s_branch .LBB151_1147
.LBB151_1138:
	s_mov_b64 s[4:5], 0
                                        ; implicit-def: $sgpr0_sgpr1
	s_mov_b64 s[2:3], s[28:29]
	s_cbranch_execnz .LBB151_1192
.LBB151_1139:
	s_andn2_b64 vcc, exec, s[4:5]
	s_cbranch_vccz .LBB151_1237
	s_branch .LBB151_1622
.LBB151_1140:
	s_mov_b64 s[4:5], 0
	s_mov_b64 s[2:3], 0
                                        ; implicit-def: $sgpr0_sgpr1
	s_cbranch_execnz .LBB151_1167
	s_branch .LBB151_1188
.LBB151_1141:
	s_mov_b64 s[12:13], -1
	s_mov_b64 s[4:5], 0
	s_mov_b64 s[2:3], 0
                                        ; implicit-def: $sgpr0_sgpr1
	s_branch .LBB151_1154
.LBB151_1142:
	s_mov_b64 s[4:5], 0
	s_mov_b64 s[2:3], 0
                                        ; implicit-def: $sgpr0_sgpr1
	s_cbranch_execnz .LBB151_1150
	s_branch .LBB151_1153
.LBB151_1143:
	s_mov_b64 s[12:13], -1
	s_mov_b64 s[4:5], 0
	s_mov_b64 s[2:3], 0
                                        ; implicit-def: $sgpr0_sgpr1
	s_branch .LBB151_1147
.LBB151_1144:
	s_andn2_saveexec_b64 s[16:17], s[16:17]
	s_cbranch_execz .LBB151_986
.LBB151_1145:
	v_add_f32_e32 v0, 0x46000000, v3
	v_and_b32_e32 v0, 0xff, v0
	v_cmp_ne_u32_e32 vcc, 0, v0
	s_andn2_b64 s[14:15], s[14:15], exec
	s_and_b64 s[18:19], vcc, exec
	s_or_b64 s[14:15], s[14:15], s[18:19]
	s_or_b64 exec, exec, s[16:17]
	v_mov_b32_e32 v4, 0
	s_and_saveexec_b64 s[16:17], s[14:15]
	s_cbranch_execnz .LBB151_987
	s_branch .LBB151_988
.LBB151_1146:
	s_mov_b64 s[2:3], -1
                                        ; implicit-def: $sgpr0_sgpr1
	s_mov_b64 s[4:5], 0
.LBB151_1147:
	s_and_b64 vcc, exec, s[12:13]
	s_cbranch_vccz .LBB151_1149
; %bb.1148:
	s_cmp_lg_u32 s15, 44
	s_mov_b64 s[4:5], -1
	s_cselect_b64 s[2:3], -1, 0
	s_or_b64 s[0:1], s[0:1], exec
.LBB151_1149:
	s_branch .LBB151_1153
.LBB151_1150:
	s_cmp_eq_u32 s15, 29
	s_cbranch_scc0 .LBB151_1152
; %bb.1151:
	global_load_dwordx2 v[14:15], v[12:13], off
	s_mov_b64 s[2:3], 0
	s_mov_b64 s[4:5], -1
	s_mov_b64 s[12:13], 0
	s_waitcnt vmcnt(0)
	v_cmp_ne_u64_e64 s[0:1], 0, v[14:15]
	s_branch .LBB151_1154
.LBB151_1152:
	s_mov_b64 s[2:3], -1
                                        ; implicit-def: $sgpr0_sgpr1
.LBB151_1153:
	s_mov_b64 s[12:13], 0
.LBB151_1154:
	s_and_b64 vcc, exec, s[12:13]
	s_cbranch_vccz .LBB151_1166
; %bb.1155:
	s_cmp_lt_i32 s15, 27
	s_cbranch_scc1 .LBB151_1158
; %bb.1156:
	s_cmp_gt_i32 s15, 27
	s_cbranch_scc0 .LBB151_1159
; %bb.1157:
	global_load_dword v1, v[12:13], off
	s_mov_b64 s[4:5], 0
	s_waitcnt vmcnt(0)
	v_cmp_ne_u32_e64 s[0:1], 0, v1
	s_branch .LBB151_1160
.LBB151_1158:
	s_mov_b64 s[4:5], -1
                                        ; implicit-def: $sgpr0_sgpr1
	s_branch .LBB151_1163
.LBB151_1159:
	s_mov_b64 s[4:5], -1
                                        ; implicit-def: $sgpr0_sgpr1
.LBB151_1160:
	s_andn2_b64 vcc, exec, s[4:5]
	s_cbranch_vccnz .LBB151_1162
; %bb.1161:
	global_load_ushort v1, v[12:13], off
	s_andn2_b64 s[0:1], s[0:1], exec
	s_waitcnt vmcnt(0)
	v_cmp_ne_u16_e32 vcc, 0, v1
	s_and_b64 s[4:5], vcc, exec
	s_or_b64 s[0:1], s[0:1], s[4:5]
.LBB151_1162:
	s_mov_b64 s[4:5], 0
.LBB151_1163:
	s_andn2_b64 vcc, exec, s[4:5]
	s_cbranch_vccnz .LBB151_1165
; %bb.1164:
	global_load_ubyte v1, v[12:13], off
	s_andn2_b64 s[0:1], s[0:1], exec
	s_waitcnt vmcnt(0)
	v_cmp_ne_u16_e32 vcc, 0, v1
	s_and_b64 s[4:5], vcc, exec
	s_or_b64 s[0:1], s[0:1], s[4:5]
.LBB151_1165:
	s_mov_b64 s[4:5], -1
.LBB151_1166:
	s_branch .LBB151_1188
.LBB151_1167:
	s_cmp_gt_i32 s15, 22
	s_cbranch_scc0 .LBB151_1171
; %bb.1168:
	s_cmp_lt_i32 s15, 24
	s_cbranch_scc1 .LBB151_1172
; %bb.1169:
	s_cmp_gt_i32 s15, 24
	s_cbranch_scc0 .LBB151_1173
; %bb.1170:
	global_load_ubyte v1, v[12:13], off
	s_mov_b64 s[4:5], 0
	s_waitcnt vmcnt(0)
	v_cmp_ne_u16_e64 s[0:1], 0, v1
	s_branch .LBB151_1174
.LBB151_1171:
                                        ; implicit-def: $sgpr0_sgpr1
	s_mov_b64 s[6:7], 0
	s_branch .LBB151_1180
.LBB151_1172:
	s_mov_b64 s[4:5], -1
                                        ; implicit-def: $sgpr0_sgpr1
	s_branch .LBB151_1177
.LBB151_1173:
	s_mov_b64 s[4:5], -1
                                        ; implicit-def: $sgpr0_sgpr1
.LBB151_1174:
	s_andn2_b64 vcc, exec, s[4:5]
	s_cbranch_vccnz .LBB151_1176
; %bb.1175:
	global_load_ubyte v1, v[12:13], off
	s_andn2_b64 s[0:1], s[0:1], exec
	s_waitcnt vmcnt(0)
	v_and_b32_e32 v1, 0x7f, v1
	v_cmp_ne_u16_e32 vcc, 0, v1
	s_and_b64 s[4:5], vcc, exec
	s_or_b64 s[0:1], s[0:1], s[4:5]
.LBB151_1176:
	s_mov_b64 s[4:5], 0
.LBB151_1177:
	s_andn2_b64 vcc, exec, s[4:5]
	s_cbranch_vccnz .LBB151_1179
; %bb.1178:
	global_load_ubyte v1, v[12:13], off
	s_movk_i32 s4, 0x7f00
	s_brev_b32 s5, 16
	s_andn2_b64 s[0:1], s[0:1], exec
	s_waitcnt vmcnt(0)
	v_lshlrev_b32_e32 v3, 8, v1
	v_lshlrev_b32_e32 v1, 25, v1
	v_lshrrev_b32_e32 v5, 4, v1
	v_and_or_b32 v3, v3, s4, 0.5
	v_or_b32_e32 v5, 0x70000000, v5
	v_add_f32_e32 v3, -0.5, v3
	v_mul_f32_e32 v5, 0x7800000, v5
	v_cmp_gt_u32_e32 vcc, s5, v1
	v_cndmask_b32_e32 v1, v5, v3, vcc
	v_cmp_neq_f32_e32 vcc, 0, v1
	s_and_b64 s[4:5], vcc, exec
	s_or_b64 s[0:1], s[0:1], s[4:5]
.LBB151_1179:
	s_mov_b64 s[4:5], -1
	s_andn2_b64 vcc, exec, s[6:7]
	s_mov_b64 s[6:7], 0
	s_cbranch_vccnz .LBB151_1188
.LBB151_1180:
	s_cmp_gt_i32 s15, 14
	s_cbranch_scc0 .LBB151_1183
; %bb.1181:
	s_cmp_eq_u32 s15, 15
	s_cbranch_scc0 .LBB151_1184
; %bb.1182:
	global_load_ushort v1, v[12:13], off
	s_mov_b64 s[2:3], 0
	s_mov_b64 s[4:5], -1
	s_waitcnt vmcnt(0)
	v_and_b32_e32 v1, 0x7fff, v1
	v_cmp_ne_u16_e64 s[0:1], 0, v1
	s_branch .LBB151_1185
.LBB151_1183:
	s_mov_b64 s[12:13], -1
                                        ; implicit-def: $sgpr0_sgpr1
	s_branch .LBB151_1186
.LBB151_1184:
	s_mov_b64 s[2:3], -1
                                        ; implicit-def: $sgpr0_sgpr1
.LBB151_1185:
	s_mov_b64 s[12:13], 0
.LBB151_1186:
	s_and_b64 vcc, exec, s[12:13]
	s_cbranch_vccz .LBB151_1188
; %bb.1187:
	s_cmp_lg_u32 s15, 11
	s_mov_b64 s[6:7], -1
	s_cselect_b64 s[2:3], -1, 0
.LBB151_1188:
	s_and_b64 vcc, exec, s[2:3]
	s_mov_b64 s[2:3], s[28:29]
	s_cbranch_vccnz .LBB151_1264
; %bb.1189:
	s_andn2_b64 vcc, exec, s[6:7]
	s_cbranch_vccnz .LBB151_1191
.LBB151_1190:
	global_load_ubyte v1, v[12:13], off
	s_andn2_b64 s[0:1], s[0:1], exec
	s_mov_b64 s[4:5], -1
	s_waitcnt vmcnt(0)
	v_cmp_ne_u16_e32 vcc, 0, v1
	s_and_b64 s[6:7], vcc, exec
	s_or_b64 s[0:1], s[0:1], s[6:7]
.LBB151_1191:
	s_branch .LBB151_1139
.LBB151_1192:
	s_and_b32 s6, 0xffff, s14
	s_cmp_lt_i32 s6, 5
	s_cbranch_scc1 .LBB151_1197
; %bb.1193:
	s_cmp_lt_i32 s6, 8
	s_cbranch_scc1 .LBB151_1198
; %bb.1194:
	;; [unrolled: 3-line block ×3, first 2 shown]
	s_cmp_gt_i32 s6, 9
	s_cbranch_scc0 .LBB151_1200
; %bb.1196:
	global_load_dwordx4 v[14:17], v[12:13], off
	s_mov_b64 s[4:5], 0
	s_waitcnt vmcnt(0)
	v_cmp_neq_f64_e32 vcc, 0, v[14:15]
	v_cmp_neq_f64_e64 s[0:1], 0, v[16:17]
	s_or_b64 s[0:1], vcc, s[0:1]
	s_branch .LBB151_1201
.LBB151_1197:
                                        ; implicit-def: $sgpr0_sgpr1
	s_branch .LBB151_1218
.LBB151_1198:
                                        ; implicit-def: $sgpr0_sgpr1
	s_branch .LBB151_1207
.LBB151_1199:
	s_mov_b64 s[4:5], -1
                                        ; implicit-def: $sgpr0_sgpr1
	s_branch .LBB151_1204
.LBB151_1200:
	s_mov_b64 s[4:5], -1
                                        ; implicit-def: $sgpr0_sgpr1
.LBB151_1201:
	s_andn2_b64 vcc, exec, s[4:5]
	s_cbranch_vccnz .LBB151_1203
; %bb.1202:
	global_load_dwordx2 v[14:15], v[12:13], off
	s_andn2_b64 s[0:1], s[0:1], exec
	s_waitcnt vmcnt(0)
	v_or_b32_e32 v1, v14, v15
	v_and_b32_e32 v1, 0x7fffffff, v1
	v_cmp_ne_u32_e32 vcc, 0, v1
	s_and_b64 s[4:5], vcc, exec
	s_or_b64 s[0:1], s[0:1], s[4:5]
.LBB151_1203:
	s_mov_b64 s[4:5], 0
.LBB151_1204:
	s_andn2_b64 vcc, exec, s[4:5]
	s_cbranch_vccnz .LBB151_1206
; %bb.1205:
	global_load_dword v1, v[12:13], off
	s_andn2_b64 s[0:1], s[0:1], exec
	s_waitcnt vmcnt(0)
	v_and_b32_e32 v1, 0x7fff7fff, v1
	v_cmp_ne_u32_e32 vcc, 0, v1
	s_and_b64 s[4:5], vcc, exec
	s_or_b64 s[0:1], s[0:1], s[4:5]
.LBB151_1206:
	s_cbranch_execnz .LBB151_1217
.LBB151_1207:
	s_cmp_lt_i32 s6, 6
	s_cbranch_scc1 .LBB151_1210
; %bb.1208:
	s_cmp_gt_i32 s6, 6
	s_cbranch_scc0 .LBB151_1211
; %bb.1209:
	global_load_dwordx2 v[14:15], v[12:13], off
	s_mov_b64 s[4:5], 0
	s_waitcnt vmcnt(0)
	v_cmp_neq_f64_e64 s[0:1], 0, v[14:15]
	s_branch .LBB151_1212
.LBB151_1210:
	s_mov_b64 s[4:5], -1
                                        ; implicit-def: $sgpr0_sgpr1
	s_branch .LBB151_1215
.LBB151_1211:
	s_mov_b64 s[4:5], -1
                                        ; implicit-def: $sgpr0_sgpr1
.LBB151_1212:
	s_andn2_b64 vcc, exec, s[4:5]
	s_cbranch_vccnz .LBB151_1214
; %bb.1213:
	global_load_dword v1, v[12:13], off
	s_andn2_b64 s[0:1], s[0:1], exec
	s_waitcnt vmcnt(0)
	v_cmp_neq_f32_e32 vcc, 0, v1
	s_and_b64 s[4:5], vcc, exec
	s_or_b64 s[0:1], s[0:1], s[4:5]
.LBB151_1214:
	s_mov_b64 s[4:5], 0
.LBB151_1215:
	s_andn2_b64 vcc, exec, s[4:5]
	s_cbranch_vccnz .LBB151_1217
; %bb.1216:
	global_load_ushort v1, v[12:13], off
	s_andn2_b64 s[0:1], s[0:1], exec
	s_waitcnt vmcnt(0)
	v_and_b32_e32 v1, 0x7fff, v1
	v_cmp_ne_u16_e32 vcc, 0, v1
	s_and_b64 s[4:5], vcc, exec
	s_or_b64 s[0:1], s[0:1], s[4:5]
.LBB151_1217:
	s_cbranch_execnz .LBB151_1236
.LBB151_1218:
	s_cmp_lt_i32 s6, 2
	s_cbranch_scc1 .LBB151_1222
; %bb.1219:
	s_cmp_lt_i32 s6, 3
	s_cbranch_scc1 .LBB151_1223
; %bb.1220:
	s_cmp_gt_i32 s6, 3
	s_cbranch_scc0 .LBB151_1224
; %bb.1221:
	global_load_dwordx2 v[14:15], v[12:13], off
	s_mov_b64 s[4:5], 0
	s_waitcnt vmcnt(0)
	v_cmp_ne_u64_e64 s[0:1], 0, v[14:15]
	s_branch .LBB151_1225
.LBB151_1222:
                                        ; implicit-def: $sgpr0_sgpr1
	s_branch .LBB151_1231
.LBB151_1223:
	s_mov_b64 s[4:5], -1
                                        ; implicit-def: $sgpr0_sgpr1
	s_branch .LBB151_1228
.LBB151_1224:
	s_mov_b64 s[4:5], -1
                                        ; implicit-def: $sgpr0_sgpr1
.LBB151_1225:
	s_andn2_b64 vcc, exec, s[4:5]
	s_cbranch_vccnz .LBB151_1227
; %bb.1226:
	global_load_dword v1, v[12:13], off
	s_andn2_b64 s[0:1], s[0:1], exec
	s_waitcnt vmcnt(0)
	v_cmp_ne_u32_e32 vcc, 0, v1
	s_and_b64 s[4:5], vcc, exec
	s_or_b64 s[0:1], s[0:1], s[4:5]
.LBB151_1227:
	s_mov_b64 s[4:5], 0
.LBB151_1228:
	s_andn2_b64 vcc, exec, s[4:5]
	s_cbranch_vccnz .LBB151_1230
; %bb.1229:
	global_load_ushort v1, v[12:13], off
	s_andn2_b64 s[0:1], s[0:1], exec
	s_waitcnt vmcnt(0)
	v_cmp_ne_u16_e32 vcc, 0, v1
	s_and_b64 s[4:5], vcc, exec
	s_or_b64 s[0:1], s[0:1], s[4:5]
.LBB151_1230:
	s_cbranch_execnz .LBB151_1236
.LBB151_1231:
	s_cmp_gt_i32 s6, 0
	s_cbranch_scc0 .LBB151_1233
; %bb.1232:
	global_load_ubyte v1, v[12:13], off
	s_mov_b64 s[4:5], 0
	s_waitcnt vmcnt(0)
	v_cmp_ne_u16_e64 s[0:1], 0, v1
	s_branch .LBB151_1234
.LBB151_1233:
	s_mov_b64 s[4:5], -1
                                        ; implicit-def: $sgpr0_sgpr1
.LBB151_1234:
	s_andn2_b64 vcc, exec, s[4:5]
	s_cbranch_vccnz .LBB151_1236
; %bb.1235:
	global_load_ubyte v1, v[12:13], off
	s_andn2_b64 s[0:1], s[0:1], exec
	s_waitcnt vmcnt(0)
	v_cmp_ne_u16_e32 vcc, 0, v1
	s_and_b64 s[4:5], vcc, exec
	s_or_b64 s[0:1], s[0:1], s[4:5]
.LBB151_1236:
.LBB151_1237:
	s_load_dwordx2 s[16:17], s[34:35], 0x158
	s_mov_b64 s[4:5], 0
	s_waitcnt lgkmcnt(0)
	s_bitcmp1_b32 s17, 0
	s_cselect_b64 s[14:15], -1, 0
	s_cmp_lt_i32 s16, 1
	s_cbranch_scc1 .LBB151_1241
; %bb.1238:
	s_cmp_gt_i32 s16, 1
	s_cbranch_scc0 .LBB151_1242
; %bb.1239:
	s_cmp_eq_u32 s16, 2
	s_cbranch_scc0 .LBB151_1243
; %bb.1240:
	s_xor_b64 s[6:7], s[0:1], -1
	s_or_b64 s[12:13], s[14:15], s[6:7]
	s_mov_b64 s[6:7], 0
	s_branch .LBB151_1244
.LBB151_1241:
                                        ; implicit-def: $sgpr12_sgpr13
	s_mov_b64 s[6:7], 0
	s_cbranch_execnz .LBB151_1247
	s_branch .LBB151_1248
.LBB151_1242:
	s_mov_b64 s[6:7], 0
                                        ; implicit-def: $sgpr12_sgpr13
	s_cbranch_execnz .LBB151_1245
	s_branch .LBB151_1246
.LBB151_1243:
	s_mov_b64 s[6:7], -1
                                        ; implicit-def: $sgpr12_sgpr13
.LBB151_1244:
	s_branch .LBB151_1246
.LBB151_1245:
	s_xor_b64 s[18:19], s[14:15], -1
	s_and_b64 s[18:19], s[0:1], s[18:19]
	s_andn2_b64 s[12:13], s[12:13], exec
	s_and_b64 s[18:19], s[18:19], exec
	s_or_b64 s[12:13], s[12:13], s[18:19]
.LBB151_1246:
	s_branch .LBB151_1248
.LBB151_1247:
	s_cmp_lg_u32 s16, 0
	s_mov_b64 s[4:5], -1
	s_cselect_b64 s[6:7], -1, 0
.LBB151_1248:
	s_andn2_b64 vcc, exec, s[6:7]
	s_cbranch_vccnz .LBB151_1250
; %bb.1249:
	s_xor_b64 s[4:5], s[0:1], -1
	s_and_b64 s[6:7], s[14:15], s[4:5]
	s_andn2_b64 s[12:13], s[12:13], exec
	s_and_b64 s[6:7], s[6:7], exec
	s_or_b64 s[12:13], s[12:13], s[6:7]
	s_cbranch_execz .LBB151_1251
	s_branch .LBB151_1252
.LBB151_1250:
	s_andn2_b64 vcc, exec, s[4:5]
	s_cbranch_vccnz .LBB151_1252
.LBB151_1251:
	s_xor_b64 s[4:5], s[14:15], -1
	s_or_b64 s[0:1], s[0:1], s[4:5]
	s_andn2_b64 s[4:5], s[12:13], exec
	s_and_b64 s[0:1], s[0:1], exec
	s_or_b64 s[12:13], s[4:5], s[0:1]
.LBB151_1252:
	s_lshr_b32 s0, s20, 8
	v_mov_b32_e32 v1, s11
	s_and_b32 s17, s0, 0xff
	v_add_co_u32_e32 v10, vcc, s10, v11
	s_cmp_lt_i32 s17, 11
	v_addc_co_u32_e32 v11, vcc, 0, v1, vcc
	s_cbranch_scc1 .LBB151_1259
; %bb.1253:
	s_and_b32 s22, 0xffff, s17
	s_cmp_gt_i32 s22, 25
	s_mov_b64 s[18:19], 0
	s_cbranch_scc0 .LBB151_1261
; %bb.1254:
	s_cmp_gt_i32 s22, 28
	s_cbranch_scc0 .LBB151_1262
; %bb.1255:
	s_cmp_gt_i32 s22, 43
	;; [unrolled: 3-line block ×3, first 2 shown]
	s_cbranch_scc0 .LBB151_1265
; %bb.1257:
	s_cmp_eq_u32 s22, 46
	s_mov_b64 s[20:21], 0
	s_cbranch_scc0 .LBB151_1268
; %bb.1258:
	global_load_dword v1, v[10:11], off
	s_mov_b64 s[4:5], 0
	s_mov_b64 s[6:7], -1
	s_waitcnt vmcnt(0)
	v_and_b32_e32 v1, 0x7fff7fff, v1
	v_cmp_ne_u32_e64 s[0:1], 0, v1
	s_branch .LBB151_1269
.LBB151_1259:
	s_mov_b64 s[6:7], 0
                                        ; implicit-def: $sgpr0_sgpr1
	s_cbranch_execnz .LBB151_1316
.LBB151_1260:
	s_andn2_b64 vcc, exec, s[6:7]
	s_cbranch_vccnz .LBB151_1622
	s_branch .LBB151_1363
.LBB151_1261:
	s_mov_b64 s[6:7], 0
	s_mov_b64 s[4:5], 0
                                        ; implicit-def: $sgpr0_sgpr1
	s_cbranch_execnz .LBB151_1290
	s_branch .LBB151_1312
.LBB151_1262:
	s_mov_b64 s[20:21], -1
	s_mov_b64 s[6:7], 0
	s_mov_b64 s[4:5], 0
                                        ; implicit-def: $sgpr0_sgpr1
	s_branch .LBB151_1277
.LBB151_1263:
	s_mov_b64 s[20:21], -1
	s_mov_b64 s[6:7], 0
	s_mov_b64 s[4:5], 0
                                        ; implicit-def: $sgpr0_sgpr1
	s_branch .LBB151_1272
.LBB151_1264:
	s_mov_b64 s[4:5], 0
	s_or_b64 s[2:3], s[28:29], exec
	s_trap 2
	s_cbranch_execz .LBB151_1190
	s_branch .LBB151_1191
.LBB151_1265:
	s_mov_b64 s[20:21], -1
	s_mov_b64 s[6:7], 0
	s_mov_b64 s[4:5], 0
                                        ; implicit-def: $sgpr0_sgpr1
	s_branch .LBB151_1269
.LBB151_1266:
	s_andn2_saveexec_b64 s[18:19], s[18:19]
	s_cbranch_execz .LBB151_998
.LBB151_1267:
	v_add_f32_e32 v0, 0x42800000, v3
	v_and_b32_e32 v0, 0xff, v0
	v_cmp_ne_u32_e32 vcc, 0, v0
	s_andn2_b64 s[16:17], s[16:17], exec
	s_and_b64 s[22:23], vcc, exec
	s_or_b64 s[16:17], s[16:17], s[22:23]
	s_or_b64 exec, exec, s[18:19]
	v_mov_b32_e32 v4, 0
	s_and_saveexec_b64 s[18:19], s[16:17]
	s_cbranch_execnz .LBB151_999
	s_branch .LBB151_1000
.LBB151_1268:
	s_mov_b64 s[4:5], -1
                                        ; implicit-def: $sgpr0_sgpr1
	s_mov_b64 s[6:7], 0
.LBB151_1269:
	s_and_b64 vcc, exec, s[20:21]
	s_cbranch_vccz .LBB151_1271
; %bb.1270:
	s_cmp_lg_u32 s22, 44
	s_mov_b64 s[6:7], -1
	s_cselect_b64 s[4:5], -1, 0
	s_or_b64 s[0:1], s[0:1], exec
.LBB151_1271:
	s_mov_b64 s[20:21], 0
.LBB151_1272:
	s_and_b64 vcc, exec, s[20:21]
	s_cbranch_vccz .LBB151_1276
; %bb.1273:
	s_cmp_eq_u32 s22, 29
	s_cbranch_scc0 .LBB151_1275
; %bb.1274:
	global_load_dwordx2 v[12:13], v[10:11], off
	s_mov_b64 s[4:5], 0
	s_mov_b64 s[6:7], -1
	s_mov_b64 s[20:21], 0
	s_waitcnt vmcnt(0)
	v_cmp_ne_u64_e64 s[0:1], 0, v[12:13]
	s_branch .LBB151_1277
.LBB151_1275:
	s_mov_b64 s[4:5], -1
                                        ; implicit-def: $sgpr0_sgpr1
.LBB151_1276:
	s_mov_b64 s[20:21], 0
.LBB151_1277:
	s_and_b64 vcc, exec, s[20:21]
	s_cbranch_vccz .LBB151_1289
; %bb.1278:
	s_cmp_lt_i32 s22, 27
	s_cbranch_scc1 .LBB151_1281
; %bb.1279:
	s_cmp_gt_i32 s22, 27
	s_cbranch_scc0 .LBB151_1282
; %bb.1280:
	global_load_dword v1, v[10:11], off
	s_mov_b64 s[6:7], 0
	s_waitcnt vmcnt(0)
	v_cmp_ne_u32_e64 s[0:1], 0, v1
	s_branch .LBB151_1283
.LBB151_1281:
	s_mov_b64 s[6:7], -1
                                        ; implicit-def: $sgpr0_sgpr1
	s_branch .LBB151_1286
.LBB151_1282:
	s_mov_b64 s[6:7], -1
                                        ; implicit-def: $sgpr0_sgpr1
.LBB151_1283:
	s_andn2_b64 vcc, exec, s[6:7]
	s_cbranch_vccnz .LBB151_1285
; %bb.1284:
	global_load_ushort v1, v[10:11], off
	s_andn2_b64 s[0:1], s[0:1], exec
	s_waitcnt vmcnt(0)
	v_cmp_ne_u16_e32 vcc, 0, v1
	s_and_b64 s[6:7], vcc, exec
	s_or_b64 s[0:1], s[0:1], s[6:7]
.LBB151_1285:
	s_mov_b64 s[6:7], 0
.LBB151_1286:
	s_andn2_b64 vcc, exec, s[6:7]
	s_cbranch_vccnz .LBB151_1288
; %bb.1287:
	global_load_ubyte v1, v[10:11], off
	s_andn2_b64 s[0:1], s[0:1], exec
	s_waitcnt vmcnt(0)
	v_cmp_ne_u16_e32 vcc, 0, v1
	s_and_b64 s[6:7], vcc, exec
	s_or_b64 s[0:1], s[0:1], s[6:7]
.LBB151_1288:
	s_mov_b64 s[6:7], -1
.LBB151_1289:
	s_branch .LBB151_1312
.LBB151_1290:
	s_cmp_gt_i32 s22, 22
	s_cbranch_scc0 .LBB151_1294
; %bb.1291:
	s_cmp_lt_i32 s22, 24
	s_cbranch_scc1 .LBB151_1295
; %bb.1292:
	s_cmp_gt_i32 s22, 24
	s_cbranch_scc0 .LBB151_1296
; %bb.1293:
	global_load_ubyte v1, v[10:11], off
	s_mov_b64 s[6:7], 0
	s_waitcnt vmcnt(0)
	v_cmp_ne_u16_e64 s[0:1], 0, v1
	s_branch .LBB151_1297
.LBB151_1294:
	s_mov_b64 s[18:19], -1
                                        ; implicit-def: $sgpr0_sgpr1
	s_branch .LBB151_1303
.LBB151_1295:
	s_mov_b64 s[6:7], -1
                                        ; implicit-def: $sgpr0_sgpr1
	s_branch .LBB151_1300
.LBB151_1296:
	s_mov_b64 s[6:7], -1
                                        ; implicit-def: $sgpr0_sgpr1
.LBB151_1297:
	s_andn2_b64 vcc, exec, s[6:7]
	s_cbranch_vccnz .LBB151_1299
; %bb.1298:
	global_load_ubyte v1, v[10:11], off
	s_andn2_b64 s[0:1], s[0:1], exec
	s_waitcnt vmcnt(0)
	v_and_b32_e32 v1, 0x7f, v1
	v_cmp_ne_u16_e32 vcc, 0, v1
	s_and_b64 s[6:7], vcc, exec
	s_or_b64 s[0:1], s[0:1], s[6:7]
.LBB151_1299:
	s_mov_b64 s[6:7], 0
.LBB151_1300:
	s_andn2_b64 vcc, exec, s[6:7]
	s_cbranch_vccnz .LBB151_1302
; %bb.1301:
	global_load_ubyte v1, v[10:11], off
	s_movk_i32 s6, 0x7f00
	s_brev_b32 s7, 16
	s_andn2_b64 s[0:1], s[0:1], exec
	s_waitcnt vmcnt(0)
	v_lshlrev_b32_e32 v3, 8, v1
	v_lshlrev_b32_e32 v1, 25, v1
	v_lshrrev_b32_e32 v5, 4, v1
	v_and_or_b32 v3, v3, s6, 0.5
	v_or_b32_e32 v5, 0x70000000, v5
	v_add_f32_e32 v3, -0.5, v3
	v_mul_f32_e32 v5, 0x7800000, v5
	v_cmp_gt_u32_e32 vcc, s7, v1
	v_cndmask_b32_e32 v1, v5, v3, vcc
	v_cmp_neq_f32_e32 vcc, 0, v1
	s_and_b64 s[6:7], vcc, exec
	s_or_b64 s[0:1], s[0:1], s[6:7]
.LBB151_1302:
	s_mov_b64 s[6:7], -1
.LBB151_1303:
	s_andn2_b64 vcc, exec, s[18:19]
	s_mov_b64 s[18:19], 0
	s_cbranch_vccnz .LBB151_1312
; %bb.1304:
	s_cmp_gt_i32 s22, 14
	s_cbranch_scc0 .LBB151_1307
; %bb.1305:
	s_cmp_eq_u32 s22, 15
	s_cbranch_scc0 .LBB151_1308
; %bb.1306:
	global_load_ushort v1, v[10:11], off
	s_mov_b64 s[4:5], 0
	s_mov_b64 s[6:7], -1
	s_waitcnt vmcnt(0)
	v_and_b32_e32 v1, 0x7fff, v1
	v_cmp_ne_u16_e64 s[0:1], 0, v1
	s_branch .LBB151_1309
.LBB151_1307:
	s_mov_b64 s[20:21], -1
                                        ; implicit-def: $sgpr0_sgpr1
	s_branch .LBB151_1310
.LBB151_1308:
	s_mov_b64 s[4:5], -1
                                        ; implicit-def: $sgpr0_sgpr1
.LBB151_1309:
	s_mov_b64 s[20:21], 0
.LBB151_1310:
	s_and_b64 vcc, exec, s[20:21]
	s_cbranch_vccz .LBB151_1312
; %bb.1311:
	s_cmp_lg_u32 s22, 11
	s_mov_b64 s[18:19], -1
	s_cselect_b64 s[4:5], -1, 0
.LBB151_1312:
	s_and_b64 vcc, exec, s[4:5]
	s_cbranch_vccnz .LBB151_1391
; %bb.1313:
	s_andn2_b64 vcc, exec, s[18:19]
	s_cbranch_vccnz .LBB151_1315
.LBB151_1314:
	global_load_ubyte v1, v[10:11], off
	s_andn2_b64 s[0:1], s[0:1], exec
	s_mov_b64 s[6:7], -1
	s_waitcnt vmcnt(0)
	v_cmp_ne_u16_e32 vcc, 0, v1
	s_and_b64 s[4:5], vcc, exec
	s_or_b64 s[0:1], s[0:1], s[4:5]
.LBB151_1315:
	s_branch .LBB151_1260
.LBB151_1316:
	s_and_b32 s6, 0xffff, s17
	s_cmp_lt_i32 s6, 5
	s_cbranch_scc1 .LBB151_1321
; %bb.1317:
	s_cmp_lt_i32 s6, 8
	s_cbranch_scc1 .LBB151_1322
; %bb.1318:
	s_cmp_lt_i32 s6, 9
	s_cbranch_scc1 .LBB151_1323
; %bb.1319:
	s_cmp_gt_i32 s6, 9
	s_cbranch_scc0 .LBB151_1324
; %bb.1320:
	global_load_dwordx4 v[12:15], v[10:11], off
	s_mov_b64 s[4:5], 0
	s_waitcnt vmcnt(0)
	v_cmp_neq_f64_e32 vcc, 0, v[12:13]
	v_cmp_neq_f64_e64 s[0:1], 0, v[14:15]
	s_or_b64 s[0:1], vcc, s[0:1]
	s_branch .LBB151_1325
.LBB151_1321:
                                        ; implicit-def: $sgpr0_sgpr1
	s_branch .LBB151_1343
.LBB151_1322:
	s_mov_b64 s[4:5], -1
                                        ; implicit-def: $sgpr0_sgpr1
	s_branch .LBB151_1331
.LBB151_1323:
	s_mov_b64 s[4:5], -1
                                        ; implicit-def: $sgpr0_sgpr1
	s_branch .LBB151_1328
.LBB151_1324:
	s_mov_b64 s[4:5], -1
                                        ; implicit-def: $sgpr0_sgpr1
.LBB151_1325:
	s_andn2_b64 vcc, exec, s[4:5]
	s_cbranch_vccnz .LBB151_1327
; %bb.1326:
	global_load_dwordx2 v[12:13], v[10:11], off
	s_andn2_b64 s[0:1], s[0:1], exec
	s_waitcnt vmcnt(0)
	v_or_b32_e32 v1, v12, v13
	v_and_b32_e32 v1, 0x7fffffff, v1
	v_cmp_ne_u32_e32 vcc, 0, v1
	s_and_b64 s[4:5], vcc, exec
	s_or_b64 s[0:1], s[0:1], s[4:5]
.LBB151_1327:
	s_mov_b64 s[4:5], 0
.LBB151_1328:
	s_andn2_b64 vcc, exec, s[4:5]
	s_cbranch_vccnz .LBB151_1330
; %bb.1329:
	global_load_dword v1, v[10:11], off
	s_andn2_b64 s[0:1], s[0:1], exec
	s_waitcnt vmcnt(0)
	v_and_b32_e32 v1, 0x7fff7fff, v1
	v_cmp_ne_u32_e32 vcc, 0, v1
	s_and_b64 s[4:5], vcc, exec
	s_or_b64 s[0:1], s[0:1], s[4:5]
.LBB151_1330:
	s_mov_b64 s[4:5], 0
.LBB151_1331:
	s_andn2_b64 vcc, exec, s[4:5]
	s_cbranch_vccnz .LBB151_1342
; %bb.1332:
	s_cmp_lt_i32 s6, 6
	s_cbranch_scc1 .LBB151_1335
; %bb.1333:
	s_cmp_gt_i32 s6, 6
	s_cbranch_scc0 .LBB151_1336
; %bb.1334:
	global_load_dwordx2 v[12:13], v[10:11], off
	s_mov_b64 s[4:5], 0
	s_waitcnt vmcnt(0)
	v_cmp_neq_f64_e64 s[0:1], 0, v[12:13]
	s_branch .LBB151_1337
.LBB151_1335:
	s_mov_b64 s[4:5], -1
                                        ; implicit-def: $sgpr0_sgpr1
	s_branch .LBB151_1340
.LBB151_1336:
	s_mov_b64 s[4:5], -1
                                        ; implicit-def: $sgpr0_sgpr1
.LBB151_1337:
	s_andn2_b64 vcc, exec, s[4:5]
	s_cbranch_vccnz .LBB151_1339
; %bb.1338:
	global_load_dword v1, v[10:11], off
	s_andn2_b64 s[0:1], s[0:1], exec
	s_waitcnt vmcnt(0)
	v_cmp_neq_f32_e32 vcc, 0, v1
	s_and_b64 s[4:5], vcc, exec
	s_or_b64 s[0:1], s[0:1], s[4:5]
.LBB151_1339:
	s_mov_b64 s[4:5], 0
.LBB151_1340:
	s_andn2_b64 vcc, exec, s[4:5]
	s_cbranch_vccnz .LBB151_1342
; %bb.1341:
	global_load_ushort v1, v[10:11], off
	s_andn2_b64 s[0:1], s[0:1], exec
	s_waitcnt vmcnt(0)
	v_and_b32_e32 v1, 0x7fff, v1
	v_cmp_ne_u16_e32 vcc, 0, v1
	s_and_b64 s[4:5], vcc, exec
	s_or_b64 s[0:1], s[0:1], s[4:5]
.LBB151_1342:
	s_cbranch_execnz .LBB151_1362
.LBB151_1343:
	s_cmp_lt_i32 s6, 2
	s_cbranch_scc1 .LBB151_1347
; %bb.1344:
	s_cmp_lt_i32 s6, 3
	s_cbranch_scc1 .LBB151_1348
; %bb.1345:
	s_cmp_gt_i32 s6, 3
	s_cbranch_scc0 .LBB151_1349
; %bb.1346:
	global_load_dwordx2 v[12:13], v[10:11], off
	s_mov_b64 s[4:5], 0
	s_waitcnt vmcnt(0)
	v_cmp_ne_u64_e64 s[0:1], 0, v[12:13]
	s_branch .LBB151_1350
.LBB151_1347:
	s_mov_b64 s[4:5], -1
                                        ; implicit-def: $sgpr0_sgpr1
	s_branch .LBB151_1356
.LBB151_1348:
	s_mov_b64 s[4:5], -1
                                        ; implicit-def: $sgpr0_sgpr1
	s_branch .LBB151_1353
.LBB151_1349:
	s_mov_b64 s[4:5], -1
                                        ; implicit-def: $sgpr0_sgpr1
.LBB151_1350:
	s_andn2_b64 vcc, exec, s[4:5]
	s_cbranch_vccnz .LBB151_1352
; %bb.1351:
	global_load_dword v1, v[10:11], off
	s_andn2_b64 s[0:1], s[0:1], exec
	s_waitcnt vmcnt(0)
	v_cmp_ne_u32_e32 vcc, 0, v1
	s_and_b64 s[4:5], vcc, exec
	s_or_b64 s[0:1], s[0:1], s[4:5]
.LBB151_1352:
	s_mov_b64 s[4:5], 0
.LBB151_1353:
	s_andn2_b64 vcc, exec, s[4:5]
	s_cbranch_vccnz .LBB151_1355
; %bb.1354:
	global_load_ushort v1, v[10:11], off
	s_andn2_b64 s[0:1], s[0:1], exec
	s_waitcnt vmcnt(0)
	v_cmp_ne_u16_e32 vcc, 0, v1
	s_and_b64 s[4:5], vcc, exec
	s_or_b64 s[0:1], s[0:1], s[4:5]
.LBB151_1355:
	s_mov_b64 s[4:5], 0
.LBB151_1356:
	s_andn2_b64 vcc, exec, s[4:5]
	s_cbranch_vccnz .LBB151_1362
; %bb.1357:
	s_cmp_gt_i32 s6, 0
	s_cbranch_scc0 .LBB151_1359
; %bb.1358:
	global_load_ubyte v1, v[10:11], off
	s_mov_b64 s[4:5], 0
	s_waitcnt vmcnt(0)
	v_cmp_ne_u16_e64 s[0:1], 0, v1
	s_branch .LBB151_1360
.LBB151_1359:
	s_mov_b64 s[4:5], -1
                                        ; implicit-def: $sgpr0_sgpr1
.LBB151_1360:
	s_andn2_b64 vcc, exec, s[4:5]
	s_cbranch_vccnz .LBB151_1362
; %bb.1361:
	global_load_ubyte v1, v[10:11], off
	s_andn2_b64 s[0:1], s[0:1], exec
	s_waitcnt vmcnt(0)
	v_cmp_ne_u16_e32 vcc, 0, v1
	s_and_b64 s[4:5], vcc, exec
	s_or_b64 s[0:1], s[0:1], s[4:5]
.LBB151_1362:
.LBB151_1363:
	s_cmp_lt_i32 s16, 1
	s_mov_b64 s[4:5], 0
	s_cbranch_scc1 .LBB151_1367
; %bb.1364:
	s_cmp_gt_i32 s16, 1
	s_cbranch_scc0 .LBB151_1368
; %bb.1365:
	s_cmp_eq_u32 s16, 2
	s_cbranch_scc0 .LBB151_1369
; %bb.1366:
	s_xor_b64 s[6:7], s[0:1], -1
	s_or_b64 s[6:7], s[14:15], s[6:7]
	s_mov_b64 s[18:19], 0
	s_branch .LBB151_1370
.LBB151_1367:
                                        ; implicit-def: $sgpr6_sgpr7
	s_mov_b64 s[18:19], 0
	s_cbranch_execnz .LBB151_1374
	s_branch .LBB151_1375
.LBB151_1368:
	s_mov_b64 s[20:21], -1
	s_mov_b64 s[18:19], 0
                                        ; implicit-def: $sgpr6_sgpr7
	s_branch .LBB151_1371
.LBB151_1369:
	s_mov_b64 s[18:19], -1
                                        ; implicit-def: $sgpr6_sgpr7
.LBB151_1370:
	s_mov_b64 s[20:21], 0
.LBB151_1371:
	s_and_b64 vcc, exec, s[20:21]
	s_cbranch_vccz .LBB151_1373
; %bb.1372:
	s_xor_b64 s[20:21], s[14:15], -1
	s_and_b64 s[20:21], s[0:1], s[20:21]
	s_andn2_b64 s[6:7], s[6:7], exec
	s_and_b64 s[20:21], s[20:21], exec
	s_or_b64 s[6:7], s[6:7], s[20:21]
.LBB151_1373:
	s_branch .LBB151_1375
.LBB151_1374:
	s_cmp_lg_u32 s16, 0
	s_mov_b64 s[4:5], -1
	s_cselect_b64 s[18:19], -1, 0
.LBB151_1375:
	s_andn2_b64 vcc, exec, s[18:19]
	s_cbranch_vccnz .LBB151_1377
; %bb.1376:
	s_xor_b64 s[4:5], s[0:1], -1
	s_and_b64 s[18:19], s[14:15], s[4:5]
	s_andn2_b64 s[6:7], s[6:7], exec
	s_and_b64 s[18:19], s[18:19], exec
	s_or_b64 s[6:7], s[6:7], s[18:19]
	s_cbranch_execz .LBB151_1378
	s_branch .LBB151_1379
.LBB151_1377:
	s_andn2_b64 vcc, exec, s[4:5]
	s_cbranch_vccnz .LBB151_1379
.LBB151_1378:
	s_xor_b64 s[4:5], s[14:15], -1
	s_or_b64 s[0:1], s[0:1], s[4:5]
	s_andn2_b64 s[4:5], s[6:7], exec
	s_and_b64 s[0:1], s[0:1], exec
	s_or_b64 s[6:7], s[4:5], s[0:1]
.LBB151_1379:
	v_mov_b32_e32 v1, s11
	v_add_co_u32_e32 v8, vcc, s10, v9
	s_cmp_lt_i32 s17, 11
	v_addc_co_u32_e32 v9, vcc, 0, v1, vcc
	s_cbranch_scc1 .LBB151_1386
; %bb.1380:
	s_and_b32 s24, 0xffff, s17
	s_cmp_gt_i32 s24, 25
	s_mov_b64 s[20:21], 0
	s_cbranch_scc0 .LBB151_1388
; %bb.1381:
	s_cmp_gt_i32 s24, 28
	s_cbranch_scc0 .LBB151_1389
; %bb.1382:
	s_cmp_gt_i32 s24, 43
	;; [unrolled: 3-line block ×3, first 2 shown]
	s_cbranch_scc0 .LBB151_1392
; %bb.1384:
	s_cmp_eq_u32 s24, 46
	s_mov_b64 s[22:23], 0
	s_cbranch_scc0 .LBB151_1393
; %bb.1385:
	global_load_dword v1, v[8:9], off
	s_mov_b64 s[4:5], 0
	s_mov_b64 s[18:19], -1
	s_waitcnt vmcnt(0)
	v_and_b32_e32 v1, 0x7fff7fff, v1
	v_cmp_ne_u32_e64 s[0:1], 0, v1
	s_branch .LBB151_1394
.LBB151_1386:
	s_mov_b64 s[18:19], 0
                                        ; implicit-def: $sgpr0_sgpr1
	s_cbranch_execnz .LBB151_1442
.LBB151_1387:
	s_andn2_b64 vcc, exec, s[18:19]
	s_cbranch_vccnz .LBB151_1622
	s_branch .LBB151_1490
.LBB151_1388:
	s_mov_b64 s[22:23], -1
	s_mov_b64 s[18:19], 0
	s_mov_b64 s[4:5], 0
                                        ; implicit-def: $sgpr0_sgpr1
	s_branch .LBB151_1415
.LBB151_1389:
	s_mov_b64 s[22:23], -1
	s_mov_b64 s[18:19], 0
	s_mov_b64 s[4:5], 0
                                        ; implicit-def: $sgpr0_sgpr1
	s_branch .LBB151_1402
.LBB151_1390:
	s_mov_b64 s[22:23], -1
	s_mov_b64 s[18:19], 0
	s_mov_b64 s[4:5], 0
                                        ; implicit-def: $sgpr0_sgpr1
	s_branch .LBB151_1397
.LBB151_1391:
	s_trap 2
	s_mov_b64 s[6:7], 0
	s_or_b64 s[2:3], s[2:3], exec
	s_cbranch_execz .LBB151_1314
	s_branch .LBB151_1315
.LBB151_1392:
	s_mov_b64 s[22:23], -1
	s_mov_b64 s[18:19], 0
	s_mov_b64 s[4:5], 0
                                        ; implicit-def: $sgpr0_sgpr1
	s_branch .LBB151_1394
.LBB151_1393:
	s_mov_b64 s[4:5], -1
                                        ; implicit-def: $sgpr0_sgpr1
	s_mov_b64 s[18:19], 0
.LBB151_1394:
	s_and_b64 vcc, exec, s[22:23]
	s_cbranch_vccz .LBB151_1396
; %bb.1395:
	s_cmp_lg_u32 s24, 44
	s_mov_b64 s[18:19], -1
	s_cselect_b64 s[4:5], -1, 0
	s_or_b64 s[0:1], s[0:1], exec
.LBB151_1396:
	s_mov_b64 s[22:23], 0
.LBB151_1397:
	s_and_b64 vcc, exec, s[22:23]
	s_cbranch_vccz .LBB151_1401
; %bb.1398:
	s_cmp_eq_u32 s24, 29
	s_cbranch_scc0 .LBB151_1400
; %bb.1399:
	global_load_dwordx2 v[10:11], v[8:9], off
	s_mov_b64 s[4:5], 0
	s_mov_b64 s[18:19], -1
	s_mov_b64 s[22:23], 0
	s_waitcnt vmcnt(0)
	v_cmp_ne_u64_e64 s[0:1], 0, v[10:11]
	s_branch .LBB151_1402
.LBB151_1400:
	s_mov_b64 s[4:5], -1
                                        ; implicit-def: $sgpr0_sgpr1
.LBB151_1401:
	s_mov_b64 s[22:23], 0
.LBB151_1402:
	s_and_b64 vcc, exec, s[22:23]
	s_cbranch_vccz .LBB151_1414
; %bb.1403:
	s_cmp_lt_i32 s24, 27
	s_cbranch_scc1 .LBB151_1406
; %bb.1404:
	s_cmp_gt_i32 s24, 27
	s_cbranch_scc0 .LBB151_1407
; %bb.1405:
	global_load_dword v1, v[8:9], off
	s_mov_b64 s[18:19], 0
	s_waitcnt vmcnt(0)
	v_cmp_ne_u32_e64 s[0:1], 0, v1
	s_branch .LBB151_1408
.LBB151_1406:
	s_mov_b64 s[18:19], -1
                                        ; implicit-def: $sgpr0_sgpr1
	s_branch .LBB151_1411
.LBB151_1407:
	s_mov_b64 s[18:19], -1
                                        ; implicit-def: $sgpr0_sgpr1
.LBB151_1408:
	s_andn2_b64 vcc, exec, s[18:19]
	s_cbranch_vccnz .LBB151_1410
; %bb.1409:
	global_load_ushort v1, v[8:9], off
	s_andn2_b64 s[0:1], s[0:1], exec
	s_waitcnt vmcnt(0)
	v_cmp_ne_u16_e32 vcc, 0, v1
	s_and_b64 s[18:19], vcc, exec
	s_or_b64 s[0:1], s[0:1], s[18:19]
.LBB151_1410:
	s_mov_b64 s[18:19], 0
.LBB151_1411:
	s_andn2_b64 vcc, exec, s[18:19]
	s_cbranch_vccnz .LBB151_1413
; %bb.1412:
	global_load_ubyte v1, v[8:9], off
	s_andn2_b64 s[0:1], s[0:1], exec
	s_waitcnt vmcnt(0)
	v_cmp_ne_u16_e32 vcc, 0, v1
	s_and_b64 s[18:19], vcc, exec
	s_or_b64 s[0:1], s[0:1], s[18:19]
.LBB151_1413:
	s_mov_b64 s[18:19], -1
.LBB151_1414:
	s_mov_b64 s[22:23], 0
.LBB151_1415:
	s_and_b64 vcc, exec, s[22:23]
	s_cbranch_vccz .LBB151_1438
; %bb.1416:
	s_cmp_gt_i32 s24, 22
	s_cbranch_scc0 .LBB151_1420
; %bb.1417:
	s_cmp_lt_i32 s24, 24
	s_cbranch_scc1 .LBB151_1421
; %bb.1418:
	s_cmp_gt_i32 s24, 24
	s_cbranch_scc0 .LBB151_1422
; %bb.1419:
	global_load_ubyte v1, v[8:9], off
	s_mov_b64 s[18:19], 0
	s_waitcnt vmcnt(0)
	v_cmp_ne_u16_e64 s[0:1], 0, v1
	s_branch .LBB151_1423
.LBB151_1420:
	s_mov_b64 s[20:21], -1
                                        ; implicit-def: $sgpr0_sgpr1
	s_branch .LBB151_1429
.LBB151_1421:
	s_mov_b64 s[18:19], -1
                                        ; implicit-def: $sgpr0_sgpr1
	s_branch .LBB151_1426
.LBB151_1422:
	s_mov_b64 s[18:19], -1
                                        ; implicit-def: $sgpr0_sgpr1
.LBB151_1423:
	s_andn2_b64 vcc, exec, s[18:19]
	s_cbranch_vccnz .LBB151_1425
; %bb.1424:
	global_load_ubyte v1, v[8:9], off
	s_andn2_b64 s[0:1], s[0:1], exec
	s_waitcnt vmcnt(0)
	v_and_b32_e32 v1, 0x7f, v1
	v_cmp_ne_u16_e32 vcc, 0, v1
	s_and_b64 s[18:19], vcc, exec
	s_or_b64 s[0:1], s[0:1], s[18:19]
.LBB151_1425:
	s_mov_b64 s[18:19], 0
.LBB151_1426:
	s_andn2_b64 vcc, exec, s[18:19]
	s_cbranch_vccnz .LBB151_1428
; %bb.1427:
	global_load_ubyte v1, v[8:9], off
	s_movk_i32 s18, 0x7f00
	s_brev_b32 s19, 16
	s_andn2_b64 s[0:1], s[0:1], exec
	s_waitcnt vmcnt(0)
	v_lshlrev_b32_e32 v3, 8, v1
	v_lshlrev_b32_e32 v1, 25, v1
	v_lshrrev_b32_e32 v5, 4, v1
	v_and_or_b32 v3, v3, s18, 0.5
	v_or_b32_e32 v5, 0x70000000, v5
	v_add_f32_e32 v3, -0.5, v3
	v_mul_f32_e32 v5, 0x7800000, v5
	v_cmp_gt_u32_e32 vcc, s19, v1
	v_cndmask_b32_e32 v1, v5, v3, vcc
	v_cmp_neq_f32_e32 vcc, 0, v1
	s_and_b64 s[18:19], vcc, exec
	s_or_b64 s[0:1], s[0:1], s[18:19]
.LBB151_1428:
	s_mov_b64 s[18:19], -1
.LBB151_1429:
	s_andn2_b64 vcc, exec, s[20:21]
	s_mov_b64 s[20:21], 0
	s_cbranch_vccnz .LBB151_1438
; %bb.1430:
	s_cmp_gt_i32 s24, 14
	s_cbranch_scc0 .LBB151_1433
; %bb.1431:
	s_cmp_eq_u32 s24, 15
	s_cbranch_scc0 .LBB151_1434
; %bb.1432:
	global_load_ushort v1, v[8:9], off
	s_mov_b64 s[4:5], 0
	s_mov_b64 s[18:19], -1
	s_waitcnt vmcnt(0)
	v_and_b32_e32 v1, 0x7fff, v1
	v_cmp_ne_u16_e64 s[0:1], 0, v1
	s_branch .LBB151_1435
.LBB151_1433:
	s_mov_b64 s[22:23], -1
                                        ; implicit-def: $sgpr0_sgpr1
	s_branch .LBB151_1436
.LBB151_1434:
	s_mov_b64 s[4:5], -1
                                        ; implicit-def: $sgpr0_sgpr1
.LBB151_1435:
	s_mov_b64 s[22:23], 0
.LBB151_1436:
	s_and_b64 vcc, exec, s[22:23]
	s_cbranch_vccz .LBB151_1438
; %bb.1437:
	s_cmp_lg_u32 s24, 11
	s_mov_b64 s[20:21], -1
	s_cselect_b64 s[4:5], -1, 0
.LBB151_1438:
	s_and_b64 vcc, exec, s[4:5]
	s_cbranch_vccnz .LBB151_1517
; %bb.1439:
	s_andn2_b64 vcc, exec, s[20:21]
	s_cbranch_vccnz .LBB151_1441
.LBB151_1440:
	global_load_ubyte v1, v[8:9], off
	s_andn2_b64 s[0:1], s[0:1], exec
	s_mov_b64 s[18:19], -1
	s_waitcnt vmcnt(0)
	v_cmp_ne_u16_e32 vcc, 0, v1
	s_and_b64 s[4:5], vcc, exec
	s_or_b64 s[0:1], s[0:1], s[4:5]
.LBB151_1441:
	s_branch .LBB151_1387
.LBB151_1442:
	s_and_b32 s18, 0xffff, s17
	s_cmp_lt_i32 s18, 5
	s_cbranch_scc1 .LBB151_1447
; %bb.1443:
	s_cmp_lt_i32 s18, 8
	s_cbranch_scc1 .LBB151_1448
; %bb.1444:
	;; [unrolled: 3-line block ×3, first 2 shown]
	s_cmp_gt_i32 s18, 9
	s_cbranch_scc0 .LBB151_1450
; %bb.1446:
	global_load_dwordx4 v[10:13], v[8:9], off
	s_mov_b64 s[4:5], 0
	s_waitcnt vmcnt(0)
	v_cmp_neq_f64_e32 vcc, 0, v[10:11]
	v_cmp_neq_f64_e64 s[0:1], 0, v[12:13]
	s_or_b64 s[0:1], vcc, s[0:1]
	s_branch .LBB151_1451
.LBB151_1447:
	s_mov_b64 s[4:5], -1
                                        ; implicit-def: $sgpr0_sgpr1
	s_branch .LBB151_1469
.LBB151_1448:
	s_mov_b64 s[4:5], -1
                                        ; implicit-def: $sgpr0_sgpr1
	s_branch .LBB151_1457
.LBB151_1449:
	s_mov_b64 s[4:5], -1
                                        ; implicit-def: $sgpr0_sgpr1
	s_branch .LBB151_1454
.LBB151_1450:
	s_mov_b64 s[4:5], -1
                                        ; implicit-def: $sgpr0_sgpr1
.LBB151_1451:
	s_andn2_b64 vcc, exec, s[4:5]
	s_cbranch_vccnz .LBB151_1453
; %bb.1452:
	global_load_dwordx2 v[10:11], v[8:9], off
	s_andn2_b64 s[0:1], s[0:1], exec
	s_waitcnt vmcnt(0)
	v_or_b32_e32 v1, v10, v11
	v_and_b32_e32 v1, 0x7fffffff, v1
	v_cmp_ne_u32_e32 vcc, 0, v1
	s_and_b64 s[4:5], vcc, exec
	s_or_b64 s[0:1], s[0:1], s[4:5]
.LBB151_1453:
	s_mov_b64 s[4:5], 0
.LBB151_1454:
	s_andn2_b64 vcc, exec, s[4:5]
	s_cbranch_vccnz .LBB151_1456
; %bb.1455:
	global_load_dword v1, v[8:9], off
	s_andn2_b64 s[0:1], s[0:1], exec
	s_waitcnt vmcnt(0)
	v_and_b32_e32 v1, 0x7fff7fff, v1
	v_cmp_ne_u32_e32 vcc, 0, v1
	s_and_b64 s[4:5], vcc, exec
	s_or_b64 s[0:1], s[0:1], s[4:5]
.LBB151_1456:
	s_mov_b64 s[4:5], 0
.LBB151_1457:
	s_andn2_b64 vcc, exec, s[4:5]
	s_cbranch_vccnz .LBB151_1468
; %bb.1458:
	s_cmp_lt_i32 s18, 6
	s_cbranch_scc1 .LBB151_1461
; %bb.1459:
	s_cmp_gt_i32 s18, 6
	s_cbranch_scc0 .LBB151_1462
; %bb.1460:
	global_load_dwordx2 v[10:11], v[8:9], off
	s_mov_b64 s[4:5], 0
	s_waitcnt vmcnt(0)
	v_cmp_neq_f64_e64 s[0:1], 0, v[10:11]
	s_branch .LBB151_1463
.LBB151_1461:
	s_mov_b64 s[4:5], -1
                                        ; implicit-def: $sgpr0_sgpr1
	s_branch .LBB151_1466
.LBB151_1462:
	s_mov_b64 s[4:5], -1
                                        ; implicit-def: $sgpr0_sgpr1
.LBB151_1463:
	s_andn2_b64 vcc, exec, s[4:5]
	s_cbranch_vccnz .LBB151_1465
; %bb.1464:
	global_load_dword v1, v[8:9], off
	s_andn2_b64 s[0:1], s[0:1], exec
	s_waitcnt vmcnt(0)
	v_cmp_neq_f32_e32 vcc, 0, v1
	s_and_b64 s[4:5], vcc, exec
	s_or_b64 s[0:1], s[0:1], s[4:5]
.LBB151_1465:
	s_mov_b64 s[4:5], 0
.LBB151_1466:
	s_andn2_b64 vcc, exec, s[4:5]
	s_cbranch_vccnz .LBB151_1468
; %bb.1467:
	global_load_ushort v1, v[8:9], off
	s_andn2_b64 s[0:1], s[0:1], exec
	s_waitcnt vmcnt(0)
	v_and_b32_e32 v1, 0x7fff, v1
	v_cmp_ne_u16_e32 vcc, 0, v1
	s_and_b64 s[4:5], vcc, exec
	s_or_b64 s[0:1], s[0:1], s[4:5]
.LBB151_1468:
	s_mov_b64 s[4:5], 0
.LBB151_1469:
	s_andn2_b64 vcc, exec, s[4:5]
	s_cbranch_vccnz .LBB151_1489
; %bb.1470:
	s_cmp_lt_i32 s18, 2
	s_cbranch_scc1 .LBB151_1474
; %bb.1471:
	s_cmp_lt_i32 s18, 3
	s_cbranch_scc1 .LBB151_1475
; %bb.1472:
	s_cmp_gt_i32 s18, 3
	s_cbranch_scc0 .LBB151_1476
; %bb.1473:
	global_load_dwordx2 v[10:11], v[8:9], off
	s_mov_b64 s[4:5], 0
	s_waitcnt vmcnt(0)
	v_cmp_ne_u64_e64 s[0:1], 0, v[10:11]
	s_branch .LBB151_1477
.LBB151_1474:
	s_mov_b64 s[4:5], -1
                                        ; implicit-def: $sgpr0_sgpr1
	s_branch .LBB151_1483
.LBB151_1475:
	s_mov_b64 s[4:5], -1
                                        ; implicit-def: $sgpr0_sgpr1
	s_branch .LBB151_1480
.LBB151_1476:
	s_mov_b64 s[4:5], -1
                                        ; implicit-def: $sgpr0_sgpr1
.LBB151_1477:
	s_andn2_b64 vcc, exec, s[4:5]
	s_cbranch_vccnz .LBB151_1479
; %bb.1478:
	global_load_dword v1, v[8:9], off
	s_andn2_b64 s[0:1], s[0:1], exec
	s_waitcnt vmcnt(0)
	v_cmp_ne_u32_e32 vcc, 0, v1
	s_and_b64 s[4:5], vcc, exec
	s_or_b64 s[0:1], s[0:1], s[4:5]
.LBB151_1479:
	s_mov_b64 s[4:5], 0
.LBB151_1480:
	s_andn2_b64 vcc, exec, s[4:5]
	s_cbranch_vccnz .LBB151_1482
; %bb.1481:
	global_load_ushort v1, v[8:9], off
	s_andn2_b64 s[0:1], s[0:1], exec
	s_waitcnt vmcnt(0)
	v_cmp_ne_u16_e32 vcc, 0, v1
	s_and_b64 s[4:5], vcc, exec
	s_or_b64 s[0:1], s[0:1], s[4:5]
.LBB151_1482:
	s_mov_b64 s[4:5], 0
.LBB151_1483:
	s_andn2_b64 vcc, exec, s[4:5]
	s_cbranch_vccnz .LBB151_1489
; %bb.1484:
	s_cmp_gt_i32 s18, 0
	s_cbranch_scc0 .LBB151_1486
; %bb.1485:
	global_load_ubyte v1, v[8:9], off
	s_mov_b64 s[4:5], 0
	s_waitcnt vmcnt(0)
	v_cmp_ne_u16_e64 s[0:1], 0, v1
	s_branch .LBB151_1487
.LBB151_1486:
	s_mov_b64 s[4:5], -1
                                        ; implicit-def: $sgpr0_sgpr1
.LBB151_1487:
	s_andn2_b64 vcc, exec, s[4:5]
	s_cbranch_vccnz .LBB151_1489
; %bb.1488:
	global_load_ubyte v1, v[8:9], off
	s_andn2_b64 s[0:1], s[0:1], exec
	s_waitcnt vmcnt(0)
	v_cmp_ne_u16_e32 vcc, 0, v1
	s_and_b64 s[4:5], vcc, exec
	s_or_b64 s[0:1], s[0:1], s[4:5]
.LBB151_1489:
.LBB151_1490:
	s_cmp_lt_i32 s16, 1
	s_mov_b64 s[18:19], 0
	s_cbranch_scc1 .LBB151_1494
; %bb.1491:
	s_cmp_gt_i32 s16, 1
	s_cbranch_scc0 .LBB151_1497
; %bb.1492:
	s_cmp_eq_u32 s16, 2
	s_cbranch_scc0 .LBB151_1498
; %bb.1493:
	s_xor_b64 s[4:5], s[0:1], -1
	s_or_b64 s[4:5], s[14:15], s[4:5]
	s_mov_b64 s[20:21], 0
	s_branch .LBB151_1499
.LBB151_1494:
                                        ; implicit-def: $sgpr4_sgpr5
	s_mov_b64 s[20:21], 0
	s_cbranch_execnz .LBB151_1503
.LBB151_1495:
	s_andn2_b64 vcc, exec, s[20:21]
	s_cbranch_vccnz .LBB151_1504
.LBB151_1496:
	s_xor_b64 s[18:19], s[0:1], -1
	s_and_b64 s[20:21], s[14:15], s[18:19]
	s_andn2_b64 s[4:5], s[4:5], exec
	s_and_b64 s[20:21], s[20:21], exec
	s_or_b64 s[4:5], s[4:5], s[20:21]
	s_cbranch_execz .LBB151_1505
	s_branch .LBB151_1506
.LBB151_1497:
	s_mov_b64 s[22:23], -1
	s_mov_b64 s[20:21], 0
                                        ; implicit-def: $sgpr4_sgpr5
	s_branch .LBB151_1500
.LBB151_1498:
	s_mov_b64 s[20:21], -1
                                        ; implicit-def: $sgpr4_sgpr5
.LBB151_1499:
	s_mov_b64 s[22:23], 0
.LBB151_1500:
	s_and_b64 vcc, exec, s[22:23]
	s_cbranch_vccz .LBB151_1502
; %bb.1501:
	s_xor_b64 s[22:23], s[14:15], -1
	s_and_b64 s[22:23], s[0:1], s[22:23]
	s_andn2_b64 s[4:5], s[4:5], exec
	s_and_b64 s[22:23], s[22:23], exec
	s_or_b64 s[4:5], s[4:5], s[22:23]
.LBB151_1502:
	s_branch .LBB151_1495
.LBB151_1503:
	s_cmp_lg_u32 s16, 0
	s_mov_b64 s[18:19], -1
	s_cselect_b64 s[20:21], -1, 0
	s_andn2_b64 vcc, exec, s[20:21]
	s_cbranch_vccz .LBB151_1496
.LBB151_1504:
	s_andn2_b64 vcc, exec, s[18:19]
	s_cbranch_vccnz .LBB151_1506
.LBB151_1505:
	s_xor_b64 s[18:19], s[14:15], -1
	s_or_b64 s[0:1], s[0:1], s[18:19]
	s_andn2_b64 s[4:5], s[4:5], exec
	s_and_b64 s[0:1], s[0:1], exec
	s_or_b64 s[4:5], s[4:5], s[0:1]
.LBB151_1506:
	v_mov_b32_e32 v1, s11
	v_add_co_u32_e32 v7, vcc, s10, v7
	s_cmp_lt_i32 s17, 11
	v_addc_co_u32_e32 v8, vcc, 0, v1, vcc
	s_cbranch_scc1 .LBB151_1513
; %bb.1507:
	s_and_b32 s24, 0xffff, s17
	s_cmp_gt_i32 s24, 25
	s_mov_b64 s[20:21], 0
	s_cbranch_scc0 .LBB151_1514
; %bb.1508:
	s_cmp_gt_i32 s24, 28
	s_cbranch_scc0 .LBB151_1515
; %bb.1509:
	s_cmp_gt_i32 s24, 43
	;; [unrolled: 3-line block ×3, first 2 shown]
	s_cbranch_scc0 .LBB151_1518
; %bb.1511:
	s_cmp_eq_u32 s24, 46
	s_mov_b64 s[22:23], 0
	s_cbranch_scc0 .LBB151_1519
; %bb.1512:
	global_load_dword v1, v[7:8], off
	s_mov_b64 s[10:11], 0
	s_mov_b64 s[18:19], -1
	s_waitcnt vmcnt(0)
	v_and_b32_e32 v1, 0x7fff7fff, v1
	v_cmp_ne_u32_e64 s[0:1], 0, v1
	s_branch .LBB151_1520
.LBB151_1513:
	s_mov_b64 s[10:11], -1
	s_mov_b64 s[18:19], 0
                                        ; implicit-def: $sgpr0_sgpr1
	s_branch .LBB151_1568
.LBB151_1514:
	s_mov_b64 s[22:23], -1
	s_mov_b64 s[18:19], 0
	s_mov_b64 s[10:11], 0
                                        ; implicit-def: $sgpr0_sgpr1
	s_branch .LBB151_1541
.LBB151_1515:
	s_mov_b64 s[22:23], -1
	s_mov_b64 s[18:19], 0
	s_mov_b64 s[10:11], 0
                                        ; implicit-def: $sgpr0_sgpr1
	s_branch .LBB151_1528
.LBB151_1516:
	s_mov_b64 s[22:23], -1
	s_mov_b64 s[18:19], 0
	s_mov_b64 s[10:11], 0
                                        ; implicit-def: $sgpr0_sgpr1
	s_branch .LBB151_1523
.LBB151_1517:
	s_trap 2
	s_mov_b64 s[18:19], 0
	s_or_b64 s[2:3], s[2:3], exec
	s_cbranch_execz .LBB151_1440
	s_branch .LBB151_1441
.LBB151_1518:
	s_mov_b64 s[22:23], -1
	s_mov_b64 s[18:19], 0
	s_mov_b64 s[10:11], 0
                                        ; implicit-def: $sgpr0_sgpr1
	s_branch .LBB151_1520
.LBB151_1519:
	s_mov_b64 s[10:11], -1
                                        ; implicit-def: $sgpr0_sgpr1
	s_mov_b64 s[18:19], 0
.LBB151_1520:
	s_and_b64 vcc, exec, s[22:23]
	s_cbranch_vccz .LBB151_1522
; %bb.1521:
	s_cmp_lg_u32 s24, 44
	s_mov_b64 s[18:19], -1
	s_cselect_b64 s[10:11], -1, 0
	s_or_b64 s[0:1], s[0:1], exec
.LBB151_1522:
	s_mov_b64 s[22:23], 0
.LBB151_1523:
	s_and_b64 vcc, exec, s[22:23]
	s_cbranch_vccz .LBB151_1527
; %bb.1524:
	s_cmp_eq_u32 s24, 29
	s_cbranch_scc0 .LBB151_1526
; %bb.1525:
	global_load_dwordx2 v[9:10], v[7:8], off
	s_mov_b64 s[10:11], 0
	s_mov_b64 s[18:19], -1
	s_mov_b64 s[22:23], 0
	s_waitcnt vmcnt(0)
	v_cmp_ne_u64_e64 s[0:1], 0, v[9:10]
	s_branch .LBB151_1528
.LBB151_1526:
	s_mov_b64 s[10:11], -1
                                        ; implicit-def: $sgpr0_sgpr1
.LBB151_1527:
	s_mov_b64 s[22:23], 0
.LBB151_1528:
	s_and_b64 vcc, exec, s[22:23]
	s_cbranch_vccz .LBB151_1540
; %bb.1529:
	s_cmp_lt_i32 s24, 27
	s_cbranch_scc1 .LBB151_1532
; %bb.1530:
	s_cmp_gt_i32 s24, 27
	s_cbranch_scc0 .LBB151_1533
; %bb.1531:
	global_load_dword v1, v[7:8], off
	s_mov_b64 s[18:19], 0
	s_waitcnt vmcnt(0)
	v_cmp_ne_u32_e64 s[0:1], 0, v1
	s_branch .LBB151_1534
.LBB151_1532:
	s_mov_b64 s[18:19], -1
                                        ; implicit-def: $sgpr0_sgpr1
	s_branch .LBB151_1537
.LBB151_1533:
	s_mov_b64 s[18:19], -1
                                        ; implicit-def: $sgpr0_sgpr1
.LBB151_1534:
	s_andn2_b64 vcc, exec, s[18:19]
	s_cbranch_vccnz .LBB151_1536
; %bb.1535:
	global_load_ushort v1, v[7:8], off
	s_andn2_b64 s[0:1], s[0:1], exec
	s_waitcnt vmcnt(0)
	v_cmp_ne_u16_e32 vcc, 0, v1
	s_and_b64 s[18:19], vcc, exec
	s_or_b64 s[0:1], s[0:1], s[18:19]
.LBB151_1536:
	s_mov_b64 s[18:19], 0
.LBB151_1537:
	s_andn2_b64 vcc, exec, s[18:19]
	s_cbranch_vccnz .LBB151_1539
; %bb.1538:
	global_load_ubyte v1, v[7:8], off
	s_andn2_b64 s[0:1], s[0:1], exec
	s_waitcnt vmcnt(0)
	v_cmp_ne_u16_e32 vcc, 0, v1
	s_and_b64 s[18:19], vcc, exec
	s_or_b64 s[0:1], s[0:1], s[18:19]
.LBB151_1539:
	s_mov_b64 s[18:19], -1
.LBB151_1540:
	s_mov_b64 s[22:23], 0
.LBB151_1541:
	s_and_b64 vcc, exec, s[22:23]
	s_cbranch_vccz .LBB151_1564
; %bb.1542:
	s_cmp_gt_i32 s24, 22
	s_cbranch_scc0 .LBB151_1546
; %bb.1543:
	s_cmp_lt_i32 s24, 24
	s_cbranch_scc1 .LBB151_1547
; %bb.1544:
	s_cmp_gt_i32 s24, 24
	s_cbranch_scc0 .LBB151_1548
; %bb.1545:
	global_load_ubyte v1, v[7:8], off
	s_mov_b64 s[18:19], 0
	s_waitcnt vmcnt(0)
	v_cmp_ne_u16_e64 s[0:1], 0, v1
	s_branch .LBB151_1549
.LBB151_1546:
	s_mov_b64 s[20:21], -1
                                        ; implicit-def: $sgpr0_sgpr1
	s_branch .LBB151_1555
.LBB151_1547:
	s_mov_b64 s[18:19], -1
                                        ; implicit-def: $sgpr0_sgpr1
	s_branch .LBB151_1552
.LBB151_1548:
	s_mov_b64 s[18:19], -1
                                        ; implicit-def: $sgpr0_sgpr1
.LBB151_1549:
	s_andn2_b64 vcc, exec, s[18:19]
	s_cbranch_vccnz .LBB151_1551
; %bb.1550:
	global_load_ubyte v1, v[7:8], off
	s_andn2_b64 s[0:1], s[0:1], exec
	s_waitcnt vmcnt(0)
	v_and_b32_e32 v1, 0x7f, v1
	v_cmp_ne_u16_e32 vcc, 0, v1
	s_and_b64 s[18:19], vcc, exec
	s_or_b64 s[0:1], s[0:1], s[18:19]
.LBB151_1551:
	s_mov_b64 s[18:19], 0
.LBB151_1552:
	s_andn2_b64 vcc, exec, s[18:19]
	s_cbranch_vccnz .LBB151_1554
; %bb.1553:
	global_load_ubyte v1, v[7:8], off
	s_movk_i32 s18, 0x7f00
	s_brev_b32 s19, 16
	s_andn2_b64 s[0:1], s[0:1], exec
	s_waitcnt vmcnt(0)
	v_lshlrev_b32_e32 v3, 8, v1
	v_lshlrev_b32_e32 v1, 25, v1
	v_lshrrev_b32_e32 v5, 4, v1
	v_and_or_b32 v3, v3, s18, 0.5
	v_or_b32_e32 v5, 0x70000000, v5
	v_add_f32_e32 v3, -0.5, v3
	v_mul_f32_e32 v5, 0x7800000, v5
	v_cmp_gt_u32_e32 vcc, s19, v1
	v_cndmask_b32_e32 v1, v5, v3, vcc
	v_cmp_neq_f32_e32 vcc, 0, v1
	s_and_b64 s[18:19], vcc, exec
	s_or_b64 s[0:1], s[0:1], s[18:19]
.LBB151_1554:
	s_mov_b64 s[18:19], -1
.LBB151_1555:
	s_andn2_b64 vcc, exec, s[20:21]
	s_mov_b64 s[20:21], 0
	s_cbranch_vccnz .LBB151_1564
; %bb.1556:
	s_cmp_gt_i32 s24, 14
	s_cbranch_scc0 .LBB151_1559
; %bb.1557:
	s_cmp_eq_u32 s24, 15
	s_cbranch_scc0 .LBB151_1560
; %bb.1558:
	global_load_ushort v1, v[7:8], off
	s_mov_b64 s[10:11], 0
	s_mov_b64 s[18:19], -1
	s_waitcnt vmcnt(0)
	v_and_b32_e32 v1, 0x7fff, v1
	v_cmp_ne_u16_e64 s[0:1], 0, v1
	s_branch .LBB151_1561
.LBB151_1559:
	s_mov_b64 s[22:23], -1
                                        ; implicit-def: $sgpr0_sgpr1
	s_branch .LBB151_1562
.LBB151_1560:
	s_mov_b64 s[10:11], -1
                                        ; implicit-def: $sgpr0_sgpr1
.LBB151_1561:
	s_mov_b64 s[22:23], 0
.LBB151_1562:
	s_and_b64 vcc, exec, s[22:23]
	s_cbranch_vccz .LBB151_1564
; %bb.1563:
	s_cmp_lg_u32 s24, 11
	s_mov_b64 s[20:21], -1
	s_cselect_b64 s[10:11], -1, 0
.LBB151_1564:
	s_and_b64 vcc, exec, s[10:11]
	s_cbranch_vccnz .LBB151_2116
; %bb.1565:
	s_andn2_b64 vcc, exec, s[20:21]
	s_cbranch_vccnz .LBB151_1567
.LBB151_1566:
	global_load_ubyte v1, v[7:8], off
	s_andn2_b64 s[0:1], s[0:1], exec
	s_mov_b64 s[18:19], -1
	s_waitcnt vmcnt(0)
	v_cmp_ne_u16_e32 vcc, 0, v1
	s_and_b64 s[10:11], vcc, exec
	s_or_b64 s[0:1], s[0:1], s[10:11]
.LBB151_1567:
	s_mov_b64 s[10:11], 0
.LBB151_1568:
	s_and_b64 vcc, exec, s[10:11]
	s_cbranch_vccz .LBB151_1617
; %bb.1569:
	s_and_b32 s17, 0xffff, s17
	s_cmp_lt_i32 s17, 5
	s_cbranch_scc1 .LBB151_1574
; %bb.1570:
	s_cmp_lt_i32 s17, 8
	s_cbranch_scc1 .LBB151_1575
; %bb.1571:
	;; [unrolled: 3-line block ×3, first 2 shown]
	s_cmp_gt_i32 s17, 9
	s_cbranch_scc0 .LBB151_1577
; %bb.1573:
	global_load_dwordx4 v[9:12], v[7:8], off
	s_mov_b64 s[10:11], 0
	s_waitcnt vmcnt(0)
	v_cmp_neq_f64_e32 vcc, 0, v[9:10]
	v_cmp_neq_f64_e64 s[0:1], 0, v[11:12]
	s_or_b64 s[0:1], vcc, s[0:1]
	s_branch .LBB151_1578
.LBB151_1574:
	s_mov_b64 s[10:11], -1
                                        ; implicit-def: $sgpr0_sgpr1
	s_branch .LBB151_1596
.LBB151_1575:
	s_mov_b64 s[10:11], -1
                                        ; implicit-def: $sgpr0_sgpr1
	s_branch .LBB151_1584
.LBB151_1576:
	s_mov_b64 s[10:11], -1
                                        ; implicit-def: $sgpr0_sgpr1
	s_branch .LBB151_1581
.LBB151_1577:
	s_mov_b64 s[10:11], -1
                                        ; implicit-def: $sgpr0_sgpr1
.LBB151_1578:
	s_andn2_b64 vcc, exec, s[10:11]
	s_cbranch_vccnz .LBB151_1580
; %bb.1579:
	global_load_dwordx2 v[9:10], v[7:8], off
	s_andn2_b64 s[0:1], s[0:1], exec
	s_waitcnt vmcnt(0)
	v_or_b32_e32 v1, v9, v10
	v_and_b32_e32 v1, 0x7fffffff, v1
	v_cmp_ne_u32_e32 vcc, 0, v1
	s_and_b64 s[10:11], vcc, exec
	s_or_b64 s[0:1], s[0:1], s[10:11]
.LBB151_1580:
	s_mov_b64 s[10:11], 0
.LBB151_1581:
	s_andn2_b64 vcc, exec, s[10:11]
	s_cbranch_vccnz .LBB151_1583
; %bb.1582:
	global_load_dword v1, v[7:8], off
	s_andn2_b64 s[0:1], s[0:1], exec
	s_waitcnt vmcnt(0)
	v_and_b32_e32 v1, 0x7fff7fff, v1
	v_cmp_ne_u32_e32 vcc, 0, v1
	s_and_b64 s[10:11], vcc, exec
	s_or_b64 s[0:1], s[0:1], s[10:11]
.LBB151_1583:
	s_mov_b64 s[10:11], 0
.LBB151_1584:
	s_andn2_b64 vcc, exec, s[10:11]
	s_cbranch_vccnz .LBB151_1595
; %bb.1585:
	s_cmp_lt_i32 s17, 6
	s_cbranch_scc1 .LBB151_1588
; %bb.1586:
	s_cmp_gt_i32 s17, 6
	s_cbranch_scc0 .LBB151_1589
; %bb.1587:
	global_load_dwordx2 v[9:10], v[7:8], off
	s_mov_b64 s[10:11], 0
	s_waitcnt vmcnt(0)
	v_cmp_neq_f64_e64 s[0:1], 0, v[9:10]
	s_branch .LBB151_1590
.LBB151_1588:
	s_mov_b64 s[10:11], -1
                                        ; implicit-def: $sgpr0_sgpr1
	s_branch .LBB151_1593
.LBB151_1589:
	s_mov_b64 s[10:11], -1
                                        ; implicit-def: $sgpr0_sgpr1
.LBB151_1590:
	s_andn2_b64 vcc, exec, s[10:11]
	s_cbranch_vccnz .LBB151_1592
; %bb.1591:
	global_load_dword v1, v[7:8], off
	s_andn2_b64 s[0:1], s[0:1], exec
	s_waitcnt vmcnt(0)
	v_cmp_neq_f32_e32 vcc, 0, v1
	s_and_b64 s[10:11], vcc, exec
	s_or_b64 s[0:1], s[0:1], s[10:11]
.LBB151_1592:
	s_mov_b64 s[10:11], 0
.LBB151_1593:
	s_andn2_b64 vcc, exec, s[10:11]
	s_cbranch_vccnz .LBB151_1595
; %bb.1594:
	global_load_ushort v1, v[7:8], off
	s_andn2_b64 s[0:1], s[0:1], exec
	s_waitcnt vmcnt(0)
	v_and_b32_e32 v1, 0x7fff, v1
	v_cmp_ne_u16_e32 vcc, 0, v1
	s_and_b64 s[10:11], vcc, exec
	s_or_b64 s[0:1], s[0:1], s[10:11]
.LBB151_1595:
	s_mov_b64 s[10:11], 0
.LBB151_1596:
	s_andn2_b64 vcc, exec, s[10:11]
	s_cbranch_vccnz .LBB151_1616
; %bb.1597:
	s_cmp_lt_i32 s17, 2
	s_cbranch_scc1 .LBB151_1601
; %bb.1598:
	s_cmp_lt_i32 s17, 3
	s_cbranch_scc1 .LBB151_1602
; %bb.1599:
	s_cmp_gt_i32 s17, 3
	s_cbranch_scc0 .LBB151_1603
; %bb.1600:
	global_load_dwordx2 v[9:10], v[7:8], off
	s_mov_b64 s[10:11], 0
	s_waitcnt vmcnt(0)
	v_cmp_ne_u64_e64 s[0:1], 0, v[9:10]
	s_branch .LBB151_1604
.LBB151_1601:
	s_mov_b64 s[10:11], -1
                                        ; implicit-def: $sgpr0_sgpr1
	s_branch .LBB151_1610
.LBB151_1602:
	s_mov_b64 s[10:11], -1
                                        ; implicit-def: $sgpr0_sgpr1
	s_branch .LBB151_1607
.LBB151_1603:
	s_mov_b64 s[10:11], -1
                                        ; implicit-def: $sgpr0_sgpr1
.LBB151_1604:
	s_andn2_b64 vcc, exec, s[10:11]
	s_cbranch_vccnz .LBB151_1606
; %bb.1605:
	global_load_dword v1, v[7:8], off
	s_andn2_b64 s[0:1], s[0:1], exec
	s_waitcnt vmcnt(0)
	v_cmp_ne_u32_e32 vcc, 0, v1
	s_and_b64 s[10:11], vcc, exec
	s_or_b64 s[0:1], s[0:1], s[10:11]
.LBB151_1606:
	s_mov_b64 s[10:11], 0
.LBB151_1607:
	s_andn2_b64 vcc, exec, s[10:11]
	s_cbranch_vccnz .LBB151_1609
; %bb.1608:
	global_load_ushort v1, v[7:8], off
	s_andn2_b64 s[0:1], s[0:1], exec
	s_waitcnt vmcnt(0)
	v_cmp_ne_u16_e32 vcc, 0, v1
	s_and_b64 s[10:11], vcc, exec
	s_or_b64 s[0:1], s[0:1], s[10:11]
.LBB151_1609:
	s_mov_b64 s[10:11], 0
.LBB151_1610:
	s_andn2_b64 vcc, exec, s[10:11]
	s_cbranch_vccnz .LBB151_1616
; %bb.1611:
	s_cmp_gt_i32 s17, 0
	s_cbranch_scc0 .LBB151_1613
; %bb.1612:
	global_load_ubyte v1, v[7:8], off
	s_mov_b64 s[10:11], 0
	s_waitcnt vmcnt(0)
	v_cmp_ne_u16_e64 s[0:1], 0, v1
	s_branch .LBB151_1614
.LBB151_1613:
	s_mov_b64 s[10:11], -1
                                        ; implicit-def: $sgpr0_sgpr1
.LBB151_1614:
	s_andn2_b64 vcc, exec, s[10:11]
	s_cbranch_vccnz .LBB151_1616
; %bb.1615:
	global_load_ubyte v1, v[7:8], off
	s_andn2_b64 s[0:1], s[0:1], exec
	s_waitcnt vmcnt(0)
	v_cmp_ne_u16_e32 vcc, 0, v1
	s_and_b64 s[10:11], vcc, exec
	s_or_b64 s[0:1], s[0:1], s[10:11]
.LBB151_1616:
	s_mov_b64 s[18:19], -1
.LBB151_1617:
	s_andn2_b64 vcc, exec, s[18:19]
	s_cbranch_vccnz .LBB151_1622
; %bb.1618:
	s_cmp_lt_i32 s16, 1
	s_mov_b64 s[18:19], 0
	s_cbranch_scc1 .LBB151_1668
; %bb.1619:
	s_cmp_gt_i32 s16, 1
	s_cbranch_scc0 .LBB151_1669
; %bb.1620:
	s_cmp_eq_u32 s16, 2
	s_cbranch_scc0 .LBB151_1670
; %bb.1621:
	s_xor_b64 s[10:11], s[0:1], -1
	s_or_b64 s[10:11], s[14:15], s[10:11]
	s_mov_b64 s[20:21], 0
	s_branch .LBB151_1671
.LBB151_1622:
	s_mov_b64 s[0:1], 0
                                        ; implicit-def: $sgpr10_sgpr11
.LBB151_1623:
	s_mov_b64 s[4:5], 0
                                        ; implicit-def: $vgpr0_vgpr1
                                        ; implicit-def: $sgpr22
.LBB151_1624:
	s_and_b64 s[6:7], s[4:5], exec
	s_andn2_b64 s[4:5], s[28:29], exec
	s_and_b64 s[2:3], s[2:3], exec
	s_and_b64 s[0:1], s[0:1], exec
	s_or_b64 s[28:29], s[4:5], s[2:3]
.LBB151_1625:
	s_or_b64 exec, exec, s[30:31]
	s_and_saveexec_b64 s[2:3], s[28:29]
	s_cbranch_execz .LBB151_1628
; %bb.1626:
	; divergent unreachable
	s_or_b64 exec, exec, s[2:3]
	s_and_saveexec_b64 s[2:3], s[6:7]
	s_xor_b64 s[2:3], exec, s[2:3]
	s_cbranch_execnz .LBB151_1629
.LBB151_1627:
	s_or_b64 exec, exec, s[2:3]
	s_and_saveexec_b64 s[2:3], s[0:1]
	s_cbranch_execnz .LBB151_1630
	s_branch .LBB151_1667
.LBB151_1628:
	s_or_b64 exec, exec, s[2:3]
	s_and_saveexec_b64 s[2:3], s[6:7]
	s_xor_b64 s[2:3], exec, s[2:3]
	s_cbranch_execz .LBB151_1627
.LBB151_1629:
	v_cndmask_b32_e64 v2, 0, 1, s[10:11]
	global_store_byte v[0:1], v2, off
	s_or_b64 exec, exec, s[2:3]
	s_and_saveexec_b64 s[2:3], s[0:1]
	s_cbranch_execz .LBB151_1667
.LBB151_1630:
	s_sext_i32_i16 s2, s22
	s_cmp_lt_i32 s2, 5
	s_mov_b64 s[0:1], -1
	s_cbranch_scc1 .LBB151_1651
; %bb.1631:
	s_cmp_lt_i32 s2, 8
	s_cbranch_scc1 .LBB151_1641
; %bb.1632:
	s_cmp_lt_i32 s2, 9
	s_cbranch_scc1 .LBB151_1638
; %bb.1633:
	s_cmp_gt_i32 s2, 9
	s_cbranch_scc0 .LBB151_1635
; %bb.1634:
	v_cndmask_b32_e64 v2, 0, 1, s[10:11]
	v_cvt_f64_u32_e32 v[2:3], v2
	v_mov_b32_e32 v4, 0
	v_mov_b32_e32 v5, v4
	s_mov_b64 s[0:1], 0
	global_store_dwordx4 v[0:1], v[2:5], off
.LBB151_1635:
	s_andn2_b64 vcc, exec, s[0:1]
	s_cbranch_vccnz .LBB151_1637
; %bb.1636:
	v_cndmask_b32_e64 v2, 0, 1.0, s[10:11]
	v_mov_b32_e32 v3, 0
	global_store_dwordx2 v[0:1], v[2:3], off
.LBB151_1637:
	s_mov_b64 s[0:1], 0
.LBB151_1638:
	s_andn2_b64 vcc, exec, s[0:1]
	s_cbranch_vccnz .LBB151_1640
; %bb.1639:
	v_cndmask_b32_e64 v2, 0, 1.0, s[10:11]
	v_cvt_f16_f32_e32 v2, v2
	global_store_dword v[0:1], v2, off
.LBB151_1640:
	s_mov_b64 s[0:1], 0
.LBB151_1641:
	s_andn2_b64 vcc, exec, s[0:1]
	s_cbranch_vccnz .LBB151_1650
; %bb.1642:
	s_sext_i32_i16 s2, s22
	s_cmp_lt_i32 s2, 6
	s_mov_b64 s[0:1], -1
	s_cbranch_scc1 .LBB151_1648
; %bb.1643:
	s_cmp_gt_i32 s2, 6
	s_cbranch_scc0 .LBB151_1645
; %bb.1644:
	v_cndmask_b32_e64 v2, 0, 1, s[10:11]
	v_cvt_f64_u32_e32 v[2:3], v2
	s_mov_b64 s[0:1], 0
	global_store_dwordx2 v[0:1], v[2:3], off
.LBB151_1645:
	s_andn2_b64 vcc, exec, s[0:1]
	s_cbranch_vccnz .LBB151_1647
; %bb.1646:
	v_cndmask_b32_e64 v2, 0, 1.0, s[10:11]
	global_store_dword v[0:1], v2, off
.LBB151_1647:
	s_mov_b64 s[0:1], 0
.LBB151_1648:
	s_andn2_b64 vcc, exec, s[0:1]
	s_cbranch_vccnz .LBB151_1650
; %bb.1649:
	v_cndmask_b32_e64 v2, 0, 1.0, s[10:11]
	v_cvt_f16_f32_e32 v2, v2
	global_store_short v[0:1], v2, off
.LBB151_1650:
	s_mov_b64 s[0:1], 0
.LBB151_1651:
	s_andn2_b64 vcc, exec, s[0:1]
	s_cbranch_vccnz .LBB151_1667
; %bb.1652:
	s_sext_i32_i16 s2, s22
	s_cmp_lt_i32 s2, 2
	s_mov_b64 s[0:1], -1
	s_cbranch_scc1 .LBB151_1662
; %bb.1653:
	s_cmp_lt_i32 s2, 3
	s_cbranch_scc1 .LBB151_1659
; %bb.1654:
	s_cmp_gt_i32 s2, 3
	s_cbranch_scc0 .LBB151_1656
; %bb.1655:
	s_mov_b32 s0, 0
	v_cndmask_b32_e64 v2, 0, 1, s[10:11]
	v_mov_b32_e32 v3, s0
	global_store_dwordx2 v[0:1], v[2:3], off
	s_mov_b64 s[0:1], 0
.LBB151_1656:
	s_andn2_b64 vcc, exec, s[0:1]
	s_cbranch_vccnz .LBB151_1658
; %bb.1657:
	v_cndmask_b32_e64 v2, 0, 1, s[10:11]
	global_store_dword v[0:1], v2, off
.LBB151_1658:
	s_mov_b64 s[0:1], 0
.LBB151_1659:
	s_andn2_b64 vcc, exec, s[0:1]
	s_cbranch_vccnz .LBB151_1661
; %bb.1660:
	v_cndmask_b32_e64 v2, 0, 1, s[10:11]
	global_store_short v[0:1], v2, off
.LBB151_1661:
	s_mov_b64 s[0:1], 0
.LBB151_1662:
	s_andn2_b64 vcc, exec, s[0:1]
	s_cbranch_vccnz .LBB151_1667
; %bb.1663:
	s_sext_i32_i16 s0, s22
	s_cmp_gt_i32 s0, 0
	s_mov_b64 s[0:1], -1
	s_cbranch_scc0 .LBB151_1665
; %bb.1664:
	v_cndmask_b32_e64 v2, 0, 1, s[10:11]
	global_store_byte v[0:1], v2, off
	s_mov_b64 s[0:1], 0
.LBB151_1665:
	s_andn2_b64 vcc, exec, s[0:1]
	s_cbranch_vccnz .LBB151_1667
; %bb.1666:
	v_cndmask_b32_e64 v2, 0, 1, s[10:11]
	global_store_byte v[0:1], v2, off
	s_endpgm
.LBB151_1667:
	s_endpgm
.LBB151_1668:
	s_mov_b64 s[22:23], -1
                                        ; implicit-def: $sgpr10_sgpr11
	s_mov_b64 s[20:21], 0
	s_branch .LBB151_1675
.LBB151_1669:
	s_mov_b64 s[22:23], -1
	s_mov_b64 s[20:21], 0
                                        ; implicit-def: $sgpr10_sgpr11
	s_branch .LBB151_1672
.LBB151_1670:
	s_mov_b64 s[20:21], -1
                                        ; implicit-def: $sgpr10_sgpr11
.LBB151_1671:
	s_mov_b64 s[22:23], 0
.LBB151_1672:
	s_and_b64 vcc, exec, s[22:23]
	s_cbranch_vccz .LBB151_1674
; %bb.1673:
	s_xor_b64 s[22:23], s[14:15], -1
	s_and_b64 s[22:23], s[0:1], s[22:23]
	s_andn2_b64 s[10:11], s[10:11], exec
	s_and_b64 s[22:23], s[22:23], exec
	s_or_b64 s[10:11], s[10:11], s[22:23]
.LBB151_1674:
	s_mov_b64 s[22:23], 0
.LBB151_1675:
	s_and_b64 vcc, exec, s[22:23]
	s_cbranch_vccz .LBB151_1757
; %bb.1676:
	s_cmp_lg_u32 s16, 0
	s_mov_b64 s[18:19], -1
	s_cselect_b64 s[20:21], -1, 0
	s_andn2_b64 vcc, exec, s[20:21]
	s_cbranch_vccz .LBB151_1758
.LBB151_1677:
	s_andn2_b64 vcc, exec, s[18:19]
	s_cbranch_vccnz .LBB151_1679
.LBB151_1678:
	s_xor_b64 s[14:15], s[14:15], -1
	s_or_b64 s[0:1], s[0:1], s[14:15]
	s_andn2_b64 s[10:11], s[10:11], exec
	s_and_b64 s[0:1], s[0:1], exec
	s_or_b64 s[10:11], s[10:11], s[0:1]
.LBB151_1679:
	s_load_dword s0, s[34:35], 0x160
	v_mov_b32_e32 v1, s9
	v_add_co_u32_e32 v5, vcc, s8, v6
	v_addc_co_u32_e32 v6, vcc, 0, v1, vcc
	s_waitcnt lgkmcnt(0)
	s_and_b32 s22, s0, 0xff
	s_cmp_lt_i32 s22, 11
	s_cbranch_scc1 .LBB151_1759
; %bb.1680:
	s_and_b32 s23, 0xffff, s22
	s_mov_b64 s[18:19], -1
	s_mov_b64 s[14:15], 0
	s_cmp_gt_i32 s23, 25
	s_mov_b64 s[16:17], 0
	s_mov_b64 s[0:1], 0
	s_cbranch_scc0 .LBB151_1713
; %bb.1681:
	s_cmp_gt_i32 s23, 28
	s_cbranch_scc0 .LBB151_1696
; %bb.1682:
	s_cmp_gt_i32 s23, 43
	;; [unrolled: 3-line block ×3, first 2 shown]
	s_cbranch_scc0 .LBB151_1686
; %bb.1684:
	s_mov_b64 s[0:1], -1
	s_mov_b64 s[18:19], 0
	s_cmp_eq_u32 s23, 46
	s_cbranch_scc0 .LBB151_1686
; %bb.1685:
	v_cndmask_b32_e64 v1, 0, 1.0, s[12:13]
	v_bfe_u32 v3, v1, 16, 1
	s_movk_i32 s0, 0x7fff
	v_add3_u32 v1, v1, v3, s0
	v_lshrrev_b32_e32 v1, 16, v1
	global_store_dword v[5:6], v1, off
	s_mov_b64 s[0:1], 0
	s_mov_b64 s[16:17], -1
.LBB151_1686:
	s_and_b64 vcc, exec, s[18:19]
	s_cbranch_vccz .LBB151_1691
; %bb.1687:
	s_cmp_eq_u32 s23, 44
	s_mov_b64 s[0:1], -1
	s_cbranch_scc0 .LBB151_1691
; %bb.1688:
	v_cndmask_b32_e64 v3, 0, 1.0, s[12:13]
	v_lshrrev_b32_e32 v1, 23, v3
	s_movk_i32 s0, 0xff
	v_cmp_ne_u32_e32 vcc, s0, v1
	v_mov_b32_e32 v7, 0xff
	s_and_saveexec_b64 s[16:17], vcc
; %bb.1689:
	s_mov_b32 s0, 0x3fffff
	v_and_b32_e32 v7, 0x400000, v3
	v_and_or_b32 v3, v3, s0, v1
	v_cmp_ne_u32_e32 vcc, 0, v7
	v_cmp_ne_u32_e64 s[0:1], 0, v3
	s_and_b64 s[0:1], vcc, s[0:1]
	v_cndmask_b32_e64 v3, 0, 1, s[0:1]
	v_add_u32_e32 v7, v1, v3
; %bb.1690:
	s_or_b64 exec, exec, s[16:17]
	s_mov_b64 s[0:1], 0
	s_mov_b64 s[16:17], -1
	global_store_byte v[5:6], v7, off
.LBB151_1691:
	s_mov_b64 s[18:19], 0
.LBB151_1692:
	s_and_b64 vcc, exec, s[18:19]
	s_cbranch_vccz .LBB151_1695
; %bb.1693:
	s_cmp_eq_u32 s23, 29
	s_mov_b64 s[0:1], -1
	s_cbranch_scc0 .LBB151_1695
; %bb.1694:
	s_mov_b32 s0, 0
	v_cndmask_b32_e64 v7, 0, 1, s[12:13]
	v_mov_b32_e32 v8, s0
	global_store_dwordx2 v[5:6], v[7:8], off
	s_mov_b64 s[0:1], 0
	s_mov_b64 s[16:17], -1
.LBB151_1695:
	s_mov_b64 s[18:19], 0
.LBB151_1696:
	s_and_b64 vcc, exec, s[18:19]
	s_cbranch_vccz .LBB151_1712
; %bb.1697:
	s_cmp_lt_i32 s23, 27
	s_mov_b64 s[16:17], -1
	s_cbranch_scc1 .LBB151_1703
; %bb.1698:
	s_cmp_gt_i32 s23, 27
	s_cbranch_scc0 .LBB151_1700
; %bb.1699:
	v_cndmask_b32_e64 v1, 0, 1, s[12:13]
	s_mov_b64 s[16:17], 0
	global_store_dword v[5:6], v1, off
.LBB151_1700:
	s_andn2_b64 vcc, exec, s[16:17]
	s_cbranch_vccnz .LBB151_1702
; %bb.1701:
	v_cndmask_b32_e64 v1, 0, 1, s[12:13]
	global_store_short v[5:6], v1, off
.LBB151_1702:
	s_mov_b64 s[16:17], 0
.LBB151_1703:
	s_andn2_b64 vcc, exec, s[16:17]
	s_cbranch_vccnz .LBB151_1711
; %bb.1704:
	v_cndmask_b32_e64 v3, 0, 1.0, s[12:13]
	s_mov_b32 s16, 0x43800000
	v_cmp_gt_u32_e32 vcc, s16, v3
	v_mov_b32_e32 v7, 0x80
	s_and_saveexec_b64 s[16:17], vcc
	s_cbranch_execz .LBB151_1710
; %bb.1705:
	s_mov_b32 s18, 0x3bffffff
	v_cmp_lt_u32_e32 vcc, s18, v3
	s_mov_b64 s[18:19], 0
                                        ; implicit-def: $vgpr1
	s_and_saveexec_b64 s[20:21], vcc
	s_xor_b64 s[20:21], exec, s[20:21]
	s_cbranch_execz .LBB151_2117
; %bb.1706:
	v_bfe_u32 v1, v3, 20, 1
	s_mov_b32 s24, 0x487ffff
	v_add3_u32 v1, v3, v1, s24
	s_mov_b64 s[18:19], exec
	v_lshrrev_b32_e32 v1, 20, v1
                                        ; implicit-def: $vgpr3
	s_andn2_saveexec_b64 s[20:21], s[20:21]
	s_cbranch_execnz .LBB151_2118
.LBB151_1707:
	s_or_b64 exec, exec, s[20:21]
	v_mov_b32_e32 v7, 0
	s_and_saveexec_b64 s[20:21], s[18:19]
.LBB151_1708:
	v_mov_b32_e32 v7, v1
.LBB151_1709:
	s_or_b64 exec, exec, s[20:21]
.LBB151_1710:
	s_or_b64 exec, exec, s[16:17]
	global_store_byte v[5:6], v7, off
.LBB151_1711:
	s_mov_b64 s[16:17], -1
.LBB151_1712:
	s_mov_b64 s[18:19], 0
.LBB151_1713:
	s_and_b64 vcc, exec, s[18:19]
	s_cbranch_vccz .LBB151_1753
; %bb.1714:
	s_cmp_gt_i32 s23, 22
	s_mov_b64 s[14:15], -1
	s_cbranch_scc0 .LBB151_1746
; %bb.1715:
	s_cmp_lt_i32 s23, 24
	s_cbranch_scc1 .LBB151_1735
; %bb.1716:
	s_cmp_gt_i32 s23, 24
	s_cbranch_scc0 .LBB151_1724
; %bb.1717:
	v_cndmask_b32_e64 v3, 0, 1.0, s[12:13]
	s_mov_b32 s14, 0x47800000
	v_cmp_gt_u32_e32 vcc, s14, v3
	v_mov_b32_e32 v7, 0x80
	s_and_saveexec_b64 s[14:15], vcc
	s_cbranch_execz .LBB151_1723
; %bb.1718:
	s_mov_b32 s16, 0x37ffffff
	v_cmp_lt_u32_e32 vcc, s16, v3
	s_mov_b64 s[16:17], 0
                                        ; implicit-def: $vgpr1
	s_and_saveexec_b64 s[18:19], vcc
	s_xor_b64 s[18:19], exec, s[18:19]
	s_cbranch_execz .LBB151_2120
; %bb.1719:
	v_bfe_u32 v1, v3, 21, 1
	s_mov_b32 s20, 0x88fffff
	v_add3_u32 v1, v3, v1, s20
	s_mov_b64 s[16:17], exec
	v_lshrrev_b32_e32 v1, 21, v1
                                        ; implicit-def: $vgpr3
	s_andn2_saveexec_b64 s[18:19], s[18:19]
	s_cbranch_execnz .LBB151_2121
.LBB151_1720:
	s_or_b64 exec, exec, s[18:19]
	v_mov_b32_e32 v7, 0
	s_and_saveexec_b64 s[18:19], s[16:17]
.LBB151_1721:
	v_mov_b32_e32 v7, v1
.LBB151_1722:
	s_or_b64 exec, exec, s[18:19]
.LBB151_1723:
	s_or_b64 exec, exec, s[14:15]
	s_mov_b64 s[14:15], 0
	global_store_byte v[5:6], v7, off
.LBB151_1724:
	s_and_b64 vcc, exec, s[14:15]
	s_cbranch_vccz .LBB151_1734
; %bb.1725:
	v_cndmask_b32_e64 v1, 0, 1.0, s[12:13]
	s_mov_b32 s14, 0x43f00000
	v_cmp_gt_u32_e32 vcc, s14, v1
                                        ; implicit-def: $vgpr3
	s_and_saveexec_b64 s[14:15], vcc
	s_xor_b64 s[14:15], exec, s[14:15]
	s_cbranch_execz .LBB151_1731
; %bb.1726:
	s_mov_b32 s16, 0x3c7fffff
	v_cmp_lt_u32_e32 vcc, s16, v1
                                        ; implicit-def: $vgpr3
	s_and_saveexec_b64 s[16:17], vcc
	s_xor_b64 s[16:17], exec, s[16:17]
; %bb.1727:
	v_bfe_u32 v3, v1, 20, 1
	s_mov_b32 s18, 0x407ffff
	v_add3_u32 v1, v1, v3, s18
	v_lshrrev_b32_e32 v3, 20, v1
	v_and_b32_e32 v1, 0xff00000, v1
	s_mov_b32 s18, 0x7f00000
	v_mov_b32_e32 v7, 0x7e
	v_cmp_ne_u32_e32 vcc, s18, v1
	v_cndmask_b32_e32 v3, v7, v3, vcc
                                        ; implicit-def: $vgpr1
; %bb.1728:
	s_andn2_saveexec_b64 s[16:17], s[16:17]
; %bb.1729:
	v_add_f32_e32 v3, 0x46800000, v1
; %bb.1730:
	s_or_b64 exec, exec, s[16:17]
                                        ; implicit-def: $vgpr1
.LBB151_1731:
	s_andn2_saveexec_b64 s[14:15], s[14:15]
; %bb.1732:
	s_mov_b32 s16, 0x7f800000
	v_mov_b32_e32 v3, 0x7e
	v_mov_b32_e32 v7, 0x7f
	v_cmp_lt_u32_e32 vcc, s16, v1
	v_cndmask_b32_e32 v3, v3, v7, vcc
; %bb.1733:
	s_or_b64 exec, exec, s[14:15]
	global_store_byte v[5:6], v3, off
.LBB151_1734:
	s_mov_b64 s[14:15], 0
.LBB151_1735:
	s_andn2_b64 vcc, exec, s[14:15]
	s_cbranch_vccnz .LBB151_1745
; %bb.1736:
	v_cndmask_b32_e64 v1, 0, 1.0, s[12:13]
	s_mov_b32 s14, 0x47800000
	v_cmp_gt_u32_e32 vcc, s14, v1
                                        ; implicit-def: $vgpr3
	s_and_saveexec_b64 s[14:15], vcc
	s_xor_b64 s[14:15], exec, s[14:15]
	s_cbranch_execz .LBB151_1742
; %bb.1737:
	s_mov_b32 s16, 0x387fffff
	v_cmp_lt_u32_e32 vcc, s16, v1
                                        ; implicit-def: $vgpr3
	s_and_saveexec_b64 s[16:17], vcc
	s_xor_b64 s[16:17], exec, s[16:17]
; %bb.1738:
	v_bfe_u32 v3, v1, 21, 1
	s_mov_b32 s18, 0x80fffff
	v_add3_u32 v1, v1, v3, s18
	v_lshrrev_b32_e32 v3, 21, v1
                                        ; implicit-def: $vgpr1
; %bb.1739:
	s_andn2_saveexec_b64 s[16:17], s[16:17]
; %bb.1740:
	v_add_f32_e32 v3, 0x43000000, v1
; %bb.1741:
	s_or_b64 exec, exec, s[16:17]
                                        ; implicit-def: $vgpr1
.LBB151_1742:
	s_andn2_saveexec_b64 s[14:15], s[14:15]
; %bb.1743:
	s_mov_b32 s16, 0x7f800000
	v_mov_b32_e32 v3, 0x7c
	v_mov_b32_e32 v7, 0x7f
	v_cmp_lt_u32_e32 vcc, s16, v1
	v_cndmask_b32_e32 v3, v3, v7, vcc
; %bb.1744:
	s_or_b64 exec, exec, s[14:15]
	global_store_byte v[5:6], v3, off
.LBB151_1745:
	s_mov_b64 s[14:15], 0
	s_mov_b64 s[16:17], -1
.LBB151_1746:
	s_andn2_b64 vcc, exec, s[14:15]
	s_mov_b64 s[14:15], 0
	s_cbranch_vccnz .LBB151_1753
; %bb.1747:
	s_cmp_gt_i32 s23, 14
	s_mov_b64 s[18:19], -1
	s_cbranch_scc0 .LBB151_1751
; %bb.1748:
	s_cmp_eq_u32 s23, 15
	s_mov_b64 s[0:1], -1
	s_cbranch_scc0 .LBB151_1750
; %bb.1749:
	v_cndmask_b32_e64 v1, 0, 1.0, s[12:13]
	v_bfe_u32 v3, v1, 16, 1
	s_movk_i32 s0, 0x7fff
	v_add3_u32 v1, v1, v3, s0
	global_store_short_d16_hi v[5:6], v1, off
	s_mov_b64 s[0:1], 0
	s_mov_b64 s[16:17], -1
.LBB151_1750:
	s_mov_b64 s[18:19], 0
.LBB151_1751:
	s_and_b64 vcc, exec, s[18:19]
	s_cbranch_vccz .LBB151_1753
; %bb.1752:
	s_cmp_lg_u32 s23, 11
	s_mov_b64 s[14:15], -1
	s_cselect_b64 s[0:1], -1, 0
.LBB151_1753:
	s_and_b64 vcc, exec, s[0:1]
	s_cbranch_vccnz .LBB151_2119
; %bb.1754:
	s_andn2_b64 vcc, exec, s[14:15]
	s_cbranch_vccnz .LBB151_1756
.LBB151_1755:
	v_cndmask_b32_e64 v1, 0, 1, s[12:13]
	s_mov_b64 s[16:17], -1
	global_store_byte v[5:6], v1, off
.LBB151_1756:
	s_mov_b64 s[0:1], 0
	s_branch .LBB151_1760
.LBB151_1757:
	s_andn2_b64 vcc, exec, s[20:21]
	s_cbranch_vccnz .LBB151_1677
.LBB151_1758:
	s_xor_b64 s[16:17], s[0:1], -1
	s_and_b64 s[16:17], s[14:15], s[16:17]
	s_andn2_b64 s[10:11], s[10:11], exec
	s_and_b64 s[16:17], s[16:17], exec
	s_or_b64 s[10:11], s[10:11], s[16:17]
	s_cbranch_execz .LBB151_1678
	s_branch .LBB151_1679
.LBB151_1759:
	s_mov_b64 s[0:1], -1
	s_mov_b64 s[16:17], 0
.LBB151_1760:
	s_and_b64 vcc, exec, s[0:1]
	s_cbranch_vccz .LBB151_1799
; %bb.1761:
	s_and_b32 s14, 0xffff, s22
	s_cmp_lt_i32 s14, 5
	s_mov_b64 s[0:1], -1
	s_cbranch_scc1 .LBB151_1782
; %bb.1762:
	s_cmp_lt_i32 s14, 8
	s_cbranch_scc1 .LBB151_1772
; %bb.1763:
	s_cmp_lt_i32 s14, 9
	s_cbranch_scc1 .LBB151_1769
; %bb.1764:
	s_cmp_gt_i32 s14, 9
	s_cbranch_scc0 .LBB151_1766
; %bb.1765:
	v_cndmask_b32_e64 v1, 0, 1, s[12:13]
	v_cvt_f64_u32_e32 v[7:8], v1
	v_mov_b32_e32 v9, 0
	v_mov_b32_e32 v10, v9
	s_mov_b64 s[0:1], 0
	global_store_dwordx4 v[5:6], v[7:10], off
.LBB151_1766:
	s_andn2_b64 vcc, exec, s[0:1]
	s_cbranch_vccnz .LBB151_1768
; %bb.1767:
	v_cndmask_b32_e64 v7, 0, 1.0, s[12:13]
	v_mov_b32_e32 v8, 0
	global_store_dwordx2 v[5:6], v[7:8], off
.LBB151_1768:
	s_mov_b64 s[0:1], 0
.LBB151_1769:
	s_andn2_b64 vcc, exec, s[0:1]
	s_cbranch_vccnz .LBB151_1771
; %bb.1770:
	v_cndmask_b32_e64 v1, 0, 1.0, s[12:13]
	v_cvt_f16_f32_e32 v1, v1
	global_store_dword v[5:6], v1, off
.LBB151_1771:
	s_mov_b64 s[0:1], 0
.LBB151_1772:
	s_andn2_b64 vcc, exec, s[0:1]
	s_cbranch_vccnz .LBB151_1781
; %bb.1773:
	s_cmp_lt_i32 s14, 6
	s_mov_b64 s[0:1], -1
	s_cbranch_scc1 .LBB151_1779
; %bb.1774:
	s_cmp_gt_i32 s14, 6
	s_cbranch_scc0 .LBB151_1776
; %bb.1775:
	v_cndmask_b32_e64 v1, 0, 1, s[12:13]
	v_cvt_f64_u32_e32 v[7:8], v1
	s_mov_b64 s[0:1], 0
	global_store_dwordx2 v[5:6], v[7:8], off
.LBB151_1776:
	s_andn2_b64 vcc, exec, s[0:1]
	s_cbranch_vccnz .LBB151_1778
; %bb.1777:
	v_cndmask_b32_e64 v1, 0, 1.0, s[12:13]
	global_store_dword v[5:6], v1, off
.LBB151_1778:
	s_mov_b64 s[0:1], 0
.LBB151_1779:
	s_andn2_b64 vcc, exec, s[0:1]
	s_cbranch_vccnz .LBB151_1781
; %bb.1780:
	v_cndmask_b32_e64 v1, 0, 1.0, s[12:13]
	v_cvt_f16_f32_e32 v1, v1
	global_store_short v[5:6], v1, off
.LBB151_1781:
	s_mov_b64 s[0:1], 0
.LBB151_1782:
	s_andn2_b64 vcc, exec, s[0:1]
	s_cbranch_vccnz .LBB151_1798
; %bb.1783:
	s_cmp_lt_i32 s14, 2
	s_mov_b64 s[0:1], -1
	s_cbranch_scc1 .LBB151_1793
; %bb.1784:
	s_cmp_lt_i32 s14, 3
	s_cbranch_scc1 .LBB151_1790
; %bb.1785:
	s_cmp_gt_i32 s14, 3
	s_cbranch_scc0 .LBB151_1787
; %bb.1786:
	s_mov_b32 s0, 0
	v_cndmask_b32_e64 v7, 0, 1, s[12:13]
	v_mov_b32_e32 v8, s0
	global_store_dwordx2 v[5:6], v[7:8], off
	s_mov_b64 s[0:1], 0
.LBB151_1787:
	s_andn2_b64 vcc, exec, s[0:1]
	s_cbranch_vccnz .LBB151_1789
; %bb.1788:
	v_cndmask_b32_e64 v1, 0, 1, s[12:13]
	global_store_dword v[5:6], v1, off
.LBB151_1789:
	s_mov_b64 s[0:1], 0
.LBB151_1790:
	s_andn2_b64 vcc, exec, s[0:1]
	s_cbranch_vccnz .LBB151_1792
; %bb.1791:
	v_cndmask_b32_e64 v1, 0, 1, s[12:13]
	global_store_short v[5:6], v1, off
.LBB151_1792:
	s_mov_b64 s[0:1], 0
.LBB151_1793:
	s_andn2_b64 vcc, exec, s[0:1]
	s_cbranch_vccnz .LBB151_1798
; %bb.1794:
	s_mov_b64 s[0:1], -1
	s_cmp_gt_i32 s14, 0
	v_cndmask_b32_e64 v1, 0, 1, s[12:13]
	s_cbranch_scc0 .LBB151_1796
; %bb.1795:
	global_store_byte v[5:6], v1, off
	s_mov_b64 s[0:1], 0
.LBB151_1796:
	s_andn2_b64 vcc, exec, s[0:1]
	s_cbranch_vccnz .LBB151_1798
; %bb.1797:
	global_store_byte v[5:6], v1, off
.LBB151_1798:
	s_mov_b64 s[16:17], -1
.LBB151_1799:
	s_andn2_b64 vcc, exec, s[16:17]
	s_cbranch_vccnz .LBB151_2114
; %bb.1800:
	v_mov_b32_e32 v1, s9
	s_and_b32 s20, 0xffff, s22
	v_add_co_u32_e32 v3, vcc, s8, v4
	s_cmp_lt_i32 s20, 11
	v_addc_co_u32_e32 v4, vcc, 0, v1, vcc
	s_cbranch_scc1 .LBB151_1878
; %bb.1801:
	s_mov_b64 s[16:17], -1
	s_mov_b64 s[12:13], 0
	s_cmp_gt_i32 s20, 25
	s_mov_b64 s[14:15], 0
	s_mov_b64 s[0:1], 0
	s_cbranch_scc0 .LBB151_1834
; %bb.1802:
	s_cmp_gt_i32 s20, 28
	s_cbranch_scc0 .LBB151_1817
; %bb.1803:
	s_cmp_gt_i32 s20, 43
	;; [unrolled: 3-line block ×3, first 2 shown]
	s_cbranch_scc0 .LBB151_1807
; %bb.1805:
	s_mov_b64 s[0:1], -1
	s_mov_b64 s[16:17], 0
	s_cmp_eq_u32 s20, 46
	s_cbranch_scc0 .LBB151_1807
; %bb.1806:
	v_cndmask_b32_e64 v1, 0, 1.0, s[6:7]
	v_bfe_u32 v5, v1, 16, 1
	s_movk_i32 s0, 0x7fff
	v_add3_u32 v1, v1, v5, s0
	v_lshrrev_b32_e32 v1, 16, v1
	global_store_dword v[3:4], v1, off
	s_mov_b64 s[0:1], 0
	s_mov_b64 s[14:15], -1
.LBB151_1807:
	s_and_b64 vcc, exec, s[16:17]
	s_cbranch_vccz .LBB151_1812
; %bb.1808:
	s_cmp_eq_u32 s20, 44
	s_mov_b64 s[0:1], -1
	s_cbranch_scc0 .LBB151_1812
; %bb.1809:
	v_cndmask_b32_e64 v5, 0, 1.0, s[6:7]
	v_lshrrev_b32_e32 v1, 23, v5
	s_movk_i32 s0, 0xff
	v_cmp_ne_u32_e32 vcc, s0, v1
	v_mov_b32_e32 v6, 0xff
	s_and_saveexec_b64 s[14:15], vcc
; %bb.1810:
	s_mov_b32 s0, 0x3fffff
	v_and_b32_e32 v6, 0x400000, v5
	v_and_or_b32 v5, v5, s0, v1
	v_cmp_ne_u32_e32 vcc, 0, v6
	v_cmp_ne_u32_e64 s[0:1], 0, v5
	s_and_b64 s[0:1], vcc, s[0:1]
	v_cndmask_b32_e64 v5, 0, 1, s[0:1]
	v_add_u32_e32 v6, v1, v5
; %bb.1811:
	s_or_b64 exec, exec, s[14:15]
	s_mov_b64 s[0:1], 0
	s_mov_b64 s[14:15], -1
	global_store_byte v[3:4], v6, off
.LBB151_1812:
	s_mov_b64 s[16:17], 0
.LBB151_1813:
	s_and_b64 vcc, exec, s[16:17]
	s_cbranch_vccz .LBB151_1816
; %bb.1814:
	s_cmp_eq_u32 s20, 29
	s_mov_b64 s[0:1], -1
	s_cbranch_scc0 .LBB151_1816
; %bb.1815:
	s_mov_b32 s0, 0
	v_cndmask_b32_e64 v5, 0, 1, s[6:7]
	v_mov_b32_e32 v6, s0
	global_store_dwordx2 v[3:4], v[5:6], off
	s_mov_b64 s[0:1], 0
	s_mov_b64 s[14:15], -1
.LBB151_1816:
	s_mov_b64 s[16:17], 0
.LBB151_1817:
	s_and_b64 vcc, exec, s[16:17]
	s_cbranch_vccz .LBB151_1833
; %bb.1818:
	s_cmp_lt_i32 s20, 27
	s_mov_b64 s[14:15], -1
	s_cbranch_scc1 .LBB151_1824
; %bb.1819:
	s_cmp_gt_i32 s20, 27
	s_cbranch_scc0 .LBB151_1821
; %bb.1820:
	v_cndmask_b32_e64 v1, 0, 1, s[6:7]
	s_mov_b64 s[14:15], 0
	global_store_dword v[3:4], v1, off
.LBB151_1821:
	s_andn2_b64 vcc, exec, s[14:15]
	s_cbranch_vccnz .LBB151_1823
; %bb.1822:
	v_cndmask_b32_e64 v1, 0, 1, s[6:7]
	global_store_short v[3:4], v1, off
.LBB151_1823:
	s_mov_b64 s[14:15], 0
.LBB151_1824:
	s_andn2_b64 vcc, exec, s[14:15]
	s_cbranch_vccnz .LBB151_1832
; %bb.1825:
	v_cndmask_b32_e64 v5, 0, 1.0, s[6:7]
	s_mov_b32 s14, 0x43800000
	v_cmp_gt_u32_e32 vcc, s14, v5
	v_mov_b32_e32 v6, 0x80
	s_and_saveexec_b64 s[14:15], vcc
	s_cbranch_execz .LBB151_1831
; %bb.1826:
	s_mov_b32 s16, 0x3bffffff
	v_cmp_lt_u32_e32 vcc, s16, v5
	s_mov_b64 s[16:17], 0
                                        ; implicit-def: $vgpr1
	s_and_saveexec_b64 s[18:19], vcc
	s_xor_b64 s[18:19], exec, s[18:19]
	s_cbranch_execz .LBB151_2122
; %bb.1827:
	v_bfe_u32 v1, v5, 20, 1
	s_mov_b32 s21, 0x487ffff
	v_add3_u32 v1, v5, v1, s21
	s_mov_b64 s[16:17], exec
	v_lshrrev_b32_e32 v1, 20, v1
                                        ; implicit-def: $vgpr5
	s_andn2_saveexec_b64 s[18:19], s[18:19]
	s_cbranch_execnz .LBB151_2123
.LBB151_1828:
	s_or_b64 exec, exec, s[18:19]
	v_mov_b32_e32 v6, 0
	s_and_saveexec_b64 s[18:19], s[16:17]
.LBB151_1829:
	v_mov_b32_e32 v6, v1
.LBB151_1830:
	s_or_b64 exec, exec, s[18:19]
.LBB151_1831:
	s_or_b64 exec, exec, s[14:15]
	global_store_byte v[3:4], v6, off
.LBB151_1832:
	s_mov_b64 s[14:15], -1
.LBB151_1833:
	s_mov_b64 s[16:17], 0
.LBB151_1834:
	s_and_b64 vcc, exec, s[16:17]
	s_cbranch_vccz .LBB151_1874
; %bb.1835:
	s_cmp_gt_i32 s20, 22
	s_mov_b64 s[12:13], -1
	s_cbranch_scc0 .LBB151_1867
; %bb.1836:
	s_cmp_lt_i32 s20, 24
	s_cbranch_scc1 .LBB151_1856
; %bb.1837:
	s_cmp_gt_i32 s20, 24
	s_cbranch_scc0 .LBB151_1845
; %bb.1838:
	v_cndmask_b32_e64 v5, 0, 1.0, s[6:7]
	s_mov_b32 s12, 0x47800000
	v_cmp_gt_u32_e32 vcc, s12, v5
	v_mov_b32_e32 v6, 0x80
	s_and_saveexec_b64 s[12:13], vcc
	s_cbranch_execz .LBB151_1844
; %bb.1839:
	s_mov_b32 s14, 0x37ffffff
	v_cmp_lt_u32_e32 vcc, s14, v5
	s_mov_b64 s[14:15], 0
                                        ; implicit-def: $vgpr1
	s_and_saveexec_b64 s[16:17], vcc
	s_xor_b64 s[16:17], exec, s[16:17]
	s_cbranch_execz .LBB151_2125
; %bb.1840:
	v_bfe_u32 v1, v5, 21, 1
	s_mov_b32 s18, 0x88fffff
	v_add3_u32 v1, v5, v1, s18
	s_mov_b64 s[14:15], exec
	v_lshrrev_b32_e32 v1, 21, v1
                                        ; implicit-def: $vgpr5
	s_andn2_saveexec_b64 s[16:17], s[16:17]
	s_cbranch_execnz .LBB151_2126
.LBB151_1841:
	s_or_b64 exec, exec, s[16:17]
	v_mov_b32_e32 v6, 0
	s_and_saveexec_b64 s[16:17], s[14:15]
.LBB151_1842:
	v_mov_b32_e32 v6, v1
.LBB151_1843:
	s_or_b64 exec, exec, s[16:17]
.LBB151_1844:
	s_or_b64 exec, exec, s[12:13]
	s_mov_b64 s[12:13], 0
	global_store_byte v[3:4], v6, off
.LBB151_1845:
	s_and_b64 vcc, exec, s[12:13]
	s_cbranch_vccz .LBB151_1855
; %bb.1846:
	v_cndmask_b32_e64 v1, 0, 1.0, s[6:7]
	s_mov_b32 s12, 0x43f00000
	v_cmp_gt_u32_e32 vcc, s12, v1
                                        ; implicit-def: $vgpr5
	s_and_saveexec_b64 s[12:13], vcc
	s_xor_b64 s[12:13], exec, s[12:13]
	s_cbranch_execz .LBB151_1852
; %bb.1847:
	s_mov_b32 s14, 0x3c7fffff
	v_cmp_lt_u32_e32 vcc, s14, v1
                                        ; implicit-def: $vgpr5
	s_and_saveexec_b64 s[14:15], vcc
	s_xor_b64 s[14:15], exec, s[14:15]
; %bb.1848:
	v_bfe_u32 v5, v1, 20, 1
	s_mov_b32 s16, 0x407ffff
	v_add3_u32 v1, v1, v5, s16
	v_lshrrev_b32_e32 v5, 20, v1
	v_and_b32_e32 v1, 0xff00000, v1
	s_mov_b32 s16, 0x7f00000
	v_mov_b32_e32 v6, 0x7e
	v_cmp_ne_u32_e32 vcc, s16, v1
	v_cndmask_b32_e32 v5, v6, v5, vcc
                                        ; implicit-def: $vgpr1
; %bb.1849:
	s_andn2_saveexec_b64 s[14:15], s[14:15]
; %bb.1850:
	v_add_f32_e32 v5, 0x46800000, v1
; %bb.1851:
	s_or_b64 exec, exec, s[14:15]
                                        ; implicit-def: $vgpr1
.LBB151_1852:
	s_andn2_saveexec_b64 s[12:13], s[12:13]
; %bb.1853:
	s_mov_b32 s14, 0x7f800000
	v_mov_b32_e32 v5, 0x7e
	v_mov_b32_e32 v6, 0x7f
	v_cmp_lt_u32_e32 vcc, s14, v1
	v_cndmask_b32_e32 v5, v5, v6, vcc
; %bb.1854:
	s_or_b64 exec, exec, s[12:13]
	global_store_byte v[3:4], v5, off
.LBB151_1855:
	s_mov_b64 s[12:13], 0
.LBB151_1856:
	s_andn2_b64 vcc, exec, s[12:13]
	s_cbranch_vccnz .LBB151_1866
; %bb.1857:
	v_cndmask_b32_e64 v1, 0, 1.0, s[6:7]
	s_mov_b32 s12, 0x47800000
	v_cmp_gt_u32_e32 vcc, s12, v1
                                        ; implicit-def: $vgpr5
	s_and_saveexec_b64 s[12:13], vcc
	s_xor_b64 s[12:13], exec, s[12:13]
	s_cbranch_execz .LBB151_1863
; %bb.1858:
	s_mov_b32 s14, 0x387fffff
	v_cmp_lt_u32_e32 vcc, s14, v1
                                        ; implicit-def: $vgpr5
	s_and_saveexec_b64 s[14:15], vcc
	s_xor_b64 s[14:15], exec, s[14:15]
; %bb.1859:
	v_bfe_u32 v5, v1, 21, 1
	s_mov_b32 s16, 0x80fffff
	v_add3_u32 v1, v1, v5, s16
	v_lshrrev_b32_e32 v5, 21, v1
                                        ; implicit-def: $vgpr1
; %bb.1860:
	s_andn2_saveexec_b64 s[14:15], s[14:15]
; %bb.1861:
	v_add_f32_e32 v5, 0x43000000, v1
; %bb.1862:
	s_or_b64 exec, exec, s[14:15]
                                        ; implicit-def: $vgpr1
.LBB151_1863:
	s_andn2_saveexec_b64 s[12:13], s[12:13]
; %bb.1864:
	s_mov_b32 s14, 0x7f800000
	v_mov_b32_e32 v5, 0x7c
	v_mov_b32_e32 v6, 0x7f
	v_cmp_lt_u32_e32 vcc, s14, v1
	v_cndmask_b32_e32 v5, v5, v6, vcc
; %bb.1865:
	s_or_b64 exec, exec, s[12:13]
	global_store_byte v[3:4], v5, off
.LBB151_1866:
	s_mov_b64 s[12:13], 0
	s_mov_b64 s[14:15], -1
.LBB151_1867:
	s_andn2_b64 vcc, exec, s[12:13]
	s_mov_b64 s[12:13], 0
	s_cbranch_vccnz .LBB151_1874
; %bb.1868:
	s_cmp_gt_i32 s20, 14
	s_mov_b64 s[16:17], -1
	s_cbranch_scc0 .LBB151_1872
; %bb.1869:
	s_cmp_eq_u32 s20, 15
	s_mov_b64 s[0:1], -1
	s_cbranch_scc0 .LBB151_1871
; %bb.1870:
	v_cndmask_b32_e64 v1, 0, 1.0, s[6:7]
	v_bfe_u32 v5, v1, 16, 1
	s_movk_i32 s0, 0x7fff
	v_add3_u32 v1, v1, v5, s0
	global_store_short_d16_hi v[3:4], v1, off
	s_mov_b64 s[0:1], 0
	s_mov_b64 s[14:15], -1
.LBB151_1871:
	s_mov_b64 s[16:17], 0
.LBB151_1872:
	s_and_b64 vcc, exec, s[16:17]
	s_cbranch_vccz .LBB151_1874
; %bb.1873:
	s_cmp_lg_u32 s20, 11
	s_mov_b64 s[12:13], -1
	s_cselect_b64 s[0:1], -1, 0
.LBB151_1874:
	s_and_b64 vcc, exec, s[0:1]
	s_cbranch_vccnz .LBB151_2124
; %bb.1875:
	s_andn2_b64 vcc, exec, s[12:13]
	s_cbranch_vccnz .LBB151_1877
.LBB151_1876:
	v_cndmask_b32_e64 v1, 0, 1, s[6:7]
	s_mov_b64 s[14:15], -1
	global_store_byte v[3:4], v1, off
.LBB151_1877:
	s_mov_b64 s[0:1], 0
	s_branch .LBB151_1879
.LBB151_1878:
	s_mov_b64 s[0:1], -1
	s_mov_b64 s[14:15], 0
.LBB151_1879:
	s_and_b64 vcc, exec, s[0:1]
	s_cbranch_vccz .LBB151_1918
; %bb.1880:
	s_cmp_lt_i32 s20, 5
	s_mov_b64 s[0:1], -1
	s_cbranch_scc1 .LBB151_1901
; %bb.1881:
	s_cmp_lt_i32 s20, 8
	s_cbranch_scc1 .LBB151_1891
; %bb.1882:
	s_cmp_lt_i32 s20, 9
	s_cbranch_scc1 .LBB151_1888
; %bb.1883:
	s_cmp_gt_i32 s20, 9
	s_cbranch_scc0 .LBB151_1885
; %bb.1884:
	v_cndmask_b32_e64 v1, 0, 1, s[6:7]
	v_cvt_f64_u32_e32 v[5:6], v1
	v_mov_b32_e32 v7, 0
	v_mov_b32_e32 v8, v7
	s_mov_b64 s[0:1], 0
	global_store_dwordx4 v[3:4], v[5:8], off
.LBB151_1885:
	s_andn2_b64 vcc, exec, s[0:1]
	s_cbranch_vccnz .LBB151_1887
; %bb.1886:
	v_cndmask_b32_e64 v5, 0, 1.0, s[6:7]
	v_mov_b32_e32 v6, 0
	global_store_dwordx2 v[3:4], v[5:6], off
.LBB151_1887:
	s_mov_b64 s[0:1], 0
.LBB151_1888:
	s_andn2_b64 vcc, exec, s[0:1]
	s_cbranch_vccnz .LBB151_1890
; %bb.1889:
	v_cndmask_b32_e64 v1, 0, 1.0, s[6:7]
	v_cvt_f16_f32_e32 v1, v1
	global_store_dword v[3:4], v1, off
.LBB151_1890:
	s_mov_b64 s[0:1], 0
.LBB151_1891:
	s_andn2_b64 vcc, exec, s[0:1]
	s_cbranch_vccnz .LBB151_1900
; %bb.1892:
	s_cmp_lt_i32 s20, 6
	s_mov_b64 s[0:1], -1
	s_cbranch_scc1 .LBB151_1898
; %bb.1893:
	s_cmp_gt_i32 s20, 6
	s_cbranch_scc0 .LBB151_1895
; %bb.1894:
	v_cndmask_b32_e64 v1, 0, 1, s[6:7]
	v_cvt_f64_u32_e32 v[5:6], v1
	s_mov_b64 s[0:1], 0
	global_store_dwordx2 v[3:4], v[5:6], off
.LBB151_1895:
	s_andn2_b64 vcc, exec, s[0:1]
	s_cbranch_vccnz .LBB151_1897
; %bb.1896:
	v_cndmask_b32_e64 v1, 0, 1.0, s[6:7]
	global_store_dword v[3:4], v1, off
.LBB151_1897:
	s_mov_b64 s[0:1], 0
.LBB151_1898:
	s_andn2_b64 vcc, exec, s[0:1]
	s_cbranch_vccnz .LBB151_1900
; %bb.1899:
	v_cndmask_b32_e64 v1, 0, 1.0, s[6:7]
	v_cvt_f16_f32_e32 v1, v1
	global_store_short v[3:4], v1, off
.LBB151_1900:
	s_mov_b64 s[0:1], 0
.LBB151_1901:
	s_andn2_b64 vcc, exec, s[0:1]
	s_cbranch_vccnz .LBB151_1917
; %bb.1902:
	s_cmp_lt_i32 s20, 2
	s_mov_b64 s[0:1], -1
	s_cbranch_scc1 .LBB151_1912
; %bb.1903:
	s_cmp_lt_i32 s20, 3
	s_cbranch_scc1 .LBB151_1909
; %bb.1904:
	s_cmp_gt_i32 s20, 3
	s_cbranch_scc0 .LBB151_1906
; %bb.1905:
	s_mov_b32 s0, 0
	v_cndmask_b32_e64 v5, 0, 1, s[6:7]
	v_mov_b32_e32 v6, s0
	global_store_dwordx2 v[3:4], v[5:6], off
	s_mov_b64 s[0:1], 0
.LBB151_1906:
	s_andn2_b64 vcc, exec, s[0:1]
	s_cbranch_vccnz .LBB151_1908
; %bb.1907:
	v_cndmask_b32_e64 v1, 0, 1, s[6:7]
	global_store_dword v[3:4], v1, off
.LBB151_1908:
	s_mov_b64 s[0:1], 0
.LBB151_1909:
	s_andn2_b64 vcc, exec, s[0:1]
	s_cbranch_vccnz .LBB151_1911
; %bb.1910:
	v_cndmask_b32_e64 v1, 0, 1, s[6:7]
	global_store_short v[3:4], v1, off
.LBB151_1911:
	s_mov_b64 s[0:1], 0
.LBB151_1912:
	s_andn2_b64 vcc, exec, s[0:1]
	s_cbranch_vccnz .LBB151_1917
; %bb.1913:
	s_mov_b64 s[0:1], -1
	s_cmp_gt_i32 s20, 0
	v_cndmask_b32_e64 v1, 0, 1, s[6:7]
	s_cbranch_scc0 .LBB151_1915
; %bb.1914:
	global_store_byte v[3:4], v1, off
	s_mov_b64 s[0:1], 0
.LBB151_1915:
	s_andn2_b64 vcc, exec, s[0:1]
	s_cbranch_vccnz .LBB151_1917
; %bb.1916:
	global_store_byte v[3:4], v1, off
.LBB151_1917:
	s_mov_b64 s[14:15], -1
.LBB151_1918:
	s_andn2_b64 vcc, exec, s[14:15]
	s_cbranch_vccnz .LBB151_2114
; %bb.1919:
	v_mov_b32_e32 v3, s9
	v_add_co_u32_e32 v1, vcc, s8, v2
	s_cmp_lt_i32 s20, 11
	v_addc_co_u32_e32 v2, vcc, 0, v3, vcc
	s_cbranch_scc1 .LBB151_1997
; %bb.1920:
	s_mov_b64 s[14:15], -1
	s_mov_b64 s[6:7], 0
	s_cmp_gt_i32 s20, 25
	s_mov_b64 s[12:13], 0
	s_mov_b64 s[0:1], 0
	s_cbranch_scc0 .LBB151_1953
; %bb.1921:
	s_cmp_gt_i32 s20, 28
	s_cbranch_scc0 .LBB151_1936
; %bb.1922:
	s_cmp_gt_i32 s20, 43
	s_cbranch_scc0 .LBB151_1932
; %bb.1923:
	s_cmp_gt_i32 s20, 45
	s_cbranch_scc0 .LBB151_1926
; %bb.1924:
	s_mov_b64 s[0:1], -1
	s_mov_b64 s[14:15], 0
	s_cmp_eq_u32 s20, 46
	s_cbranch_scc0 .LBB151_1926
; %bb.1925:
	v_cndmask_b32_e64 v3, 0, 1.0, s[4:5]
	v_bfe_u32 v4, v3, 16, 1
	s_movk_i32 s0, 0x7fff
	v_add3_u32 v3, v3, v4, s0
	v_lshrrev_b32_e32 v3, 16, v3
	global_store_dword v[1:2], v3, off
	s_mov_b64 s[0:1], 0
	s_mov_b64 s[12:13], -1
.LBB151_1926:
	s_and_b64 vcc, exec, s[14:15]
	s_cbranch_vccz .LBB151_1931
; %bb.1927:
	s_cmp_eq_u32 s20, 44
	s_mov_b64 s[0:1], -1
	s_cbranch_scc0 .LBB151_1931
; %bb.1928:
	v_cndmask_b32_e64 v4, 0, 1.0, s[4:5]
	v_lshrrev_b32_e32 v3, 23, v4
	s_movk_i32 s0, 0xff
	v_cmp_ne_u32_e32 vcc, s0, v3
	v_mov_b32_e32 v5, 0xff
	s_and_saveexec_b64 s[12:13], vcc
; %bb.1929:
	s_mov_b32 s0, 0x3fffff
	v_and_b32_e32 v5, 0x400000, v4
	v_and_or_b32 v4, v4, s0, v3
	v_cmp_ne_u32_e32 vcc, 0, v5
	v_cmp_ne_u32_e64 s[0:1], 0, v4
	s_and_b64 s[0:1], vcc, s[0:1]
	v_cndmask_b32_e64 v4, 0, 1, s[0:1]
	v_add_u32_e32 v5, v3, v4
; %bb.1930:
	s_or_b64 exec, exec, s[12:13]
	s_mov_b64 s[0:1], 0
	s_mov_b64 s[12:13], -1
	global_store_byte v[1:2], v5, off
.LBB151_1931:
	s_mov_b64 s[14:15], 0
.LBB151_1932:
	s_and_b64 vcc, exec, s[14:15]
	s_cbranch_vccz .LBB151_1935
; %bb.1933:
	s_cmp_eq_u32 s20, 29
	s_mov_b64 s[0:1], -1
	s_cbranch_scc0 .LBB151_1935
; %bb.1934:
	s_mov_b32 s0, 0
	v_cndmask_b32_e64 v3, 0, 1, s[4:5]
	v_mov_b32_e32 v4, s0
	global_store_dwordx2 v[1:2], v[3:4], off
	s_mov_b64 s[0:1], 0
	s_mov_b64 s[12:13], -1
.LBB151_1935:
	s_mov_b64 s[14:15], 0
.LBB151_1936:
	s_and_b64 vcc, exec, s[14:15]
	s_cbranch_vccz .LBB151_1952
; %bb.1937:
	s_cmp_lt_i32 s20, 27
	s_mov_b64 s[12:13], -1
	s_cbranch_scc1 .LBB151_1943
; %bb.1938:
	s_cmp_gt_i32 s20, 27
	s_cbranch_scc0 .LBB151_1940
; %bb.1939:
	v_cndmask_b32_e64 v3, 0, 1, s[4:5]
	s_mov_b64 s[12:13], 0
	global_store_dword v[1:2], v3, off
.LBB151_1940:
	s_andn2_b64 vcc, exec, s[12:13]
	s_cbranch_vccnz .LBB151_1942
; %bb.1941:
	v_cndmask_b32_e64 v3, 0, 1, s[4:5]
	global_store_short v[1:2], v3, off
.LBB151_1942:
	s_mov_b64 s[12:13], 0
.LBB151_1943:
	s_andn2_b64 vcc, exec, s[12:13]
	s_cbranch_vccnz .LBB151_1951
; %bb.1944:
	v_cndmask_b32_e64 v4, 0, 1.0, s[4:5]
	s_mov_b32 s12, 0x43800000
	v_cmp_gt_u32_e32 vcc, s12, v4
	v_mov_b32_e32 v5, 0x80
	s_and_saveexec_b64 s[12:13], vcc
	s_cbranch_execz .LBB151_1950
; %bb.1945:
	s_mov_b32 s14, 0x3bffffff
	v_cmp_lt_u32_e32 vcc, s14, v4
	s_mov_b64 s[14:15], 0
                                        ; implicit-def: $vgpr3
	s_and_saveexec_b64 s[16:17], vcc
	s_xor_b64 s[16:17], exec, s[16:17]
	s_cbranch_execz .LBB151_2127
; %bb.1946:
	v_bfe_u32 v3, v4, 20, 1
	s_mov_b32 s18, 0x487ffff
	v_add3_u32 v3, v4, v3, s18
	s_mov_b64 s[14:15], exec
	v_lshrrev_b32_e32 v3, 20, v3
                                        ; implicit-def: $vgpr4
	s_andn2_saveexec_b64 s[16:17], s[16:17]
	s_cbranch_execnz .LBB151_2128
.LBB151_1947:
	s_or_b64 exec, exec, s[16:17]
	v_mov_b32_e32 v5, 0
	s_and_saveexec_b64 s[16:17], s[14:15]
.LBB151_1948:
	v_mov_b32_e32 v5, v3
.LBB151_1949:
	s_or_b64 exec, exec, s[16:17]
.LBB151_1950:
	s_or_b64 exec, exec, s[12:13]
	global_store_byte v[1:2], v5, off
.LBB151_1951:
	s_mov_b64 s[12:13], -1
.LBB151_1952:
	s_mov_b64 s[14:15], 0
.LBB151_1953:
	s_and_b64 vcc, exec, s[14:15]
	s_cbranch_vccz .LBB151_1993
; %bb.1954:
	s_cmp_gt_i32 s20, 22
	s_mov_b64 s[6:7], -1
	s_cbranch_scc0 .LBB151_1986
; %bb.1955:
	s_cmp_lt_i32 s20, 24
	s_cbranch_scc1 .LBB151_1975
; %bb.1956:
	s_cmp_gt_i32 s20, 24
	s_cbranch_scc0 .LBB151_1964
; %bb.1957:
	v_cndmask_b32_e64 v4, 0, 1.0, s[4:5]
	s_mov_b32 s6, 0x47800000
	v_cmp_gt_u32_e32 vcc, s6, v4
	v_mov_b32_e32 v5, 0x80
	s_and_saveexec_b64 s[6:7], vcc
	s_cbranch_execz .LBB151_1963
; %bb.1958:
	s_mov_b32 s12, 0x37ffffff
	v_cmp_lt_u32_e32 vcc, s12, v4
	s_mov_b64 s[12:13], 0
                                        ; implicit-def: $vgpr3
	s_and_saveexec_b64 s[14:15], vcc
	s_xor_b64 s[14:15], exec, s[14:15]
	s_cbranch_execz .LBB151_2130
; %bb.1959:
	v_bfe_u32 v3, v4, 21, 1
	s_mov_b32 s16, 0x88fffff
	v_add3_u32 v3, v4, v3, s16
	s_mov_b64 s[12:13], exec
	v_lshrrev_b32_e32 v3, 21, v3
                                        ; implicit-def: $vgpr4
	s_andn2_saveexec_b64 s[14:15], s[14:15]
	s_cbranch_execnz .LBB151_2131
.LBB151_1960:
	s_or_b64 exec, exec, s[14:15]
	v_mov_b32_e32 v5, 0
	s_and_saveexec_b64 s[14:15], s[12:13]
.LBB151_1961:
	v_mov_b32_e32 v5, v3
.LBB151_1962:
	s_or_b64 exec, exec, s[14:15]
.LBB151_1963:
	s_or_b64 exec, exec, s[6:7]
	s_mov_b64 s[6:7], 0
	global_store_byte v[1:2], v5, off
.LBB151_1964:
	s_and_b64 vcc, exec, s[6:7]
	s_cbranch_vccz .LBB151_1974
; %bb.1965:
	v_cndmask_b32_e64 v3, 0, 1.0, s[4:5]
	s_mov_b32 s6, 0x43f00000
	v_cmp_gt_u32_e32 vcc, s6, v3
                                        ; implicit-def: $vgpr4
	s_and_saveexec_b64 s[6:7], vcc
	s_xor_b64 s[6:7], exec, s[6:7]
	s_cbranch_execz .LBB151_1971
; %bb.1966:
	s_mov_b32 s12, 0x3c7fffff
	v_cmp_lt_u32_e32 vcc, s12, v3
                                        ; implicit-def: $vgpr4
	s_and_saveexec_b64 s[12:13], vcc
	s_xor_b64 s[12:13], exec, s[12:13]
; %bb.1967:
	v_bfe_u32 v4, v3, 20, 1
	s_mov_b32 s14, 0x407ffff
	v_add3_u32 v3, v3, v4, s14
	v_lshrrev_b32_e32 v4, 20, v3
	v_and_b32_e32 v3, 0xff00000, v3
	s_mov_b32 s14, 0x7f00000
	v_mov_b32_e32 v5, 0x7e
	v_cmp_ne_u32_e32 vcc, s14, v3
	v_cndmask_b32_e32 v4, v5, v4, vcc
                                        ; implicit-def: $vgpr3
; %bb.1968:
	s_andn2_saveexec_b64 s[12:13], s[12:13]
; %bb.1969:
	v_add_f32_e32 v4, 0x46800000, v3
; %bb.1970:
	s_or_b64 exec, exec, s[12:13]
                                        ; implicit-def: $vgpr3
.LBB151_1971:
	s_andn2_saveexec_b64 s[6:7], s[6:7]
; %bb.1972:
	s_mov_b32 s12, 0x7f800000
	v_mov_b32_e32 v4, 0x7e
	v_mov_b32_e32 v5, 0x7f
	v_cmp_lt_u32_e32 vcc, s12, v3
	v_cndmask_b32_e32 v4, v4, v5, vcc
; %bb.1973:
	s_or_b64 exec, exec, s[6:7]
	global_store_byte v[1:2], v4, off
.LBB151_1974:
	s_mov_b64 s[6:7], 0
.LBB151_1975:
	s_andn2_b64 vcc, exec, s[6:7]
	s_cbranch_vccnz .LBB151_1985
; %bb.1976:
	v_cndmask_b32_e64 v3, 0, 1.0, s[4:5]
	s_mov_b32 s6, 0x47800000
	v_cmp_gt_u32_e32 vcc, s6, v3
                                        ; implicit-def: $vgpr4
	s_and_saveexec_b64 s[6:7], vcc
	s_xor_b64 s[6:7], exec, s[6:7]
	s_cbranch_execz .LBB151_1982
; %bb.1977:
	s_mov_b32 s12, 0x387fffff
	v_cmp_lt_u32_e32 vcc, s12, v3
                                        ; implicit-def: $vgpr4
	s_and_saveexec_b64 s[12:13], vcc
	s_xor_b64 s[12:13], exec, s[12:13]
; %bb.1978:
	v_bfe_u32 v4, v3, 21, 1
	s_mov_b32 s14, 0x80fffff
	v_add3_u32 v3, v3, v4, s14
	v_lshrrev_b32_e32 v4, 21, v3
                                        ; implicit-def: $vgpr3
; %bb.1979:
	s_andn2_saveexec_b64 s[12:13], s[12:13]
; %bb.1980:
	v_add_f32_e32 v4, 0x43000000, v3
; %bb.1981:
	s_or_b64 exec, exec, s[12:13]
                                        ; implicit-def: $vgpr3
.LBB151_1982:
	s_andn2_saveexec_b64 s[6:7], s[6:7]
; %bb.1983:
	s_mov_b32 s12, 0x7f800000
	v_mov_b32_e32 v4, 0x7c
	v_mov_b32_e32 v5, 0x7f
	v_cmp_lt_u32_e32 vcc, s12, v3
	v_cndmask_b32_e32 v4, v4, v5, vcc
; %bb.1984:
	s_or_b64 exec, exec, s[6:7]
	global_store_byte v[1:2], v4, off
.LBB151_1985:
	s_mov_b64 s[6:7], 0
	s_mov_b64 s[12:13], -1
.LBB151_1986:
	s_andn2_b64 vcc, exec, s[6:7]
	s_mov_b64 s[6:7], 0
	s_cbranch_vccnz .LBB151_1993
; %bb.1987:
	s_cmp_gt_i32 s20, 14
	s_mov_b64 s[14:15], -1
	s_cbranch_scc0 .LBB151_1991
; %bb.1988:
	s_cmp_eq_u32 s20, 15
	s_mov_b64 s[0:1], -1
	s_cbranch_scc0 .LBB151_1990
; %bb.1989:
	v_cndmask_b32_e64 v3, 0, 1.0, s[4:5]
	v_bfe_u32 v4, v3, 16, 1
	s_movk_i32 s0, 0x7fff
	v_add3_u32 v3, v3, v4, s0
	global_store_short_d16_hi v[1:2], v3, off
	s_mov_b64 s[0:1], 0
	s_mov_b64 s[12:13], -1
.LBB151_1990:
	s_mov_b64 s[14:15], 0
.LBB151_1991:
	s_and_b64 vcc, exec, s[14:15]
	s_cbranch_vccz .LBB151_1993
; %bb.1992:
	s_cmp_lg_u32 s20, 11
	s_mov_b64 s[6:7], -1
	s_cselect_b64 s[0:1], -1, 0
.LBB151_1993:
	s_and_b64 vcc, exec, s[0:1]
	s_cbranch_vccnz .LBB151_2129
; %bb.1994:
	s_andn2_b64 vcc, exec, s[6:7]
	s_cbranch_vccnz .LBB151_1996
.LBB151_1995:
	v_cndmask_b32_e64 v3, 0, 1, s[4:5]
	s_mov_b64 s[12:13], -1
	global_store_byte v[1:2], v3, off
.LBB151_1996:
	s_mov_b64 s[0:1], 0
	s_branch .LBB151_1998
.LBB151_1997:
	s_mov_b64 s[0:1], -1
	s_mov_b64 s[12:13], 0
.LBB151_1998:
	s_and_b64 vcc, exec, s[0:1]
	s_cbranch_vccz .LBB151_2037
; %bb.1999:
	s_cmp_lt_i32 s20, 5
	s_mov_b64 s[0:1], -1
	s_cbranch_scc1 .LBB151_2020
; %bb.2000:
	s_cmp_lt_i32 s20, 8
	s_cbranch_scc1 .LBB151_2010
; %bb.2001:
	s_cmp_lt_i32 s20, 9
	s_cbranch_scc1 .LBB151_2007
; %bb.2002:
	s_cmp_gt_i32 s20, 9
	s_cbranch_scc0 .LBB151_2004
; %bb.2003:
	v_cndmask_b32_e64 v3, 0, 1, s[4:5]
	v_cvt_f64_u32_e32 v[3:4], v3
	v_mov_b32_e32 v5, 0
	v_mov_b32_e32 v6, v5
	s_mov_b64 s[0:1], 0
	global_store_dwordx4 v[1:2], v[3:6], off
.LBB151_2004:
	s_andn2_b64 vcc, exec, s[0:1]
	s_cbranch_vccnz .LBB151_2006
; %bb.2005:
	v_cndmask_b32_e64 v3, 0, 1.0, s[4:5]
	v_mov_b32_e32 v4, 0
	global_store_dwordx2 v[1:2], v[3:4], off
.LBB151_2006:
	s_mov_b64 s[0:1], 0
.LBB151_2007:
	s_andn2_b64 vcc, exec, s[0:1]
	s_cbranch_vccnz .LBB151_2009
; %bb.2008:
	v_cndmask_b32_e64 v3, 0, 1.0, s[4:5]
	v_cvt_f16_f32_e32 v3, v3
	global_store_dword v[1:2], v3, off
.LBB151_2009:
	s_mov_b64 s[0:1], 0
.LBB151_2010:
	s_andn2_b64 vcc, exec, s[0:1]
	s_cbranch_vccnz .LBB151_2019
; %bb.2011:
	s_cmp_lt_i32 s20, 6
	s_mov_b64 s[0:1], -1
	s_cbranch_scc1 .LBB151_2017
; %bb.2012:
	s_cmp_gt_i32 s20, 6
	s_cbranch_scc0 .LBB151_2014
; %bb.2013:
	v_cndmask_b32_e64 v3, 0, 1, s[4:5]
	v_cvt_f64_u32_e32 v[3:4], v3
	s_mov_b64 s[0:1], 0
	global_store_dwordx2 v[1:2], v[3:4], off
.LBB151_2014:
	s_andn2_b64 vcc, exec, s[0:1]
	s_cbranch_vccnz .LBB151_2016
; %bb.2015:
	v_cndmask_b32_e64 v3, 0, 1.0, s[4:5]
	global_store_dword v[1:2], v3, off
.LBB151_2016:
	s_mov_b64 s[0:1], 0
.LBB151_2017:
	s_andn2_b64 vcc, exec, s[0:1]
	s_cbranch_vccnz .LBB151_2019
; %bb.2018:
	v_cndmask_b32_e64 v3, 0, 1.0, s[4:5]
	v_cvt_f16_f32_e32 v3, v3
	global_store_short v[1:2], v3, off
.LBB151_2019:
	s_mov_b64 s[0:1], 0
.LBB151_2020:
	s_andn2_b64 vcc, exec, s[0:1]
	s_cbranch_vccnz .LBB151_2036
; %bb.2021:
	s_cmp_lt_i32 s20, 2
	s_mov_b64 s[0:1], -1
	s_cbranch_scc1 .LBB151_2031
; %bb.2022:
	s_cmp_lt_i32 s20, 3
	s_cbranch_scc1 .LBB151_2028
; %bb.2023:
	s_cmp_gt_i32 s20, 3
	s_cbranch_scc0 .LBB151_2025
; %bb.2024:
	s_mov_b32 s0, 0
	v_cndmask_b32_e64 v3, 0, 1, s[4:5]
	v_mov_b32_e32 v4, s0
	global_store_dwordx2 v[1:2], v[3:4], off
	s_mov_b64 s[0:1], 0
.LBB151_2025:
	s_andn2_b64 vcc, exec, s[0:1]
	s_cbranch_vccnz .LBB151_2027
; %bb.2026:
	v_cndmask_b32_e64 v3, 0, 1, s[4:5]
	global_store_dword v[1:2], v3, off
.LBB151_2027:
	s_mov_b64 s[0:1], 0
.LBB151_2028:
	s_andn2_b64 vcc, exec, s[0:1]
	s_cbranch_vccnz .LBB151_2030
; %bb.2029:
	v_cndmask_b32_e64 v3, 0, 1, s[4:5]
	global_store_short v[1:2], v3, off
.LBB151_2030:
	s_mov_b64 s[0:1], 0
.LBB151_2031:
	s_andn2_b64 vcc, exec, s[0:1]
	s_cbranch_vccnz .LBB151_2036
; %bb.2032:
	s_cmp_gt_i32 s20, 0
	s_mov_b64 s[0:1], -1
	s_cbranch_scc0 .LBB151_2034
; %bb.2033:
	v_cndmask_b32_e64 v3, 0, 1, s[4:5]
	global_store_byte v[1:2], v3, off
	s_mov_b64 s[0:1], 0
.LBB151_2034:
	s_andn2_b64 vcc, exec, s[0:1]
	s_cbranch_vccnz .LBB151_2036
; %bb.2035:
	v_cndmask_b32_e64 v3, 0, 1, s[4:5]
	global_store_byte v[1:2], v3, off
.LBB151_2036:
	s_mov_b64 s[12:13], -1
.LBB151_2037:
	s_andn2_b64 vcc, exec, s[12:13]
	s_cbranch_vccnz .LBB151_2114
; %bb.2038:
	v_mov_b32_e32 v1, s9
	v_add_co_u32_e32 v0, vcc, s8, v0
	s_cmp_lt_i32 s20, 11
	v_addc_co_u32_e32 v1, vcc, 0, v1, vcc
	s_cbranch_scc1 .LBB151_2115
; %bb.2039:
	s_mov_b64 s[6:7], -1
	s_mov_b64 s[4:5], 0
	s_cmp_gt_i32 s20, 25
	s_mov_b64 s[0:1], 0
	s_cbranch_scc0 .LBB151_2072
; %bb.2040:
	s_cmp_gt_i32 s20, 28
	s_cbranch_scc0 .LBB151_2056
; %bb.2041:
	s_cmp_gt_i32 s20, 43
	;; [unrolled: 3-line block ×3, first 2 shown]
	s_cbranch_scc0 .LBB151_2046
; %bb.2043:
	s_cmp_eq_u32 s20, 46
	s_mov_b64 s[0:1], -1
	s_cbranch_scc0 .LBB151_2045
; %bb.2044:
	v_cndmask_b32_e64 v2, 0, 1.0, s[10:11]
	v_bfe_u32 v3, v2, 16, 1
	s_movk_i32 s0, 0x7fff
	v_add3_u32 v2, v2, v3, s0
	v_lshrrev_b32_e32 v2, 16, v2
	global_store_dword v[0:1], v2, off
	s_mov_b64 s[0:1], 0
.LBB151_2045:
	s_mov_b64 s[6:7], 0
.LBB151_2046:
	s_and_b64 vcc, exec, s[6:7]
	s_cbranch_vccz .LBB151_2051
; %bb.2047:
	s_cmp_eq_u32 s20, 44
	s_mov_b64 s[0:1], -1
	s_cbranch_scc0 .LBB151_2051
; %bb.2048:
	v_cndmask_b32_e64 v3, 0, 1.0, s[10:11]
	v_lshrrev_b32_e32 v2, 23, v3
	s_movk_i32 s0, 0xff
	v_cmp_ne_u32_e32 vcc, s0, v2
	v_mov_b32_e32 v4, 0xff
	s_and_saveexec_b64 s[6:7], vcc
; %bb.2049:
	s_mov_b32 s0, 0x3fffff
	v_and_b32_e32 v4, 0x400000, v3
	v_and_or_b32 v3, v3, s0, v2
	v_cmp_ne_u32_e32 vcc, 0, v4
	v_cmp_ne_u32_e64 s[0:1], 0, v3
	s_and_b64 s[0:1], vcc, s[0:1]
	v_cndmask_b32_e64 v3, 0, 1, s[0:1]
	v_add_u32_e32 v4, v2, v3
; %bb.2050:
	s_or_b64 exec, exec, s[6:7]
	s_mov_b64 s[0:1], 0
	global_store_byte v[0:1], v4, off
.LBB151_2051:
	s_mov_b64 s[6:7], 0
.LBB151_2052:
	s_and_b64 vcc, exec, s[6:7]
	s_cbranch_vccz .LBB151_2055
; %bb.2053:
	s_cmp_eq_u32 s20, 29
	s_mov_b64 s[0:1], -1
	s_cbranch_scc0 .LBB151_2055
; %bb.2054:
	s_mov_b32 s0, 0
	v_cndmask_b32_e64 v2, 0, 1, s[10:11]
	v_mov_b32_e32 v3, s0
	global_store_dwordx2 v[0:1], v[2:3], off
	s_mov_b64 s[0:1], 0
.LBB151_2055:
	s_mov_b64 s[6:7], 0
.LBB151_2056:
	s_and_b64 vcc, exec, s[6:7]
	s_cbranch_vccz .LBB151_2071
; %bb.2057:
	s_cmp_lt_i32 s20, 27
	s_mov_b64 s[6:7], -1
	s_cbranch_scc1 .LBB151_2063
; %bb.2058:
	s_cmp_gt_i32 s20, 27
	s_cbranch_scc0 .LBB151_2060
; %bb.2059:
	v_cndmask_b32_e64 v2, 0, 1, s[10:11]
	global_store_dword v[0:1], v2, off
	s_mov_b64 s[6:7], 0
.LBB151_2060:
	s_andn2_b64 vcc, exec, s[6:7]
	s_cbranch_vccnz .LBB151_2062
; %bb.2061:
	v_cndmask_b32_e64 v2, 0, 1, s[10:11]
	global_store_short v[0:1], v2, off
.LBB151_2062:
	s_mov_b64 s[6:7], 0
.LBB151_2063:
	s_andn2_b64 vcc, exec, s[6:7]
	s_cbranch_vccnz .LBB151_2071
; %bb.2064:
	v_cndmask_b32_e64 v3, 0, 1.0, s[10:11]
	s_mov_b32 s6, 0x43800000
	v_cmp_gt_u32_e32 vcc, s6, v3
	v_mov_b32_e32 v4, 0x80
	s_and_saveexec_b64 s[6:7], vcc
	s_cbranch_execz .LBB151_2070
; %bb.2065:
	s_mov_b32 s8, 0x3bffffff
	v_cmp_lt_u32_e32 vcc, s8, v3
	s_mov_b64 s[8:9], 0
                                        ; implicit-def: $vgpr2
	s_and_saveexec_b64 s[12:13], vcc
	s_xor_b64 s[12:13], exec, s[12:13]
	s_cbranch_execz .LBB151_2132
; %bb.2066:
	v_bfe_u32 v2, v3, 20, 1
	s_mov_b32 s14, 0x487ffff
	v_add3_u32 v2, v3, v2, s14
	s_mov_b64 s[8:9], exec
	v_lshrrev_b32_e32 v2, 20, v2
                                        ; implicit-def: $vgpr3
	s_andn2_saveexec_b64 s[12:13], s[12:13]
	s_cbranch_execnz .LBB151_2133
.LBB151_2067:
	s_or_b64 exec, exec, s[12:13]
	v_mov_b32_e32 v4, 0
	s_and_saveexec_b64 s[12:13], s[8:9]
.LBB151_2068:
	v_mov_b32_e32 v4, v2
.LBB151_2069:
	s_or_b64 exec, exec, s[12:13]
.LBB151_2070:
	s_or_b64 exec, exec, s[6:7]
	global_store_byte v[0:1], v4, off
.LBB151_2071:
	s_mov_b64 s[6:7], 0
.LBB151_2072:
	s_and_b64 vcc, exec, s[6:7]
	s_cbranch_vccz .LBB151_2112
; %bb.2073:
	s_cmp_gt_i32 s20, 22
	s_mov_b64 s[4:5], -1
	s_cbranch_scc0 .LBB151_2105
; %bb.2074:
	s_cmp_lt_i32 s20, 24
	s_cbranch_scc1 .LBB151_2094
; %bb.2075:
	s_cmp_gt_i32 s20, 24
	s_cbranch_scc0 .LBB151_2083
; %bb.2076:
	v_cndmask_b32_e64 v3, 0, 1.0, s[10:11]
	s_mov_b32 s4, 0x47800000
	v_cmp_gt_u32_e32 vcc, s4, v3
	v_mov_b32_e32 v4, 0x80
	s_and_saveexec_b64 s[4:5], vcc
	s_cbranch_execz .LBB151_2082
; %bb.2077:
	s_mov_b32 s6, 0x37ffffff
	v_cmp_lt_u32_e32 vcc, s6, v3
	s_mov_b64 s[6:7], 0
                                        ; implicit-def: $vgpr2
	s_and_saveexec_b64 s[8:9], vcc
	s_xor_b64 s[8:9], exec, s[8:9]
	s_cbranch_execz .LBB151_2135
; %bb.2078:
	v_bfe_u32 v2, v3, 21, 1
	s_mov_b32 s12, 0x88fffff
	v_add3_u32 v2, v3, v2, s12
	s_mov_b64 s[6:7], exec
	v_lshrrev_b32_e32 v2, 21, v2
                                        ; implicit-def: $vgpr3
	s_andn2_saveexec_b64 s[8:9], s[8:9]
	s_cbranch_execnz .LBB151_2136
.LBB151_2079:
	s_or_b64 exec, exec, s[8:9]
	v_mov_b32_e32 v4, 0
	s_and_saveexec_b64 s[8:9], s[6:7]
.LBB151_2080:
	v_mov_b32_e32 v4, v2
.LBB151_2081:
	s_or_b64 exec, exec, s[8:9]
.LBB151_2082:
	s_or_b64 exec, exec, s[4:5]
	s_mov_b64 s[4:5], 0
	global_store_byte v[0:1], v4, off
.LBB151_2083:
	s_and_b64 vcc, exec, s[4:5]
	s_cbranch_vccz .LBB151_2093
; %bb.2084:
	v_cndmask_b32_e64 v2, 0, 1.0, s[10:11]
	s_mov_b32 s4, 0x43f00000
	v_cmp_gt_u32_e32 vcc, s4, v2
                                        ; implicit-def: $vgpr3
	s_and_saveexec_b64 s[4:5], vcc
	s_xor_b64 s[4:5], exec, s[4:5]
	s_cbranch_execz .LBB151_2090
; %bb.2085:
	s_mov_b32 s6, 0x3c7fffff
	v_cmp_lt_u32_e32 vcc, s6, v2
                                        ; implicit-def: $vgpr3
	s_and_saveexec_b64 s[6:7], vcc
	s_xor_b64 s[6:7], exec, s[6:7]
; %bb.2086:
	v_bfe_u32 v3, v2, 20, 1
	s_mov_b32 s8, 0x407ffff
	v_add3_u32 v2, v2, v3, s8
	v_lshrrev_b32_e32 v3, 20, v2
	v_and_b32_e32 v2, 0xff00000, v2
	s_mov_b32 s8, 0x7f00000
	v_mov_b32_e32 v4, 0x7e
	v_cmp_ne_u32_e32 vcc, s8, v2
	v_cndmask_b32_e32 v3, v4, v3, vcc
                                        ; implicit-def: $vgpr2
; %bb.2087:
	s_andn2_saveexec_b64 s[6:7], s[6:7]
; %bb.2088:
	v_add_f32_e32 v3, 0x46800000, v2
; %bb.2089:
	s_or_b64 exec, exec, s[6:7]
                                        ; implicit-def: $vgpr2
.LBB151_2090:
	s_andn2_saveexec_b64 s[4:5], s[4:5]
; %bb.2091:
	s_mov_b32 s6, 0x7f800000
	v_mov_b32_e32 v3, 0x7e
	v_mov_b32_e32 v4, 0x7f
	v_cmp_lt_u32_e32 vcc, s6, v2
	v_cndmask_b32_e32 v3, v3, v4, vcc
; %bb.2092:
	s_or_b64 exec, exec, s[4:5]
	global_store_byte v[0:1], v3, off
.LBB151_2093:
	s_mov_b64 s[4:5], 0
.LBB151_2094:
	s_andn2_b64 vcc, exec, s[4:5]
	s_cbranch_vccnz .LBB151_2104
; %bb.2095:
	v_cndmask_b32_e64 v2, 0, 1.0, s[10:11]
	s_mov_b32 s4, 0x47800000
	v_cmp_gt_u32_e32 vcc, s4, v2
                                        ; implicit-def: $vgpr3
	s_and_saveexec_b64 s[4:5], vcc
	s_xor_b64 s[4:5], exec, s[4:5]
	s_cbranch_execz .LBB151_2101
; %bb.2096:
	s_mov_b32 s6, 0x387fffff
	v_cmp_lt_u32_e32 vcc, s6, v2
                                        ; implicit-def: $vgpr3
	s_and_saveexec_b64 s[6:7], vcc
	s_xor_b64 s[6:7], exec, s[6:7]
; %bb.2097:
	v_bfe_u32 v3, v2, 21, 1
	s_mov_b32 s8, 0x80fffff
	v_add3_u32 v2, v2, v3, s8
	v_lshrrev_b32_e32 v3, 21, v2
                                        ; implicit-def: $vgpr2
; %bb.2098:
	s_andn2_saveexec_b64 s[6:7], s[6:7]
; %bb.2099:
	v_add_f32_e32 v3, 0x43000000, v2
; %bb.2100:
	s_or_b64 exec, exec, s[6:7]
                                        ; implicit-def: $vgpr2
.LBB151_2101:
	s_andn2_saveexec_b64 s[4:5], s[4:5]
; %bb.2102:
	s_mov_b32 s6, 0x7f800000
	v_mov_b32_e32 v3, 0x7c
	v_mov_b32_e32 v4, 0x7f
	v_cmp_lt_u32_e32 vcc, s6, v2
	v_cndmask_b32_e32 v3, v3, v4, vcc
; %bb.2103:
	s_or_b64 exec, exec, s[4:5]
	global_store_byte v[0:1], v3, off
.LBB151_2104:
	s_mov_b64 s[4:5], 0
.LBB151_2105:
	s_andn2_b64 vcc, exec, s[4:5]
	s_mov_b64 s[4:5], 0
	s_cbranch_vccnz .LBB151_2112
; %bb.2106:
	s_cmp_gt_i32 s20, 14
	s_mov_b64 s[6:7], -1
	s_cbranch_scc0 .LBB151_2110
; %bb.2107:
	s_cmp_eq_u32 s20, 15
	s_mov_b64 s[0:1], -1
	s_cbranch_scc0 .LBB151_2109
; %bb.2108:
	v_cndmask_b32_e64 v2, 0, 1.0, s[10:11]
	v_bfe_u32 v3, v2, 16, 1
	s_movk_i32 s0, 0x7fff
	v_add3_u32 v2, v2, v3, s0
	global_store_short_d16_hi v[0:1], v2, off
	s_mov_b64 s[0:1], 0
.LBB151_2109:
	s_mov_b64 s[6:7], 0
.LBB151_2110:
	s_and_b64 vcc, exec, s[6:7]
	s_cbranch_vccz .LBB151_2112
; %bb.2111:
	s_cmp_lg_u32 s20, 11
	s_mov_b64 s[4:5], -1
	s_cselect_b64 s[0:1], -1, 0
.LBB151_2112:
	s_and_b64 vcc, exec, s[0:1]
	s_cbranch_vccnz .LBB151_2134
.LBB151_2113:
	s_mov_b64 s[0:1], 0
	s_branch .LBB151_1624
.LBB151_2114:
	s_mov_b64 s[0:1], 0
	s_branch .LBB151_1623
.LBB151_2115:
	s_mov_b64 s[4:5], 0
	s_mov_b64 s[0:1], -1
	s_branch .LBB151_1624
.LBB151_2116:
	s_trap 2
	s_mov_b64 s[18:19], 0
	s_or_b64 s[2:3], s[2:3], exec
	s_cbranch_execz .LBB151_1566
	s_branch .LBB151_1567
.LBB151_2117:
	s_andn2_saveexec_b64 s[20:21], s[20:21]
	s_cbranch_execz .LBB151_1707
.LBB151_2118:
	v_add_f32_e32 v1, 0x46000000, v3
	v_and_b32_e32 v1, 0xff, v1
	v_cmp_ne_u32_e32 vcc, 0, v1
	s_andn2_b64 s[18:19], s[18:19], exec
	s_and_b64 s[24:25], vcc, exec
	s_or_b64 s[18:19], s[18:19], s[24:25]
	s_or_b64 exec, exec, s[20:21]
	v_mov_b32_e32 v7, 0
	s_and_saveexec_b64 s[20:21], s[18:19]
	s_cbranch_execnz .LBB151_1708
	s_branch .LBB151_1709
.LBB151_2119:
	s_trap 2
	s_or_b64 s[2:3], s[2:3], exec
	s_cbranch_execz .LBB151_1755
	s_branch .LBB151_1756
.LBB151_2120:
	s_andn2_saveexec_b64 s[18:19], s[18:19]
	s_cbranch_execz .LBB151_1720
.LBB151_2121:
	v_add_f32_e32 v1, 0x42800000, v3
	v_and_b32_e32 v1, 0xff, v1
	v_cmp_ne_u32_e32 vcc, 0, v1
	s_andn2_b64 s[16:17], s[16:17], exec
	s_and_b64 s[20:21], vcc, exec
	s_or_b64 s[16:17], s[16:17], s[20:21]
	s_or_b64 exec, exec, s[18:19]
	v_mov_b32_e32 v7, 0
	s_and_saveexec_b64 s[18:19], s[16:17]
	s_cbranch_execnz .LBB151_1721
	s_branch .LBB151_1722
.LBB151_2122:
	s_andn2_saveexec_b64 s[18:19], s[18:19]
	s_cbranch_execz .LBB151_1828
.LBB151_2123:
	v_add_f32_e32 v1, 0x46000000, v5
	v_and_b32_e32 v1, 0xff, v1
	v_cmp_ne_u32_e32 vcc, 0, v1
	s_andn2_b64 s[16:17], s[16:17], exec
	s_and_b64 s[24:25], vcc, exec
	s_or_b64 s[16:17], s[16:17], s[24:25]
	s_or_b64 exec, exec, s[18:19]
	v_mov_b32_e32 v6, 0
	s_and_saveexec_b64 s[18:19], s[16:17]
	s_cbranch_execnz .LBB151_1829
	s_branch .LBB151_1830
.LBB151_2124:
	s_trap 2
	s_or_b64 s[2:3], s[2:3], exec
	s_cbranch_execz .LBB151_1876
	s_branch .LBB151_1877
.LBB151_2125:
	s_andn2_saveexec_b64 s[16:17], s[16:17]
	s_cbranch_execz .LBB151_1841
.LBB151_2126:
	v_add_f32_e32 v1, 0x42800000, v5
	v_and_b32_e32 v1, 0xff, v1
	v_cmp_ne_u32_e32 vcc, 0, v1
	s_andn2_b64 s[14:15], s[14:15], exec
	s_and_b64 s[18:19], vcc, exec
	s_or_b64 s[14:15], s[14:15], s[18:19]
	s_or_b64 exec, exec, s[16:17]
	v_mov_b32_e32 v6, 0
	s_and_saveexec_b64 s[16:17], s[14:15]
	s_cbranch_execnz .LBB151_1842
	s_branch .LBB151_1843
.LBB151_2127:
	s_andn2_saveexec_b64 s[16:17], s[16:17]
	s_cbranch_execz .LBB151_1947
.LBB151_2128:
	v_add_f32_e32 v3, 0x46000000, v4
	v_and_b32_e32 v3, 0xff, v3
	v_cmp_ne_u32_e32 vcc, 0, v3
	s_andn2_b64 s[14:15], s[14:15], exec
	s_and_b64 s[18:19], vcc, exec
	s_or_b64 s[14:15], s[14:15], s[18:19]
	s_or_b64 exec, exec, s[16:17]
	v_mov_b32_e32 v5, 0
	s_and_saveexec_b64 s[16:17], s[14:15]
	s_cbranch_execnz .LBB151_1948
	s_branch .LBB151_1949
.LBB151_2129:
	s_trap 2
	s_or_b64 s[2:3], s[2:3], exec
	s_cbranch_execz .LBB151_1995
	s_branch .LBB151_1996
.LBB151_2130:
	s_andn2_saveexec_b64 s[14:15], s[14:15]
	s_cbranch_execz .LBB151_1960
.LBB151_2131:
	v_add_f32_e32 v3, 0x42800000, v4
	v_and_b32_e32 v3, 0xff, v3
	v_cmp_ne_u32_e32 vcc, 0, v3
	s_andn2_b64 s[12:13], s[12:13], exec
	s_and_b64 s[16:17], vcc, exec
	s_or_b64 s[12:13], s[12:13], s[16:17]
	s_or_b64 exec, exec, s[14:15]
	v_mov_b32_e32 v5, 0
	s_and_saveexec_b64 s[14:15], s[12:13]
	s_cbranch_execnz .LBB151_1961
	s_branch .LBB151_1962
.LBB151_2132:
	s_andn2_saveexec_b64 s[12:13], s[12:13]
	s_cbranch_execz .LBB151_2067
.LBB151_2133:
	v_add_f32_e32 v2, 0x46000000, v3
	v_and_b32_e32 v2, 0xff, v2
	v_cmp_ne_u32_e32 vcc, 0, v2
	s_andn2_b64 s[8:9], s[8:9], exec
	s_and_b64 s[14:15], vcc, exec
	s_or_b64 s[8:9], s[8:9], s[14:15]
	s_or_b64 exec, exec, s[12:13]
	v_mov_b32_e32 v4, 0
	s_and_saveexec_b64 s[12:13], s[8:9]
	s_cbranch_execnz .LBB151_2068
	s_branch .LBB151_2069
.LBB151_2134:
	s_mov_b64 s[4:5], 0
	s_or_b64 s[2:3], s[2:3], exec
	s_trap 2
	s_branch .LBB151_2113
.LBB151_2135:
	s_andn2_saveexec_b64 s[8:9], s[8:9]
	s_cbranch_execz .LBB151_2079
.LBB151_2136:
	v_add_f32_e32 v2, 0x42800000, v3
	v_and_b32_e32 v2, 0xff, v2
	v_cmp_ne_u32_e32 vcc, 0, v2
	s_andn2_b64 s[6:7], s[6:7], exec
	s_and_b64 s[12:13], vcc, exec
	s_or_b64 s[6:7], s[6:7], s[12:13]
	s_or_b64 exec, exec, s[8:9]
	v_mov_b32_e32 v4, 0
	s_and_saveexec_b64 s[8:9], s[6:7]
	s_cbranch_execnz .LBB151_2080
	s_branch .LBB151_2081
	.section	.rodata,"a",@progbits
	.p2align	6, 0x0
	.amdhsa_kernel _ZN2at6native32elementwise_kernel_manual_unrollILi128ELi4EZNS0_15gpu_kernel_implIZNS0_21compare_scalar_kernelIbEEvRNS_18TensorIteratorBaseENS0_12_GLOBAL__N_16OpTypeET_EUlbE_EEvS5_RKS8_EUlibE0_EEviT1_
		.amdhsa_group_segment_fixed_size 0
		.amdhsa_private_segment_fixed_size 0
		.amdhsa_kernarg_size 368
		.amdhsa_user_sgpr_count 6
		.amdhsa_user_sgpr_private_segment_buffer 1
		.amdhsa_user_sgpr_dispatch_ptr 0
		.amdhsa_user_sgpr_queue_ptr 0
		.amdhsa_user_sgpr_kernarg_segment_ptr 1
		.amdhsa_user_sgpr_dispatch_id 0
		.amdhsa_user_sgpr_flat_scratch_init 0
		.amdhsa_user_sgpr_private_segment_size 0
		.amdhsa_uses_dynamic_stack 0
		.amdhsa_system_sgpr_private_segment_wavefront_offset 0
		.amdhsa_system_sgpr_workgroup_id_x 1
		.amdhsa_system_sgpr_workgroup_id_y 0
		.amdhsa_system_sgpr_workgroup_id_z 0
		.amdhsa_system_sgpr_workgroup_info 0
		.amdhsa_system_vgpr_workitem_id 0
		.amdhsa_next_free_vgpr 18
		.amdhsa_next_free_sgpr 83
		.amdhsa_reserve_vcc 1
		.amdhsa_reserve_flat_scratch 0
		.amdhsa_float_round_mode_32 0
		.amdhsa_float_round_mode_16_64 0
		.amdhsa_float_denorm_mode_32 3
		.amdhsa_float_denorm_mode_16_64 3
		.amdhsa_dx10_clamp 1
		.amdhsa_ieee_mode 1
		.amdhsa_fp16_overflow 0
		.amdhsa_exception_fp_ieee_invalid_op 0
		.amdhsa_exception_fp_denorm_src 0
		.amdhsa_exception_fp_ieee_div_zero 0
		.amdhsa_exception_fp_ieee_overflow 0
		.amdhsa_exception_fp_ieee_underflow 0
		.amdhsa_exception_fp_ieee_inexact 0
		.amdhsa_exception_int_div_zero 0
	.end_amdhsa_kernel
	.section	.text._ZN2at6native32elementwise_kernel_manual_unrollILi128ELi4EZNS0_15gpu_kernel_implIZNS0_21compare_scalar_kernelIbEEvRNS_18TensorIteratorBaseENS0_12_GLOBAL__N_16OpTypeET_EUlbE_EEvS5_RKS8_EUlibE0_EEviT1_,"axG",@progbits,_ZN2at6native32elementwise_kernel_manual_unrollILi128ELi4EZNS0_15gpu_kernel_implIZNS0_21compare_scalar_kernelIbEEvRNS_18TensorIteratorBaseENS0_12_GLOBAL__N_16OpTypeET_EUlbE_EEvS5_RKS8_EUlibE0_EEviT1_,comdat
.Lfunc_end151:
	.size	_ZN2at6native32elementwise_kernel_manual_unrollILi128ELi4EZNS0_15gpu_kernel_implIZNS0_21compare_scalar_kernelIbEEvRNS_18TensorIteratorBaseENS0_12_GLOBAL__N_16OpTypeET_EUlbE_EEvS5_RKS8_EUlibE0_EEviT1_, .Lfunc_end151-_ZN2at6native32elementwise_kernel_manual_unrollILi128ELi4EZNS0_15gpu_kernel_implIZNS0_21compare_scalar_kernelIbEEvRNS_18TensorIteratorBaseENS0_12_GLOBAL__N_16OpTypeET_EUlbE_EEvS5_RKS8_EUlibE0_EEviT1_
                                        ; -- End function
	.set _ZN2at6native32elementwise_kernel_manual_unrollILi128ELi4EZNS0_15gpu_kernel_implIZNS0_21compare_scalar_kernelIbEEvRNS_18TensorIteratorBaseENS0_12_GLOBAL__N_16OpTypeET_EUlbE_EEvS5_RKS8_EUlibE0_EEviT1_.num_vgpr, 18
	.set _ZN2at6native32elementwise_kernel_manual_unrollILi128ELi4EZNS0_15gpu_kernel_implIZNS0_21compare_scalar_kernelIbEEvRNS_18TensorIteratorBaseENS0_12_GLOBAL__N_16OpTypeET_EUlbE_EEvS5_RKS8_EUlibE0_EEviT1_.num_agpr, 0
	.set _ZN2at6native32elementwise_kernel_manual_unrollILi128ELi4EZNS0_15gpu_kernel_implIZNS0_21compare_scalar_kernelIbEEvRNS_18TensorIteratorBaseENS0_12_GLOBAL__N_16OpTypeET_EUlbE_EEvS5_RKS8_EUlibE0_EEviT1_.numbered_sgpr, 83
	.set _ZN2at6native32elementwise_kernel_manual_unrollILi128ELi4EZNS0_15gpu_kernel_implIZNS0_21compare_scalar_kernelIbEEvRNS_18TensorIteratorBaseENS0_12_GLOBAL__N_16OpTypeET_EUlbE_EEvS5_RKS8_EUlibE0_EEviT1_.num_named_barrier, 0
	.set _ZN2at6native32elementwise_kernel_manual_unrollILi128ELi4EZNS0_15gpu_kernel_implIZNS0_21compare_scalar_kernelIbEEvRNS_18TensorIteratorBaseENS0_12_GLOBAL__N_16OpTypeET_EUlbE_EEvS5_RKS8_EUlibE0_EEviT1_.private_seg_size, 0
	.set _ZN2at6native32elementwise_kernel_manual_unrollILi128ELi4EZNS0_15gpu_kernel_implIZNS0_21compare_scalar_kernelIbEEvRNS_18TensorIteratorBaseENS0_12_GLOBAL__N_16OpTypeET_EUlbE_EEvS5_RKS8_EUlibE0_EEviT1_.uses_vcc, 1
	.set _ZN2at6native32elementwise_kernel_manual_unrollILi128ELi4EZNS0_15gpu_kernel_implIZNS0_21compare_scalar_kernelIbEEvRNS_18TensorIteratorBaseENS0_12_GLOBAL__N_16OpTypeET_EUlbE_EEvS5_RKS8_EUlibE0_EEviT1_.uses_flat_scratch, 0
	.set _ZN2at6native32elementwise_kernel_manual_unrollILi128ELi4EZNS0_15gpu_kernel_implIZNS0_21compare_scalar_kernelIbEEvRNS_18TensorIteratorBaseENS0_12_GLOBAL__N_16OpTypeET_EUlbE_EEvS5_RKS8_EUlibE0_EEviT1_.has_dyn_sized_stack, 0
	.set _ZN2at6native32elementwise_kernel_manual_unrollILi128ELi4EZNS0_15gpu_kernel_implIZNS0_21compare_scalar_kernelIbEEvRNS_18TensorIteratorBaseENS0_12_GLOBAL__N_16OpTypeET_EUlbE_EEvS5_RKS8_EUlibE0_EEviT1_.has_recursion, 0
	.set _ZN2at6native32elementwise_kernel_manual_unrollILi128ELi4EZNS0_15gpu_kernel_implIZNS0_21compare_scalar_kernelIbEEvRNS_18TensorIteratorBaseENS0_12_GLOBAL__N_16OpTypeET_EUlbE_EEvS5_RKS8_EUlibE0_EEviT1_.has_indirect_call, 0
	.section	.AMDGPU.csdata,"",@progbits
; Kernel info:
; codeLenInByte = 33636
; TotalNumSgprs: 87
; NumVgprs: 18
; ScratchSize: 0
; MemoryBound: 1
; FloatMode: 240
; IeeeMode: 1
; LDSByteSize: 0 bytes/workgroup (compile time only)
; SGPRBlocks: 10
; VGPRBlocks: 4
; NumSGPRsForWavesPerEU: 87
; NumVGPRsForWavesPerEU: 18
; Occupancy: 9
; WaveLimiterHint : 1
; COMPUTE_PGM_RSRC2:SCRATCH_EN: 0
; COMPUTE_PGM_RSRC2:USER_SGPR: 6
; COMPUTE_PGM_RSRC2:TRAP_HANDLER: 0
; COMPUTE_PGM_RSRC2:TGID_X_EN: 1
; COMPUTE_PGM_RSRC2:TGID_Y_EN: 0
; COMPUTE_PGM_RSRC2:TGID_Z_EN: 0
; COMPUTE_PGM_RSRC2:TIDIG_COMP_CNT: 0
	.section	.text._ZN2at6native29vectorized_elementwise_kernelILi16ENS0_12_GLOBAL__N_114CompareFunctorIbEESt5arrayIPcLm3EEEEviT0_T1_,"axG",@progbits,_ZN2at6native29vectorized_elementwise_kernelILi16ENS0_12_GLOBAL__N_114CompareFunctorIbEESt5arrayIPcLm3EEEEviT0_T1_,comdat
	.globl	_ZN2at6native29vectorized_elementwise_kernelILi16ENS0_12_GLOBAL__N_114CompareFunctorIbEESt5arrayIPcLm3EEEEviT0_T1_ ; -- Begin function _ZN2at6native29vectorized_elementwise_kernelILi16ENS0_12_GLOBAL__N_114CompareFunctorIbEESt5arrayIPcLm3EEEEviT0_T1_
	.p2align	8
	.type	_ZN2at6native29vectorized_elementwise_kernelILi16ENS0_12_GLOBAL__N_114CompareFunctorIbEESt5arrayIPcLm3EEEEviT0_T1_,@function
_ZN2at6native29vectorized_elementwise_kernelILi16ENS0_12_GLOBAL__N_114CompareFunctorIbEESt5arrayIPcLm3EEEEviT0_T1_: ; @_ZN2at6native29vectorized_elementwise_kernelILi16ENS0_12_GLOBAL__N_114CompareFunctorIbEESt5arrayIPcLm3EEEEviT0_T1_
; %bb.0:
	s_load_dwordx2 s[12:13], s[4:5], 0x0
	s_load_dwordx4 s[8:11], s[4:5], 0x8
	s_load_dwordx2 s[14:15], s[4:5], 0x18
	s_lshl_b32 s33, s6, 12
	s_mov_b64 s[0:1], -1
	s_waitcnt lgkmcnt(0)
	s_sub_i32 s12, s12, s33
	s_cmpk_gt_i32 s12, 0xfff
	s_cbranch_scc0 .LBB152_211
; %bb.1:
	s_ashr_i32 s52, s33, 31
	s_add_u32 s0, s10, s33
	s_addc_u32 s1, s11, s52
	v_lshlrev_b32_e32 v9, 4, v0
	s_add_u32 s2, s14, s33
	s_addc_u32 s3, s15, s52
	global_load_dwordx4 v[1:4], v9, s[0:1]
	global_load_dwordx4 v[5:8], v9, s[2:3]
	v_mov_b32_e32 v10, 0
	s_cmp_lt_i32 s13, 1
	s_mov_b64 s[6:7], 0
	s_waitcnt vmcnt(1)
	v_cmp_ne_u16_sdwa s[0:1], v1, v10 src0_sel:BYTE_0 src1_sel:DWORD
	s_waitcnt vmcnt(0)
	v_cmp_ne_u16_sdwa s[2:3], v5, v10 src0_sel:BYTE_0 src1_sel:DWORD
	s_cbranch_scc1 .LBB152_5
; %bb.2:
	s_cmp_gt_i32 s13, 1
	s_cbranch_scc0 .LBB152_6
; %bb.3:
	s_cmp_eq_u32 s13, 2
	s_cbranch_scc0 .LBB152_7
; %bb.4:
	s_xor_b64 s[4:5], s[0:1], -1
	s_or_b64 s[4:5], s[2:3], s[4:5]
	s_mov_b64 s[16:17], 0
	s_branch .LBB152_8
.LBB152_5:
                                        ; implicit-def: $sgpr4_sgpr5
	s_mov_b64 s[16:17], 0
	s_cbranch_execnz .LBB152_11
	s_branch .LBB152_12
.LBB152_6:
	s_mov_b64 s[16:17], 0
                                        ; implicit-def: $sgpr4_sgpr5
	s_cbranch_execnz .LBB152_9
	s_branch .LBB152_10
.LBB152_7:
	s_mov_b64 s[16:17], -1
                                        ; implicit-def: $sgpr4_sgpr5
.LBB152_8:
	s_branch .LBB152_10
.LBB152_9:
	s_xor_b64 s[18:19], s[2:3], -1
	s_and_b64 s[18:19], s[0:1], s[18:19]
	s_andn2_b64 s[4:5], s[4:5], exec
	s_and_b64 s[18:19], s[18:19], exec
	s_or_b64 s[4:5], s[4:5], s[18:19]
.LBB152_10:
	s_branch .LBB152_12
.LBB152_11:
	s_cmp_lg_u32 s13, 0
	s_mov_b64 s[6:7], -1
	s_cselect_b64 s[16:17], -1, 0
.LBB152_12:
	s_andn2_b64 vcc, exec, s[16:17]
	s_cbranch_vccz .LBB152_19
; %bb.13:
	s_andn2_b64 vcc, exec, s[6:7]
	s_cbranch_vccnz .LBB152_15
.LBB152_14:
	s_xor_b64 s[2:3], s[2:3], -1
	s_or_b64 s[0:1], s[0:1], s[2:3]
	s_andn2_b64 s[2:3], s[4:5], exec
	s_and_b64 s[0:1], s[0:1], exec
	s_or_b64 s[4:5], s[2:3], s[0:1]
.LBB152_15:
	v_lshrrev_b32_e32 v16, 8, v1
	v_lshrrev_b32_e32 v17, 8, v5
	v_mov_b32_e32 v18, 0
	v_lshrrev_b32_e32 v10, 8, v4
	v_lshrrev_b32_e32 v12, 8, v3
	;; [unrolled: 1-line block ×6, first 2 shown]
	v_cmp_ne_u16_sdwa s[0:1], v16, v18 src0_sel:BYTE_0 src1_sel:DWORD
	v_cmp_ne_u16_sdwa s[2:3], v17, v18 src0_sel:BYTE_0 src1_sel:DWORD
	s_cmp_lt_i32 s13, 1
	s_mov_b64 s[16:17], 0
	s_cbranch_scc1 .LBB152_20
; %bb.16:
	s_cmp_gt_i32 s13, 1
	s_cbranch_scc0 .LBB152_21
; %bb.17:
	s_cmp_eq_u32 s13, 2
	s_cbranch_scc0 .LBB152_251
; %bb.18:
	s_xor_b64 s[6:7], s[0:1], -1
	s_or_b64 s[6:7], s[2:3], s[6:7]
	s_mov_b64 s[18:19], 0
	s_branch .LBB152_23
.LBB152_19:
	s_xor_b64 s[6:7], s[0:1], -1
	s_and_b64 s[16:17], s[2:3], s[6:7]
	s_andn2_b64 s[4:5], s[4:5], exec
	s_and_b64 s[16:17], s[16:17], exec
	s_or_b64 s[4:5], s[4:5], s[16:17]
	s_cbranch_execz .LBB152_14
	s_branch .LBB152_15
.LBB152_20:
                                        ; implicit-def: $sgpr6_sgpr7
	s_mov_b64 s[18:19], 0
	s_cbranch_execnz .LBB152_24
	s_branch .LBB152_25
.LBB152_21:
	s_mov_b64 s[18:19], 0
                                        ; implicit-def: $sgpr6_sgpr7
	s_cbranch_execz .LBB152_23
; %bb.22:
	s_xor_b64 s[20:21], s[2:3], -1
	s_and_b64 s[20:21], s[0:1], s[20:21]
	s_andn2_b64 s[6:7], s[6:7], exec
	s_and_b64 s[20:21], s[20:21], exec
	s_or_b64 s[6:7], s[6:7], s[20:21]
.LBB152_23:
	s_branch .LBB152_25
.LBB152_24:
	s_cmp_lg_u32 s13, 0
	s_mov_b64 s[16:17], -1
	s_cselect_b64 s[18:19], -1, 0
.LBB152_25:
	s_andn2_b64 vcc, exec, s[18:19]
	s_cbranch_vccz .LBB152_32
; %bb.26:
	s_andn2_b64 vcc, exec, s[16:17]
	s_cbranch_vccnz .LBB152_28
.LBB152_27:
	s_xor_b64 s[2:3], s[2:3], -1
	s_or_b64 s[0:1], s[0:1], s[2:3]
	s_andn2_b64 s[2:3], s[6:7], exec
	s_and_b64 s[0:1], s[0:1], exec
	s_or_b64 s[6:7], s[2:3], s[0:1]
.LBB152_28:
	s_movk_i32 s2, 0xff
	v_and_b32_sdwa v16, v1, s2 dst_sel:DWORD dst_unused:UNUSED_PAD src0_sel:WORD_1 src1_sel:DWORD
	v_cmp_ne_u16_e64 s[0:1], 0, v16
	v_and_b32_sdwa v16, v5, s2 dst_sel:DWORD dst_unused:UNUSED_PAD src0_sel:WORD_1 src1_sel:DWORD
	v_cmp_ne_u16_e64 s[2:3], 0, v16
	s_cmp_lt_i32 s13, 1
	s_mov_b64 s[18:19], 0
	s_cbranch_scc1 .LBB152_33
; %bb.29:
	s_cmp_gt_i32 s13, 1
	s_cbranch_scc0 .LBB152_34
; %bb.30:
	s_cmp_eq_u32 s13, 2
	s_cbranch_scc0 .LBB152_252
; %bb.31:
	s_xor_b64 s[16:17], s[0:1], -1
	s_or_b64 s[16:17], s[2:3], s[16:17]
	s_mov_b64 s[20:21], 0
	s_branch .LBB152_36
.LBB152_32:
	s_xor_b64 s[16:17], s[0:1], -1
	s_and_b64 s[18:19], s[2:3], s[16:17]
	s_andn2_b64 s[6:7], s[6:7], exec
	s_and_b64 s[18:19], s[18:19], exec
	s_or_b64 s[6:7], s[6:7], s[18:19]
	s_cbranch_execz .LBB152_27
	s_branch .LBB152_28
.LBB152_33:
                                        ; implicit-def: $sgpr16_sgpr17
	s_mov_b64 s[20:21], 0
	s_cbranch_execnz .LBB152_37
	s_branch .LBB152_38
.LBB152_34:
	s_mov_b64 s[20:21], 0
                                        ; implicit-def: $sgpr16_sgpr17
	s_cbranch_execz .LBB152_36
; %bb.35:
	s_xor_b64 s[22:23], s[2:3], -1
	s_and_b64 s[22:23], s[0:1], s[22:23]
	s_andn2_b64 s[16:17], s[16:17], exec
	s_and_b64 s[22:23], s[22:23], exec
	s_or_b64 s[16:17], s[16:17], s[22:23]
.LBB152_36:
	s_branch .LBB152_38
.LBB152_37:
	s_cmp_lg_u32 s13, 0
	s_mov_b64 s[18:19], -1
	s_cselect_b64 s[20:21], -1, 0
.LBB152_38:
	s_andn2_b64 vcc, exec, s[20:21]
	s_cbranch_vccz .LBB152_45
; %bb.39:
	s_andn2_b64 vcc, exec, s[18:19]
	s_cbranch_vccnz .LBB152_41
.LBB152_40:
	s_xor_b64 s[2:3], s[2:3], -1
	s_or_b64 s[0:1], s[0:1], s[2:3]
	s_andn2_b64 s[2:3], s[16:17], exec
	s_and_b64 s[0:1], s[0:1], exec
	s_or_b64 s[16:17], s[2:3], s[0:1]
.LBB152_41:
	v_mov_b32_e32 v16, 0
	v_cmp_ne_u16_sdwa s[0:1], v1, v16 src0_sel:BYTE_3 src1_sel:DWORD
	v_cmp_ne_u16_sdwa s[2:3], v5, v16 src0_sel:BYTE_3 src1_sel:DWORD
	s_cmp_lt_i32 s13, 1
	s_mov_b64 s[20:21], 0
	s_cbranch_scc1 .LBB152_46
; %bb.42:
	s_cmp_gt_i32 s13, 1
	s_cbranch_scc0 .LBB152_47
; %bb.43:
	s_cmp_eq_u32 s13, 2
	s_cbranch_scc0 .LBB152_253
; %bb.44:
	s_xor_b64 s[18:19], s[0:1], -1
	s_or_b64 s[18:19], s[2:3], s[18:19]
	s_mov_b64 s[22:23], 0
	s_branch .LBB152_49
.LBB152_45:
	s_xor_b64 s[18:19], s[0:1], -1
	s_and_b64 s[20:21], s[2:3], s[18:19]
	s_andn2_b64 s[16:17], s[16:17], exec
	s_and_b64 s[20:21], s[20:21], exec
	s_or_b64 s[16:17], s[16:17], s[20:21]
	s_cbranch_execz .LBB152_40
	s_branch .LBB152_41
.LBB152_46:
                                        ; implicit-def: $sgpr18_sgpr19
	s_mov_b64 s[22:23], 0
	s_cbranch_execnz .LBB152_50
	s_branch .LBB152_51
.LBB152_47:
	s_mov_b64 s[22:23], 0
                                        ; implicit-def: $sgpr18_sgpr19
	s_cbranch_execz .LBB152_49
; %bb.48:
	s_xor_b64 s[24:25], s[2:3], -1
	s_and_b64 s[24:25], s[0:1], s[24:25]
	s_andn2_b64 s[18:19], s[18:19], exec
	s_and_b64 s[24:25], s[24:25], exec
	s_or_b64 s[18:19], s[18:19], s[24:25]
.LBB152_49:
	s_branch .LBB152_51
.LBB152_50:
	s_cmp_lg_u32 s13, 0
	s_mov_b64 s[20:21], -1
	s_cselect_b64 s[22:23], -1, 0
.LBB152_51:
	s_andn2_b64 vcc, exec, s[22:23]
	s_cbranch_vccz .LBB152_58
; %bb.52:
	s_andn2_b64 vcc, exec, s[20:21]
	s_cbranch_vccnz .LBB152_54
.LBB152_53:
	s_xor_b64 s[2:3], s[2:3], -1
	s_or_b64 s[0:1], s[0:1], s[2:3]
	s_andn2_b64 s[2:3], s[18:19], exec
	s_and_b64 s[0:1], s[0:1], exec
	s_or_b64 s[18:19], s[2:3], s[0:1]
.LBB152_54:
	v_mov_b32_e32 v1, 0
	v_cmp_ne_u16_sdwa s[0:1], v2, v1 src0_sel:BYTE_0 src1_sel:DWORD
	v_cmp_ne_u16_sdwa s[2:3], v6, v1 src0_sel:BYTE_0 src1_sel:DWORD
	s_cmp_lt_i32 s13, 1
	s_mov_b64 s[22:23], 0
	s_cbranch_scc1 .LBB152_59
; %bb.55:
	s_cmp_gt_i32 s13, 1
	s_cbranch_scc0 .LBB152_60
; %bb.56:
	s_cmp_eq_u32 s13, 2
	s_cbranch_scc0 .LBB152_254
; %bb.57:
	s_xor_b64 s[20:21], s[0:1], -1
	s_or_b64 s[20:21], s[2:3], s[20:21]
	s_mov_b64 s[24:25], 0
	s_branch .LBB152_62
.LBB152_58:
	s_xor_b64 s[20:21], s[0:1], -1
	s_and_b64 s[22:23], s[2:3], s[20:21]
	s_andn2_b64 s[18:19], s[18:19], exec
	s_and_b64 s[22:23], s[22:23], exec
	s_or_b64 s[18:19], s[18:19], s[22:23]
	s_cbranch_execz .LBB152_53
	s_branch .LBB152_54
.LBB152_59:
                                        ; implicit-def: $sgpr20_sgpr21
	s_mov_b64 s[24:25], 0
	s_cbranch_execnz .LBB152_63
	s_branch .LBB152_64
.LBB152_60:
	s_mov_b64 s[24:25], 0
                                        ; implicit-def: $sgpr20_sgpr21
	s_cbranch_execz .LBB152_62
; %bb.61:
	s_xor_b64 s[26:27], s[2:3], -1
	s_and_b64 s[26:27], s[0:1], s[26:27]
	s_andn2_b64 s[20:21], s[20:21], exec
	s_and_b64 s[26:27], s[26:27], exec
	s_or_b64 s[20:21], s[20:21], s[26:27]
.LBB152_62:
	s_branch .LBB152_64
.LBB152_63:
	s_cmp_lg_u32 s13, 0
	s_mov_b64 s[22:23], -1
	s_cselect_b64 s[24:25], -1, 0
.LBB152_64:
	s_andn2_b64 vcc, exec, s[24:25]
	s_cbranch_vccz .LBB152_71
; %bb.65:
	s_andn2_b64 vcc, exec, s[22:23]
	s_cbranch_vccnz .LBB152_67
.LBB152_66:
	s_xor_b64 s[2:3], s[2:3], -1
	s_or_b64 s[0:1], s[0:1], s[2:3]
	s_andn2_b64 s[2:3], s[20:21], exec
	s_and_b64 s[0:1], s[0:1], exec
	s_or_b64 s[20:21], s[2:3], s[0:1]
.LBB152_67:
	v_mov_b32_e32 v1, 0
	v_cmp_ne_u16_sdwa s[0:1], v14, v1 src0_sel:BYTE_0 src1_sel:DWORD
	v_cmp_ne_u16_sdwa s[2:3], v15, v1 src0_sel:BYTE_0 src1_sel:DWORD
	s_cmp_lt_i32 s13, 1
	s_mov_b64 s[24:25], 0
	s_cbranch_scc1 .LBB152_72
; %bb.68:
	s_cmp_gt_i32 s13, 1
	s_cbranch_scc0 .LBB152_73
; %bb.69:
	s_cmp_eq_u32 s13, 2
	s_cbranch_scc0 .LBB152_255
; %bb.70:
	s_xor_b64 s[22:23], s[0:1], -1
	s_or_b64 s[22:23], s[2:3], s[22:23]
	s_mov_b64 s[26:27], 0
	s_branch .LBB152_75
.LBB152_71:
	s_xor_b64 s[22:23], s[0:1], -1
	s_and_b64 s[24:25], s[2:3], s[22:23]
	s_andn2_b64 s[20:21], s[20:21], exec
	s_and_b64 s[24:25], s[24:25], exec
	s_or_b64 s[20:21], s[20:21], s[24:25]
	s_cbranch_execz .LBB152_66
	s_branch .LBB152_67
.LBB152_72:
                                        ; implicit-def: $sgpr22_sgpr23
	s_mov_b64 s[26:27], 0
	s_cbranch_execnz .LBB152_76
	s_branch .LBB152_77
.LBB152_73:
	s_mov_b64 s[26:27], 0
                                        ; implicit-def: $sgpr22_sgpr23
	s_cbranch_execz .LBB152_75
; %bb.74:
	s_xor_b64 s[28:29], s[2:3], -1
	s_and_b64 s[28:29], s[0:1], s[28:29]
	s_andn2_b64 s[22:23], s[22:23], exec
	s_and_b64 s[28:29], s[28:29], exec
	s_or_b64 s[22:23], s[22:23], s[28:29]
.LBB152_75:
	s_branch .LBB152_77
.LBB152_76:
	s_cmp_lg_u32 s13, 0
	s_mov_b64 s[24:25], -1
	s_cselect_b64 s[26:27], -1, 0
.LBB152_77:
	s_andn2_b64 vcc, exec, s[26:27]
	s_cbranch_vccz .LBB152_84
; %bb.78:
	s_andn2_b64 vcc, exec, s[24:25]
	s_cbranch_vccnz .LBB152_80
.LBB152_79:
	s_xor_b64 s[2:3], s[2:3], -1
	s_or_b64 s[0:1], s[0:1], s[2:3]
	s_andn2_b64 s[2:3], s[22:23], exec
	s_and_b64 s[0:1], s[0:1], exec
	s_or_b64 s[22:23], s[2:3], s[0:1]
.LBB152_80:
	s_movk_i32 s2, 0xff
	v_and_b32_sdwa v1, v2, s2 dst_sel:DWORD dst_unused:UNUSED_PAD src0_sel:WORD_1 src1_sel:DWORD
	v_cmp_ne_u16_e64 s[0:1], 0, v1
	v_and_b32_sdwa v1, v6, s2 dst_sel:DWORD dst_unused:UNUSED_PAD src0_sel:WORD_1 src1_sel:DWORD
	v_cmp_ne_u16_e64 s[2:3], 0, v1
	s_cmp_lt_i32 s13, 1
	s_mov_b64 s[26:27], 0
	s_cbranch_scc1 .LBB152_85
; %bb.81:
	s_cmp_gt_i32 s13, 1
	s_cbranch_scc0 .LBB152_86
; %bb.82:
	s_cmp_eq_u32 s13, 2
	s_cbranch_scc0 .LBB152_256
; %bb.83:
	s_xor_b64 s[24:25], s[0:1], -1
	s_or_b64 s[24:25], s[2:3], s[24:25]
	s_mov_b64 s[28:29], 0
	s_branch .LBB152_88
.LBB152_84:
	s_xor_b64 s[24:25], s[0:1], -1
	s_and_b64 s[26:27], s[2:3], s[24:25]
	s_andn2_b64 s[22:23], s[22:23], exec
	s_and_b64 s[26:27], s[26:27], exec
	s_or_b64 s[22:23], s[22:23], s[26:27]
	s_cbranch_execz .LBB152_79
	s_branch .LBB152_80
.LBB152_85:
                                        ; implicit-def: $sgpr24_sgpr25
	s_mov_b64 s[28:29], 0
	s_cbranch_execnz .LBB152_89
	s_branch .LBB152_90
.LBB152_86:
	s_mov_b64 s[28:29], 0
                                        ; implicit-def: $sgpr24_sgpr25
	s_cbranch_execz .LBB152_88
; %bb.87:
	s_xor_b64 s[30:31], s[2:3], -1
	s_and_b64 s[30:31], s[0:1], s[30:31]
	s_andn2_b64 s[24:25], s[24:25], exec
	s_and_b64 s[30:31], s[30:31], exec
	s_or_b64 s[24:25], s[24:25], s[30:31]
.LBB152_88:
	s_branch .LBB152_90
.LBB152_89:
	s_cmp_lg_u32 s13, 0
	s_mov_b64 s[26:27], -1
	s_cselect_b64 s[28:29], -1, 0
.LBB152_90:
	s_andn2_b64 vcc, exec, s[28:29]
	s_cbranch_vccz .LBB152_97
; %bb.91:
	s_andn2_b64 vcc, exec, s[26:27]
	s_cbranch_vccnz .LBB152_93
.LBB152_92:
	s_xor_b64 s[2:3], s[2:3], -1
	s_or_b64 s[0:1], s[0:1], s[2:3]
	s_andn2_b64 s[2:3], s[24:25], exec
	s_and_b64 s[0:1], s[0:1], exec
	s_or_b64 s[24:25], s[2:3], s[0:1]
.LBB152_93:
	v_mov_b32_e32 v1, 0
	v_cmp_ne_u16_sdwa s[0:1], v2, v1 src0_sel:BYTE_3 src1_sel:DWORD
	v_cmp_ne_u16_sdwa s[2:3], v6, v1 src0_sel:BYTE_3 src1_sel:DWORD
	s_cmp_lt_i32 s13, 1
	s_mov_b64 s[28:29], 0
	s_cbranch_scc1 .LBB152_98
; %bb.94:
	s_cmp_gt_i32 s13, 1
	s_cbranch_scc0 .LBB152_99
; %bb.95:
	s_cmp_eq_u32 s13, 2
	s_cbranch_scc0 .LBB152_257
; %bb.96:
	s_xor_b64 s[26:27], s[0:1], -1
	s_or_b64 s[26:27], s[2:3], s[26:27]
	s_mov_b64 s[30:31], 0
	s_branch .LBB152_101
.LBB152_97:
	s_xor_b64 s[26:27], s[0:1], -1
	s_and_b64 s[28:29], s[2:3], s[26:27]
	s_andn2_b64 s[24:25], s[24:25], exec
	s_and_b64 s[28:29], s[28:29], exec
	s_or_b64 s[24:25], s[24:25], s[28:29]
	s_cbranch_execz .LBB152_92
	s_branch .LBB152_93
.LBB152_98:
                                        ; implicit-def: $sgpr26_sgpr27
	s_mov_b64 s[30:31], 0
	s_cbranch_execnz .LBB152_102
	s_branch .LBB152_103
.LBB152_99:
	s_mov_b64 s[30:31], 0
                                        ; implicit-def: $sgpr26_sgpr27
	s_cbranch_execz .LBB152_101
; %bb.100:
	s_xor_b64 s[34:35], s[2:3], -1
	s_and_b64 s[34:35], s[0:1], s[34:35]
	s_andn2_b64 s[26:27], s[26:27], exec
	s_and_b64 s[34:35], s[34:35], exec
	s_or_b64 s[26:27], s[26:27], s[34:35]
.LBB152_101:
	s_branch .LBB152_103
.LBB152_102:
	s_cmp_lg_u32 s13, 0
	s_mov_b64 s[28:29], -1
	s_cselect_b64 s[30:31], -1, 0
.LBB152_103:
	s_andn2_b64 vcc, exec, s[30:31]
	s_cbranch_vccz .LBB152_110
; %bb.104:
	s_andn2_b64 vcc, exec, s[28:29]
	s_cbranch_vccnz .LBB152_106
.LBB152_105:
	s_xor_b64 s[2:3], s[2:3], -1
	s_or_b64 s[0:1], s[0:1], s[2:3]
	s_andn2_b64 s[2:3], s[26:27], exec
	s_and_b64 s[0:1], s[0:1], exec
	s_or_b64 s[26:27], s[2:3], s[0:1]
.LBB152_106:
	v_mov_b32_e32 v1, 0
	v_cmp_ne_u16_sdwa s[0:1], v3, v1 src0_sel:BYTE_0 src1_sel:DWORD
	v_cmp_ne_u16_sdwa s[2:3], v7, v1 src0_sel:BYTE_0 src1_sel:DWORD
	s_cmp_lt_i32 s13, 1
	s_mov_b64 s[30:31], 0
	s_cbranch_scc1 .LBB152_111
; %bb.107:
	s_cmp_gt_i32 s13, 1
	s_cbranch_scc0 .LBB152_112
; %bb.108:
	s_cmp_eq_u32 s13, 2
	s_cbranch_scc0 .LBB152_258
; %bb.109:
	s_xor_b64 s[28:29], s[0:1], -1
	s_or_b64 s[28:29], s[2:3], s[28:29]
	s_mov_b64 s[34:35], 0
	s_branch .LBB152_114
.LBB152_110:
	s_xor_b64 s[28:29], s[0:1], -1
	s_and_b64 s[30:31], s[2:3], s[28:29]
	s_andn2_b64 s[26:27], s[26:27], exec
	s_and_b64 s[30:31], s[30:31], exec
	s_or_b64 s[26:27], s[26:27], s[30:31]
	s_cbranch_execz .LBB152_105
	s_branch .LBB152_106
.LBB152_111:
                                        ; implicit-def: $sgpr28_sgpr29
	s_mov_b64 s[34:35], 0
	s_cbranch_execnz .LBB152_115
	s_branch .LBB152_116
.LBB152_112:
	s_mov_b64 s[34:35], 0
                                        ; implicit-def: $sgpr28_sgpr29
	s_cbranch_execz .LBB152_114
; %bb.113:
	s_xor_b64 s[36:37], s[2:3], -1
	s_and_b64 s[36:37], s[0:1], s[36:37]
	s_andn2_b64 s[28:29], s[28:29], exec
	s_and_b64 s[36:37], s[36:37], exec
	s_or_b64 s[28:29], s[28:29], s[36:37]
.LBB152_114:
	s_branch .LBB152_116
.LBB152_115:
	s_cmp_lg_u32 s13, 0
	s_mov_b64 s[30:31], -1
	s_cselect_b64 s[34:35], -1, 0
.LBB152_116:
	s_andn2_b64 vcc, exec, s[34:35]
	s_cbranch_vccz .LBB152_123
; %bb.117:
	s_andn2_b64 vcc, exec, s[30:31]
	s_cbranch_vccnz .LBB152_119
.LBB152_118:
	s_xor_b64 s[2:3], s[2:3], -1
	s_or_b64 s[0:1], s[0:1], s[2:3]
	s_andn2_b64 s[2:3], s[28:29], exec
	s_and_b64 s[0:1], s[0:1], exec
	s_or_b64 s[28:29], s[2:3], s[0:1]
.LBB152_119:
	v_mov_b32_e32 v1, 0
	v_cmp_ne_u16_sdwa s[0:1], v12, v1 src0_sel:BYTE_0 src1_sel:DWORD
	v_cmp_ne_u16_sdwa s[2:3], v13, v1 src0_sel:BYTE_0 src1_sel:DWORD
	s_cmp_lt_i32 s13, 1
	s_mov_b64 s[34:35], 0
	s_cbranch_scc1 .LBB152_124
; %bb.120:
	s_cmp_gt_i32 s13, 1
	s_cbranch_scc0 .LBB152_125
; %bb.121:
	s_cmp_eq_u32 s13, 2
	s_cbranch_scc0 .LBB152_259
; %bb.122:
	s_xor_b64 s[30:31], s[0:1], -1
	s_or_b64 s[30:31], s[2:3], s[30:31]
	s_mov_b64 s[36:37], 0
	s_branch .LBB152_127
.LBB152_123:
	s_xor_b64 s[30:31], s[0:1], -1
	s_and_b64 s[34:35], s[2:3], s[30:31]
	s_andn2_b64 s[28:29], s[28:29], exec
	s_and_b64 s[34:35], s[34:35], exec
	s_or_b64 s[28:29], s[28:29], s[34:35]
	s_cbranch_execz .LBB152_118
	s_branch .LBB152_119
.LBB152_124:
                                        ; implicit-def: $sgpr30_sgpr31
	s_mov_b64 s[36:37], 0
	s_cbranch_execnz .LBB152_128
	s_branch .LBB152_129
.LBB152_125:
	s_mov_b64 s[36:37], 0
                                        ; implicit-def: $sgpr30_sgpr31
	s_cbranch_execz .LBB152_127
; %bb.126:
	s_xor_b64 s[38:39], s[2:3], -1
	s_and_b64 s[38:39], s[0:1], s[38:39]
	s_andn2_b64 s[30:31], s[30:31], exec
	s_and_b64 s[38:39], s[38:39], exec
	s_or_b64 s[30:31], s[30:31], s[38:39]
.LBB152_127:
	s_branch .LBB152_129
.LBB152_128:
	s_cmp_lg_u32 s13, 0
	s_mov_b64 s[34:35], -1
	s_cselect_b64 s[36:37], -1, 0
.LBB152_129:
	s_andn2_b64 vcc, exec, s[36:37]
	s_cbranch_vccz .LBB152_136
; %bb.130:
	s_andn2_b64 vcc, exec, s[34:35]
	s_cbranch_vccnz .LBB152_132
.LBB152_131:
	s_xor_b64 s[2:3], s[2:3], -1
	s_or_b64 s[0:1], s[0:1], s[2:3]
	s_andn2_b64 s[2:3], s[30:31], exec
	s_and_b64 s[0:1], s[0:1], exec
	s_or_b64 s[30:31], s[2:3], s[0:1]
.LBB152_132:
	s_movk_i32 s2, 0xff
	v_and_b32_sdwa v1, v3, s2 dst_sel:DWORD dst_unused:UNUSED_PAD src0_sel:WORD_1 src1_sel:DWORD
	v_cmp_ne_u16_e64 s[0:1], 0, v1
	v_and_b32_sdwa v1, v7, s2 dst_sel:DWORD dst_unused:UNUSED_PAD src0_sel:WORD_1 src1_sel:DWORD
	v_cmp_ne_u16_e64 s[2:3], 0, v1
	s_cmp_lt_i32 s13, 1
	s_mov_b64 s[36:37], 0
	s_cbranch_scc1 .LBB152_137
; %bb.133:
	s_cmp_gt_i32 s13, 1
	s_cbranch_scc0 .LBB152_138
; %bb.134:
	s_cmp_eq_u32 s13, 2
	s_cbranch_scc0 .LBB152_260
; %bb.135:
	s_xor_b64 s[34:35], s[0:1], -1
	s_or_b64 s[34:35], s[2:3], s[34:35]
	s_mov_b64 s[38:39], 0
	s_branch .LBB152_140
.LBB152_136:
	s_xor_b64 s[34:35], s[0:1], -1
	s_and_b64 s[36:37], s[2:3], s[34:35]
	s_andn2_b64 s[30:31], s[30:31], exec
	s_and_b64 s[36:37], s[36:37], exec
	s_or_b64 s[30:31], s[30:31], s[36:37]
	s_cbranch_execz .LBB152_131
	s_branch .LBB152_132
.LBB152_137:
                                        ; implicit-def: $sgpr34_sgpr35
	s_mov_b64 s[38:39], 0
	s_cbranch_execnz .LBB152_141
	s_branch .LBB152_142
.LBB152_138:
	s_mov_b64 s[38:39], 0
                                        ; implicit-def: $sgpr34_sgpr35
	s_cbranch_execz .LBB152_140
; %bb.139:
	s_xor_b64 s[40:41], s[2:3], -1
	s_and_b64 s[40:41], s[0:1], s[40:41]
	s_andn2_b64 s[34:35], s[34:35], exec
	s_and_b64 s[40:41], s[40:41], exec
	s_or_b64 s[34:35], s[34:35], s[40:41]
.LBB152_140:
	s_branch .LBB152_142
.LBB152_141:
	s_cmp_lg_u32 s13, 0
	s_mov_b64 s[36:37], -1
	s_cselect_b64 s[38:39], -1, 0
.LBB152_142:
	s_andn2_b64 vcc, exec, s[38:39]
	s_cbranch_vccz .LBB152_149
; %bb.143:
	s_andn2_b64 vcc, exec, s[36:37]
	s_cbranch_vccnz .LBB152_145
.LBB152_144:
	s_xor_b64 s[2:3], s[2:3], -1
	s_or_b64 s[0:1], s[0:1], s[2:3]
	s_andn2_b64 s[2:3], s[34:35], exec
	s_and_b64 s[0:1], s[0:1], exec
	s_or_b64 s[34:35], s[2:3], s[0:1]
.LBB152_145:
	v_mov_b32_e32 v1, 0
	v_cmp_ne_u16_sdwa s[0:1], v3, v1 src0_sel:BYTE_3 src1_sel:DWORD
	v_cmp_ne_u16_sdwa s[2:3], v7, v1 src0_sel:BYTE_3 src1_sel:DWORD
	s_cmp_lt_i32 s13, 1
	s_mov_b64 s[38:39], 0
	s_cbranch_scc1 .LBB152_150
; %bb.146:
	s_cmp_gt_i32 s13, 1
	s_cbranch_scc0 .LBB152_151
; %bb.147:
	s_cmp_eq_u32 s13, 2
	s_cbranch_scc0 .LBB152_261
; %bb.148:
	s_xor_b64 s[36:37], s[0:1], -1
	s_or_b64 s[36:37], s[2:3], s[36:37]
	s_mov_b64 s[40:41], 0
	s_branch .LBB152_153
.LBB152_149:
	s_xor_b64 s[36:37], s[0:1], -1
	s_and_b64 s[38:39], s[2:3], s[36:37]
	s_andn2_b64 s[34:35], s[34:35], exec
	s_and_b64 s[38:39], s[38:39], exec
	s_or_b64 s[34:35], s[34:35], s[38:39]
	s_cbranch_execz .LBB152_144
	s_branch .LBB152_145
.LBB152_150:
                                        ; implicit-def: $sgpr36_sgpr37
	s_mov_b64 s[40:41], 0
	s_cbranch_execnz .LBB152_154
	s_branch .LBB152_155
.LBB152_151:
	s_mov_b64 s[40:41], 0
                                        ; implicit-def: $sgpr36_sgpr37
	s_cbranch_execz .LBB152_153
; %bb.152:
	s_xor_b64 s[42:43], s[2:3], -1
	s_and_b64 s[42:43], s[0:1], s[42:43]
	s_andn2_b64 s[36:37], s[36:37], exec
	s_and_b64 s[42:43], s[42:43], exec
	s_or_b64 s[36:37], s[36:37], s[42:43]
.LBB152_153:
	s_branch .LBB152_155
.LBB152_154:
	s_cmp_lg_u32 s13, 0
	s_mov_b64 s[38:39], -1
	s_cselect_b64 s[40:41], -1, 0
.LBB152_155:
	s_andn2_b64 vcc, exec, s[40:41]
	s_cbranch_vccz .LBB152_162
; %bb.156:
	s_andn2_b64 vcc, exec, s[38:39]
	s_cbranch_vccnz .LBB152_158
.LBB152_157:
	s_xor_b64 s[2:3], s[2:3], -1
	s_or_b64 s[0:1], s[0:1], s[2:3]
	s_andn2_b64 s[2:3], s[36:37], exec
	s_and_b64 s[0:1], s[0:1], exec
	s_or_b64 s[36:37], s[2:3], s[0:1]
.LBB152_158:
	v_mov_b32_e32 v1, 0
	v_cmp_ne_u16_sdwa s[0:1], v4, v1 src0_sel:BYTE_0 src1_sel:DWORD
	v_cmp_ne_u16_sdwa s[2:3], v8, v1 src0_sel:BYTE_0 src1_sel:DWORD
	s_cmp_lt_i32 s13, 1
	s_mov_b64 s[40:41], 0
	s_cbranch_scc1 .LBB152_163
; %bb.159:
	s_cmp_gt_i32 s13, 1
	s_cbranch_scc0 .LBB152_164
; %bb.160:
	s_cmp_eq_u32 s13, 2
	s_cbranch_scc0 .LBB152_262
; %bb.161:
	s_xor_b64 s[38:39], s[0:1], -1
	s_or_b64 s[38:39], s[2:3], s[38:39]
	s_mov_b64 s[42:43], 0
	s_branch .LBB152_166
.LBB152_162:
	s_xor_b64 s[38:39], s[0:1], -1
	s_and_b64 s[40:41], s[2:3], s[38:39]
	s_andn2_b64 s[36:37], s[36:37], exec
	s_and_b64 s[40:41], s[40:41], exec
	s_or_b64 s[36:37], s[36:37], s[40:41]
	s_cbranch_execz .LBB152_157
	s_branch .LBB152_158
.LBB152_163:
                                        ; implicit-def: $sgpr38_sgpr39
	s_mov_b64 s[42:43], 0
	s_cbranch_execnz .LBB152_167
	s_branch .LBB152_168
.LBB152_164:
	s_mov_b64 s[42:43], 0
                                        ; implicit-def: $sgpr38_sgpr39
	s_cbranch_execz .LBB152_166
; %bb.165:
	s_xor_b64 s[44:45], s[2:3], -1
	s_and_b64 s[44:45], s[0:1], s[44:45]
	s_andn2_b64 s[38:39], s[38:39], exec
	s_and_b64 s[44:45], s[44:45], exec
	s_or_b64 s[38:39], s[38:39], s[44:45]
.LBB152_166:
	s_branch .LBB152_168
.LBB152_167:
	s_cmp_lg_u32 s13, 0
	s_mov_b64 s[40:41], -1
	s_cselect_b64 s[42:43], -1, 0
.LBB152_168:
	s_andn2_b64 vcc, exec, s[42:43]
	s_cbranch_vccz .LBB152_175
; %bb.169:
	s_andn2_b64 vcc, exec, s[40:41]
	s_cbranch_vccnz .LBB152_171
.LBB152_170:
	s_xor_b64 s[2:3], s[2:3], -1
	s_or_b64 s[0:1], s[0:1], s[2:3]
	s_andn2_b64 s[2:3], s[38:39], exec
	s_and_b64 s[0:1], s[0:1], exec
	s_or_b64 s[38:39], s[2:3], s[0:1]
.LBB152_171:
	v_mov_b32_e32 v1, 0
	v_cmp_ne_u16_sdwa s[0:1], v10, v1 src0_sel:BYTE_0 src1_sel:DWORD
	v_cmp_ne_u16_sdwa s[2:3], v11, v1 src0_sel:BYTE_0 src1_sel:DWORD
	s_cmp_lt_i32 s13, 1
	s_mov_b64 s[42:43], 0
	s_cbranch_scc1 .LBB152_176
; %bb.172:
	s_cmp_gt_i32 s13, 1
	s_cbranch_scc0 .LBB152_177
; %bb.173:
	s_cmp_eq_u32 s13, 2
	s_cbranch_scc0 .LBB152_263
; %bb.174:
	s_xor_b64 s[40:41], s[0:1], -1
	s_or_b64 s[40:41], s[2:3], s[40:41]
	s_mov_b64 s[44:45], 0
	s_branch .LBB152_179
.LBB152_175:
	s_xor_b64 s[40:41], s[0:1], -1
	s_and_b64 s[42:43], s[2:3], s[40:41]
	s_andn2_b64 s[38:39], s[38:39], exec
	s_and_b64 s[42:43], s[42:43], exec
	s_or_b64 s[38:39], s[38:39], s[42:43]
	s_cbranch_execz .LBB152_170
	s_branch .LBB152_171
.LBB152_176:
                                        ; implicit-def: $sgpr40_sgpr41
	s_mov_b64 s[44:45], 0
	s_cbranch_execnz .LBB152_180
	s_branch .LBB152_181
.LBB152_177:
	s_mov_b64 s[44:45], 0
                                        ; implicit-def: $sgpr40_sgpr41
	s_cbranch_execz .LBB152_179
; %bb.178:
	s_xor_b64 s[46:47], s[2:3], -1
	s_and_b64 s[46:47], s[0:1], s[46:47]
	s_andn2_b64 s[40:41], s[40:41], exec
	s_and_b64 s[46:47], s[46:47], exec
	s_or_b64 s[40:41], s[40:41], s[46:47]
.LBB152_179:
	s_branch .LBB152_181
.LBB152_180:
	s_cmp_lg_u32 s13, 0
	s_mov_b64 s[42:43], -1
	s_cselect_b64 s[44:45], -1, 0
.LBB152_181:
	s_andn2_b64 vcc, exec, s[44:45]
	s_cbranch_vccz .LBB152_188
; %bb.182:
	s_andn2_b64 vcc, exec, s[42:43]
	s_cbranch_vccnz .LBB152_184
.LBB152_183:
	s_xor_b64 s[2:3], s[2:3], -1
	s_or_b64 s[0:1], s[0:1], s[2:3]
	s_andn2_b64 s[2:3], s[40:41], exec
	s_and_b64 s[0:1], s[0:1], exec
	s_or_b64 s[40:41], s[2:3], s[0:1]
.LBB152_184:
	s_movk_i32 s2, 0xff
	v_and_b32_sdwa v1, v4, s2 dst_sel:DWORD dst_unused:UNUSED_PAD src0_sel:WORD_1 src1_sel:DWORD
	v_cmp_ne_u16_e64 s[0:1], 0, v1
	v_and_b32_sdwa v1, v8, s2 dst_sel:DWORD dst_unused:UNUSED_PAD src0_sel:WORD_1 src1_sel:DWORD
	v_cmp_ne_u16_e64 s[2:3], 0, v1
	s_cmp_lt_i32 s13, 1
	s_mov_b64 s[44:45], 0
	s_cbranch_scc1 .LBB152_189
; %bb.185:
	s_cmp_gt_i32 s13, 1
	s_cbranch_scc0 .LBB152_190
; %bb.186:
	s_cmp_eq_u32 s13, 2
	s_cbranch_scc0 .LBB152_264
; %bb.187:
	s_xor_b64 s[42:43], s[0:1], -1
	s_or_b64 s[42:43], s[2:3], s[42:43]
	s_mov_b64 s[46:47], 0
	s_branch .LBB152_192
.LBB152_188:
	s_xor_b64 s[42:43], s[0:1], -1
	s_and_b64 s[44:45], s[2:3], s[42:43]
	s_andn2_b64 s[40:41], s[40:41], exec
	s_and_b64 s[44:45], s[44:45], exec
	s_or_b64 s[40:41], s[40:41], s[44:45]
	s_cbranch_execz .LBB152_183
	s_branch .LBB152_184
.LBB152_189:
                                        ; implicit-def: $sgpr42_sgpr43
	s_mov_b64 s[46:47], 0
	s_cbranch_execnz .LBB152_193
	s_branch .LBB152_194
.LBB152_190:
	s_mov_b64 s[46:47], 0
                                        ; implicit-def: $sgpr42_sgpr43
	s_cbranch_execz .LBB152_192
; %bb.191:
	s_xor_b64 s[48:49], s[2:3], -1
	s_and_b64 s[48:49], s[0:1], s[48:49]
	s_andn2_b64 s[42:43], s[42:43], exec
	s_and_b64 s[48:49], s[48:49], exec
	s_or_b64 s[42:43], s[42:43], s[48:49]
.LBB152_192:
	s_branch .LBB152_194
.LBB152_193:
	s_cmp_lg_u32 s13, 0
	s_mov_b64 s[44:45], -1
	s_cselect_b64 s[46:47], -1, 0
.LBB152_194:
	s_andn2_b64 vcc, exec, s[46:47]
	s_cbranch_vccz .LBB152_201
; %bb.195:
	s_andn2_b64 vcc, exec, s[44:45]
	s_cbranch_vccnz .LBB152_197
.LBB152_196:
	s_xor_b64 s[2:3], s[2:3], -1
	s_or_b64 s[0:1], s[0:1], s[2:3]
	s_andn2_b64 s[2:3], s[42:43], exec
	s_and_b64 s[0:1], s[0:1], exec
	s_or_b64 s[42:43], s[2:3], s[0:1]
.LBB152_197:
	v_mov_b32_e32 v1, 0
	v_cmp_ne_u16_sdwa s[2:3], v4, v1 src0_sel:BYTE_3 src1_sel:DWORD
	v_cmp_ne_u16_sdwa s[44:45], v8, v1 src0_sel:BYTE_3 src1_sel:DWORD
	s_cmp_lt_i32 s13, 1
	s_mov_b64 s[46:47], 0
	s_cbranch_scc1 .LBB152_202
; %bb.198:
	s_cmp_gt_i32 s13, 1
	s_cbranch_scc0 .LBB152_203
; %bb.199:
	s_cmp_eq_u32 s13, 2
	s_cbranch_scc0 .LBB152_265
; %bb.200:
	s_xor_b64 s[0:1], s[2:3], -1
	s_or_b64 s[0:1], s[44:45], s[0:1]
	s_mov_b64 s[48:49], 0
	s_branch .LBB152_205
.LBB152_201:
	s_xor_b64 s[44:45], s[0:1], -1
	s_and_b64 s[46:47], s[2:3], s[44:45]
	s_andn2_b64 s[42:43], s[42:43], exec
	s_and_b64 s[46:47], s[46:47], exec
	s_or_b64 s[42:43], s[42:43], s[46:47]
	s_cbranch_execz .LBB152_196
	s_branch .LBB152_197
.LBB152_202:
                                        ; implicit-def: $sgpr0_sgpr1
	s_mov_b64 s[48:49], 0
	s_cbranch_execnz .LBB152_206
	s_branch .LBB152_207
.LBB152_203:
	s_mov_b64 s[48:49], 0
                                        ; implicit-def: $sgpr0_sgpr1
	s_cbranch_execz .LBB152_205
; %bb.204:
	s_xor_b64 s[50:51], s[44:45], -1
	s_and_b64 s[50:51], s[2:3], s[50:51]
	s_andn2_b64 s[0:1], s[0:1], exec
	s_and_b64 s[50:51], s[50:51], exec
	s_or_b64 s[0:1], s[0:1], s[50:51]
.LBB152_205:
	s_branch .LBB152_207
.LBB152_206:
	s_cmp_lg_u32 s13, 0
	s_mov_b64 s[46:47], -1
	s_cselect_b64 s[48:49], -1, 0
.LBB152_207:
	s_andn2_b64 vcc, exec, s[48:49]
	s_cbranch_vccz .LBB152_249
; %bb.208:
	s_andn2_b64 vcc, exec, s[46:47]
	s_cbranch_vccnz .LBB152_210
.LBB152_209:
	s_xor_b64 s[44:45], s[44:45], -1
	s_or_b64 s[2:3], s[2:3], s[44:45]
	s_andn2_b64 s[0:1], s[0:1], exec
	s_and_b64 s[2:3], s[2:3], exec
	s_or_b64 s[0:1], s[0:1], s[2:3]
.LBB152_210:
	v_cndmask_b32_e64 v1, 0, 1, s[6:7]
	v_lshlrev_b16_e32 v1, 8, v1
	v_cndmask_b32_e64 v2, 0, 1, s[4:5]
	v_or_b32_e32 v1, v2, v1
	v_cndmask_b32_e64 v2, 0, 1, s[18:19]
	v_lshlrev_b16_e32 v2, 8, v2
	v_cndmask_b32_e64 v3, 0, 1, s[16:17]
	v_or_b32_sdwa v2, v3, v2 dst_sel:WORD_1 dst_unused:UNUSED_PAD src0_sel:DWORD src1_sel:DWORD
	v_or_b32_sdwa v1, v1, v2 dst_sel:DWORD dst_unused:UNUSED_PAD src0_sel:WORD_0 src1_sel:DWORD
	v_cndmask_b32_e64 v2, 0, 1, s[22:23]
	v_lshlrev_b16_e32 v2, 8, v2
	v_cndmask_b32_e64 v3, 0, 1, s[20:21]
	v_or_b32_e32 v2, v3, v2
	v_cndmask_b32_e64 v3, 0, 1, s[26:27]
	v_lshlrev_b16_e32 v3, 8, v3
	v_cndmask_b32_e64 v4, 0, 1, s[24:25]
	v_or_b32_sdwa v3, v4, v3 dst_sel:WORD_1 dst_unused:UNUSED_PAD src0_sel:DWORD src1_sel:DWORD
	v_or_b32_sdwa v2, v2, v3 dst_sel:DWORD dst_unused:UNUSED_PAD src0_sel:WORD_0 src1_sel:DWORD
	;; [unrolled: 9-line block ×3, first 2 shown]
	v_cndmask_b32_e64 v4, 0, 1, s[40:41]
	v_lshlrev_b16_e32 v4, 8, v4
	v_cndmask_b32_e64 v5, 0, 1, s[38:39]
	v_or_b32_e32 v4, v5, v4
	v_cndmask_b32_e64 v5, 0, 1, s[0:1]
	v_lshlrev_b16_e32 v5, 8, v5
	v_cndmask_b32_e64 v6, 0, 1, s[42:43]
	s_add_u32 s2, s8, s33
	v_or_b32_sdwa v5, v6, v5 dst_sel:WORD_1 dst_unused:UNUSED_PAD src0_sel:DWORD src1_sel:DWORD
	s_addc_u32 s3, s9, s52
	v_or_b32_sdwa v4, v4, v5 dst_sel:DWORD dst_unused:UNUSED_PAD src0_sel:WORD_0 src1_sel:DWORD
	global_store_dwordx4 v9, v[1:4], s[2:3]
	s_mov_b64 s[0:1], 0
.LBB152_211:
	s_and_b64 vcc, exec, s[0:1]
	s_cbranch_vccz .LBB152_519
; %bb.212:
	v_cmp_gt_i32_e64 s[0:1], s12, v0
	s_mov_b64 s[70:71], 0
	v_or_b32_e32 v1, s33, v0
	s_mov_b64 s[76:77], 0
	s_mov_b64 s[74:75], 0
	v_mov_b32_e32 v2, v0
	s_and_saveexec_b64 s[4:5], s[0:1]
	s_cbranch_execz .LBB152_214
; %bb.213:
	global_load_ubyte v3, v1, s[10:11]
	global_load_ubyte v4, v1, s[14:15]
	v_or_b32_e32 v2, 0x100, v0
	s_waitcnt vmcnt(1)
	v_cmp_ne_u16_e32 vcc, 0, v3
	s_waitcnt vmcnt(0)
	v_cmp_ne_u16_e64 s[2:3], 0, v4
	s_and_b64 s[74:75], vcc, exec
	s_and_b64 s[76:77], s[2:3], exec
.LBB152_214:
	s_or_b64 exec, exec, s[4:5]
	v_cmp_gt_i32_e32 vcc, s12, v2
	s_mov_b64 s[72:73], 0
	s_and_saveexec_b64 s[4:5], vcc
	s_cbranch_execz .LBB152_216
; %bb.215:
	v_add_u32_e32 v3, s33, v2
	global_load_ubyte v4, v3, s[10:11]
	global_load_ubyte v5, v3, s[14:15]
	v_add_u32_e32 v2, 0x100, v2
	s_waitcnt vmcnt(1)
	v_cmp_ne_u16_e32 vcc, 0, v4
	s_waitcnt vmcnt(0)
	v_cmp_ne_u16_e64 s[2:3], 0, v5
	s_and_b64 s[72:73], vcc, exec
	s_and_b64 s[70:71], s[2:3], exec
.LBB152_216:
	s_or_b64 exec, exec, s[4:5]
	v_cmp_gt_i32_e32 vcc, s12, v2
	s_mov_b64 s[62:63], 0
	s_mov_b64 s[68:69], 0
	s_mov_b64 s[66:67], 0
	s_and_saveexec_b64 s[4:5], vcc
	s_cbranch_execz .LBB152_218
; %bb.217:
	v_add_u32_e32 v3, s33, v2
	global_load_ubyte v4, v3, s[10:11]
	global_load_ubyte v5, v3, s[14:15]
	v_add_u32_e32 v2, 0x100, v2
	s_waitcnt vmcnt(1)
	v_cmp_ne_u16_e32 vcc, 0, v4
	s_waitcnt vmcnt(0)
	v_cmp_ne_u16_e64 s[2:3], 0, v5
	s_and_b64 s[66:67], vcc, exec
	s_and_b64 s[68:69], s[2:3], exec
.LBB152_218:
	s_or_b64 exec, exec, s[4:5]
	v_cmp_gt_i32_e32 vcc, s12, v2
	s_mov_b64 s[64:65], 0
	s_and_saveexec_b64 s[4:5], vcc
	s_cbranch_execz .LBB152_220
; %bb.219:
	v_add_u32_e32 v3, s33, v2
	global_load_ubyte v4, v3, s[10:11]
	global_load_ubyte v5, v3, s[14:15]
	v_add_u32_e32 v2, 0x100, v2
	s_waitcnt vmcnt(1)
	v_cmp_ne_u16_e32 vcc, 0, v4
	s_waitcnt vmcnt(0)
	v_cmp_ne_u16_e64 s[2:3], 0, v5
	s_and_b64 s[64:65], vcc, exec
	s_and_b64 s[62:63], s[2:3], exec
.LBB152_220:
	s_or_b64 exec, exec, s[4:5]
	v_cmp_gt_i32_e32 vcc, s12, v2
	s_mov_b64 s[54:55], 0
	s_mov_b64 s[60:61], 0
	s_mov_b64 s[58:59], 0
	s_and_saveexec_b64 s[4:5], vcc
	s_cbranch_execz .LBB152_222
; %bb.221:
	v_add_u32_e32 v3, s33, v2
	global_load_ubyte v4, v3, s[10:11]
	global_load_ubyte v5, v3, s[14:15]
	v_add_u32_e32 v2, 0x100, v2
	s_waitcnt vmcnt(1)
	v_cmp_ne_u16_e32 vcc, 0, v4
	s_waitcnt vmcnt(0)
	v_cmp_ne_u16_e64 s[2:3], 0, v5
	s_and_b64 s[58:59], vcc, exec
	s_and_b64 s[60:61], s[2:3], exec
.LBB152_222:
	;; [unrolled: 36-line block ×4, first 2 shown]
	s_or_b64 exec, exec, s[4:5]
	v_cmp_gt_i32_e32 vcc, s12, v2
	s_mov_b64 s[40:41], 0
	s_and_saveexec_b64 s[4:5], vcc
	s_cbranch_execz .LBB152_232
; %bb.231:
	v_add_u32_e32 v3, s33, v2
	global_load_ubyte v4, v3, s[10:11]
	s_nop 0
	global_load_ubyte v3, v3, s[14:15]
	v_add_u32_e32 v2, 0x100, v2
	s_waitcnt vmcnt(1)
	v_cmp_ne_u16_e32 vcc, 0, v4
	s_waitcnt vmcnt(0)
	v_cmp_ne_u16_e64 s[2:3], 0, v3
	s_and_b64 s[40:41], vcc, exec
	s_and_b64 s[38:39], s[2:3], exec
.LBB152_232:
	s_or_b64 exec, exec, s[4:5]
	v_cmp_gt_i32_e32 vcc, s12, v2
	s_mov_b64 s[28:29], 0
	s_mov_b64 s[36:37], 0
	s_mov_b64 s[34:35], 0
	s_and_saveexec_b64 s[4:5], vcc
	s_cbranch_execz .LBB152_234
; %bb.233:
	v_add_u32_e32 v3, s33, v2
	global_load_ubyte v4, v3, s[10:11]
	s_nop 0
	global_load_ubyte v3, v3, s[14:15]
	v_add_u32_e32 v2, 0x100, v2
	s_waitcnt vmcnt(1)
	v_cmp_ne_u16_e32 vcc, 0, v4
	s_waitcnt vmcnt(0)
	v_cmp_ne_u16_e64 s[2:3], 0, v3
	s_and_b64 s[34:35], vcc, exec
	s_and_b64 s[36:37], s[2:3], exec
.LBB152_234:
	s_or_b64 exec, exec, s[4:5]
	v_cmp_gt_i32_e32 vcc, s12, v2
	s_mov_b64 s[30:31], 0
	s_and_saveexec_b64 s[4:5], vcc
	s_cbranch_execz .LBB152_236
; %bb.235:
	v_add_u32_e32 v3, s33, v2
	global_load_ubyte v4, v3, s[10:11]
	s_nop 0
	global_load_ubyte v3, v3, s[14:15]
	v_add_u32_e32 v2, 0x100, v2
	s_waitcnt vmcnt(1)
	v_cmp_ne_u16_e32 vcc, 0, v4
	s_waitcnt vmcnt(0)
	v_cmp_ne_u16_e64 s[2:3], 0, v3
	s_and_b64 s[30:31], vcc, exec
	s_and_b64 s[28:29], s[2:3], exec
.LBB152_236:
	s_or_b64 exec, exec, s[4:5]
	v_cmp_gt_i32_e32 vcc, s12, v2
	s_mov_b64 s[20:21], 0
	s_mov_b64 s[26:27], 0
	s_mov_b64 s[24:25], 0
	s_and_saveexec_b64 s[4:5], vcc
	s_cbranch_execz .LBB152_238
; %bb.237:
	v_add_u32_e32 v3, s33, v2
	global_load_ubyte v4, v3, s[10:11]
	s_nop 0
	global_load_ubyte v3, v3, s[14:15]
	v_add_u32_e32 v2, 0x100, v2
	s_waitcnt vmcnt(1)
	v_cmp_ne_u16_e32 vcc, 0, v4
	s_waitcnt vmcnt(0)
	v_cmp_ne_u16_e64 s[2:3], 0, v3
	s_and_b64 s[24:25], vcc, exec
	s_and_b64 s[26:27], s[2:3], exec
.LBB152_238:
	;; [unrolled: 38-line block ×3, first 2 shown]
	s_or_b64 exec, exec, s[6:7]
	v_cmp_gt_i32_e32 vcc, s12, v2
	s_mov_b64 s[6:7], 0
	s_and_saveexec_b64 s[78:79], vcc
	s_cbranch_execz .LBB152_244
; %bb.243:
	v_add_u32_e32 v2, s33, v2
	global_load_ubyte v3, v2, s[10:11]
	s_nop 0
	global_load_ubyte v2, v2, s[14:15]
	s_waitcnt vmcnt(1)
	v_cmp_ne_u16_e32 vcc, 0, v3
	s_waitcnt vmcnt(0)
	v_cmp_ne_u16_e64 s[2:3], 0, v2
	s_and_b64 s[6:7], vcc, exec
	s_and_b64 s[4:5], s[2:3], exec
.LBB152_244:
	s_or_b64 exec, exec, s[78:79]
	v_mov_b32_e32 v5, 0
	v_mov_b32_e32 v4, v5
	;; [unrolled: 1-line block ×4, first 2 shown]
	s_and_saveexec_b64 s[2:3], s[0:1]
	s_cbranch_execz .LBB152_276
; %bb.245:
	s_cmp_lt_i32 s13, 1
	s_mov_b64 s[10:11], 0
	s_cbranch_scc1 .LBB152_250
; %bb.246:
	s_cmp_gt_i32 s13, 1
	s_cbranch_scc0 .LBB152_266
; %bb.247:
	s_cmp_eq_u32 s13, 2
	s_cbranch_scc0 .LBB152_267
; %bb.248:
	s_xor_b64 s[14:15], s[74:75], -1
	s_or_b64 s[14:15], s[76:77], s[14:15]
	s_mov_b64 s[78:79], 0
	s_branch .LBB152_268
.LBB152_249:
	s_xor_b64 s[46:47], s[2:3], -1
	s_and_b64 s[48:49], s[44:45], s[46:47]
	s_andn2_b64 s[0:1], s[0:1], exec
	s_and_b64 s[48:49], s[48:49], exec
	s_or_b64 s[0:1], s[0:1], s[48:49]
	s_cbranch_execz .LBB152_209
	s_branch .LBB152_210
.LBB152_250:
                                        ; implicit-def: $sgpr14_sgpr15
	s_mov_b64 s[78:79], 0
	s_cbranch_execnz .LBB152_271
	s_branch .LBB152_272
.LBB152_251:
	s_mov_b64 s[18:19], -1
                                        ; implicit-def: $sgpr6_sgpr7
	s_branch .LBB152_23
.LBB152_252:
	s_mov_b64 s[20:21], -1
                                        ; implicit-def: $sgpr16_sgpr17
	s_branch .LBB152_36
.LBB152_253:
	s_mov_b64 s[22:23], -1
                                        ; implicit-def: $sgpr18_sgpr19
	s_branch .LBB152_49
.LBB152_254:
	s_mov_b64 s[24:25], -1
                                        ; implicit-def: $sgpr20_sgpr21
	s_branch .LBB152_62
.LBB152_255:
	s_mov_b64 s[26:27], -1
                                        ; implicit-def: $sgpr22_sgpr23
	s_branch .LBB152_75
.LBB152_256:
	s_mov_b64 s[28:29], -1
                                        ; implicit-def: $sgpr24_sgpr25
	s_branch .LBB152_88
.LBB152_257:
	s_mov_b64 s[30:31], -1
                                        ; implicit-def: $sgpr26_sgpr27
	s_branch .LBB152_101
.LBB152_258:
	s_mov_b64 s[34:35], -1
                                        ; implicit-def: $sgpr28_sgpr29
	s_branch .LBB152_114
.LBB152_259:
	s_mov_b64 s[36:37], -1
                                        ; implicit-def: $sgpr30_sgpr31
	s_branch .LBB152_127
.LBB152_260:
	s_mov_b64 s[38:39], -1
                                        ; implicit-def: $sgpr34_sgpr35
	s_branch .LBB152_140
.LBB152_261:
	s_mov_b64 s[40:41], -1
                                        ; implicit-def: $sgpr36_sgpr37
	s_branch .LBB152_153
.LBB152_262:
	s_mov_b64 s[42:43], -1
                                        ; implicit-def: $sgpr38_sgpr39
	s_branch .LBB152_166
.LBB152_263:
	s_mov_b64 s[44:45], -1
                                        ; implicit-def: $sgpr40_sgpr41
	s_branch .LBB152_179
.LBB152_264:
	s_mov_b64 s[46:47], -1
                                        ; implicit-def: $sgpr42_sgpr43
	s_branch .LBB152_192
.LBB152_265:
	s_mov_b64 s[48:49], -1
                                        ; implicit-def: $sgpr0_sgpr1
	s_branch .LBB152_205
.LBB152_266:
	s_mov_b64 s[78:79], 0
                                        ; implicit-def: $sgpr14_sgpr15
	s_cbranch_execnz .LBB152_269
	s_branch .LBB152_270
.LBB152_267:
	s_mov_b64 s[78:79], -1
                                        ; implicit-def: $sgpr14_sgpr15
.LBB152_268:
	s_branch .LBB152_270
.LBB152_269:
	s_xor_b64 s[80:81], s[76:77], -1
	s_and_b64 s[80:81], s[74:75], s[80:81]
	s_andn2_b64 s[14:15], s[14:15], exec
	s_and_b64 s[80:81], s[80:81], exec
	s_or_b64 s[14:15], s[14:15], s[80:81]
.LBB152_270:
	s_branch .LBB152_272
.LBB152_271:
	s_cmp_lg_u32 s13, 0
	s_mov_b64 s[10:11], -1
	s_cselect_b64 s[78:79], -1, 0
.LBB152_272:
	s_andn2_b64 vcc, exec, s[78:79]
	s_cbranch_vccz .LBB152_281
; %bb.273:
	s_andn2_b64 vcc, exec, s[10:11]
	s_cbranch_vccnz .LBB152_275
.LBB152_274:
	s_xor_b64 s[10:11], s[76:77], -1
	s_or_b64 s[10:11], s[74:75], s[10:11]
	s_andn2_b64 s[14:15], s[14:15], exec
	s_and_b64 s[10:11], s[10:11], exec
	s_or_b64 s[14:15], s[14:15], s[10:11]
.LBB152_275:
	v_cndmask_b32_e64 v2, 0, 1, s[14:15]
	v_mov_b32_e32 v4, 0
	v_and_b32_e32 v5, 0xffff, v2
	v_mov_b32_e32 v3, v4
	v_mov_b32_e32 v2, v4
.LBB152_276:
	s_or_b64 exec, exec, s[2:3]
	v_or_b32_e32 v6, 0x100, v0
	v_cmp_gt_i32_e32 vcc, s12, v6
	s_and_saveexec_b64 s[2:3], vcc
	s_cbranch_execz .LBB152_291
; %bb.277:
	s_cmp_lt_i32 s13, 1
	s_mov_b64 s[10:11], 0
	s_cbranch_scc1 .LBB152_282
; %bb.278:
	s_cmp_gt_i32 s13, 1
	s_cbranch_scc0 .LBB152_283
; %bb.279:
	s_cmp_eq_u32 s13, 2
	s_cbranch_scc0 .LBB152_535
; %bb.280:
	s_xor_b64 s[14:15], s[72:73], -1
	s_or_b64 s[14:15], s[70:71], s[14:15]
	s_mov_b64 s[74:75], 0
	s_branch .LBB152_285
.LBB152_281:
	s_xor_b64 s[10:11], s[74:75], -1
	s_and_b64 s[78:79], s[76:77], s[10:11]
	s_andn2_b64 s[14:15], s[14:15], exec
	s_and_b64 s[78:79], s[78:79], exec
	s_or_b64 s[14:15], s[14:15], s[78:79]
	s_cbranch_execz .LBB152_274
	s_branch .LBB152_275
.LBB152_282:
                                        ; implicit-def: $sgpr14_sgpr15
	s_mov_b64 s[74:75], 0
	s_cbranch_execnz .LBB152_286
	s_branch .LBB152_287
.LBB152_283:
	s_mov_b64 s[74:75], 0
                                        ; implicit-def: $sgpr14_sgpr15
	s_cbranch_execz .LBB152_285
; %bb.284:
	s_xor_b64 s[76:77], s[70:71], -1
	s_and_b64 s[76:77], s[72:73], s[76:77]
	s_andn2_b64 s[14:15], s[14:15], exec
	s_and_b64 s[76:77], s[76:77], exec
	s_or_b64 s[14:15], s[14:15], s[76:77]
.LBB152_285:
	s_branch .LBB152_287
.LBB152_286:
	s_cmp_lg_u32 s13, 0
	s_mov_b64 s[10:11], -1
	s_cselect_b64 s[74:75], -1, 0
.LBB152_287:
	s_andn2_b64 vcc, exec, s[74:75]
	s_cbranch_vccz .LBB152_296
; %bb.288:
	s_andn2_b64 vcc, exec, s[10:11]
	s_cbranch_vccnz .LBB152_290
.LBB152_289:
	s_xor_b64 s[10:11], s[70:71], -1
	s_or_b64 s[10:11], s[72:73], s[10:11]
	s_andn2_b64 s[14:15], s[14:15], exec
	s_and_b64 s[10:11], s[10:11], exec
	s_or_b64 s[14:15], s[14:15], s[10:11]
.LBB152_290:
	v_cndmask_b32_e64 v7, 0, 1, s[14:15]
	v_lshlrev_b16_e32 v7, 8, v7
	v_or_b32_sdwa v7, v5, v7 dst_sel:DWORD dst_unused:UNUSED_PAD src0_sel:BYTE_0 src1_sel:DWORD
	v_and_b32_e32 v7, 0xffff, v7
	s_mov_b32 s10, 0xffff0000
	v_and_or_b32 v5, v5, s10, v7
.LBB152_291:
	s_or_b64 exec, exec, s[2:3]
	v_or_b32_e32 v7, 0x200, v0
	v_cmp_gt_i32_e32 vcc, s12, v7
	s_and_saveexec_b64 s[2:3], vcc
	s_cbranch_execz .LBB152_306
; %bb.292:
	s_cmp_lt_i32 s13, 1
	s_mov_b64 s[10:11], 0
	s_cbranch_scc1 .LBB152_297
; %bb.293:
	s_cmp_gt_i32 s13, 1
	s_cbranch_scc0 .LBB152_298
; %bb.294:
	s_cmp_eq_u32 s13, 2
	s_cbranch_scc0 .LBB152_536
; %bb.295:
	s_xor_b64 s[14:15], s[66:67], -1
	s_or_b64 s[14:15], s[68:69], s[14:15]
	s_mov_b64 s[70:71], 0
	s_branch .LBB152_300
.LBB152_296:
	s_xor_b64 s[10:11], s[72:73], -1
	s_and_b64 s[74:75], s[70:71], s[10:11]
	s_andn2_b64 s[14:15], s[14:15], exec
	s_and_b64 s[74:75], s[74:75], exec
	s_or_b64 s[14:15], s[14:15], s[74:75]
	s_cbranch_execz .LBB152_289
	s_branch .LBB152_290
.LBB152_297:
                                        ; implicit-def: $sgpr14_sgpr15
	s_mov_b64 s[70:71], 0
	s_cbranch_execnz .LBB152_301
	s_branch .LBB152_302
.LBB152_298:
	s_mov_b64 s[70:71], 0
                                        ; implicit-def: $sgpr14_sgpr15
	s_cbranch_execz .LBB152_300
; %bb.299:
	s_xor_b64 s[72:73], s[68:69], -1
	s_and_b64 s[72:73], s[66:67], s[72:73]
	s_andn2_b64 s[14:15], s[14:15], exec
	s_and_b64 s[72:73], s[72:73], exec
	s_or_b64 s[14:15], s[14:15], s[72:73]
.LBB152_300:
	s_branch .LBB152_302
.LBB152_301:
	s_cmp_lg_u32 s13, 0
	s_mov_b64 s[10:11], -1
	s_cselect_b64 s[70:71], -1, 0
.LBB152_302:
	s_andn2_b64 vcc, exec, s[70:71]
	s_cbranch_vccz .LBB152_311
; %bb.303:
	s_andn2_b64 vcc, exec, s[10:11]
	s_cbranch_vccnz .LBB152_305
.LBB152_304:
	s_xor_b64 s[10:11], s[68:69], -1
	s_or_b64 s[10:11], s[66:67], s[10:11]
	s_andn2_b64 s[14:15], s[14:15], exec
	s_and_b64 s[10:11], s[10:11], exec
	s_or_b64 s[14:15], s[14:15], s[10:11]
.LBB152_305:
	s_movk_i32 s10, 0xff00
	v_and_b32_sdwa v7, v5, s10 dst_sel:DWORD dst_unused:UNUSED_PAD src0_sel:WORD_1 src1_sel:DWORD
	v_cndmask_b32_e64 v8, 0, 1, s[14:15]
	v_or_b32_sdwa v7, v8, v7 dst_sel:WORD_1 dst_unused:UNUSED_PAD src0_sel:DWORD src1_sel:DWORD
	s_mov_b32 s10, 0xffff
	v_and_or_b32 v5, v5, s10, v7
.LBB152_306:
	s_or_b64 exec, exec, s[2:3]
	v_or_b32_e32 v7, 0x300, v0
	v_cmp_gt_i32_e32 vcc, s12, v7
	s_and_saveexec_b64 s[2:3], vcc
	s_cbranch_execz .LBB152_321
; %bb.307:
	s_cmp_lt_i32 s13, 1
	s_mov_b64 s[10:11], 0
	s_cbranch_scc1 .LBB152_312
; %bb.308:
	s_cmp_gt_i32 s13, 1
	s_cbranch_scc0 .LBB152_313
; %bb.309:
	s_cmp_eq_u32 s13, 2
	s_cbranch_scc0 .LBB152_537
; %bb.310:
	s_xor_b64 s[14:15], s[64:65], -1
	s_or_b64 s[14:15], s[62:63], s[14:15]
	s_mov_b64 s[66:67], 0
	s_branch .LBB152_315
.LBB152_311:
	s_xor_b64 s[10:11], s[66:67], -1
	s_and_b64 s[70:71], s[68:69], s[10:11]
	s_andn2_b64 s[14:15], s[14:15], exec
	s_and_b64 s[70:71], s[70:71], exec
	s_or_b64 s[14:15], s[14:15], s[70:71]
	s_cbranch_execz .LBB152_304
	s_branch .LBB152_305
.LBB152_312:
                                        ; implicit-def: $sgpr14_sgpr15
	s_mov_b64 s[66:67], 0
	s_cbranch_execnz .LBB152_316
	s_branch .LBB152_317
.LBB152_313:
	s_mov_b64 s[66:67], 0
                                        ; implicit-def: $sgpr14_sgpr15
	s_cbranch_execz .LBB152_315
; %bb.314:
	s_xor_b64 s[68:69], s[62:63], -1
	s_and_b64 s[68:69], s[64:65], s[68:69]
	s_andn2_b64 s[14:15], s[14:15], exec
	s_and_b64 s[68:69], s[68:69], exec
	s_or_b64 s[14:15], s[14:15], s[68:69]
.LBB152_315:
	s_branch .LBB152_317
.LBB152_316:
	s_cmp_lg_u32 s13, 0
	s_mov_b64 s[10:11], -1
	s_cselect_b64 s[66:67], -1, 0
.LBB152_317:
	s_andn2_b64 vcc, exec, s[66:67]
	s_cbranch_vccz .LBB152_326
; %bb.318:
	s_andn2_b64 vcc, exec, s[10:11]
	s_cbranch_vccnz .LBB152_320
.LBB152_319:
	s_xor_b64 s[10:11], s[62:63], -1
	s_or_b64 s[10:11], s[64:65], s[10:11]
	s_andn2_b64 s[14:15], s[14:15], exec
	s_and_b64 s[10:11], s[10:11], exec
	s_or_b64 s[14:15], s[14:15], s[10:11]
.LBB152_320:
	s_movk_i32 s10, 0xff
	v_cndmask_b32_e64 v8, 0, 1, s[14:15]
	v_and_b32_sdwa v7, v5, s10 dst_sel:DWORD dst_unused:UNUSED_PAD src0_sel:WORD_1 src1_sel:DWORD
	v_lshlrev_b16_e32 v8, 8, v8
	v_or_b32_sdwa v7, v7, v8 dst_sel:WORD_1 dst_unused:UNUSED_PAD src0_sel:DWORD src1_sel:DWORD
	s_mov_b32 s10, 0xffff
	v_and_or_b32 v5, v5, s10, v7
.LBB152_321:
	s_or_b64 exec, exec, s[2:3]
	v_or_b32_e32 v7, 0x400, v0
	v_cmp_gt_i32_e32 vcc, s12, v7
	s_and_saveexec_b64 s[2:3], vcc
	s_cbranch_execz .LBB152_336
; %bb.322:
	s_cmp_lt_i32 s13, 1
	s_mov_b64 s[10:11], 0
	s_cbranch_scc1 .LBB152_327
; %bb.323:
	s_cmp_gt_i32 s13, 1
	s_cbranch_scc0 .LBB152_328
; %bb.324:
	s_cmp_eq_u32 s13, 2
	s_cbranch_scc0 .LBB152_538
; %bb.325:
	s_xor_b64 s[14:15], s[58:59], -1
	s_or_b64 s[14:15], s[60:61], s[14:15]
	s_mov_b64 s[62:63], 0
	s_branch .LBB152_330
.LBB152_326:
	s_xor_b64 s[10:11], s[64:65], -1
	s_and_b64 s[66:67], s[62:63], s[10:11]
	s_andn2_b64 s[14:15], s[14:15], exec
	s_and_b64 s[66:67], s[66:67], exec
	s_or_b64 s[14:15], s[14:15], s[66:67]
	s_cbranch_execz .LBB152_319
	s_branch .LBB152_320
.LBB152_327:
                                        ; implicit-def: $sgpr14_sgpr15
	s_mov_b64 s[62:63], 0
	s_cbranch_execnz .LBB152_331
	s_branch .LBB152_332
.LBB152_328:
	s_mov_b64 s[62:63], 0
                                        ; implicit-def: $sgpr14_sgpr15
	s_cbranch_execz .LBB152_330
; %bb.329:
	s_xor_b64 s[64:65], s[60:61], -1
	s_and_b64 s[64:65], s[58:59], s[64:65]
	s_andn2_b64 s[14:15], s[14:15], exec
	s_and_b64 s[64:65], s[64:65], exec
	s_or_b64 s[14:15], s[14:15], s[64:65]
.LBB152_330:
	s_branch .LBB152_332
.LBB152_331:
	s_cmp_lg_u32 s13, 0
	s_mov_b64 s[10:11], -1
	s_cselect_b64 s[62:63], -1, 0
.LBB152_332:
	s_andn2_b64 vcc, exec, s[62:63]
	s_cbranch_vccz .LBB152_341
; %bb.333:
	s_andn2_b64 vcc, exec, s[10:11]
	s_cbranch_vccnz .LBB152_335
.LBB152_334:
	s_xor_b64 s[10:11], s[60:61], -1
	s_or_b64 s[10:11], s[58:59], s[10:11]
	s_andn2_b64 s[14:15], s[14:15], exec
	s_and_b64 s[10:11], s[10:11], exec
	s_or_b64 s[14:15], s[14:15], s[10:11]
.LBB152_335:
	v_and_b32_e32 v7, 0xffffff00, v4
	v_cndmask_b32_e64 v8, 0, 1, s[14:15]
	v_or_b32_e32 v7, v8, v7
	v_and_b32_e32 v7, 0xffff, v7
	s_mov_b32 s10, 0xffff0000
	v_and_or_b32 v4, v4, s10, v7
.LBB152_336:
	s_or_b64 exec, exec, s[2:3]
	v_or_b32_e32 v7, 0x500, v0
	v_cmp_gt_i32_e32 vcc, s12, v7
	s_and_saveexec_b64 s[2:3], vcc
	s_cbranch_execz .LBB152_351
; %bb.337:
	s_cmp_lt_i32 s13, 1
	s_mov_b64 s[10:11], 0
	s_cbranch_scc1 .LBB152_342
; %bb.338:
	s_cmp_gt_i32 s13, 1
	s_cbranch_scc0 .LBB152_343
; %bb.339:
	s_cmp_eq_u32 s13, 2
	s_cbranch_scc0 .LBB152_539
; %bb.340:
	s_xor_b64 s[14:15], s[56:57], -1
	s_or_b64 s[14:15], s[54:55], s[14:15]
	s_mov_b64 s[58:59], 0
	s_branch .LBB152_345
.LBB152_341:
	s_xor_b64 s[10:11], s[58:59], -1
	s_and_b64 s[62:63], s[60:61], s[10:11]
	s_andn2_b64 s[14:15], s[14:15], exec
	s_and_b64 s[62:63], s[62:63], exec
	s_or_b64 s[14:15], s[14:15], s[62:63]
	s_cbranch_execz .LBB152_334
	s_branch .LBB152_335
.LBB152_342:
                                        ; implicit-def: $sgpr14_sgpr15
	s_mov_b64 s[58:59], 0
	s_cbranch_execnz .LBB152_346
	s_branch .LBB152_347
.LBB152_343:
	s_mov_b64 s[58:59], 0
                                        ; implicit-def: $sgpr14_sgpr15
	s_cbranch_execz .LBB152_345
; %bb.344:
	s_xor_b64 s[60:61], s[54:55], -1
	s_and_b64 s[60:61], s[56:57], s[60:61]
	s_andn2_b64 s[14:15], s[14:15], exec
	s_and_b64 s[60:61], s[60:61], exec
	s_or_b64 s[14:15], s[14:15], s[60:61]
.LBB152_345:
	s_branch .LBB152_347
.LBB152_346:
	s_cmp_lg_u32 s13, 0
	s_mov_b64 s[10:11], -1
	s_cselect_b64 s[58:59], -1, 0
.LBB152_347:
	s_andn2_b64 vcc, exec, s[58:59]
	s_cbranch_vccz .LBB152_356
; %bb.348:
	s_andn2_b64 vcc, exec, s[10:11]
	s_cbranch_vccnz .LBB152_350
.LBB152_349:
	s_xor_b64 s[10:11], s[54:55], -1
	s_or_b64 s[10:11], s[56:57], s[10:11]
	s_andn2_b64 s[14:15], s[14:15], exec
	s_and_b64 s[10:11], s[10:11], exec
	s_or_b64 s[14:15], s[14:15], s[10:11]
.LBB152_350:
	v_cndmask_b32_e64 v7, 0, 1, s[14:15]
	v_lshlrev_b16_e32 v7, 8, v7
	v_or_b32_sdwa v7, v4, v7 dst_sel:DWORD dst_unused:UNUSED_PAD src0_sel:BYTE_0 src1_sel:DWORD
	v_and_b32_e32 v7, 0xffff, v7
	s_mov_b32 s10, 0xffff0000
	v_and_or_b32 v4, v4, s10, v7
.LBB152_351:
	s_or_b64 exec, exec, s[2:3]
	v_or_b32_e32 v7, 0x600, v0
	v_cmp_gt_i32_e32 vcc, s12, v7
	s_and_saveexec_b64 s[2:3], vcc
	s_cbranch_execz .LBB152_366
; %bb.352:
	s_cmp_lt_i32 s13, 1
	s_mov_b64 s[10:11], 0
	s_cbranch_scc1 .LBB152_357
; %bb.353:
	s_cmp_gt_i32 s13, 1
	s_cbranch_scc0 .LBB152_358
; %bb.354:
	s_cmp_eq_u32 s13, 2
	s_cbranch_scc0 .LBB152_540
; %bb.355:
	s_xor_b64 s[14:15], s[50:51], -1
	s_or_b64 s[14:15], s[52:53], s[14:15]
	s_mov_b64 s[54:55], 0
	s_branch .LBB152_360
.LBB152_356:
	s_xor_b64 s[10:11], s[56:57], -1
	s_and_b64 s[58:59], s[54:55], s[10:11]
	s_andn2_b64 s[14:15], s[14:15], exec
	s_and_b64 s[58:59], s[58:59], exec
	s_or_b64 s[14:15], s[14:15], s[58:59]
	s_cbranch_execz .LBB152_349
	s_branch .LBB152_350
.LBB152_357:
                                        ; implicit-def: $sgpr14_sgpr15
	s_mov_b64 s[54:55], 0
	s_cbranch_execnz .LBB152_361
	s_branch .LBB152_362
.LBB152_358:
	s_mov_b64 s[54:55], 0
                                        ; implicit-def: $sgpr14_sgpr15
	s_cbranch_execz .LBB152_360
; %bb.359:
	s_xor_b64 s[56:57], s[52:53], -1
	s_and_b64 s[56:57], s[50:51], s[56:57]
	s_andn2_b64 s[14:15], s[14:15], exec
	s_and_b64 s[56:57], s[56:57], exec
	s_or_b64 s[14:15], s[14:15], s[56:57]
.LBB152_360:
	s_branch .LBB152_362
.LBB152_361:
	s_cmp_lg_u32 s13, 0
	s_mov_b64 s[10:11], -1
	s_cselect_b64 s[54:55], -1, 0
.LBB152_362:
	s_andn2_b64 vcc, exec, s[54:55]
	s_cbranch_vccz .LBB152_371
; %bb.363:
	s_andn2_b64 vcc, exec, s[10:11]
	s_cbranch_vccnz .LBB152_365
.LBB152_364:
	s_xor_b64 s[10:11], s[52:53], -1
	s_or_b64 s[10:11], s[50:51], s[10:11]
	s_andn2_b64 s[14:15], s[14:15], exec
	s_and_b64 s[10:11], s[10:11], exec
	s_or_b64 s[14:15], s[14:15], s[10:11]
.LBB152_365:
	s_movk_i32 s10, 0xff00
	v_and_b32_sdwa v7, v4, s10 dst_sel:DWORD dst_unused:UNUSED_PAD src0_sel:WORD_1 src1_sel:DWORD
	v_cndmask_b32_e64 v8, 0, 1, s[14:15]
	v_or_b32_sdwa v7, v8, v7 dst_sel:WORD_1 dst_unused:UNUSED_PAD src0_sel:DWORD src1_sel:DWORD
	s_mov_b32 s10, 0xffff
	v_and_or_b32 v4, v4, s10, v7
.LBB152_366:
	s_or_b64 exec, exec, s[2:3]
	v_or_b32_e32 v7, 0x700, v0
	v_cmp_gt_i32_e32 vcc, s12, v7
	s_and_saveexec_b64 s[2:3], vcc
	s_cbranch_execz .LBB152_381
; %bb.367:
	s_cmp_lt_i32 s13, 1
	s_mov_b64 s[10:11], 0
	s_cbranch_scc1 .LBB152_372
; %bb.368:
	s_cmp_gt_i32 s13, 1
	s_cbranch_scc0 .LBB152_373
; %bb.369:
	s_cmp_eq_u32 s13, 2
	s_cbranch_scc0 .LBB152_541
; %bb.370:
	s_xor_b64 s[14:15], s[48:49], -1
	s_or_b64 s[14:15], s[46:47], s[14:15]
	s_mov_b64 s[50:51], 0
	s_branch .LBB152_375
.LBB152_371:
	s_xor_b64 s[10:11], s[50:51], -1
	s_and_b64 s[54:55], s[52:53], s[10:11]
	s_andn2_b64 s[14:15], s[14:15], exec
	s_and_b64 s[54:55], s[54:55], exec
	s_or_b64 s[14:15], s[14:15], s[54:55]
	s_cbranch_execz .LBB152_364
	s_branch .LBB152_365
.LBB152_372:
                                        ; implicit-def: $sgpr14_sgpr15
	s_mov_b64 s[50:51], 0
	s_cbranch_execnz .LBB152_376
	s_branch .LBB152_377
.LBB152_373:
	s_mov_b64 s[50:51], 0
                                        ; implicit-def: $sgpr14_sgpr15
	s_cbranch_execz .LBB152_375
; %bb.374:
	s_xor_b64 s[52:53], s[46:47], -1
	s_and_b64 s[52:53], s[48:49], s[52:53]
	s_andn2_b64 s[14:15], s[14:15], exec
	s_and_b64 s[52:53], s[52:53], exec
	s_or_b64 s[14:15], s[14:15], s[52:53]
.LBB152_375:
	s_branch .LBB152_377
.LBB152_376:
	s_cmp_lg_u32 s13, 0
	s_mov_b64 s[10:11], -1
	s_cselect_b64 s[50:51], -1, 0
.LBB152_377:
	s_andn2_b64 vcc, exec, s[50:51]
	s_cbranch_vccz .LBB152_386
; %bb.378:
	s_andn2_b64 vcc, exec, s[10:11]
	s_cbranch_vccnz .LBB152_380
.LBB152_379:
	s_xor_b64 s[10:11], s[46:47], -1
	s_or_b64 s[10:11], s[48:49], s[10:11]
	s_andn2_b64 s[14:15], s[14:15], exec
	s_and_b64 s[10:11], s[10:11], exec
	s_or_b64 s[14:15], s[14:15], s[10:11]
.LBB152_380:
	s_movk_i32 s10, 0xff
	v_cndmask_b32_e64 v8, 0, 1, s[14:15]
	v_and_b32_sdwa v7, v4, s10 dst_sel:DWORD dst_unused:UNUSED_PAD src0_sel:WORD_1 src1_sel:DWORD
	v_lshlrev_b16_e32 v8, 8, v8
	v_or_b32_sdwa v7, v7, v8 dst_sel:WORD_1 dst_unused:UNUSED_PAD src0_sel:DWORD src1_sel:DWORD
	s_mov_b32 s10, 0xffff
	v_and_or_b32 v4, v4, s10, v7
.LBB152_381:
	s_or_b64 exec, exec, s[2:3]
	v_or_b32_e32 v7, 0x800, v0
	v_cmp_gt_i32_e32 vcc, s12, v7
	s_and_saveexec_b64 s[2:3], vcc
	s_cbranch_execz .LBB152_396
; %bb.382:
	s_cmp_lt_i32 s13, 1
	s_mov_b64 s[10:11], 0
	s_cbranch_scc1 .LBB152_387
; %bb.383:
	s_cmp_gt_i32 s13, 1
	s_cbranch_scc0 .LBB152_388
; %bb.384:
	s_cmp_eq_u32 s13, 2
	s_cbranch_scc0 .LBB152_542
; %bb.385:
	s_xor_b64 s[14:15], s[42:43], -1
	s_or_b64 s[14:15], s[44:45], s[14:15]
	s_mov_b64 s[46:47], 0
	s_branch .LBB152_390
.LBB152_386:
	s_xor_b64 s[10:11], s[48:49], -1
	s_and_b64 s[50:51], s[46:47], s[10:11]
	s_andn2_b64 s[14:15], s[14:15], exec
	s_and_b64 s[50:51], s[50:51], exec
	s_or_b64 s[14:15], s[14:15], s[50:51]
	s_cbranch_execz .LBB152_379
	s_branch .LBB152_380
.LBB152_387:
                                        ; implicit-def: $sgpr14_sgpr15
	s_mov_b64 s[46:47], 0
	s_cbranch_execnz .LBB152_391
	s_branch .LBB152_392
.LBB152_388:
	s_mov_b64 s[46:47], 0
                                        ; implicit-def: $sgpr14_sgpr15
	s_cbranch_execz .LBB152_390
; %bb.389:
	s_xor_b64 s[48:49], s[44:45], -1
	s_and_b64 s[48:49], s[42:43], s[48:49]
	s_andn2_b64 s[14:15], s[14:15], exec
	s_and_b64 s[48:49], s[48:49], exec
	s_or_b64 s[14:15], s[14:15], s[48:49]
.LBB152_390:
	s_branch .LBB152_392
.LBB152_391:
	s_cmp_lg_u32 s13, 0
	s_mov_b64 s[10:11], -1
	s_cselect_b64 s[46:47], -1, 0
.LBB152_392:
	s_andn2_b64 vcc, exec, s[46:47]
	s_cbranch_vccz .LBB152_401
; %bb.393:
	s_andn2_b64 vcc, exec, s[10:11]
	s_cbranch_vccnz .LBB152_395
.LBB152_394:
	s_xor_b64 s[10:11], s[44:45], -1
	s_or_b64 s[10:11], s[42:43], s[10:11]
	s_andn2_b64 s[14:15], s[14:15], exec
	s_and_b64 s[10:11], s[10:11], exec
	s_or_b64 s[14:15], s[14:15], s[10:11]
.LBB152_395:
	v_and_b32_e32 v7, 0xffffff00, v3
	v_cndmask_b32_e64 v8, 0, 1, s[14:15]
	v_or_b32_e32 v7, v8, v7
	v_and_b32_e32 v7, 0xffff, v7
	s_mov_b32 s10, 0xffff0000
	v_and_or_b32 v3, v3, s10, v7
.LBB152_396:
	s_or_b64 exec, exec, s[2:3]
	v_or_b32_e32 v7, 0x900, v0
	v_cmp_gt_i32_e32 vcc, s12, v7
	s_and_saveexec_b64 s[2:3], vcc
	s_cbranch_execz .LBB152_411
; %bb.397:
	s_cmp_lt_i32 s13, 1
	s_mov_b64 s[10:11], 0
	s_cbranch_scc1 .LBB152_402
; %bb.398:
	s_cmp_gt_i32 s13, 1
	s_cbranch_scc0 .LBB152_403
; %bb.399:
	s_cmp_eq_u32 s13, 2
	s_cbranch_scc0 .LBB152_543
; %bb.400:
	s_xor_b64 s[14:15], s[40:41], -1
	s_or_b64 s[14:15], s[38:39], s[14:15]
	s_mov_b64 s[42:43], 0
	s_branch .LBB152_405
.LBB152_401:
	s_xor_b64 s[10:11], s[42:43], -1
	s_and_b64 s[46:47], s[44:45], s[10:11]
	s_andn2_b64 s[14:15], s[14:15], exec
	s_and_b64 s[46:47], s[46:47], exec
	s_or_b64 s[14:15], s[14:15], s[46:47]
	s_cbranch_execz .LBB152_394
	s_branch .LBB152_395
.LBB152_402:
                                        ; implicit-def: $sgpr14_sgpr15
	s_mov_b64 s[42:43], 0
	s_cbranch_execnz .LBB152_406
	s_branch .LBB152_407
.LBB152_403:
	s_mov_b64 s[42:43], 0
                                        ; implicit-def: $sgpr14_sgpr15
	s_cbranch_execz .LBB152_405
; %bb.404:
	s_xor_b64 s[44:45], s[38:39], -1
	s_and_b64 s[44:45], s[40:41], s[44:45]
	s_andn2_b64 s[14:15], s[14:15], exec
	s_and_b64 s[44:45], s[44:45], exec
	s_or_b64 s[14:15], s[14:15], s[44:45]
.LBB152_405:
	s_branch .LBB152_407
.LBB152_406:
	s_cmp_lg_u32 s13, 0
	s_mov_b64 s[10:11], -1
	s_cselect_b64 s[42:43], -1, 0
.LBB152_407:
	s_andn2_b64 vcc, exec, s[42:43]
	s_cbranch_vccz .LBB152_416
; %bb.408:
	s_andn2_b64 vcc, exec, s[10:11]
	s_cbranch_vccnz .LBB152_410
.LBB152_409:
	s_xor_b64 s[10:11], s[38:39], -1
	s_or_b64 s[10:11], s[40:41], s[10:11]
	s_andn2_b64 s[14:15], s[14:15], exec
	s_and_b64 s[10:11], s[10:11], exec
	s_or_b64 s[14:15], s[14:15], s[10:11]
.LBB152_410:
	v_cndmask_b32_e64 v7, 0, 1, s[14:15]
	v_lshlrev_b16_e32 v7, 8, v7
	v_or_b32_sdwa v7, v3, v7 dst_sel:DWORD dst_unused:UNUSED_PAD src0_sel:BYTE_0 src1_sel:DWORD
	v_and_b32_e32 v7, 0xffff, v7
	s_mov_b32 s10, 0xffff0000
	v_and_or_b32 v3, v3, s10, v7
.LBB152_411:
	s_or_b64 exec, exec, s[2:3]
	v_or_b32_e32 v7, 0xa00, v0
	v_cmp_gt_i32_e32 vcc, s12, v7
	s_and_saveexec_b64 s[2:3], vcc
	s_cbranch_execz .LBB152_426
; %bb.412:
	s_cmp_lt_i32 s13, 1
	s_mov_b64 s[10:11], 0
	s_cbranch_scc1 .LBB152_417
; %bb.413:
	s_cmp_gt_i32 s13, 1
	s_cbranch_scc0 .LBB152_418
; %bb.414:
	s_cmp_eq_u32 s13, 2
	s_cbranch_scc0 .LBB152_544
; %bb.415:
	s_xor_b64 s[14:15], s[34:35], -1
	s_or_b64 s[14:15], s[36:37], s[14:15]
	s_mov_b64 s[38:39], 0
	s_branch .LBB152_420
.LBB152_416:
	s_xor_b64 s[10:11], s[40:41], -1
	s_and_b64 s[42:43], s[38:39], s[10:11]
	s_andn2_b64 s[14:15], s[14:15], exec
	s_and_b64 s[42:43], s[42:43], exec
	s_or_b64 s[14:15], s[14:15], s[42:43]
	s_cbranch_execz .LBB152_409
	s_branch .LBB152_410
.LBB152_417:
                                        ; implicit-def: $sgpr14_sgpr15
	s_mov_b64 s[38:39], 0
	s_cbranch_execnz .LBB152_421
	s_branch .LBB152_422
.LBB152_418:
	s_mov_b64 s[38:39], 0
                                        ; implicit-def: $sgpr14_sgpr15
	s_cbranch_execz .LBB152_420
; %bb.419:
	s_xor_b64 s[40:41], s[36:37], -1
	s_and_b64 s[40:41], s[34:35], s[40:41]
	s_andn2_b64 s[14:15], s[14:15], exec
	s_and_b64 s[40:41], s[40:41], exec
	s_or_b64 s[14:15], s[14:15], s[40:41]
.LBB152_420:
	s_branch .LBB152_422
.LBB152_421:
	s_cmp_lg_u32 s13, 0
	s_mov_b64 s[10:11], -1
	s_cselect_b64 s[38:39], -1, 0
.LBB152_422:
	s_andn2_b64 vcc, exec, s[38:39]
	s_cbranch_vccz .LBB152_431
; %bb.423:
	s_andn2_b64 vcc, exec, s[10:11]
	s_cbranch_vccnz .LBB152_425
.LBB152_424:
	s_xor_b64 s[10:11], s[36:37], -1
	s_or_b64 s[10:11], s[34:35], s[10:11]
	s_andn2_b64 s[14:15], s[14:15], exec
	s_and_b64 s[10:11], s[10:11], exec
	s_or_b64 s[14:15], s[14:15], s[10:11]
.LBB152_425:
	s_movk_i32 s10, 0xff00
	v_and_b32_sdwa v7, v3, s10 dst_sel:DWORD dst_unused:UNUSED_PAD src0_sel:WORD_1 src1_sel:DWORD
	v_cndmask_b32_e64 v8, 0, 1, s[14:15]
	v_or_b32_sdwa v7, v8, v7 dst_sel:WORD_1 dst_unused:UNUSED_PAD src0_sel:DWORD src1_sel:DWORD
	s_mov_b32 s10, 0xffff
	v_and_or_b32 v3, v3, s10, v7
.LBB152_426:
	s_or_b64 exec, exec, s[2:3]
	v_or_b32_e32 v7, 0xb00, v0
	v_cmp_gt_i32_e32 vcc, s12, v7
	s_and_saveexec_b64 s[2:3], vcc
	s_cbranch_execz .LBB152_441
; %bb.427:
	s_cmp_lt_i32 s13, 1
	s_mov_b64 s[10:11], 0
	s_cbranch_scc1 .LBB152_432
; %bb.428:
	s_cmp_gt_i32 s13, 1
	s_cbranch_scc0 .LBB152_433
; %bb.429:
	s_cmp_eq_u32 s13, 2
	s_cbranch_scc0 .LBB152_545
; %bb.430:
	s_xor_b64 s[14:15], s[30:31], -1
	s_or_b64 s[14:15], s[28:29], s[14:15]
	s_mov_b64 s[34:35], 0
	s_branch .LBB152_435
.LBB152_431:
	s_xor_b64 s[10:11], s[34:35], -1
	s_and_b64 s[38:39], s[36:37], s[10:11]
	s_andn2_b64 s[14:15], s[14:15], exec
	s_and_b64 s[38:39], s[38:39], exec
	s_or_b64 s[14:15], s[14:15], s[38:39]
	s_cbranch_execz .LBB152_424
	s_branch .LBB152_425
.LBB152_432:
                                        ; implicit-def: $sgpr14_sgpr15
	s_mov_b64 s[34:35], 0
	s_cbranch_execnz .LBB152_436
	s_branch .LBB152_437
.LBB152_433:
	s_mov_b64 s[34:35], 0
                                        ; implicit-def: $sgpr14_sgpr15
	s_cbranch_execz .LBB152_435
; %bb.434:
	s_xor_b64 s[36:37], s[28:29], -1
	s_and_b64 s[36:37], s[30:31], s[36:37]
	s_andn2_b64 s[14:15], s[14:15], exec
	s_and_b64 s[36:37], s[36:37], exec
	s_or_b64 s[14:15], s[14:15], s[36:37]
.LBB152_435:
	s_branch .LBB152_437
.LBB152_436:
	s_cmp_lg_u32 s13, 0
	s_mov_b64 s[10:11], -1
	s_cselect_b64 s[34:35], -1, 0
.LBB152_437:
	s_andn2_b64 vcc, exec, s[34:35]
	s_cbranch_vccz .LBB152_446
; %bb.438:
	s_andn2_b64 vcc, exec, s[10:11]
	s_cbranch_vccnz .LBB152_440
.LBB152_439:
	s_xor_b64 s[10:11], s[28:29], -1
	s_or_b64 s[10:11], s[30:31], s[10:11]
	s_andn2_b64 s[14:15], s[14:15], exec
	s_and_b64 s[10:11], s[10:11], exec
	s_or_b64 s[14:15], s[14:15], s[10:11]
.LBB152_440:
	s_movk_i32 s10, 0xff
	v_cndmask_b32_e64 v8, 0, 1, s[14:15]
	v_and_b32_sdwa v7, v3, s10 dst_sel:DWORD dst_unused:UNUSED_PAD src0_sel:WORD_1 src1_sel:DWORD
	v_lshlrev_b16_e32 v8, 8, v8
	v_or_b32_sdwa v7, v7, v8 dst_sel:WORD_1 dst_unused:UNUSED_PAD src0_sel:DWORD src1_sel:DWORD
	s_mov_b32 s10, 0xffff
	v_and_or_b32 v3, v3, s10, v7
.LBB152_441:
	s_or_b64 exec, exec, s[2:3]
	v_or_b32_e32 v7, 0xc00, v0
	v_cmp_gt_i32_e32 vcc, s12, v7
	s_and_saveexec_b64 s[2:3], vcc
	s_cbranch_execz .LBB152_456
; %bb.442:
	s_cmp_lt_i32 s13, 1
	s_mov_b64 s[10:11], 0
	s_cbranch_scc1 .LBB152_447
; %bb.443:
	s_cmp_gt_i32 s13, 1
	s_cbranch_scc0 .LBB152_448
; %bb.444:
	s_cmp_eq_u32 s13, 2
	s_cbranch_scc0 .LBB152_546
; %bb.445:
	s_xor_b64 s[14:15], s[24:25], -1
	s_or_b64 s[14:15], s[26:27], s[14:15]
	s_mov_b64 s[28:29], 0
	s_branch .LBB152_450
.LBB152_446:
	s_xor_b64 s[10:11], s[30:31], -1
	s_and_b64 s[34:35], s[28:29], s[10:11]
	s_andn2_b64 s[14:15], s[14:15], exec
	s_and_b64 s[34:35], s[34:35], exec
	s_or_b64 s[14:15], s[14:15], s[34:35]
	s_cbranch_execz .LBB152_439
	s_branch .LBB152_440
.LBB152_447:
                                        ; implicit-def: $sgpr14_sgpr15
	s_mov_b64 s[28:29], 0
	s_cbranch_execnz .LBB152_451
	s_branch .LBB152_452
.LBB152_448:
	s_mov_b64 s[28:29], 0
                                        ; implicit-def: $sgpr14_sgpr15
	s_cbranch_execz .LBB152_450
; %bb.449:
	s_xor_b64 s[30:31], s[26:27], -1
	s_and_b64 s[30:31], s[24:25], s[30:31]
	s_andn2_b64 s[14:15], s[14:15], exec
	s_and_b64 s[30:31], s[30:31], exec
	s_or_b64 s[14:15], s[14:15], s[30:31]
.LBB152_450:
	s_branch .LBB152_452
.LBB152_451:
	s_cmp_lg_u32 s13, 0
	s_mov_b64 s[10:11], -1
	s_cselect_b64 s[28:29], -1, 0
.LBB152_452:
	s_andn2_b64 vcc, exec, s[28:29]
	s_cbranch_vccz .LBB152_461
; %bb.453:
	s_andn2_b64 vcc, exec, s[10:11]
	s_cbranch_vccnz .LBB152_455
.LBB152_454:
	s_xor_b64 s[10:11], s[26:27], -1
	s_or_b64 s[10:11], s[24:25], s[10:11]
	s_andn2_b64 s[14:15], s[14:15], exec
	s_and_b64 s[10:11], s[10:11], exec
	s_or_b64 s[14:15], s[14:15], s[10:11]
.LBB152_455:
	v_and_b32_e32 v7, 0xffffff00, v2
	v_cndmask_b32_e64 v8, 0, 1, s[14:15]
	v_or_b32_e32 v7, v8, v7
	v_and_b32_e32 v7, 0xffff, v7
	s_mov_b32 s10, 0xffff0000
	v_and_or_b32 v2, v2, s10, v7
.LBB152_456:
	s_or_b64 exec, exec, s[2:3]
	v_or_b32_e32 v7, 0xd00, v0
	v_cmp_gt_i32_e32 vcc, s12, v7
	s_and_saveexec_b64 s[2:3], vcc
	s_cbranch_execz .LBB152_471
; %bb.457:
	s_cmp_lt_i32 s13, 1
	s_mov_b64 s[10:11], 0
	s_cbranch_scc1 .LBB152_462
; %bb.458:
	s_cmp_gt_i32 s13, 1
	s_cbranch_scc0 .LBB152_463
; %bb.459:
	s_cmp_eq_u32 s13, 2
	s_cbranch_scc0 .LBB152_547
; %bb.460:
	s_xor_b64 s[14:15], s[22:23], -1
	s_or_b64 s[14:15], s[20:21], s[14:15]
	s_mov_b64 s[24:25], 0
	s_branch .LBB152_465
.LBB152_461:
	s_xor_b64 s[10:11], s[24:25], -1
	s_and_b64 s[28:29], s[26:27], s[10:11]
	s_andn2_b64 s[14:15], s[14:15], exec
	s_and_b64 s[28:29], s[28:29], exec
	s_or_b64 s[14:15], s[14:15], s[28:29]
	s_cbranch_execz .LBB152_454
	s_branch .LBB152_455
.LBB152_462:
                                        ; implicit-def: $sgpr14_sgpr15
	s_mov_b64 s[24:25], 0
	s_cbranch_execnz .LBB152_466
	s_branch .LBB152_467
.LBB152_463:
	s_mov_b64 s[24:25], 0
                                        ; implicit-def: $sgpr14_sgpr15
	s_cbranch_execz .LBB152_465
; %bb.464:
	s_xor_b64 s[26:27], s[20:21], -1
	s_and_b64 s[26:27], s[22:23], s[26:27]
	s_andn2_b64 s[14:15], s[14:15], exec
	s_and_b64 s[26:27], s[26:27], exec
	s_or_b64 s[14:15], s[14:15], s[26:27]
.LBB152_465:
	s_branch .LBB152_467
.LBB152_466:
	s_cmp_lg_u32 s13, 0
	s_mov_b64 s[10:11], -1
	s_cselect_b64 s[24:25], -1, 0
.LBB152_467:
	s_andn2_b64 vcc, exec, s[24:25]
	s_cbranch_vccz .LBB152_476
; %bb.468:
	s_andn2_b64 vcc, exec, s[10:11]
	s_cbranch_vccnz .LBB152_470
.LBB152_469:
	s_xor_b64 s[10:11], s[20:21], -1
	s_or_b64 s[10:11], s[22:23], s[10:11]
	s_andn2_b64 s[14:15], s[14:15], exec
	s_and_b64 s[10:11], s[10:11], exec
	s_or_b64 s[14:15], s[14:15], s[10:11]
.LBB152_470:
	v_cndmask_b32_e64 v7, 0, 1, s[14:15]
	v_lshlrev_b16_e32 v7, 8, v7
	v_or_b32_sdwa v7, v2, v7 dst_sel:DWORD dst_unused:UNUSED_PAD src0_sel:BYTE_0 src1_sel:DWORD
	v_and_b32_e32 v7, 0xffff, v7
	s_mov_b32 s10, 0xffff0000
	v_and_or_b32 v2, v2, s10, v7
.LBB152_471:
	s_or_b64 exec, exec, s[2:3]
	v_or_b32_e32 v7, 0xe00, v0
	v_cmp_gt_i32_e32 vcc, s12, v7
	s_and_saveexec_b64 s[2:3], vcc
	s_cbranch_execz .LBB152_486
; %bb.472:
	s_cmp_lt_i32 s13, 1
	s_mov_b64 s[10:11], 0
	s_cbranch_scc1 .LBB152_477
; %bb.473:
	s_cmp_gt_i32 s13, 1
	s_cbranch_scc0 .LBB152_478
; %bb.474:
	s_cmp_eq_u32 s13, 2
	s_cbranch_scc0 .LBB152_548
; %bb.475:
	s_xor_b64 s[14:15], s[16:17], -1
	s_or_b64 s[14:15], s[18:19], s[14:15]
	s_mov_b64 s[20:21], 0
	s_branch .LBB152_480
.LBB152_476:
	s_xor_b64 s[10:11], s[22:23], -1
	s_and_b64 s[24:25], s[20:21], s[10:11]
	s_andn2_b64 s[14:15], s[14:15], exec
	s_and_b64 s[24:25], s[24:25], exec
	s_or_b64 s[14:15], s[14:15], s[24:25]
	s_cbranch_execz .LBB152_469
	s_branch .LBB152_470
.LBB152_477:
                                        ; implicit-def: $sgpr14_sgpr15
	s_mov_b64 s[20:21], 0
	s_cbranch_execnz .LBB152_481
	s_branch .LBB152_482
.LBB152_478:
	s_mov_b64 s[20:21], 0
                                        ; implicit-def: $sgpr14_sgpr15
	s_cbranch_execz .LBB152_480
; %bb.479:
	s_xor_b64 s[22:23], s[18:19], -1
	s_and_b64 s[22:23], s[16:17], s[22:23]
	s_andn2_b64 s[14:15], s[14:15], exec
	s_and_b64 s[22:23], s[22:23], exec
	s_or_b64 s[14:15], s[14:15], s[22:23]
.LBB152_480:
	s_branch .LBB152_482
.LBB152_481:
	s_cmp_lg_u32 s13, 0
	s_mov_b64 s[10:11], -1
	s_cselect_b64 s[20:21], -1, 0
.LBB152_482:
	s_andn2_b64 vcc, exec, s[20:21]
	s_cbranch_vccz .LBB152_491
; %bb.483:
	s_andn2_b64 vcc, exec, s[10:11]
	s_cbranch_vccnz .LBB152_485
.LBB152_484:
	s_xor_b64 s[10:11], s[18:19], -1
	s_or_b64 s[10:11], s[16:17], s[10:11]
	s_andn2_b64 s[14:15], s[14:15], exec
	s_and_b64 s[10:11], s[10:11], exec
	s_or_b64 s[14:15], s[14:15], s[10:11]
.LBB152_485:
	s_movk_i32 s10, 0xff00
	v_and_b32_sdwa v7, v2, s10 dst_sel:DWORD dst_unused:UNUSED_PAD src0_sel:WORD_1 src1_sel:DWORD
	v_cndmask_b32_e64 v8, 0, 1, s[14:15]
	v_or_b32_sdwa v7, v8, v7 dst_sel:WORD_1 dst_unused:UNUSED_PAD src0_sel:DWORD src1_sel:DWORD
	s_mov_b32 s10, 0xffff
	v_and_or_b32 v2, v2, s10, v7
.LBB152_486:
	s_or_b64 exec, exec, s[2:3]
	v_or_b32_e32 v7, 0xf00, v0
	v_cmp_gt_i32_e32 vcc, s12, v7
	s_and_saveexec_b64 s[2:3], vcc
	s_cbranch_execz .LBB152_501
; %bb.487:
	s_cmp_lt_i32 s13, 1
	s_mov_b64 s[10:11], 0
	s_cbranch_scc1 .LBB152_492
; %bb.488:
	s_cmp_gt_i32 s13, 1
	s_cbranch_scc0 .LBB152_493
; %bb.489:
	s_cmp_eq_u32 s13, 2
	s_cbranch_scc0 .LBB152_549
; %bb.490:
	s_xor_b64 s[14:15], s[6:7], -1
	s_or_b64 s[14:15], s[4:5], s[14:15]
	s_mov_b64 s[16:17], 0
	s_branch .LBB152_495
.LBB152_491:
	s_xor_b64 s[10:11], s[16:17], -1
	s_and_b64 s[20:21], s[18:19], s[10:11]
	s_andn2_b64 s[14:15], s[14:15], exec
	s_and_b64 s[20:21], s[20:21], exec
	s_or_b64 s[14:15], s[14:15], s[20:21]
	s_cbranch_execz .LBB152_484
	s_branch .LBB152_485
.LBB152_492:
                                        ; implicit-def: $sgpr14_sgpr15
	s_mov_b64 s[16:17], 0
	s_cbranch_execnz .LBB152_496
	s_branch .LBB152_497
.LBB152_493:
	s_mov_b64 s[16:17], 0
                                        ; implicit-def: $sgpr14_sgpr15
	s_cbranch_execz .LBB152_495
; %bb.494:
	s_xor_b64 s[18:19], s[4:5], -1
	s_and_b64 s[18:19], s[6:7], s[18:19]
	s_andn2_b64 s[14:15], s[14:15], exec
	s_and_b64 s[18:19], s[18:19], exec
	s_or_b64 s[14:15], s[14:15], s[18:19]
.LBB152_495:
	s_branch .LBB152_497
.LBB152_496:
	s_cmp_lg_u32 s13, 0
	s_mov_b64 s[10:11], -1
	s_cselect_b64 s[16:17], -1, 0
.LBB152_497:
	s_andn2_b64 vcc, exec, s[16:17]
	s_cbranch_vccz .LBB152_534
; %bb.498:
	s_andn2_b64 vcc, exec, s[10:11]
	s_cbranch_vccnz .LBB152_500
.LBB152_499:
	s_xor_b64 s[4:5], s[4:5], -1
	s_or_b64 s[4:5], s[6:7], s[4:5]
	s_andn2_b64 s[6:7], s[14:15], exec
	s_and_b64 s[4:5], s[4:5], exec
	s_or_b64 s[14:15], s[6:7], s[4:5]
.LBB152_500:
	s_movk_i32 s4, 0xff
	v_cndmask_b32_e64 v8, 0, 1, s[14:15]
	v_and_b32_sdwa v7, v2, s4 dst_sel:DWORD dst_unused:UNUSED_PAD src0_sel:WORD_1 src1_sel:DWORD
	v_lshlrev_b16_e32 v8, 8, v8
	v_or_b32_sdwa v7, v7, v8 dst_sel:WORD_1 dst_unused:UNUSED_PAD src0_sel:DWORD src1_sel:DWORD
	s_mov_b32 s4, 0xffff
	v_and_or_b32 v2, v2, s4, v7
.LBB152_501:
	s_or_b64 exec, exec, s[2:3]
	s_and_saveexec_b64 s[2:3], s[0:1]
	s_xor_b64 s[0:1], exec, s[2:3]
	s_cbranch_execz .LBB152_503
; %bb.502:
	v_mov_b32_e32 v0, v6
	global_store_byte v1, v5, s[8:9]
.LBB152_503:
	s_or_b64 exec, exec, s[0:1]
	v_cmp_gt_i32_e32 vcc, s12, v0
	s_and_saveexec_b64 s[0:1], vcc
	s_cbranch_execnz .LBB152_520
; %bb.504:
	s_or_b64 exec, exec, s[0:1]
	v_cmp_gt_i32_e32 vcc, s12, v0
	s_and_saveexec_b64 s[0:1], vcc
	s_cbranch_execnz .LBB152_521
.LBB152_505:
	s_or_b64 exec, exec, s[0:1]
	v_cmp_gt_i32_e32 vcc, s12, v0
	s_and_saveexec_b64 s[0:1], vcc
	s_cbranch_execnz .LBB152_522
.LBB152_506:
	s_or_b64 exec, exec, s[0:1]
	v_cmp_gt_i32_e32 vcc, s12, v0
	s_and_saveexec_b64 s[0:1], vcc
	s_cbranch_execnz .LBB152_523
.LBB152_507:
	s_or_b64 exec, exec, s[0:1]
	v_cmp_gt_i32_e32 vcc, s12, v0
	s_and_saveexec_b64 s[0:1], vcc
	s_cbranch_execnz .LBB152_524
.LBB152_508:
	s_or_b64 exec, exec, s[0:1]
	v_cmp_gt_i32_e32 vcc, s12, v0
	s_and_saveexec_b64 s[0:1], vcc
	s_cbranch_execnz .LBB152_525
.LBB152_509:
	s_or_b64 exec, exec, s[0:1]
	v_cmp_gt_i32_e32 vcc, s12, v0
	s_and_saveexec_b64 s[0:1], vcc
	s_cbranch_execnz .LBB152_526
.LBB152_510:
	s_or_b64 exec, exec, s[0:1]
	v_cmp_gt_i32_e32 vcc, s12, v0
	s_and_saveexec_b64 s[0:1], vcc
	s_cbranch_execnz .LBB152_527
.LBB152_511:
	s_or_b64 exec, exec, s[0:1]
	v_cmp_gt_i32_e32 vcc, s12, v0
	s_and_saveexec_b64 s[0:1], vcc
	s_cbranch_execnz .LBB152_528
.LBB152_512:
	s_or_b64 exec, exec, s[0:1]
	v_cmp_gt_i32_e32 vcc, s12, v0
	s_and_saveexec_b64 s[0:1], vcc
	s_cbranch_execnz .LBB152_529
.LBB152_513:
	s_or_b64 exec, exec, s[0:1]
	v_cmp_gt_i32_e32 vcc, s12, v0
	s_and_saveexec_b64 s[0:1], vcc
	s_cbranch_execnz .LBB152_530
.LBB152_514:
	s_or_b64 exec, exec, s[0:1]
	v_cmp_gt_i32_e32 vcc, s12, v0
	s_and_saveexec_b64 s[0:1], vcc
	s_cbranch_execnz .LBB152_531
.LBB152_515:
	s_or_b64 exec, exec, s[0:1]
	v_cmp_gt_i32_e32 vcc, s12, v0
	s_and_saveexec_b64 s[0:1], vcc
	s_cbranch_execnz .LBB152_532
.LBB152_516:
	s_or_b64 exec, exec, s[0:1]
	v_cmp_gt_i32_e32 vcc, s12, v0
	s_and_saveexec_b64 s[0:1], vcc
	s_cbranch_execnz .LBB152_533
.LBB152_517:
	s_or_b64 exec, exec, s[0:1]
	v_cmp_gt_i32_e32 vcc, s12, v0
	s_and_saveexec_b64 s[0:1], vcc
	s_cbranch_execz .LBB152_519
.LBB152_518:
	v_lshrrev_b32_e32 v1, 24, v2
	v_add_u32_e32 v0, s33, v0
	global_store_byte v0, v1, s[8:9]
.LBB152_519:
	s_endpgm
.LBB152_520:
	v_lshrrev_b32_e32 v1, 8, v5
	v_add_u32_e32 v6, s33, v0
	v_add_u32_e32 v0, 0x100, v0
	global_store_byte v6, v1, s[8:9]
	s_or_b64 exec, exec, s[0:1]
	v_cmp_gt_i32_e32 vcc, s12, v0
	s_and_saveexec_b64 s[0:1], vcc
	s_cbranch_execz .LBB152_505
.LBB152_521:
	v_add_u32_e32 v1, s33, v0
	v_add_u32_e32 v0, 0x100, v0
	global_store_byte_d16_hi v1, v5, s[8:9]
	s_or_b64 exec, exec, s[0:1]
	v_cmp_gt_i32_e32 vcc, s12, v0
	s_and_saveexec_b64 s[0:1], vcc
	s_cbranch_execz .LBB152_506
.LBB152_522:
	v_lshrrev_b32_e32 v1, 24, v5
	v_add_u32_e32 v5, s33, v0
	v_add_u32_e32 v0, 0x100, v0
	global_store_byte v5, v1, s[8:9]
	s_or_b64 exec, exec, s[0:1]
	v_cmp_gt_i32_e32 vcc, s12, v0
	s_and_saveexec_b64 s[0:1], vcc
	s_cbranch_execz .LBB152_507
.LBB152_523:
	v_add_u32_e32 v1, s33, v0
	v_add_u32_e32 v0, 0x100, v0
	global_store_byte v1, v4, s[8:9]
	s_or_b64 exec, exec, s[0:1]
	v_cmp_gt_i32_e32 vcc, s12, v0
	s_and_saveexec_b64 s[0:1], vcc
	s_cbranch_execz .LBB152_508
.LBB152_524:
	v_lshrrev_b32_e32 v1, 8, v4
	v_add_u32_e32 v5, s33, v0
	v_add_u32_e32 v0, 0x100, v0
	global_store_byte v5, v1, s[8:9]
	s_or_b64 exec, exec, s[0:1]
	v_cmp_gt_i32_e32 vcc, s12, v0
	s_and_saveexec_b64 s[0:1], vcc
	s_cbranch_execz .LBB152_509
.LBB152_525:
	v_add_u32_e32 v1, s33, v0
	v_add_u32_e32 v0, 0x100, v0
	global_store_byte_d16_hi v1, v4, s[8:9]
	s_or_b64 exec, exec, s[0:1]
	v_cmp_gt_i32_e32 vcc, s12, v0
	s_and_saveexec_b64 s[0:1], vcc
	s_cbranch_execz .LBB152_510
.LBB152_526:
	v_lshrrev_b32_e32 v1, 24, v4
	v_add_u32_e32 v4, s33, v0
	v_add_u32_e32 v0, 0x100, v0
	global_store_byte v4, v1, s[8:9]
	s_or_b64 exec, exec, s[0:1]
	v_cmp_gt_i32_e32 vcc, s12, v0
	s_and_saveexec_b64 s[0:1], vcc
	s_cbranch_execz .LBB152_511
.LBB152_527:
	v_add_u32_e32 v1, s33, v0
	v_add_u32_e32 v0, 0x100, v0
	global_store_byte v1, v3, s[8:9]
	s_or_b64 exec, exec, s[0:1]
	v_cmp_gt_i32_e32 vcc, s12, v0
	s_and_saveexec_b64 s[0:1], vcc
	s_cbranch_execz .LBB152_512
.LBB152_528:
	v_lshrrev_b32_e32 v1, 8, v3
	v_add_u32_e32 v4, s33, v0
	v_add_u32_e32 v0, 0x100, v0
	global_store_byte v4, v1, s[8:9]
	s_or_b64 exec, exec, s[0:1]
	v_cmp_gt_i32_e32 vcc, s12, v0
	s_and_saveexec_b64 s[0:1], vcc
	s_cbranch_execz .LBB152_513
.LBB152_529:
	v_add_u32_e32 v1, s33, v0
	v_add_u32_e32 v0, 0x100, v0
	global_store_byte_d16_hi v1, v3, s[8:9]
	s_or_b64 exec, exec, s[0:1]
	v_cmp_gt_i32_e32 vcc, s12, v0
	s_and_saveexec_b64 s[0:1], vcc
	s_cbranch_execz .LBB152_514
.LBB152_530:
	v_lshrrev_b32_e32 v1, 24, v3
	v_add_u32_e32 v3, s33, v0
	v_add_u32_e32 v0, 0x100, v0
	global_store_byte v3, v1, s[8:9]
	s_or_b64 exec, exec, s[0:1]
	v_cmp_gt_i32_e32 vcc, s12, v0
	s_and_saveexec_b64 s[0:1], vcc
	s_cbranch_execz .LBB152_515
.LBB152_531:
	v_add_u32_e32 v1, s33, v0
	v_add_u32_e32 v0, 0x100, v0
	global_store_byte v1, v2, s[8:9]
	s_or_b64 exec, exec, s[0:1]
	v_cmp_gt_i32_e32 vcc, s12, v0
	s_and_saveexec_b64 s[0:1], vcc
	s_cbranch_execz .LBB152_516
.LBB152_532:
	v_lshrrev_b32_e32 v1, 8, v2
	v_add_u32_e32 v3, s33, v0
	v_add_u32_e32 v0, 0x100, v0
	global_store_byte v3, v1, s[8:9]
	s_or_b64 exec, exec, s[0:1]
	v_cmp_gt_i32_e32 vcc, s12, v0
	s_and_saveexec_b64 s[0:1], vcc
	s_cbranch_execz .LBB152_517
.LBB152_533:
	v_add_u32_e32 v1, s33, v0
	v_add_u32_e32 v0, 0x100, v0
	global_store_byte_d16_hi v1, v2, s[8:9]
	s_or_b64 exec, exec, s[0:1]
	v_cmp_gt_i32_e32 vcc, s12, v0
	s_and_saveexec_b64 s[0:1], vcc
	s_cbranch_execnz .LBB152_518
	s_branch .LBB152_519
.LBB152_534:
	s_xor_b64 s[10:11], s[6:7], -1
	s_and_b64 s[16:17], s[4:5], s[10:11]
	s_andn2_b64 s[14:15], s[14:15], exec
	s_and_b64 s[16:17], s[16:17], exec
	s_or_b64 s[14:15], s[14:15], s[16:17]
	s_cbranch_execz .LBB152_499
	s_branch .LBB152_500
.LBB152_535:
	s_mov_b64 s[74:75], -1
                                        ; implicit-def: $sgpr14_sgpr15
	s_branch .LBB152_285
.LBB152_536:
	s_mov_b64 s[70:71], -1
                                        ; implicit-def: $sgpr14_sgpr15
	s_branch .LBB152_300
.LBB152_537:
	s_mov_b64 s[66:67], -1
                                        ; implicit-def: $sgpr14_sgpr15
	s_branch .LBB152_315
.LBB152_538:
	s_mov_b64 s[62:63], -1
                                        ; implicit-def: $sgpr14_sgpr15
	s_branch .LBB152_330
.LBB152_539:
	s_mov_b64 s[58:59], -1
                                        ; implicit-def: $sgpr14_sgpr15
	s_branch .LBB152_345
.LBB152_540:
	s_mov_b64 s[54:55], -1
                                        ; implicit-def: $sgpr14_sgpr15
	s_branch .LBB152_360
.LBB152_541:
	s_mov_b64 s[50:51], -1
                                        ; implicit-def: $sgpr14_sgpr15
	s_branch .LBB152_375
.LBB152_542:
	s_mov_b64 s[46:47], -1
                                        ; implicit-def: $sgpr14_sgpr15
	s_branch .LBB152_390
.LBB152_543:
	s_mov_b64 s[42:43], -1
                                        ; implicit-def: $sgpr14_sgpr15
	s_branch .LBB152_405
.LBB152_544:
	s_mov_b64 s[38:39], -1
                                        ; implicit-def: $sgpr14_sgpr15
	s_branch .LBB152_420
.LBB152_545:
	s_mov_b64 s[34:35], -1
                                        ; implicit-def: $sgpr14_sgpr15
	s_branch .LBB152_435
.LBB152_546:
	s_mov_b64 s[28:29], -1
                                        ; implicit-def: $sgpr14_sgpr15
	s_branch .LBB152_450
.LBB152_547:
	s_mov_b64 s[24:25], -1
                                        ; implicit-def: $sgpr14_sgpr15
	s_branch .LBB152_465
.LBB152_548:
	s_mov_b64 s[20:21], -1
                                        ; implicit-def: $sgpr14_sgpr15
	s_branch .LBB152_480
.LBB152_549:
	s_mov_b64 s[16:17], -1
                                        ; implicit-def: $sgpr14_sgpr15
	s_branch .LBB152_495
	.section	.rodata,"a",@progbits
	.p2align	6, 0x0
	.amdhsa_kernel _ZN2at6native29vectorized_elementwise_kernelILi16ENS0_12_GLOBAL__N_114CompareFunctorIbEESt5arrayIPcLm3EEEEviT0_T1_
		.amdhsa_group_segment_fixed_size 0
		.amdhsa_private_segment_fixed_size 0
		.amdhsa_kernarg_size 32
		.amdhsa_user_sgpr_count 6
		.amdhsa_user_sgpr_private_segment_buffer 1
		.amdhsa_user_sgpr_dispatch_ptr 0
		.amdhsa_user_sgpr_queue_ptr 0
		.amdhsa_user_sgpr_kernarg_segment_ptr 1
		.amdhsa_user_sgpr_dispatch_id 0
		.amdhsa_user_sgpr_flat_scratch_init 0
		.amdhsa_user_sgpr_private_segment_size 0
		.amdhsa_uses_dynamic_stack 0
		.amdhsa_system_sgpr_private_segment_wavefront_offset 0
		.amdhsa_system_sgpr_workgroup_id_x 1
		.amdhsa_system_sgpr_workgroup_id_y 0
		.amdhsa_system_sgpr_workgroup_id_z 0
		.amdhsa_system_sgpr_workgroup_info 0
		.amdhsa_system_vgpr_workitem_id 0
		.amdhsa_next_free_vgpr 19
		.amdhsa_next_free_sgpr 82
		.amdhsa_reserve_vcc 1
		.amdhsa_reserve_flat_scratch 0
		.amdhsa_float_round_mode_32 0
		.amdhsa_float_round_mode_16_64 0
		.amdhsa_float_denorm_mode_32 3
		.amdhsa_float_denorm_mode_16_64 3
		.amdhsa_dx10_clamp 1
		.amdhsa_ieee_mode 1
		.amdhsa_fp16_overflow 0
		.amdhsa_exception_fp_ieee_invalid_op 0
		.amdhsa_exception_fp_denorm_src 0
		.amdhsa_exception_fp_ieee_div_zero 0
		.amdhsa_exception_fp_ieee_overflow 0
		.amdhsa_exception_fp_ieee_underflow 0
		.amdhsa_exception_fp_ieee_inexact 0
		.amdhsa_exception_int_div_zero 0
	.end_amdhsa_kernel
	.section	.text._ZN2at6native29vectorized_elementwise_kernelILi16ENS0_12_GLOBAL__N_114CompareFunctorIbEESt5arrayIPcLm3EEEEviT0_T1_,"axG",@progbits,_ZN2at6native29vectorized_elementwise_kernelILi16ENS0_12_GLOBAL__N_114CompareFunctorIbEESt5arrayIPcLm3EEEEviT0_T1_,comdat
.Lfunc_end152:
	.size	_ZN2at6native29vectorized_elementwise_kernelILi16ENS0_12_GLOBAL__N_114CompareFunctorIbEESt5arrayIPcLm3EEEEviT0_T1_, .Lfunc_end152-_ZN2at6native29vectorized_elementwise_kernelILi16ENS0_12_GLOBAL__N_114CompareFunctorIbEESt5arrayIPcLm3EEEEviT0_T1_
                                        ; -- End function
	.set _ZN2at6native29vectorized_elementwise_kernelILi16ENS0_12_GLOBAL__N_114CompareFunctorIbEESt5arrayIPcLm3EEEEviT0_T1_.num_vgpr, 19
	.set _ZN2at6native29vectorized_elementwise_kernelILi16ENS0_12_GLOBAL__N_114CompareFunctorIbEESt5arrayIPcLm3EEEEviT0_T1_.num_agpr, 0
	.set _ZN2at6native29vectorized_elementwise_kernelILi16ENS0_12_GLOBAL__N_114CompareFunctorIbEESt5arrayIPcLm3EEEEviT0_T1_.numbered_sgpr, 82
	.set _ZN2at6native29vectorized_elementwise_kernelILi16ENS0_12_GLOBAL__N_114CompareFunctorIbEESt5arrayIPcLm3EEEEviT0_T1_.num_named_barrier, 0
	.set _ZN2at6native29vectorized_elementwise_kernelILi16ENS0_12_GLOBAL__N_114CompareFunctorIbEESt5arrayIPcLm3EEEEviT0_T1_.private_seg_size, 0
	.set _ZN2at6native29vectorized_elementwise_kernelILi16ENS0_12_GLOBAL__N_114CompareFunctorIbEESt5arrayIPcLm3EEEEviT0_T1_.uses_vcc, 1
	.set _ZN2at6native29vectorized_elementwise_kernelILi16ENS0_12_GLOBAL__N_114CompareFunctorIbEESt5arrayIPcLm3EEEEviT0_T1_.uses_flat_scratch, 0
	.set _ZN2at6native29vectorized_elementwise_kernelILi16ENS0_12_GLOBAL__N_114CompareFunctorIbEESt5arrayIPcLm3EEEEviT0_T1_.has_dyn_sized_stack, 0
	.set _ZN2at6native29vectorized_elementwise_kernelILi16ENS0_12_GLOBAL__N_114CompareFunctorIbEESt5arrayIPcLm3EEEEviT0_T1_.has_recursion, 0
	.set _ZN2at6native29vectorized_elementwise_kernelILi16ENS0_12_GLOBAL__N_114CompareFunctorIbEESt5arrayIPcLm3EEEEviT0_T1_.has_indirect_call, 0
	.section	.AMDGPU.csdata,"",@progbits
; Kernel info:
; codeLenInByte = 9512
; TotalNumSgprs: 86
; NumVgprs: 19
; ScratchSize: 0
; MemoryBound: 0
; FloatMode: 240
; IeeeMode: 1
; LDSByteSize: 0 bytes/workgroup (compile time only)
; SGPRBlocks: 10
; VGPRBlocks: 4
; NumSGPRsForWavesPerEU: 86
; NumVGPRsForWavesPerEU: 19
; Occupancy: 9
; WaveLimiterHint : 0
; COMPUTE_PGM_RSRC2:SCRATCH_EN: 0
; COMPUTE_PGM_RSRC2:USER_SGPR: 6
; COMPUTE_PGM_RSRC2:TRAP_HANDLER: 0
; COMPUTE_PGM_RSRC2:TGID_X_EN: 1
; COMPUTE_PGM_RSRC2:TGID_Y_EN: 0
; COMPUTE_PGM_RSRC2:TGID_Z_EN: 0
; COMPUTE_PGM_RSRC2:TIDIG_COMP_CNT: 0
	.section	.text._ZN2at6native29vectorized_elementwise_kernelILi8ENS0_12_GLOBAL__N_114CompareFunctorIbEESt5arrayIPcLm3EEEEviT0_T1_,"axG",@progbits,_ZN2at6native29vectorized_elementwise_kernelILi8ENS0_12_GLOBAL__N_114CompareFunctorIbEESt5arrayIPcLm3EEEEviT0_T1_,comdat
	.globl	_ZN2at6native29vectorized_elementwise_kernelILi8ENS0_12_GLOBAL__N_114CompareFunctorIbEESt5arrayIPcLm3EEEEviT0_T1_ ; -- Begin function _ZN2at6native29vectorized_elementwise_kernelILi8ENS0_12_GLOBAL__N_114CompareFunctorIbEESt5arrayIPcLm3EEEEviT0_T1_
	.p2align	8
	.type	_ZN2at6native29vectorized_elementwise_kernelILi8ENS0_12_GLOBAL__N_114CompareFunctorIbEESt5arrayIPcLm3EEEEviT0_T1_,@function
_ZN2at6native29vectorized_elementwise_kernelILi8ENS0_12_GLOBAL__N_114CompareFunctorIbEESt5arrayIPcLm3EEEEviT0_T1_: ; @_ZN2at6native29vectorized_elementwise_kernelILi8ENS0_12_GLOBAL__N_114CompareFunctorIbEESt5arrayIPcLm3EEEEviT0_T1_
; %bb.0:
	s_load_dwordx2 s[12:13], s[4:5], 0x0
	s_load_dwordx4 s[8:11], s[4:5], 0x8
	s_load_dwordx2 s[14:15], s[4:5], 0x18
	s_lshl_b32 s33, s6, 12
	s_mov_b64 s[0:1], -1
	s_waitcnt lgkmcnt(0)
	s_sub_i32 s12, s12, s33
	s_cmpk_gt_i32 s12, 0xfff
	s_cbranch_scc0 .LBB153_211
; %bb.1:
	s_ashr_i32 s52, s33, 31
	s_add_u32 s0, s10, s33
	s_addc_u32 s1, s11, s52
	v_lshlrev_b32_e32 v9, 3, v0
	s_add_u32 s2, s14, s33
	s_addc_u32 s3, s15, s52
	global_load_dwordx2 v[5:6], v9, s[0:1]
	global_load_dwordx2 v[7:8], v9, s[2:3]
	global_load_dwordx2 v[1:2], v9, s[0:1] offset:2048
	global_load_dwordx2 v[3:4], v9, s[2:3] offset:2048
	v_mov_b32_e32 v10, 0
	s_cmp_lt_i32 s13, 1
	s_mov_b64 s[6:7], 0
	s_waitcnt vmcnt(3)
	v_cmp_ne_u32_sdwa s[0:1], v5, v10 src0_sel:BYTE_0 src1_sel:DWORD
	s_waitcnt vmcnt(2)
	v_cmp_ne_u32_sdwa s[2:3], v7, v10 src0_sel:BYTE_0 src1_sel:DWORD
	s_cbranch_scc1 .LBB153_5
; %bb.2:
	s_cmp_gt_i32 s13, 1
	s_cbranch_scc0 .LBB153_6
; %bb.3:
	s_cmp_eq_u32 s13, 2
	s_cbranch_scc0 .LBB153_7
; %bb.4:
	s_xor_b64 s[4:5], s[0:1], -1
	s_or_b64 s[4:5], s[2:3], s[4:5]
	s_mov_b64 s[16:17], 0
	s_branch .LBB153_8
.LBB153_5:
                                        ; implicit-def: $sgpr4_sgpr5
	s_mov_b64 s[16:17], 0
	s_cbranch_execnz .LBB153_11
	s_branch .LBB153_12
.LBB153_6:
	s_mov_b64 s[16:17], 0
                                        ; implicit-def: $sgpr4_sgpr5
	s_cbranch_execnz .LBB153_9
	s_branch .LBB153_10
.LBB153_7:
	s_mov_b64 s[16:17], -1
                                        ; implicit-def: $sgpr4_sgpr5
.LBB153_8:
	s_branch .LBB153_10
.LBB153_9:
	s_xor_b64 s[18:19], s[2:3], -1
	s_and_b64 s[18:19], s[0:1], s[18:19]
	s_andn2_b64 s[4:5], s[4:5], exec
	s_and_b64 s[18:19], s[18:19], exec
	s_or_b64 s[4:5], s[4:5], s[18:19]
.LBB153_10:
	s_branch .LBB153_12
.LBB153_11:
	s_cmp_lg_u32 s13, 0
	s_mov_b64 s[6:7], -1
	s_cselect_b64 s[16:17], -1, 0
.LBB153_12:
	s_andn2_b64 vcc, exec, s[16:17]
	s_cbranch_vccz .LBB153_19
; %bb.13:
	s_andn2_b64 vcc, exec, s[6:7]
	s_cbranch_vccnz .LBB153_15
.LBB153_14:
	s_xor_b64 s[2:3], s[2:3], -1
	s_or_b64 s[0:1], s[0:1], s[2:3]
	s_andn2_b64 s[2:3], s[4:5], exec
	s_and_b64 s[0:1], s[0:1], exec
	s_or_b64 s[4:5], s[2:3], s[0:1]
.LBB153_15:
	v_and_b32_e32 v10, 0xff00, v5
	v_cmp_ne_u32_e64 s[0:1], 0, v10
	v_and_b32_e32 v10, 0xff00, v7
	v_cmp_ne_u32_e64 s[2:3], 0, v10
	s_cmp_lt_i32 s13, 1
	s_mov_b64 s[16:17], 0
	s_cbranch_scc1 .LBB153_20
; %bb.16:
	s_cmp_gt_i32 s13, 1
	s_cbranch_scc0 .LBB153_21
; %bb.17:
	s_cmp_eq_u32 s13, 2
	s_cbranch_scc0 .LBB153_251
; %bb.18:
	s_xor_b64 s[6:7], s[0:1], -1
	s_or_b64 s[6:7], s[2:3], s[6:7]
	s_mov_b64 s[18:19], 0
	s_branch .LBB153_23
.LBB153_19:
	s_xor_b64 s[6:7], s[0:1], -1
	s_and_b64 s[16:17], s[2:3], s[6:7]
	s_andn2_b64 s[4:5], s[4:5], exec
	s_and_b64 s[16:17], s[16:17], exec
	s_or_b64 s[4:5], s[4:5], s[16:17]
	s_cbranch_execz .LBB153_14
	s_branch .LBB153_15
.LBB153_20:
                                        ; implicit-def: $sgpr6_sgpr7
	s_mov_b64 s[18:19], 0
	s_cbranch_execnz .LBB153_24
	s_branch .LBB153_25
.LBB153_21:
	s_mov_b64 s[18:19], 0
                                        ; implicit-def: $sgpr6_sgpr7
	s_cbranch_execz .LBB153_23
; %bb.22:
	s_xor_b64 s[20:21], s[2:3], -1
	s_and_b64 s[20:21], s[0:1], s[20:21]
	s_andn2_b64 s[6:7], s[6:7], exec
	s_and_b64 s[20:21], s[20:21], exec
	s_or_b64 s[6:7], s[6:7], s[20:21]
.LBB153_23:
	s_branch .LBB153_25
.LBB153_24:
	s_cmp_lg_u32 s13, 0
	s_mov_b64 s[16:17], -1
	s_cselect_b64 s[18:19], -1, 0
.LBB153_25:
	s_andn2_b64 vcc, exec, s[18:19]
	s_cbranch_vccz .LBB153_32
; %bb.26:
	s_andn2_b64 vcc, exec, s[16:17]
	s_cbranch_vccnz .LBB153_28
.LBB153_27:
	s_xor_b64 s[2:3], s[2:3], -1
	s_or_b64 s[0:1], s[0:1], s[2:3]
	s_andn2_b64 s[2:3], s[6:7], exec
	s_and_b64 s[0:1], s[0:1], exec
	s_or_b64 s[6:7], s[2:3], s[0:1]
.LBB153_28:
	v_and_b32_e32 v10, 0xff0000, v5
	v_cmp_ne_u32_e64 s[0:1], 0, v10
	v_and_b32_e32 v10, 0xff0000, v7
	v_cmp_ne_u32_e64 s[2:3], 0, v10
	s_cmp_lt_i32 s13, 1
	s_mov_b64 s[18:19], 0
	s_cbranch_scc1 .LBB153_33
; %bb.29:
	s_cmp_gt_i32 s13, 1
	s_cbranch_scc0 .LBB153_34
; %bb.30:
	s_cmp_eq_u32 s13, 2
	s_cbranch_scc0 .LBB153_252
; %bb.31:
	s_xor_b64 s[16:17], s[0:1], -1
	s_or_b64 s[16:17], s[2:3], s[16:17]
	s_mov_b64 s[20:21], 0
	s_branch .LBB153_36
.LBB153_32:
	s_xor_b64 s[16:17], s[0:1], -1
	s_and_b64 s[18:19], s[2:3], s[16:17]
	s_andn2_b64 s[6:7], s[6:7], exec
	s_and_b64 s[18:19], s[18:19], exec
	s_or_b64 s[6:7], s[6:7], s[18:19]
	s_cbranch_execz .LBB153_27
	s_branch .LBB153_28
.LBB153_33:
                                        ; implicit-def: $sgpr16_sgpr17
	s_mov_b64 s[20:21], 0
	s_cbranch_execnz .LBB153_37
	s_branch .LBB153_38
.LBB153_34:
	s_mov_b64 s[20:21], 0
                                        ; implicit-def: $sgpr16_sgpr17
	s_cbranch_execz .LBB153_36
; %bb.35:
	s_xor_b64 s[22:23], s[2:3], -1
	s_and_b64 s[22:23], s[0:1], s[22:23]
	s_andn2_b64 s[16:17], s[16:17], exec
	s_and_b64 s[22:23], s[22:23], exec
	s_or_b64 s[16:17], s[16:17], s[22:23]
.LBB153_36:
	s_branch .LBB153_38
.LBB153_37:
	s_cmp_lg_u32 s13, 0
	s_mov_b64 s[18:19], -1
	s_cselect_b64 s[20:21], -1, 0
.LBB153_38:
	s_andn2_b64 vcc, exec, s[20:21]
	s_cbranch_vccz .LBB153_45
; %bb.39:
	s_andn2_b64 vcc, exec, s[18:19]
	s_cbranch_vccnz .LBB153_41
.LBB153_40:
	s_xor_b64 s[2:3], s[2:3], -1
	s_or_b64 s[0:1], s[0:1], s[2:3]
	s_andn2_b64 s[2:3], s[16:17], exec
	s_and_b64 s[0:1], s[0:1], exec
	s_or_b64 s[16:17], s[2:3], s[0:1]
.LBB153_41:
	s_mov_b32 s2, 0xffffff
	v_cmp_lt_u32_e64 s[0:1], s2, v5
	v_cmp_lt_u32_e64 s[2:3], s2, v7
	s_cmp_lt_i32 s13, 1
	s_mov_b64 s[20:21], 0
	s_cbranch_scc1 .LBB153_46
; %bb.42:
	s_cmp_gt_i32 s13, 1
	s_cbranch_scc0 .LBB153_47
; %bb.43:
	s_cmp_eq_u32 s13, 2
	s_cbranch_scc0 .LBB153_253
; %bb.44:
	s_xor_b64 s[18:19], s[0:1], -1
	s_or_b64 s[18:19], s[2:3], s[18:19]
	s_mov_b64 s[22:23], 0
	s_branch .LBB153_49
.LBB153_45:
	s_xor_b64 s[18:19], s[0:1], -1
	s_and_b64 s[20:21], s[2:3], s[18:19]
	s_andn2_b64 s[16:17], s[16:17], exec
	s_and_b64 s[20:21], s[20:21], exec
	s_or_b64 s[16:17], s[16:17], s[20:21]
	s_cbranch_execz .LBB153_40
	s_branch .LBB153_41
.LBB153_46:
                                        ; implicit-def: $sgpr18_sgpr19
	s_mov_b64 s[22:23], 0
	s_cbranch_execnz .LBB153_50
	s_branch .LBB153_51
.LBB153_47:
	s_mov_b64 s[22:23], 0
                                        ; implicit-def: $sgpr18_sgpr19
	s_cbranch_execz .LBB153_49
; %bb.48:
	s_xor_b64 s[24:25], s[2:3], -1
	s_and_b64 s[24:25], s[0:1], s[24:25]
	s_andn2_b64 s[18:19], s[18:19], exec
	s_and_b64 s[24:25], s[24:25], exec
	s_or_b64 s[18:19], s[18:19], s[24:25]
.LBB153_49:
	s_branch .LBB153_51
.LBB153_50:
	s_cmp_lg_u32 s13, 0
	s_mov_b64 s[20:21], -1
	s_cselect_b64 s[22:23], -1, 0
.LBB153_51:
	s_andn2_b64 vcc, exec, s[22:23]
	s_cbranch_vccz .LBB153_58
; %bb.52:
	s_andn2_b64 vcc, exec, s[20:21]
	s_cbranch_vccnz .LBB153_54
.LBB153_53:
	s_xor_b64 s[2:3], s[2:3], -1
	s_or_b64 s[0:1], s[0:1], s[2:3]
	s_andn2_b64 s[2:3], s[18:19], exec
	s_and_b64 s[0:1], s[0:1], exec
	s_or_b64 s[18:19], s[2:3], s[0:1]
.LBB153_54:
	v_mov_b32_e32 v5, 0
	v_cmp_ne_u32_sdwa s[0:1], v6, v5 src0_sel:BYTE_0 src1_sel:DWORD
	v_cmp_ne_u32_sdwa s[2:3], v8, v5 src0_sel:BYTE_0 src1_sel:DWORD
	s_cmp_lt_i32 s13, 1
	s_mov_b64 s[22:23], 0
	s_cbranch_scc1 .LBB153_59
; %bb.55:
	s_cmp_gt_i32 s13, 1
	s_cbranch_scc0 .LBB153_60
; %bb.56:
	s_cmp_eq_u32 s13, 2
	s_cbranch_scc0 .LBB153_254
; %bb.57:
	s_xor_b64 s[20:21], s[0:1], -1
	s_or_b64 s[20:21], s[2:3], s[20:21]
	s_mov_b64 s[24:25], 0
	s_branch .LBB153_62
.LBB153_58:
	s_xor_b64 s[20:21], s[0:1], -1
	s_and_b64 s[22:23], s[2:3], s[20:21]
	s_andn2_b64 s[18:19], s[18:19], exec
	s_and_b64 s[22:23], s[22:23], exec
	s_or_b64 s[18:19], s[18:19], s[22:23]
	s_cbranch_execz .LBB153_53
	s_branch .LBB153_54
.LBB153_59:
                                        ; implicit-def: $sgpr20_sgpr21
	s_mov_b64 s[24:25], 0
	s_cbranch_execnz .LBB153_63
	s_branch .LBB153_64
.LBB153_60:
	s_mov_b64 s[24:25], 0
                                        ; implicit-def: $sgpr20_sgpr21
	s_cbranch_execz .LBB153_62
; %bb.61:
	s_xor_b64 s[26:27], s[2:3], -1
	s_and_b64 s[26:27], s[0:1], s[26:27]
	s_andn2_b64 s[20:21], s[20:21], exec
	s_and_b64 s[26:27], s[26:27], exec
	s_or_b64 s[20:21], s[20:21], s[26:27]
.LBB153_62:
	s_branch .LBB153_64
.LBB153_63:
	s_cmp_lg_u32 s13, 0
	s_mov_b64 s[22:23], -1
	s_cselect_b64 s[24:25], -1, 0
.LBB153_64:
	s_andn2_b64 vcc, exec, s[24:25]
	s_cbranch_vccz .LBB153_71
; %bb.65:
	s_andn2_b64 vcc, exec, s[22:23]
	s_cbranch_vccnz .LBB153_67
.LBB153_66:
	s_xor_b64 s[2:3], s[2:3], -1
	s_or_b64 s[0:1], s[0:1], s[2:3]
	s_andn2_b64 s[2:3], s[20:21], exec
	s_and_b64 s[0:1], s[0:1], exec
	s_or_b64 s[20:21], s[2:3], s[0:1]
.LBB153_67:
	v_and_b32_e32 v5, 0xff00, v6
	v_cmp_ne_u32_e64 s[0:1], 0, v5
	v_and_b32_e32 v5, 0xff00, v8
	v_cmp_ne_u32_e64 s[2:3], 0, v5
	s_cmp_lt_i32 s13, 1
	s_mov_b64 s[24:25], 0
	s_cbranch_scc1 .LBB153_72
; %bb.68:
	s_cmp_gt_i32 s13, 1
	s_cbranch_scc0 .LBB153_73
; %bb.69:
	s_cmp_eq_u32 s13, 2
	s_cbranch_scc0 .LBB153_255
; %bb.70:
	s_xor_b64 s[22:23], s[0:1], -1
	s_or_b64 s[22:23], s[2:3], s[22:23]
	s_mov_b64 s[26:27], 0
	s_branch .LBB153_75
.LBB153_71:
	s_xor_b64 s[22:23], s[0:1], -1
	s_and_b64 s[24:25], s[2:3], s[22:23]
	s_andn2_b64 s[20:21], s[20:21], exec
	s_and_b64 s[24:25], s[24:25], exec
	s_or_b64 s[20:21], s[20:21], s[24:25]
	s_cbranch_execz .LBB153_66
	s_branch .LBB153_67
.LBB153_72:
                                        ; implicit-def: $sgpr22_sgpr23
	s_mov_b64 s[26:27], 0
	s_cbranch_execnz .LBB153_76
	s_branch .LBB153_77
.LBB153_73:
	s_mov_b64 s[26:27], 0
                                        ; implicit-def: $sgpr22_sgpr23
	s_cbranch_execz .LBB153_75
; %bb.74:
	s_xor_b64 s[28:29], s[2:3], -1
	s_and_b64 s[28:29], s[0:1], s[28:29]
	s_andn2_b64 s[22:23], s[22:23], exec
	s_and_b64 s[28:29], s[28:29], exec
	s_or_b64 s[22:23], s[22:23], s[28:29]
.LBB153_75:
	s_branch .LBB153_77
.LBB153_76:
	s_cmp_lg_u32 s13, 0
	s_mov_b64 s[24:25], -1
	s_cselect_b64 s[26:27], -1, 0
.LBB153_77:
	s_andn2_b64 vcc, exec, s[26:27]
	s_cbranch_vccz .LBB153_84
; %bb.78:
	s_andn2_b64 vcc, exec, s[24:25]
	s_cbranch_vccnz .LBB153_80
.LBB153_79:
	s_xor_b64 s[2:3], s[2:3], -1
	s_or_b64 s[0:1], s[0:1], s[2:3]
	s_andn2_b64 s[2:3], s[22:23], exec
	s_and_b64 s[0:1], s[0:1], exec
	s_or_b64 s[22:23], s[2:3], s[0:1]
.LBB153_80:
	v_and_b32_e32 v5, 0xff0000, v6
	v_cmp_ne_u32_e64 s[0:1], 0, v5
	v_and_b32_e32 v5, 0xff0000, v8
	v_cmp_ne_u32_e64 s[2:3], 0, v5
	s_cmp_lt_i32 s13, 1
	s_mov_b64 s[26:27], 0
	s_cbranch_scc1 .LBB153_85
; %bb.81:
	s_cmp_gt_i32 s13, 1
	s_cbranch_scc0 .LBB153_86
; %bb.82:
	s_cmp_eq_u32 s13, 2
	s_cbranch_scc0 .LBB153_256
; %bb.83:
	s_xor_b64 s[24:25], s[0:1], -1
	s_or_b64 s[24:25], s[2:3], s[24:25]
	s_mov_b64 s[28:29], 0
	s_branch .LBB153_88
.LBB153_84:
	s_xor_b64 s[24:25], s[0:1], -1
	s_and_b64 s[26:27], s[2:3], s[24:25]
	s_andn2_b64 s[22:23], s[22:23], exec
	s_and_b64 s[26:27], s[26:27], exec
	s_or_b64 s[22:23], s[22:23], s[26:27]
	s_cbranch_execz .LBB153_79
	s_branch .LBB153_80
.LBB153_85:
                                        ; implicit-def: $sgpr24_sgpr25
	s_mov_b64 s[28:29], 0
	s_cbranch_execnz .LBB153_89
	s_branch .LBB153_90
.LBB153_86:
	s_mov_b64 s[28:29], 0
                                        ; implicit-def: $sgpr24_sgpr25
	s_cbranch_execz .LBB153_88
; %bb.87:
	s_xor_b64 s[30:31], s[2:3], -1
	s_and_b64 s[30:31], s[0:1], s[30:31]
	s_andn2_b64 s[24:25], s[24:25], exec
	s_and_b64 s[30:31], s[30:31], exec
	s_or_b64 s[24:25], s[24:25], s[30:31]
.LBB153_88:
	s_branch .LBB153_90
.LBB153_89:
	s_cmp_lg_u32 s13, 0
	s_mov_b64 s[26:27], -1
	s_cselect_b64 s[28:29], -1, 0
.LBB153_90:
	s_andn2_b64 vcc, exec, s[28:29]
	s_cbranch_vccz .LBB153_97
; %bb.91:
	s_andn2_b64 vcc, exec, s[26:27]
	s_cbranch_vccnz .LBB153_93
.LBB153_92:
	s_xor_b64 s[2:3], s[2:3], -1
	s_or_b64 s[0:1], s[0:1], s[2:3]
	s_andn2_b64 s[2:3], s[24:25], exec
	s_and_b64 s[0:1], s[0:1], exec
	s_or_b64 s[24:25], s[2:3], s[0:1]
.LBB153_93:
	s_mov_b32 s2, 0xffffff
	v_cmp_lt_u32_e64 s[0:1], s2, v6
	v_cmp_lt_u32_e64 s[2:3], s2, v8
	s_cmp_lt_i32 s13, 1
	s_mov_b64 s[28:29], 0
	s_cbranch_scc1 .LBB153_98
; %bb.94:
	s_cmp_gt_i32 s13, 1
	s_cbranch_scc0 .LBB153_99
; %bb.95:
	s_cmp_eq_u32 s13, 2
	s_cbranch_scc0 .LBB153_257
; %bb.96:
	s_xor_b64 s[26:27], s[0:1], -1
	s_or_b64 s[26:27], s[2:3], s[26:27]
	s_mov_b64 s[30:31], 0
	s_branch .LBB153_101
.LBB153_97:
	s_xor_b64 s[26:27], s[0:1], -1
	s_and_b64 s[28:29], s[2:3], s[26:27]
	s_andn2_b64 s[24:25], s[24:25], exec
	s_and_b64 s[28:29], s[28:29], exec
	s_or_b64 s[24:25], s[24:25], s[28:29]
	s_cbranch_execz .LBB153_92
	s_branch .LBB153_93
.LBB153_98:
                                        ; implicit-def: $sgpr26_sgpr27
	s_mov_b64 s[30:31], 0
	s_cbranch_execnz .LBB153_102
	s_branch .LBB153_103
.LBB153_99:
	s_mov_b64 s[30:31], 0
                                        ; implicit-def: $sgpr26_sgpr27
	s_cbranch_execz .LBB153_101
; %bb.100:
	s_xor_b64 s[34:35], s[2:3], -1
	s_and_b64 s[34:35], s[0:1], s[34:35]
	s_andn2_b64 s[26:27], s[26:27], exec
	s_and_b64 s[34:35], s[34:35], exec
	s_or_b64 s[26:27], s[26:27], s[34:35]
.LBB153_101:
	s_branch .LBB153_103
.LBB153_102:
	s_cmp_lg_u32 s13, 0
	s_mov_b64 s[28:29], -1
	s_cselect_b64 s[30:31], -1, 0
.LBB153_103:
	s_andn2_b64 vcc, exec, s[30:31]
	s_cbranch_vccz .LBB153_110
; %bb.104:
	s_andn2_b64 vcc, exec, s[28:29]
	s_cbranch_vccnz .LBB153_106
.LBB153_105:
	s_xor_b64 s[2:3], s[2:3], -1
	s_or_b64 s[0:1], s[0:1], s[2:3]
	s_andn2_b64 s[2:3], s[26:27], exec
	s_and_b64 s[0:1], s[0:1], exec
	s_or_b64 s[26:27], s[2:3], s[0:1]
.LBB153_106:
	v_mov_b32_e32 v5, 0
	s_waitcnt vmcnt(1)
	v_cmp_ne_u32_sdwa s[0:1], v1, v5 src0_sel:BYTE_0 src1_sel:DWORD
	s_waitcnt vmcnt(0)
	v_cmp_ne_u32_sdwa s[2:3], v3, v5 src0_sel:BYTE_0 src1_sel:DWORD
	s_cmp_lt_i32 s13, 1
	s_mov_b64 s[30:31], 0
	s_cbranch_scc1 .LBB153_111
; %bb.107:
	s_cmp_gt_i32 s13, 1
	s_cbranch_scc0 .LBB153_112
; %bb.108:
	s_cmp_eq_u32 s13, 2
	s_cbranch_scc0 .LBB153_258
; %bb.109:
	s_xor_b64 s[28:29], s[0:1], -1
	s_or_b64 s[28:29], s[2:3], s[28:29]
	s_mov_b64 s[34:35], 0
	s_branch .LBB153_114
.LBB153_110:
	s_xor_b64 s[28:29], s[0:1], -1
	s_and_b64 s[30:31], s[2:3], s[28:29]
	s_andn2_b64 s[26:27], s[26:27], exec
	s_and_b64 s[30:31], s[30:31], exec
	s_or_b64 s[26:27], s[26:27], s[30:31]
	s_cbranch_execz .LBB153_105
	s_branch .LBB153_106
.LBB153_111:
                                        ; implicit-def: $sgpr28_sgpr29
	s_mov_b64 s[34:35], 0
	s_cbranch_execnz .LBB153_115
	s_branch .LBB153_116
.LBB153_112:
	s_mov_b64 s[34:35], 0
                                        ; implicit-def: $sgpr28_sgpr29
	s_cbranch_execz .LBB153_114
; %bb.113:
	s_xor_b64 s[36:37], s[2:3], -1
	s_and_b64 s[36:37], s[0:1], s[36:37]
	s_andn2_b64 s[28:29], s[28:29], exec
	s_and_b64 s[36:37], s[36:37], exec
	s_or_b64 s[28:29], s[28:29], s[36:37]
.LBB153_114:
	s_branch .LBB153_116
.LBB153_115:
	s_cmp_lg_u32 s13, 0
	s_mov_b64 s[30:31], -1
	s_cselect_b64 s[34:35], -1, 0
.LBB153_116:
	s_andn2_b64 vcc, exec, s[34:35]
	s_cbranch_vccz .LBB153_123
; %bb.117:
	s_andn2_b64 vcc, exec, s[30:31]
	s_cbranch_vccnz .LBB153_119
.LBB153_118:
	s_xor_b64 s[2:3], s[2:3], -1
	s_or_b64 s[0:1], s[0:1], s[2:3]
	s_andn2_b64 s[2:3], s[28:29], exec
	s_and_b64 s[0:1], s[0:1], exec
	s_or_b64 s[28:29], s[2:3], s[0:1]
.LBB153_119:
	v_and_b32_e32 v5, 0xff00, v1
	v_cmp_ne_u32_e64 s[0:1], 0, v5
	v_and_b32_e32 v5, 0xff00, v3
	v_cmp_ne_u32_e64 s[2:3], 0, v5
	s_cmp_lt_i32 s13, 1
	s_mov_b64 s[34:35], 0
	s_cbranch_scc1 .LBB153_124
; %bb.120:
	s_cmp_gt_i32 s13, 1
	s_cbranch_scc0 .LBB153_125
; %bb.121:
	s_cmp_eq_u32 s13, 2
	s_cbranch_scc0 .LBB153_259
; %bb.122:
	s_xor_b64 s[30:31], s[0:1], -1
	s_or_b64 s[30:31], s[2:3], s[30:31]
	s_mov_b64 s[36:37], 0
	s_branch .LBB153_127
.LBB153_123:
	s_xor_b64 s[30:31], s[0:1], -1
	s_and_b64 s[34:35], s[2:3], s[30:31]
	s_andn2_b64 s[28:29], s[28:29], exec
	s_and_b64 s[34:35], s[34:35], exec
	s_or_b64 s[28:29], s[28:29], s[34:35]
	s_cbranch_execz .LBB153_118
	s_branch .LBB153_119
.LBB153_124:
                                        ; implicit-def: $sgpr30_sgpr31
	s_mov_b64 s[36:37], 0
	s_cbranch_execnz .LBB153_128
	s_branch .LBB153_129
.LBB153_125:
	s_mov_b64 s[36:37], 0
                                        ; implicit-def: $sgpr30_sgpr31
	s_cbranch_execz .LBB153_127
; %bb.126:
	s_xor_b64 s[38:39], s[2:3], -1
	s_and_b64 s[38:39], s[0:1], s[38:39]
	s_andn2_b64 s[30:31], s[30:31], exec
	s_and_b64 s[38:39], s[38:39], exec
	s_or_b64 s[30:31], s[30:31], s[38:39]
.LBB153_127:
	s_branch .LBB153_129
.LBB153_128:
	s_cmp_lg_u32 s13, 0
	s_mov_b64 s[34:35], -1
	s_cselect_b64 s[36:37], -1, 0
.LBB153_129:
	s_andn2_b64 vcc, exec, s[36:37]
	s_cbranch_vccz .LBB153_136
; %bb.130:
	s_andn2_b64 vcc, exec, s[34:35]
	s_cbranch_vccnz .LBB153_132
.LBB153_131:
	s_xor_b64 s[2:3], s[2:3], -1
	s_or_b64 s[0:1], s[0:1], s[2:3]
	s_andn2_b64 s[2:3], s[30:31], exec
	s_and_b64 s[0:1], s[0:1], exec
	s_or_b64 s[30:31], s[2:3], s[0:1]
.LBB153_132:
	v_and_b32_e32 v5, 0xff0000, v1
	v_cmp_ne_u32_e64 s[0:1], 0, v5
	v_and_b32_e32 v5, 0xff0000, v3
	v_cmp_ne_u32_e64 s[2:3], 0, v5
	s_cmp_lt_i32 s13, 1
	s_mov_b64 s[36:37], 0
	s_cbranch_scc1 .LBB153_137
; %bb.133:
	s_cmp_gt_i32 s13, 1
	s_cbranch_scc0 .LBB153_138
; %bb.134:
	s_cmp_eq_u32 s13, 2
	s_cbranch_scc0 .LBB153_260
; %bb.135:
	s_xor_b64 s[34:35], s[0:1], -1
	s_or_b64 s[34:35], s[2:3], s[34:35]
	s_mov_b64 s[38:39], 0
	s_branch .LBB153_140
.LBB153_136:
	s_xor_b64 s[34:35], s[0:1], -1
	s_and_b64 s[36:37], s[2:3], s[34:35]
	s_andn2_b64 s[30:31], s[30:31], exec
	s_and_b64 s[36:37], s[36:37], exec
	s_or_b64 s[30:31], s[30:31], s[36:37]
	s_cbranch_execz .LBB153_131
	s_branch .LBB153_132
.LBB153_137:
                                        ; implicit-def: $sgpr34_sgpr35
	s_mov_b64 s[38:39], 0
	s_cbranch_execnz .LBB153_141
	s_branch .LBB153_142
.LBB153_138:
	s_mov_b64 s[38:39], 0
                                        ; implicit-def: $sgpr34_sgpr35
	s_cbranch_execz .LBB153_140
; %bb.139:
	s_xor_b64 s[40:41], s[2:3], -1
	s_and_b64 s[40:41], s[0:1], s[40:41]
	s_andn2_b64 s[34:35], s[34:35], exec
	s_and_b64 s[40:41], s[40:41], exec
	s_or_b64 s[34:35], s[34:35], s[40:41]
.LBB153_140:
	s_branch .LBB153_142
.LBB153_141:
	s_cmp_lg_u32 s13, 0
	s_mov_b64 s[36:37], -1
	s_cselect_b64 s[38:39], -1, 0
.LBB153_142:
	s_andn2_b64 vcc, exec, s[38:39]
	s_cbranch_vccz .LBB153_149
; %bb.143:
	s_andn2_b64 vcc, exec, s[36:37]
	s_cbranch_vccnz .LBB153_145
.LBB153_144:
	s_xor_b64 s[2:3], s[2:3], -1
	s_or_b64 s[0:1], s[0:1], s[2:3]
	s_andn2_b64 s[2:3], s[34:35], exec
	s_and_b64 s[0:1], s[0:1], exec
	s_or_b64 s[34:35], s[2:3], s[0:1]
.LBB153_145:
	s_mov_b32 s2, 0xffffff
	v_cmp_lt_u32_e64 s[0:1], s2, v1
	v_cmp_lt_u32_e64 s[2:3], s2, v3
	s_cmp_lt_i32 s13, 1
	s_mov_b64 s[38:39], 0
	s_cbranch_scc1 .LBB153_150
; %bb.146:
	s_cmp_gt_i32 s13, 1
	s_cbranch_scc0 .LBB153_151
; %bb.147:
	s_cmp_eq_u32 s13, 2
	s_cbranch_scc0 .LBB153_261
; %bb.148:
	s_xor_b64 s[36:37], s[0:1], -1
	s_or_b64 s[36:37], s[2:3], s[36:37]
	s_mov_b64 s[40:41], 0
	s_branch .LBB153_153
.LBB153_149:
	s_xor_b64 s[36:37], s[0:1], -1
	s_and_b64 s[38:39], s[2:3], s[36:37]
	s_andn2_b64 s[34:35], s[34:35], exec
	s_and_b64 s[38:39], s[38:39], exec
	s_or_b64 s[34:35], s[34:35], s[38:39]
	s_cbranch_execz .LBB153_144
	s_branch .LBB153_145
.LBB153_150:
                                        ; implicit-def: $sgpr36_sgpr37
	s_mov_b64 s[40:41], 0
	s_cbranch_execnz .LBB153_154
	s_branch .LBB153_155
.LBB153_151:
	s_mov_b64 s[40:41], 0
                                        ; implicit-def: $sgpr36_sgpr37
	s_cbranch_execz .LBB153_153
; %bb.152:
	s_xor_b64 s[42:43], s[2:3], -1
	s_and_b64 s[42:43], s[0:1], s[42:43]
	s_andn2_b64 s[36:37], s[36:37], exec
	s_and_b64 s[42:43], s[42:43], exec
	s_or_b64 s[36:37], s[36:37], s[42:43]
.LBB153_153:
	s_branch .LBB153_155
.LBB153_154:
	s_cmp_lg_u32 s13, 0
	s_mov_b64 s[38:39], -1
	s_cselect_b64 s[40:41], -1, 0
.LBB153_155:
	s_andn2_b64 vcc, exec, s[40:41]
	s_cbranch_vccz .LBB153_162
; %bb.156:
	s_andn2_b64 vcc, exec, s[38:39]
	s_cbranch_vccnz .LBB153_158
.LBB153_157:
	s_xor_b64 s[2:3], s[2:3], -1
	s_or_b64 s[0:1], s[0:1], s[2:3]
	s_andn2_b64 s[2:3], s[36:37], exec
	s_and_b64 s[0:1], s[0:1], exec
	s_or_b64 s[36:37], s[2:3], s[0:1]
.LBB153_158:
	v_mov_b32_e32 v1, 0
	v_cmp_ne_u32_sdwa s[0:1], v2, v1 src0_sel:BYTE_0 src1_sel:DWORD
	v_cmp_ne_u32_sdwa s[2:3], v4, v1 src0_sel:BYTE_0 src1_sel:DWORD
	s_cmp_lt_i32 s13, 1
	s_mov_b64 s[40:41], 0
	s_cbranch_scc1 .LBB153_163
; %bb.159:
	s_cmp_gt_i32 s13, 1
	s_cbranch_scc0 .LBB153_164
; %bb.160:
	s_cmp_eq_u32 s13, 2
	s_cbranch_scc0 .LBB153_262
; %bb.161:
	s_xor_b64 s[38:39], s[0:1], -1
	s_or_b64 s[38:39], s[2:3], s[38:39]
	s_mov_b64 s[42:43], 0
	s_branch .LBB153_166
.LBB153_162:
	s_xor_b64 s[38:39], s[0:1], -1
	s_and_b64 s[40:41], s[2:3], s[38:39]
	s_andn2_b64 s[36:37], s[36:37], exec
	s_and_b64 s[40:41], s[40:41], exec
	s_or_b64 s[36:37], s[36:37], s[40:41]
	s_cbranch_execz .LBB153_157
	s_branch .LBB153_158
.LBB153_163:
                                        ; implicit-def: $sgpr38_sgpr39
	s_mov_b64 s[42:43], 0
	s_cbranch_execnz .LBB153_167
	s_branch .LBB153_168
.LBB153_164:
	s_mov_b64 s[42:43], 0
                                        ; implicit-def: $sgpr38_sgpr39
	s_cbranch_execz .LBB153_166
; %bb.165:
	s_xor_b64 s[44:45], s[2:3], -1
	s_and_b64 s[44:45], s[0:1], s[44:45]
	s_andn2_b64 s[38:39], s[38:39], exec
	s_and_b64 s[44:45], s[44:45], exec
	s_or_b64 s[38:39], s[38:39], s[44:45]
.LBB153_166:
	s_branch .LBB153_168
.LBB153_167:
	s_cmp_lg_u32 s13, 0
	s_mov_b64 s[40:41], -1
	s_cselect_b64 s[42:43], -1, 0
.LBB153_168:
	s_andn2_b64 vcc, exec, s[42:43]
	s_cbranch_vccz .LBB153_175
; %bb.169:
	s_andn2_b64 vcc, exec, s[40:41]
	s_cbranch_vccnz .LBB153_171
.LBB153_170:
	s_xor_b64 s[2:3], s[2:3], -1
	s_or_b64 s[0:1], s[0:1], s[2:3]
	s_andn2_b64 s[2:3], s[38:39], exec
	s_and_b64 s[0:1], s[0:1], exec
	s_or_b64 s[38:39], s[2:3], s[0:1]
.LBB153_171:
	v_and_b32_e32 v1, 0xff00, v2
	v_cmp_ne_u32_e64 s[0:1], 0, v1
	v_and_b32_e32 v1, 0xff00, v4
	v_cmp_ne_u32_e64 s[2:3], 0, v1
	s_cmp_lt_i32 s13, 1
	s_mov_b64 s[42:43], 0
	s_cbranch_scc1 .LBB153_176
; %bb.172:
	s_cmp_gt_i32 s13, 1
	s_cbranch_scc0 .LBB153_177
; %bb.173:
	s_cmp_eq_u32 s13, 2
	s_cbranch_scc0 .LBB153_263
; %bb.174:
	s_xor_b64 s[40:41], s[0:1], -1
	s_or_b64 s[40:41], s[2:3], s[40:41]
	s_mov_b64 s[44:45], 0
	s_branch .LBB153_179
.LBB153_175:
	s_xor_b64 s[40:41], s[0:1], -1
	s_and_b64 s[42:43], s[2:3], s[40:41]
	s_andn2_b64 s[38:39], s[38:39], exec
	s_and_b64 s[42:43], s[42:43], exec
	s_or_b64 s[38:39], s[38:39], s[42:43]
	s_cbranch_execz .LBB153_170
	s_branch .LBB153_171
.LBB153_176:
                                        ; implicit-def: $sgpr40_sgpr41
	s_mov_b64 s[44:45], 0
	s_cbranch_execnz .LBB153_180
	s_branch .LBB153_181
.LBB153_177:
	s_mov_b64 s[44:45], 0
                                        ; implicit-def: $sgpr40_sgpr41
	s_cbranch_execz .LBB153_179
; %bb.178:
	s_xor_b64 s[46:47], s[2:3], -1
	s_and_b64 s[46:47], s[0:1], s[46:47]
	s_andn2_b64 s[40:41], s[40:41], exec
	s_and_b64 s[46:47], s[46:47], exec
	s_or_b64 s[40:41], s[40:41], s[46:47]
.LBB153_179:
	s_branch .LBB153_181
.LBB153_180:
	s_cmp_lg_u32 s13, 0
	s_mov_b64 s[42:43], -1
	s_cselect_b64 s[44:45], -1, 0
.LBB153_181:
	s_andn2_b64 vcc, exec, s[44:45]
	s_cbranch_vccz .LBB153_188
; %bb.182:
	s_andn2_b64 vcc, exec, s[42:43]
	s_cbranch_vccnz .LBB153_184
.LBB153_183:
	s_xor_b64 s[2:3], s[2:3], -1
	s_or_b64 s[0:1], s[0:1], s[2:3]
	s_andn2_b64 s[2:3], s[40:41], exec
	s_and_b64 s[0:1], s[0:1], exec
	s_or_b64 s[40:41], s[2:3], s[0:1]
.LBB153_184:
	v_and_b32_e32 v1, 0xff0000, v2
	v_cmp_ne_u32_e64 s[0:1], 0, v1
	v_and_b32_e32 v1, 0xff0000, v4
	v_cmp_ne_u32_e64 s[2:3], 0, v1
	s_cmp_lt_i32 s13, 1
	s_mov_b64 s[44:45], 0
	s_cbranch_scc1 .LBB153_189
; %bb.185:
	s_cmp_gt_i32 s13, 1
	s_cbranch_scc0 .LBB153_190
; %bb.186:
	s_cmp_eq_u32 s13, 2
	s_cbranch_scc0 .LBB153_264
; %bb.187:
	s_xor_b64 s[42:43], s[0:1], -1
	s_or_b64 s[42:43], s[2:3], s[42:43]
	s_mov_b64 s[46:47], 0
	s_branch .LBB153_192
.LBB153_188:
	s_xor_b64 s[42:43], s[0:1], -1
	s_and_b64 s[44:45], s[2:3], s[42:43]
	s_andn2_b64 s[40:41], s[40:41], exec
	s_and_b64 s[44:45], s[44:45], exec
	s_or_b64 s[40:41], s[40:41], s[44:45]
	s_cbranch_execz .LBB153_183
	s_branch .LBB153_184
.LBB153_189:
                                        ; implicit-def: $sgpr42_sgpr43
	s_mov_b64 s[46:47], 0
	s_cbranch_execnz .LBB153_193
	s_branch .LBB153_194
.LBB153_190:
	s_mov_b64 s[46:47], 0
                                        ; implicit-def: $sgpr42_sgpr43
	s_cbranch_execz .LBB153_192
; %bb.191:
	s_xor_b64 s[48:49], s[2:3], -1
	s_and_b64 s[48:49], s[0:1], s[48:49]
	s_andn2_b64 s[42:43], s[42:43], exec
	s_and_b64 s[48:49], s[48:49], exec
	s_or_b64 s[42:43], s[42:43], s[48:49]
.LBB153_192:
	s_branch .LBB153_194
.LBB153_193:
	s_cmp_lg_u32 s13, 0
	s_mov_b64 s[44:45], -1
	s_cselect_b64 s[46:47], -1, 0
.LBB153_194:
	s_andn2_b64 vcc, exec, s[46:47]
	s_cbranch_vccz .LBB153_201
; %bb.195:
	s_andn2_b64 vcc, exec, s[44:45]
	s_cbranch_vccnz .LBB153_197
.LBB153_196:
	s_xor_b64 s[2:3], s[2:3], -1
	s_or_b64 s[0:1], s[0:1], s[2:3]
	s_andn2_b64 s[2:3], s[42:43], exec
	s_and_b64 s[0:1], s[0:1], exec
	s_or_b64 s[42:43], s[2:3], s[0:1]
.LBB153_197:
	s_mov_b32 s2, 0xffffff
	v_cmp_lt_u32_e64 s[0:1], s2, v2
	v_cmp_lt_u32_e64 s[2:3], s2, v4
	s_cmp_lt_i32 s13, 1
	s_mov_b64 s[46:47], 0
	s_cbranch_scc1 .LBB153_202
; %bb.198:
	s_cmp_gt_i32 s13, 1
	s_cbranch_scc0 .LBB153_203
; %bb.199:
	s_cmp_eq_u32 s13, 2
	s_cbranch_scc0 .LBB153_265
; %bb.200:
	s_xor_b64 s[44:45], s[0:1], -1
	s_or_b64 s[44:45], s[2:3], s[44:45]
	s_mov_b64 s[48:49], 0
	s_branch .LBB153_205
.LBB153_201:
	s_xor_b64 s[44:45], s[0:1], -1
	s_and_b64 s[46:47], s[2:3], s[44:45]
	s_andn2_b64 s[42:43], s[42:43], exec
	s_and_b64 s[46:47], s[46:47], exec
	s_or_b64 s[42:43], s[42:43], s[46:47]
	s_cbranch_execz .LBB153_196
	s_branch .LBB153_197
.LBB153_202:
                                        ; implicit-def: $sgpr44_sgpr45
	s_mov_b64 s[48:49], 0
	s_cbranch_execnz .LBB153_206
	s_branch .LBB153_207
.LBB153_203:
	s_mov_b64 s[48:49], 0
                                        ; implicit-def: $sgpr44_sgpr45
	s_cbranch_execz .LBB153_205
; %bb.204:
	s_xor_b64 s[50:51], s[2:3], -1
	s_and_b64 s[50:51], s[0:1], s[50:51]
	s_andn2_b64 s[44:45], s[44:45], exec
	s_and_b64 s[50:51], s[50:51], exec
	s_or_b64 s[44:45], s[44:45], s[50:51]
.LBB153_205:
	s_branch .LBB153_207
.LBB153_206:
	s_cmp_lg_u32 s13, 0
	s_mov_b64 s[46:47], -1
	s_cselect_b64 s[48:49], -1, 0
.LBB153_207:
	s_andn2_b64 vcc, exec, s[48:49]
	s_cbranch_vccz .LBB153_249
; %bb.208:
	s_andn2_b64 vcc, exec, s[46:47]
	s_cbranch_vccnz .LBB153_210
.LBB153_209:
	s_xor_b64 s[2:3], s[2:3], -1
	s_or_b64 s[0:1], s[0:1], s[2:3]
	s_andn2_b64 s[2:3], s[44:45], exec
	s_and_b64 s[0:1], s[0:1], exec
	s_or_b64 s[44:45], s[2:3], s[0:1]
.LBB153_210:
	v_cndmask_b32_e64 v1, 0, 1, s[6:7]
	v_lshlrev_b16_e32 v1, 8, v1
	v_cndmask_b32_e64 v2, 0, 1, s[4:5]
	v_or_b32_e32 v1, v2, v1
	v_cndmask_b32_e64 v2, 0, 1, s[18:19]
	v_lshlrev_b16_e32 v2, 8, v2
	v_cndmask_b32_e64 v3, 0, 1, s[16:17]
	v_or_b32_sdwa v2, v3, v2 dst_sel:WORD_1 dst_unused:UNUSED_PAD src0_sel:DWORD src1_sel:DWORD
	v_or_b32_sdwa v1, v1, v2 dst_sel:DWORD dst_unused:UNUSED_PAD src0_sel:WORD_0 src1_sel:DWORD
	v_cndmask_b32_e64 v2, 0, 1, s[22:23]
	v_lshlrev_b16_e32 v2, 8, v2
	v_cndmask_b32_e64 v3, 0, 1, s[20:21]
	v_or_b32_e32 v2, v3, v2
	v_cndmask_b32_e64 v3, 0, 1, s[26:27]
	v_lshlrev_b16_e32 v3, 8, v3
	v_cndmask_b32_e64 v4, 0, 1, s[24:25]
	v_or_b32_sdwa v3, v4, v3 dst_sel:WORD_1 dst_unused:UNUSED_PAD src0_sel:DWORD src1_sel:DWORD
	v_or_b32_sdwa v2, v2, v3 dst_sel:DWORD dst_unused:UNUSED_PAD src0_sel:WORD_0 src1_sel:DWORD
	;; [unrolled: 9-line block ×3, first 2 shown]
	v_cndmask_b32_e64 v4, 0, 1, s[40:41]
	v_lshlrev_b16_e32 v4, 8, v4
	v_cndmask_b32_e64 v5, 0, 1, s[38:39]
	v_or_b32_e32 v4, v5, v4
	v_cndmask_b32_e64 v5, 0, 1, s[44:45]
	v_lshlrev_b16_e32 v5, 8, v5
	v_cndmask_b32_e64 v6, 0, 1, s[42:43]
	s_add_u32 s0, s8, s33
	v_or_b32_sdwa v5, v6, v5 dst_sel:WORD_1 dst_unused:UNUSED_PAD src0_sel:DWORD src1_sel:DWORD
	s_addc_u32 s1, s9, s52
	v_or_b32_sdwa v4, v4, v5 dst_sel:DWORD dst_unused:UNUSED_PAD src0_sel:WORD_0 src1_sel:DWORD
	global_store_dwordx2 v9, v[1:2], s[0:1]
	global_store_dwordx2 v9, v[3:4], s[0:1] offset:2048
	s_mov_b64 s[0:1], 0
.LBB153_211:
	s_and_b64 vcc, exec, s[0:1]
	s_cbranch_vccz .LBB153_519
; %bb.212:
	v_cmp_gt_i32_e64 s[0:1], s12, v0
	s_mov_b64 s[70:71], 0
	v_or_b32_e32 v1, s33, v0
	s_mov_b64 s[76:77], 0
	s_mov_b64 s[74:75], 0
	v_mov_b32_e32 v2, v0
	s_and_saveexec_b64 s[4:5], s[0:1]
	s_cbranch_execz .LBB153_214
; %bb.213:
	global_load_ubyte v3, v1, s[10:11]
	global_load_ubyte v4, v1, s[14:15]
	v_or_b32_e32 v2, 0x100, v0
	s_waitcnt vmcnt(1)
	v_cmp_ne_u16_e32 vcc, 0, v3
	s_waitcnt vmcnt(0)
	v_cmp_ne_u16_e64 s[2:3], 0, v4
	s_and_b64 s[74:75], vcc, exec
	s_and_b64 s[76:77], s[2:3], exec
.LBB153_214:
	s_or_b64 exec, exec, s[4:5]
	v_cmp_gt_i32_e32 vcc, s12, v2
	s_mov_b64 s[72:73], 0
	s_and_saveexec_b64 s[4:5], vcc
	s_cbranch_execz .LBB153_216
; %bb.215:
	v_add_u32_e32 v3, s33, v2
	global_load_ubyte v4, v3, s[10:11]
	global_load_ubyte v5, v3, s[14:15]
	v_add_u32_e32 v2, 0x100, v2
	s_waitcnt vmcnt(1)
	v_cmp_ne_u16_e32 vcc, 0, v4
	s_waitcnt vmcnt(0)
	v_cmp_ne_u16_e64 s[2:3], 0, v5
	s_and_b64 s[72:73], vcc, exec
	s_and_b64 s[70:71], s[2:3], exec
.LBB153_216:
	s_or_b64 exec, exec, s[4:5]
	v_cmp_gt_i32_e32 vcc, s12, v2
	s_mov_b64 s[62:63], 0
	s_mov_b64 s[68:69], 0
	s_mov_b64 s[66:67], 0
	s_and_saveexec_b64 s[4:5], vcc
	s_cbranch_execz .LBB153_218
; %bb.217:
	v_add_u32_e32 v3, s33, v2
	global_load_ubyte v4, v3, s[10:11]
	global_load_ubyte v5, v3, s[14:15]
	v_add_u32_e32 v2, 0x100, v2
	s_waitcnt vmcnt(1)
	v_cmp_ne_u16_e32 vcc, 0, v4
	s_waitcnt vmcnt(0)
	v_cmp_ne_u16_e64 s[2:3], 0, v5
	s_and_b64 s[66:67], vcc, exec
	s_and_b64 s[68:69], s[2:3], exec
.LBB153_218:
	s_or_b64 exec, exec, s[4:5]
	v_cmp_gt_i32_e32 vcc, s12, v2
	s_mov_b64 s[64:65], 0
	s_and_saveexec_b64 s[4:5], vcc
	s_cbranch_execz .LBB153_220
; %bb.219:
	v_add_u32_e32 v3, s33, v2
	global_load_ubyte v4, v3, s[10:11]
	global_load_ubyte v5, v3, s[14:15]
	v_add_u32_e32 v2, 0x100, v2
	s_waitcnt vmcnt(1)
	v_cmp_ne_u16_e32 vcc, 0, v4
	s_waitcnt vmcnt(0)
	v_cmp_ne_u16_e64 s[2:3], 0, v5
	s_and_b64 s[64:65], vcc, exec
	s_and_b64 s[62:63], s[2:3], exec
.LBB153_220:
	s_or_b64 exec, exec, s[4:5]
	v_cmp_gt_i32_e32 vcc, s12, v2
	s_mov_b64 s[54:55], 0
	s_mov_b64 s[60:61], 0
	s_mov_b64 s[58:59], 0
	s_and_saveexec_b64 s[4:5], vcc
	s_cbranch_execz .LBB153_222
; %bb.221:
	v_add_u32_e32 v3, s33, v2
	global_load_ubyte v4, v3, s[10:11]
	global_load_ubyte v5, v3, s[14:15]
	v_add_u32_e32 v2, 0x100, v2
	s_waitcnt vmcnt(1)
	v_cmp_ne_u16_e32 vcc, 0, v4
	s_waitcnt vmcnt(0)
	v_cmp_ne_u16_e64 s[2:3], 0, v5
	s_and_b64 s[58:59], vcc, exec
	s_and_b64 s[60:61], s[2:3], exec
.LBB153_222:
	;; [unrolled: 36-line block ×4, first 2 shown]
	s_or_b64 exec, exec, s[4:5]
	v_cmp_gt_i32_e32 vcc, s12, v2
	s_mov_b64 s[40:41], 0
	s_and_saveexec_b64 s[4:5], vcc
	s_cbranch_execz .LBB153_232
; %bb.231:
	v_add_u32_e32 v3, s33, v2
	global_load_ubyte v4, v3, s[10:11]
	s_nop 0
	global_load_ubyte v3, v3, s[14:15]
	v_add_u32_e32 v2, 0x100, v2
	s_waitcnt vmcnt(1)
	v_cmp_ne_u16_e32 vcc, 0, v4
	s_waitcnt vmcnt(0)
	v_cmp_ne_u16_e64 s[2:3], 0, v3
	s_and_b64 s[40:41], vcc, exec
	s_and_b64 s[38:39], s[2:3], exec
.LBB153_232:
	s_or_b64 exec, exec, s[4:5]
	v_cmp_gt_i32_e32 vcc, s12, v2
	s_mov_b64 s[28:29], 0
	s_mov_b64 s[36:37], 0
	s_mov_b64 s[34:35], 0
	s_and_saveexec_b64 s[4:5], vcc
	s_cbranch_execz .LBB153_234
; %bb.233:
	v_add_u32_e32 v3, s33, v2
	global_load_ubyte v4, v3, s[10:11]
	s_nop 0
	global_load_ubyte v3, v3, s[14:15]
	v_add_u32_e32 v2, 0x100, v2
	s_waitcnt vmcnt(1)
	v_cmp_ne_u16_e32 vcc, 0, v4
	s_waitcnt vmcnt(0)
	v_cmp_ne_u16_e64 s[2:3], 0, v3
	s_and_b64 s[34:35], vcc, exec
	s_and_b64 s[36:37], s[2:3], exec
.LBB153_234:
	s_or_b64 exec, exec, s[4:5]
	v_cmp_gt_i32_e32 vcc, s12, v2
	s_mov_b64 s[30:31], 0
	s_and_saveexec_b64 s[4:5], vcc
	s_cbranch_execz .LBB153_236
; %bb.235:
	v_add_u32_e32 v3, s33, v2
	global_load_ubyte v4, v3, s[10:11]
	s_nop 0
	global_load_ubyte v3, v3, s[14:15]
	v_add_u32_e32 v2, 0x100, v2
	s_waitcnt vmcnt(1)
	v_cmp_ne_u16_e32 vcc, 0, v4
	s_waitcnt vmcnt(0)
	v_cmp_ne_u16_e64 s[2:3], 0, v3
	s_and_b64 s[30:31], vcc, exec
	s_and_b64 s[28:29], s[2:3], exec
.LBB153_236:
	s_or_b64 exec, exec, s[4:5]
	v_cmp_gt_i32_e32 vcc, s12, v2
	s_mov_b64 s[20:21], 0
	s_mov_b64 s[26:27], 0
	s_mov_b64 s[24:25], 0
	s_and_saveexec_b64 s[4:5], vcc
	s_cbranch_execz .LBB153_238
; %bb.237:
	v_add_u32_e32 v3, s33, v2
	global_load_ubyte v4, v3, s[10:11]
	s_nop 0
	global_load_ubyte v3, v3, s[14:15]
	v_add_u32_e32 v2, 0x100, v2
	s_waitcnt vmcnt(1)
	v_cmp_ne_u16_e32 vcc, 0, v4
	s_waitcnt vmcnt(0)
	v_cmp_ne_u16_e64 s[2:3], 0, v3
	s_and_b64 s[24:25], vcc, exec
	s_and_b64 s[26:27], s[2:3], exec
.LBB153_238:
	;; [unrolled: 38-line block ×3, first 2 shown]
	s_or_b64 exec, exec, s[6:7]
	v_cmp_gt_i32_e32 vcc, s12, v2
	s_mov_b64 s[6:7], 0
	s_and_saveexec_b64 s[78:79], vcc
	s_cbranch_execz .LBB153_244
; %bb.243:
	v_add_u32_e32 v2, s33, v2
	global_load_ubyte v3, v2, s[10:11]
	s_nop 0
	global_load_ubyte v2, v2, s[14:15]
	s_waitcnt vmcnt(1)
	v_cmp_ne_u16_e32 vcc, 0, v3
	s_waitcnt vmcnt(0)
	v_cmp_ne_u16_e64 s[2:3], 0, v2
	s_and_b64 s[6:7], vcc, exec
	s_and_b64 s[4:5], s[2:3], exec
.LBB153_244:
	s_or_b64 exec, exec, s[78:79]
	v_mov_b32_e32 v5, 0
	v_mov_b32_e32 v4, v5
	;; [unrolled: 1-line block ×4, first 2 shown]
	s_and_saveexec_b64 s[2:3], s[0:1]
	s_cbranch_execz .LBB153_276
; %bb.245:
	s_cmp_lt_i32 s13, 1
	s_mov_b64 s[10:11], 0
	s_cbranch_scc1 .LBB153_250
; %bb.246:
	s_cmp_gt_i32 s13, 1
	s_cbranch_scc0 .LBB153_266
; %bb.247:
	s_cmp_eq_u32 s13, 2
	s_cbranch_scc0 .LBB153_267
; %bb.248:
	s_xor_b64 s[14:15], s[74:75], -1
	s_or_b64 s[14:15], s[76:77], s[14:15]
	s_mov_b64 s[78:79], 0
	s_branch .LBB153_268
.LBB153_249:
	s_xor_b64 s[46:47], s[0:1], -1
	s_and_b64 s[48:49], s[2:3], s[46:47]
	s_andn2_b64 s[44:45], s[44:45], exec
	s_and_b64 s[48:49], s[48:49], exec
	s_or_b64 s[44:45], s[44:45], s[48:49]
	s_cbranch_execz .LBB153_209
	s_branch .LBB153_210
.LBB153_250:
                                        ; implicit-def: $sgpr14_sgpr15
	s_mov_b64 s[78:79], 0
	s_cbranch_execnz .LBB153_271
	s_branch .LBB153_272
.LBB153_251:
	s_mov_b64 s[18:19], -1
                                        ; implicit-def: $sgpr6_sgpr7
	s_branch .LBB153_23
.LBB153_252:
	s_mov_b64 s[20:21], -1
                                        ; implicit-def: $sgpr16_sgpr17
	s_branch .LBB153_36
.LBB153_253:
	s_mov_b64 s[22:23], -1
                                        ; implicit-def: $sgpr18_sgpr19
	s_branch .LBB153_49
.LBB153_254:
	s_mov_b64 s[24:25], -1
                                        ; implicit-def: $sgpr20_sgpr21
	s_branch .LBB153_62
.LBB153_255:
	s_mov_b64 s[26:27], -1
                                        ; implicit-def: $sgpr22_sgpr23
	s_branch .LBB153_75
.LBB153_256:
	s_mov_b64 s[28:29], -1
                                        ; implicit-def: $sgpr24_sgpr25
	s_branch .LBB153_88
.LBB153_257:
	s_mov_b64 s[30:31], -1
                                        ; implicit-def: $sgpr26_sgpr27
	s_branch .LBB153_101
.LBB153_258:
	s_mov_b64 s[34:35], -1
                                        ; implicit-def: $sgpr28_sgpr29
	s_branch .LBB153_114
.LBB153_259:
	s_mov_b64 s[36:37], -1
                                        ; implicit-def: $sgpr30_sgpr31
	s_branch .LBB153_127
.LBB153_260:
	s_mov_b64 s[38:39], -1
                                        ; implicit-def: $sgpr34_sgpr35
	s_branch .LBB153_140
.LBB153_261:
	s_mov_b64 s[40:41], -1
                                        ; implicit-def: $sgpr36_sgpr37
	s_branch .LBB153_153
.LBB153_262:
	s_mov_b64 s[42:43], -1
                                        ; implicit-def: $sgpr38_sgpr39
	s_branch .LBB153_166
.LBB153_263:
	s_mov_b64 s[44:45], -1
                                        ; implicit-def: $sgpr40_sgpr41
	s_branch .LBB153_179
.LBB153_264:
	s_mov_b64 s[46:47], -1
                                        ; implicit-def: $sgpr42_sgpr43
	s_branch .LBB153_192
.LBB153_265:
	s_mov_b64 s[48:49], -1
                                        ; implicit-def: $sgpr44_sgpr45
	s_branch .LBB153_205
.LBB153_266:
	s_mov_b64 s[78:79], 0
                                        ; implicit-def: $sgpr14_sgpr15
	s_cbranch_execnz .LBB153_269
	s_branch .LBB153_270
.LBB153_267:
	s_mov_b64 s[78:79], -1
                                        ; implicit-def: $sgpr14_sgpr15
.LBB153_268:
	s_branch .LBB153_270
.LBB153_269:
	s_xor_b64 s[80:81], s[76:77], -1
	s_and_b64 s[80:81], s[74:75], s[80:81]
	s_andn2_b64 s[14:15], s[14:15], exec
	s_and_b64 s[80:81], s[80:81], exec
	s_or_b64 s[14:15], s[14:15], s[80:81]
.LBB153_270:
	s_branch .LBB153_272
.LBB153_271:
	s_cmp_lg_u32 s13, 0
	s_mov_b64 s[10:11], -1
	s_cselect_b64 s[78:79], -1, 0
.LBB153_272:
	s_andn2_b64 vcc, exec, s[78:79]
	s_cbranch_vccz .LBB153_281
; %bb.273:
	s_andn2_b64 vcc, exec, s[10:11]
	s_cbranch_vccnz .LBB153_275
.LBB153_274:
	s_xor_b64 s[10:11], s[76:77], -1
	s_or_b64 s[10:11], s[74:75], s[10:11]
	s_andn2_b64 s[14:15], s[14:15], exec
	s_and_b64 s[10:11], s[10:11], exec
	s_or_b64 s[14:15], s[14:15], s[10:11]
.LBB153_275:
	v_cndmask_b32_e64 v2, 0, 1, s[14:15]
	v_mov_b32_e32 v4, 0
	v_and_b32_e32 v5, 0xffff, v2
	v_mov_b32_e32 v3, v4
	v_mov_b32_e32 v2, v4
.LBB153_276:
	s_or_b64 exec, exec, s[2:3]
	v_or_b32_e32 v6, 0x100, v0
	v_cmp_gt_i32_e32 vcc, s12, v6
	s_and_saveexec_b64 s[2:3], vcc
	s_cbranch_execz .LBB153_291
; %bb.277:
	s_cmp_lt_i32 s13, 1
	s_mov_b64 s[10:11], 0
	s_cbranch_scc1 .LBB153_282
; %bb.278:
	s_cmp_gt_i32 s13, 1
	s_cbranch_scc0 .LBB153_283
; %bb.279:
	s_cmp_eq_u32 s13, 2
	s_cbranch_scc0 .LBB153_535
; %bb.280:
	s_xor_b64 s[14:15], s[72:73], -1
	s_or_b64 s[14:15], s[70:71], s[14:15]
	s_mov_b64 s[74:75], 0
	s_branch .LBB153_285
.LBB153_281:
	s_xor_b64 s[10:11], s[74:75], -1
	s_and_b64 s[78:79], s[76:77], s[10:11]
	s_andn2_b64 s[14:15], s[14:15], exec
	s_and_b64 s[78:79], s[78:79], exec
	s_or_b64 s[14:15], s[14:15], s[78:79]
	s_cbranch_execz .LBB153_274
	s_branch .LBB153_275
.LBB153_282:
                                        ; implicit-def: $sgpr14_sgpr15
	s_mov_b64 s[74:75], 0
	s_cbranch_execnz .LBB153_286
	s_branch .LBB153_287
.LBB153_283:
	s_mov_b64 s[74:75], 0
                                        ; implicit-def: $sgpr14_sgpr15
	s_cbranch_execz .LBB153_285
; %bb.284:
	s_xor_b64 s[76:77], s[70:71], -1
	s_and_b64 s[76:77], s[72:73], s[76:77]
	s_andn2_b64 s[14:15], s[14:15], exec
	s_and_b64 s[76:77], s[76:77], exec
	s_or_b64 s[14:15], s[14:15], s[76:77]
.LBB153_285:
	s_branch .LBB153_287
.LBB153_286:
	s_cmp_lg_u32 s13, 0
	s_mov_b64 s[10:11], -1
	s_cselect_b64 s[74:75], -1, 0
.LBB153_287:
	s_andn2_b64 vcc, exec, s[74:75]
	s_cbranch_vccz .LBB153_296
; %bb.288:
	s_andn2_b64 vcc, exec, s[10:11]
	s_cbranch_vccnz .LBB153_290
.LBB153_289:
	s_xor_b64 s[10:11], s[70:71], -1
	s_or_b64 s[10:11], s[72:73], s[10:11]
	s_andn2_b64 s[14:15], s[14:15], exec
	s_and_b64 s[10:11], s[10:11], exec
	s_or_b64 s[14:15], s[14:15], s[10:11]
.LBB153_290:
	v_cndmask_b32_e64 v7, 0, 1, s[14:15]
	v_lshlrev_b16_e32 v7, 8, v7
	v_or_b32_sdwa v7, v5, v7 dst_sel:DWORD dst_unused:UNUSED_PAD src0_sel:BYTE_0 src1_sel:DWORD
	v_and_b32_e32 v7, 0xffff, v7
	s_mov_b32 s10, 0xffff0000
	v_and_or_b32 v5, v5, s10, v7
.LBB153_291:
	s_or_b64 exec, exec, s[2:3]
	v_or_b32_e32 v7, 0x200, v0
	v_cmp_gt_i32_e32 vcc, s12, v7
	s_and_saveexec_b64 s[2:3], vcc
	s_cbranch_execz .LBB153_306
; %bb.292:
	s_cmp_lt_i32 s13, 1
	s_mov_b64 s[10:11], 0
	s_cbranch_scc1 .LBB153_297
; %bb.293:
	s_cmp_gt_i32 s13, 1
	s_cbranch_scc0 .LBB153_298
; %bb.294:
	s_cmp_eq_u32 s13, 2
	s_cbranch_scc0 .LBB153_536
; %bb.295:
	s_xor_b64 s[14:15], s[66:67], -1
	s_or_b64 s[14:15], s[68:69], s[14:15]
	s_mov_b64 s[70:71], 0
	s_branch .LBB153_300
.LBB153_296:
	s_xor_b64 s[10:11], s[72:73], -1
	s_and_b64 s[74:75], s[70:71], s[10:11]
	s_andn2_b64 s[14:15], s[14:15], exec
	s_and_b64 s[74:75], s[74:75], exec
	s_or_b64 s[14:15], s[14:15], s[74:75]
	s_cbranch_execz .LBB153_289
	s_branch .LBB153_290
.LBB153_297:
                                        ; implicit-def: $sgpr14_sgpr15
	s_mov_b64 s[70:71], 0
	s_cbranch_execnz .LBB153_301
	s_branch .LBB153_302
.LBB153_298:
	s_mov_b64 s[70:71], 0
                                        ; implicit-def: $sgpr14_sgpr15
	s_cbranch_execz .LBB153_300
; %bb.299:
	s_xor_b64 s[72:73], s[68:69], -1
	s_and_b64 s[72:73], s[66:67], s[72:73]
	s_andn2_b64 s[14:15], s[14:15], exec
	s_and_b64 s[72:73], s[72:73], exec
	s_or_b64 s[14:15], s[14:15], s[72:73]
.LBB153_300:
	s_branch .LBB153_302
.LBB153_301:
	s_cmp_lg_u32 s13, 0
	s_mov_b64 s[10:11], -1
	s_cselect_b64 s[70:71], -1, 0
.LBB153_302:
	s_andn2_b64 vcc, exec, s[70:71]
	s_cbranch_vccz .LBB153_311
; %bb.303:
	s_andn2_b64 vcc, exec, s[10:11]
	s_cbranch_vccnz .LBB153_305
.LBB153_304:
	s_xor_b64 s[10:11], s[68:69], -1
	s_or_b64 s[10:11], s[66:67], s[10:11]
	s_andn2_b64 s[14:15], s[14:15], exec
	s_and_b64 s[10:11], s[10:11], exec
	s_or_b64 s[14:15], s[14:15], s[10:11]
.LBB153_305:
	s_movk_i32 s10, 0xff00
	v_and_b32_sdwa v7, v5, s10 dst_sel:DWORD dst_unused:UNUSED_PAD src0_sel:WORD_1 src1_sel:DWORD
	v_cndmask_b32_e64 v8, 0, 1, s[14:15]
	v_or_b32_sdwa v7, v8, v7 dst_sel:WORD_1 dst_unused:UNUSED_PAD src0_sel:DWORD src1_sel:DWORD
	s_mov_b32 s10, 0xffff
	v_and_or_b32 v5, v5, s10, v7
.LBB153_306:
	s_or_b64 exec, exec, s[2:3]
	v_or_b32_e32 v7, 0x300, v0
	v_cmp_gt_i32_e32 vcc, s12, v7
	s_and_saveexec_b64 s[2:3], vcc
	s_cbranch_execz .LBB153_321
; %bb.307:
	s_cmp_lt_i32 s13, 1
	s_mov_b64 s[10:11], 0
	s_cbranch_scc1 .LBB153_312
; %bb.308:
	s_cmp_gt_i32 s13, 1
	s_cbranch_scc0 .LBB153_313
; %bb.309:
	s_cmp_eq_u32 s13, 2
	s_cbranch_scc0 .LBB153_537
; %bb.310:
	s_xor_b64 s[14:15], s[64:65], -1
	s_or_b64 s[14:15], s[62:63], s[14:15]
	s_mov_b64 s[66:67], 0
	s_branch .LBB153_315
.LBB153_311:
	s_xor_b64 s[10:11], s[66:67], -1
	s_and_b64 s[70:71], s[68:69], s[10:11]
	s_andn2_b64 s[14:15], s[14:15], exec
	s_and_b64 s[70:71], s[70:71], exec
	s_or_b64 s[14:15], s[14:15], s[70:71]
	s_cbranch_execz .LBB153_304
	s_branch .LBB153_305
.LBB153_312:
                                        ; implicit-def: $sgpr14_sgpr15
	s_mov_b64 s[66:67], 0
	s_cbranch_execnz .LBB153_316
	s_branch .LBB153_317
.LBB153_313:
	s_mov_b64 s[66:67], 0
                                        ; implicit-def: $sgpr14_sgpr15
	s_cbranch_execz .LBB153_315
; %bb.314:
	s_xor_b64 s[68:69], s[62:63], -1
	s_and_b64 s[68:69], s[64:65], s[68:69]
	s_andn2_b64 s[14:15], s[14:15], exec
	s_and_b64 s[68:69], s[68:69], exec
	s_or_b64 s[14:15], s[14:15], s[68:69]
.LBB153_315:
	s_branch .LBB153_317
.LBB153_316:
	s_cmp_lg_u32 s13, 0
	s_mov_b64 s[10:11], -1
	s_cselect_b64 s[66:67], -1, 0
.LBB153_317:
	s_andn2_b64 vcc, exec, s[66:67]
	s_cbranch_vccz .LBB153_326
; %bb.318:
	s_andn2_b64 vcc, exec, s[10:11]
	s_cbranch_vccnz .LBB153_320
.LBB153_319:
	s_xor_b64 s[10:11], s[62:63], -1
	s_or_b64 s[10:11], s[64:65], s[10:11]
	s_andn2_b64 s[14:15], s[14:15], exec
	s_and_b64 s[10:11], s[10:11], exec
	s_or_b64 s[14:15], s[14:15], s[10:11]
.LBB153_320:
	s_movk_i32 s10, 0xff
	v_cndmask_b32_e64 v8, 0, 1, s[14:15]
	v_and_b32_sdwa v7, v5, s10 dst_sel:DWORD dst_unused:UNUSED_PAD src0_sel:WORD_1 src1_sel:DWORD
	v_lshlrev_b16_e32 v8, 8, v8
	v_or_b32_sdwa v7, v7, v8 dst_sel:WORD_1 dst_unused:UNUSED_PAD src0_sel:DWORD src1_sel:DWORD
	s_mov_b32 s10, 0xffff
	v_and_or_b32 v5, v5, s10, v7
.LBB153_321:
	s_or_b64 exec, exec, s[2:3]
	v_or_b32_e32 v7, 0x400, v0
	v_cmp_gt_i32_e32 vcc, s12, v7
	s_and_saveexec_b64 s[2:3], vcc
	s_cbranch_execz .LBB153_336
; %bb.322:
	s_cmp_lt_i32 s13, 1
	s_mov_b64 s[10:11], 0
	s_cbranch_scc1 .LBB153_327
; %bb.323:
	s_cmp_gt_i32 s13, 1
	s_cbranch_scc0 .LBB153_328
; %bb.324:
	s_cmp_eq_u32 s13, 2
	s_cbranch_scc0 .LBB153_538
; %bb.325:
	s_xor_b64 s[14:15], s[58:59], -1
	s_or_b64 s[14:15], s[60:61], s[14:15]
	s_mov_b64 s[62:63], 0
	s_branch .LBB153_330
.LBB153_326:
	s_xor_b64 s[10:11], s[64:65], -1
	s_and_b64 s[66:67], s[62:63], s[10:11]
	s_andn2_b64 s[14:15], s[14:15], exec
	s_and_b64 s[66:67], s[66:67], exec
	s_or_b64 s[14:15], s[14:15], s[66:67]
	s_cbranch_execz .LBB153_319
	s_branch .LBB153_320
.LBB153_327:
                                        ; implicit-def: $sgpr14_sgpr15
	s_mov_b64 s[62:63], 0
	s_cbranch_execnz .LBB153_331
	s_branch .LBB153_332
.LBB153_328:
	s_mov_b64 s[62:63], 0
                                        ; implicit-def: $sgpr14_sgpr15
	s_cbranch_execz .LBB153_330
; %bb.329:
	s_xor_b64 s[64:65], s[60:61], -1
	s_and_b64 s[64:65], s[58:59], s[64:65]
	s_andn2_b64 s[14:15], s[14:15], exec
	s_and_b64 s[64:65], s[64:65], exec
	s_or_b64 s[14:15], s[14:15], s[64:65]
.LBB153_330:
	s_branch .LBB153_332
.LBB153_331:
	s_cmp_lg_u32 s13, 0
	s_mov_b64 s[10:11], -1
	s_cselect_b64 s[62:63], -1, 0
.LBB153_332:
	s_andn2_b64 vcc, exec, s[62:63]
	s_cbranch_vccz .LBB153_341
; %bb.333:
	s_andn2_b64 vcc, exec, s[10:11]
	s_cbranch_vccnz .LBB153_335
.LBB153_334:
	s_xor_b64 s[10:11], s[60:61], -1
	s_or_b64 s[10:11], s[58:59], s[10:11]
	s_andn2_b64 s[14:15], s[14:15], exec
	s_and_b64 s[10:11], s[10:11], exec
	s_or_b64 s[14:15], s[14:15], s[10:11]
.LBB153_335:
	v_and_b32_e32 v7, 0xffffff00, v4
	v_cndmask_b32_e64 v8, 0, 1, s[14:15]
	v_or_b32_e32 v7, v8, v7
	v_and_b32_e32 v7, 0xffff, v7
	s_mov_b32 s10, 0xffff0000
	v_and_or_b32 v4, v4, s10, v7
.LBB153_336:
	s_or_b64 exec, exec, s[2:3]
	v_or_b32_e32 v7, 0x500, v0
	v_cmp_gt_i32_e32 vcc, s12, v7
	s_and_saveexec_b64 s[2:3], vcc
	s_cbranch_execz .LBB153_351
; %bb.337:
	s_cmp_lt_i32 s13, 1
	s_mov_b64 s[10:11], 0
	s_cbranch_scc1 .LBB153_342
; %bb.338:
	s_cmp_gt_i32 s13, 1
	s_cbranch_scc0 .LBB153_343
; %bb.339:
	s_cmp_eq_u32 s13, 2
	s_cbranch_scc0 .LBB153_539
; %bb.340:
	s_xor_b64 s[14:15], s[56:57], -1
	s_or_b64 s[14:15], s[54:55], s[14:15]
	s_mov_b64 s[58:59], 0
	s_branch .LBB153_345
.LBB153_341:
	s_xor_b64 s[10:11], s[58:59], -1
	s_and_b64 s[62:63], s[60:61], s[10:11]
	s_andn2_b64 s[14:15], s[14:15], exec
	s_and_b64 s[62:63], s[62:63], exec
	s_or_b64 s[14:15], s[14:15], s[62:63]
	s_cbranch_execz .LBB153_334
	s_branch .LBB153_335
.LBB153_342:
                                        ; implicit-def: $sgpr14_sgpr15
	s_mov_b64 s[58:59], 0
	s_cbranch_execnz .LBB153_346
	s_branch .LBB153_347
.LBB153_343:
	s_mov_b64 s[58:59], 0
                                        ; implicit-def: $sgpr14_sgpr15
	s_cbranch_execz .LBB153_345
; %bb.344:
	s_xor_b64 s[60:61], s[54:55], -1
	s_and_b64 s[60:61], s[56:57], s[60:61]
	s_andn2_b64 s[14:15], s[14:15], exec
	s_and_b64 s[60:61], s[60:61], exec
	s_or_b64 s[14:15], s[14:15], s[60:61]
.LBB153_345:
	s_branch .LBB153_347
.LBB153_346:
	s_cmp_lg_u32 s13, 0
	s_mov_b64 s[10:11], -1
	s_cselect_b64 s[58:59], -1, 0
.LBB153_347:
	s_andn2_b64 vcc, exec, s[58:59]
	s_cbranch_vccz .LBB153_356
; %bb.348:
	s_andn2_b64 vcc, exec, s[10:11]
	s_cbranch_vccnz .LBB153_350
.LBB153_349:
	s_xor_b64 s[10:11], s[54:55], -1
	s_or_b64 s[10:11], s[56:57], s[10:11]
	s_andn2_b64 s[14:15], s[14:15], exec
	s_and_b64 s[10:11], s[10:11], exec
	s_or_b64 s[14:15], s[14:15], s[10:11]
.LBB153_350:
	v_cndmask_b32_e64 v7, 0, 1, s[14:15]
	v_lshlrev_b16_e32 v7, 8, v7
	v_or_b32_sdwa v7, v4, v7 dst_sel:DWORD dst_unused:UNUSED_PAD src0_sel:BYTE_0 src1_sel:DWORD
	v_and_b32_e32 v7, 0xffff, v7
	s_mov_b32 s10, 0xffff0000
	v_and_or_b32 v4, v4, s10, v7
.LBB153_351:
	s_or_b64 exec, exec, s[2:3]
	v_or_b32_e32 v7, 0x600, v0
	v_cmp_gt_i32_e32 vcc, s12, v7
	s_and_saveexec_b64 s[2:3], vcc
	s_cbranch_execz .LBB153_366
; %bb.352:
	s_cmp_lt_i32 s13, 1
	s_mov_b64 s[10:11], 0
	s_cbranch_scc1 .LBB153_357
; %bb.353:
	s_cmp_gt_i32 s13, 1
	s_cbranch_scc0 .LBB153_358
; %bb.354:
	s_cmp_eq_u32 s13, 2
	s_cbranch_scc0 .LBB153_540
; %bb.355:
	s_xor_b64 s[14:15], s[50:51], -1
	s_or_b64 s[14:15], s[52:53], s[14:15]
	s_mov_b64 s[54:55], 0
	s_branch .LBB153_360
.LBB153_356:
	s_xor_b64 s[10:11], s[56:57], -1
	s_and_b64 s[58:59], s[54:55], s[10:11]
	s_andn2_b64 s[14:15], s[14:15], exec
	s_and_b64 s[58:59], s[58:59], exec
	s_or_b64 s[14:15], s[14:15], s[58:59]
	s_cbranch_execz .LBB153_349
	s_branch .LBB153_350
.LBB153_357:
                                        ; implicit-def: $sgpr14_sgpr15
	s_mov_b64 s[54:55], 0
	s_cbranch_execnz .LBB153_361
	s_branch .LBB153_362
.LBB153_358:
	s_mov_b64 s[54:55], 0
                                        ; implicit-def: $sgpr14_sgpr15
	s_cbranch_execz .LBB153_360
; %bb.359:
	s_xor_b64 s[56:57], s[52:53], -1
	s_and_b64 s[56:57], s[50:51], s[56:57]
	s_andn2_b64 s[14:15], s[14:15], exec
	s_and_b64 s[56:57], s[56:57], exec
	s_or_b64 s[14:15], s[14:15], s[56:57]
.LBB153_360:
	s_branch .LBB153_362
.LBB153_361:
	s_cmp_lg_u32 s13, 0
	s_mov_b64 s[10:11], -1
	s_cselect_b64 s[54:55], -1, 0
.LBB153_362:
	s_andn2_b64 vcc, exec, s[54:55]
	s_cbranch_vccz .LBB153_371
; %bb.363:
	s_andn2_b64 vcc, exec, s[10:11]
	s_cbranch_vccnz .LBB153_365
.LBB153_364:
	s_xor_b64 s[10:11], s[52:53], -1
	s_or_b64 s[10:11], s[50:51], s[10:11]
	s_andn2_b64 s[14:15], s[14:15], exec
	s_and_b64 s[10:11], s[10:11], exec
	s_or_b64 s[14:15], s[14:15], s[10:11]
.LBB153_365:
	s_movk_i32 s10, 0xff00
	v_and_b32_sdwa v7, v4, s10 dst_sel:DWORD dst_unused:UNUSED_PAD src0_sel:WORD_1 src1_sel:DWORD
	v_cndmask_b32_e64 v8, 0, 1, s[14:15]
	v_or_b32_sdwa v7, v8, v7 dst_sel:WORD_1 dst_unused:UNUSED_PAD src0_sel:DWORD src1_sel:DWORD
	s_mov_b32 s10, 0xffff
	v_and_or_b32 v4, v4, s10, v7
.LBB153_366:
	s_or_b64 exec, exec, s[2:3]
	v_or_b32_e32 v7, 0x700, v0
	v_cmp_gt_i32_e32 vcc, s12, v7
	s_and_saveexec_b64 s[2:3], vcc
	s_cbranch_execz .LBB153_381
; %bb.367:
	s_cmp_lt_i32 s13, 1
	s_mov_b64 s[10:11], 0
	s_cbranch_scc1 .LBB153_372
; %bb.368:
	s_cmp_gt_i32 s13, 1
	s_cbranch_scc0 .LBB153_373
; %bb.369:
	s_cmp_eq_u32 s13, 2
	s_cbranch_scc0 .LBB153_541
; %bb.370:
	s_xor_b64 s[14:15], s[48:49], -1
	s_or_b64 s[14:15], s[46:47], s[14:15]
	s_mov_b64 s[50:51], 0
	s_branch .LBB153_375
.LBB153_371:
	s_xor_b64 s[10:11], s[50:51], -1
	s_and_b64 s[54:55], s[52:53], s[10:11]
	s_andn2_b64 s[14:15], s[14:15], exec
	s_and_b64 s[54:55], s[54:55], exec
	s_or_b64 s[14:15], s[14:15], s[54:55]
	s_cbranch_execz .LBB153_364
	s_branch .LBB153_365
.LBB153_372:
                                        ; implicit-def: $sgpr14_sgpr15
	s_mov_b64 s[50:51], 0
	s_cbranch_execnz .LBB153_376
	s_branch .LBB153_377
.LBB153_373:
	s_mov_b64 s[50:51], 0
                                        ; implicit-def: $sgpr14_sgpr15
	s_cbranch_execz .LBB153_375
; %bb.374:
	s_xor_b64 s[52:53], s[46:47], -1
	s_and_b64 s[52:53], s[48:49], s[52:53]
	s_andn2_b64 s[14:15], s[14:15], exec
	s_and_b64 s[52:53], s[52:53], exec
	s_or_b64 s[14:15], s[14:15], s[52:53]
.LBB153_375:
	s_branch .LBB153_377
.LBB153_376:
	s_cmp_lg_u32 s13, 0
	s_mov_b64 s[10:11], -1
	s_cselect_b64 s[50:51], -1, 0
.LBB153_377:
	s_andn2_b64 vcc, exec, s[50:51]
	s_cbranch_vccz .LBB153_386
; %bb.378:
	s_andn2_b64 vcc, exec, s[10:11]
	s_cbranch_vccnz .LBB153_380
.LBB153_379:
	s_xor_b64 s[10:11], s[46:47], -1
	s_or_b64 s[10:11], s[48:49], s[10:11]
	s_andn2_b64 s[14:15], s[14:15], exec
	s_and_b64 s[10:11], s[10:11], exec
	s_or_b64 s[14:15], s[14:15], s[10:11]
.LBB153_380:
	s_movk_i32 s10, 0xff
	v_cndmask_b32_e64 v8, 0, 1, s[14:15]
	v_and_b32_sdwa v7, v4, s10 dst_sel:DWORD dst_unused:UNUSED_PAD src0_sel:WORD_1 src1_sel:DWORD
	v_lshlrev_b16_e32 v8, 8, v8
	v_or_b32_sdwa v7, v7, v8 dst_sel:WORD_1 dst_unused:UNUSED_PAD src0_sel:DWORD src1_sel:DWORD
	s_mov_b32 s10, 0xffff
	v_and_or_b32 v4, v4, s10, v7
.LBB153_381:
	s_or_b64 exec, exec, s[2:3]
	v_or_b32_e32 v7, 0x800, v0
	v_cmp_gt_i32_e32 vcc, s12, v7
	s_and_saveexec_b64 s[2:3], vcc
	s_cbranch_execz .LBB153_396
; %bb.382:
	s_cmp_lt_i32 s13, 1
	s_mov_b64 s[10:11], 0
	s_cbranch_scc1 .LBB153_387
; %bb.383:
	s_cmp_gt_i32 s13, 1
	s_cbranch_scc0 .LBB153_388
; %bb.384:
	s_cmp_eq_u32 s13, 2
	s_cbranch_scc0 .LBB153_542
; %bb.385:
	s_xor_b64 s[14:15], s[42:43], -1
	s_or_b64 s[14:15], s[44:45], s[14:15]
	s_mov_b64 s[46:47], 0
	s_branch .LBB153_390
.LBB153_386:
	s_xor_b64 s[10:11], s[48:49], -1
	s_and_b64 s[50:51], s[46:47], s[10:11]
	s_andn2_b64 s[14:15], s[14:15], exec
	s_and_b64 s[50:51], s[50:51], exec
	s_or_b64 s[14:15], s[14:15], s[50:51]
	s_cbranch_execz .LBB153_379
	s_branch .LBB153_380
.LBB153_387:
                                        ; implicit-def: $sgpr14_sgpr15
	s_mov_b64 s[46:47], 0
	s_cbranch_execnz .LBB153_391
	s_branch .LBB153_392
.LBB153_388:
	s_mov_b64 s[46:47], 0
                                        ; implicit-def: $sgpr14_sgpr15
	s_cbranch_execz .LBB153_390
; %bb.389:
	s_xor_b64 s[48:49], s[44:45], -1
	s_and_b64 s[48:49], s[42:43], s[48:49]
	s_andn2_b64 s[14:15], s[14:15], exec
	s_and_b64 s[48:49], s[48:49], exec
	s_or_b64 s[14:15], s[14:15], s[48:49]
.LBB153_390:
	s_branch .LBB153_392
.LBB153_391:
	s_cmp_lg_u32 s13, 0
	s_mov_b64 s[10:11], -1
	s_cselect_b64 s[46:47], -1, 0
.LBB153_392:
	s_andn2_b64 vcc, exec, s[46:47]
	s_cbranch_vccz .LBB153_401
; %bb.393:
	s_andn2_b64 vcc, exec, s[10:11]
	s_cbranch_vccnz .LBB153_395
.LBB153_394:
	s_xor_b64 s[10:11], s[44:45], -1
	s_or_b64 s[10:11], s[42:43], s[10:11]
	s_andn2_b64 s[14:15], s[14:15], exec
	s_and_b64 s[10:11], s[10:11], exec
	s_or_b64 s[14:15], s[14:15], s[10:11]
.LBB153_395:
	v_and_b32_e32 v7, 0xffffff00, v3
	v_cndmask_b32_e64 v8, 0, 1, s[14:15]
	v_or_b32_e32 v7, v8, v7
	v_and_b32_e32 v7, 0xffff, v7
	s_mov_b32 s10, 0xffff0000
	v_and_or_b32 v3, v3, s10, v7
.LBB153_396:
	s_or_b64 exec, exec, s[2:3]
	v_or_b32_e32 v7, 0x900, v0
	v_cmp_gt_i32_e32 vcc, s12, v7
	s_and_saveexec_b64 s[2:3], vcc
	s_cbranch_execz .LBB153_411
; %bb.397:
	s_cmp_lt_i32 s13, 1
	s_mov_b64 s[10:11], 0
	s_cbranch_scc1 .LBB153_402
; %bb.398:
	s_cmp_gt_i32 s13, 1
	s_cbranch_scc0 .LBB153_403
; %bb.399:
	s_cmp_eq_u32 s13, 2
	s_cbranch_scc0 .LBB153_543
; %bb.400:
	s_xor_b64 s[14:15], s[40:41], -1
	s_or_b64 s[14:15], s[38:39], s[14:15]
	s_mov_b64 s[42:43], 0
	s_branch .LBB153_405
.LBB153_401:
	s_xor_b64 s[10:11], s[42:43], -1
	s_and_b64 s[46:47], s[44:45], s[10:11]
	s_andn2_b64 s[14:15], s[14:15], exec
	s_and_b64 s[46:47], s[46:47], exec
	s_or_b64 s[14:15], s[14:15], s[46:47]
	s_cbranch_execz .LBB153_394
	s_branch .LBB153_395
.LBB153_402:
                                        ; implicit-def: $sgpr14_sgpr15
	s_mov_b64 s[42:43], 0
	s_cbranch_execnz .LBB153_406
	s_branch .LBB153_407
.LBB153_403:
	s_mov_b64 s[42:43], 0
                                        ; implicit-def: $sgpr14_sgpr15
	s_cbranch_execz .LBB153_405
; %bb.404:
	s_xor_b64 s[44:45], s[38:39], -1
	s_and_b64 s[44:45], s[40:41], s[44:45]
	s_andn2_b64 s[14:15], s[14:15], exec
	s_and_b64 s[44:45], s[44:45], exec
	s_or_b64 s[14:15], s[14:15], s[44:45]
.LBB153_405:
	s_branch .LBB153_407
.LBB153_406:
	s_cmp_lg_u32 s13, 0
	s_mov_b64 s[10:11], -1
	s_cselect_b64 s[42:43], -1, 0
.LBB153_407:
	s_andn2_b64 vcc, exec, s[42:43]
	s_cbranch_vccz .LBB153_416
; %bb.408:
	s_andn2_b64 vcc, exec, s[10:11]
	s_cbranch_vccnz .LBB153_410
.LBB153_409:
	s_xor_b64 s[10:11], s[38:39], -1
	s_or_b64 s[10:11], s[40:41], s[10:11]
	s_andn2_b64 s[14:15], s[14:15], exec
	s_and_b64 s[10:11], s[10:11], exec
	s_or_b64 s[14:15], s[14:15], s[10:11]
.LBB153_410:
	v_cndmask_b32_e64 v7, 0, 1, s[14:15]
	v_lshlrev_b16_e32 v7, 8, v7
	v_or_b32_sdwa v7, v3, v7 dst_sel:DWORD dst_unused:UNUSED_PAD src0_sel:BYTE_0 src1_sel:DWORD
	v_and_b32_e32 v7, 0xffff, v7
	s_mov_b32 s10, 0xffff0000
	v_and_or_b32 v3, v3, s10, v7
.LBB153_411:
	s_or_b64 exec, exec, s[2:3]
	v_or_b32_e32 v7, 0xa00, v0
	v_cmp_gt_i32_e32 vcc, s12, v7
	s_and_saveexec_b64 s[2:3], vcc
	s_cbranch_execz .LBB153_426
; %bb.412:
	s_cmp_lt_i32 s13, 1
	s_mov_b64 s[10:11], 0
	s_cbranch_scc1 .LBB153_417
; %bb.413:
	s_cmp_gt_i32 s13, 1
	s_cbranch_scc0 .LBB153_418
; %bb.414:
	s_cmp_eq_u32 s13, 2
	s_cbranch_scc0 .LBB153_544
; %bb.415:
	s_xor_b64 s[14:15], s[34:35], -1
	s_or_b64 s[14:15], s[36:37], s[14:15]
	s_mov_b64 s[38:39], 0
	s_branch .LBB153_420
.LBB153_416:
	s_xor_b64 s[10:11], s[40:41], -1
	s_and_b64 s[42:43], s[38:39], s[10:11]
	s_andn2_b64 s[14:15], s[14:15], exec
	s_and_b64 s[42:43], s[42:43], exec
	s_or_b64 s[14:15], s[14:15], s[42:43]
	s_cbranch_execz .LBB153_409
	s_branch .LBB153_410
.LBB153_417:
                                        ; implicit-def: $sgpr14_sgpr15
	s_mov_b64 s[38:39], 0
	s_cbranch_execnz .LBB153_421
	s_branch .LBB153_422
.LBB153_418:
	s_mov_b64 s[38:39], 0
                                        ; implicit-def: $sgpr14_sgpr15
	s_cbranch_execz .LBB153_420
; %bb.419:
	s_xor_b64 s[40:41], s[36:37], -1
	s_and_b64 s[40:41], s[34:35], s[40:41]
	s_andn2_b64 s[14:15], s[14:15], exec
	s_and_b64 s[40:41], s[40:41], exec
	s_or_b64 s[14:15], s[14:15], s[40:41]
.LBB153_420:
	s_branch .LBB153_422
.LBB153_421:
	s_cmp_lg_u32 s13, 0
	s_mov_b64 s[10:11], -1
	s_cselect_b64 s[38:39], -1, 0
.LBB153_422:
	s_andn2_b64 vcc, exec, s[38:39]
	s_cbranch_vccz .LBB153_431
; %bb.423:
	s_andn2_b64 vcc, exec, s[10:11]
	s_cbranch_vccnz .LBB153_425
.LBB153_424:
	s_xor_b64 s[10:11], s[36:37], -1
	s_or_b64 s[10:11], s[34:35], s[10:11]
	s_andn2_b64 s[14:15], s[14:15], exec
	s_and_b64 s[10:11], s[10:11], exec
	s_or_b64 s[14:15], s[14:15], s[10:11]
.LBB153_425:
	s_movk_i32 s10, 0xff00
	v_and_b32_sdwa v7, v3, s10 dst_sel:DWORD dst_unused:UNUSED_PAD src0_sel:WORD_1 src1_sel:DWORD
	v_cndmask_b32_e64 v8, 0, 1, s[14:15]
	v_or_b32_sdwa v7, v8, v7 dst_sel:WORD_1 dst_unused:UNUSED_PAD src0_sel:DWORD src1_sel:DWORD
	s_mov_b32 s10, 0xffff
	v_and_or_b32 v3, v3, s10, v7
.LBB153_426:
	s_or_b64 exec, exec, s[2:3]
	v_or_b32_e32 v7, 0xb00, v0
	v_cmp_gt_i32_e32 vcc, s12, v7
	s_and_saveexec_b64 s[2:3], vcc
	s_cbranch_execz .LBB153_441
; %bb.427:
	s_cmp_lt_i32 s13, 1
	s_mov_b64 s[10:11], 0
	s_cbranch_scc1 .LBB153_432
; %bb.428:
	s_cmp_gt_i32 s13, 1
	s_cbranch_scc0 .LBB153_433
; %bb.429:
	s_cmp_eq_u32 s13, 2
	s_cbranch_scc0 .LBB153_545
; %bb.430:
	s_xor_b64 s[14:15], s[30:31], -1
	s_or_b64 s[14:15], s[28:29], s[14:15]
	s_mov_b64 s[34:35], 0
	s_branch .LBB153_435
.LBB153_431:
	s_xor_b64 s[10:11], s[34:35], -1
	s_and_b64 s[38:39], s[36:37], s[10:11]
	s_andn2_b64 s[14:15], s[14:15], exec
	s_and_b64 s[38:39], s[38:39], exec
	s_or_b64 s[14:15], s[14:15], s[38:39]
	s_cbranch_execz .LBB153_424
	s_branch .LBB153_425
.LBB153_432:
                                        ; implicit-def: $sgpr14_sgpr15
	s_mov_b64 s[34:35], 0
	s_cbranch_execnz .LBB153_436
	s_branch .LBB153_437
.LBB153_433:
	s_mov_b64 s[34:35], 0
                                        ; implicit-def: $sgpr14_sgpr15
	s_cbranch_execz .LBB153_435
; %bb.434:
	s_xor_b64 s[36:37], s[28:29], -1
	s_and_b64 s[36:37], s[30:31], s[36:37]
	s_andn2_b64 s[14:15], s[14:15], exec
	s_and_b64 s[36:37], s[36:37], exec
	s_or_b64 s[14:15], s[14:15], s[36:37]
.LBB153_435:
	s_branch .LBB153_437
.LBB153_436:
	s_cmp_lg_u32 s13, 0
	s_mov_b64 s[10:11], -1
	s_cselect_b64 s[34:35], -1, 0
.LBB153_437:
	s_andn2_b64 vcc, exec, s[34:35]
	s_cbranch_vccz .LBB153_446
; %bb.438:
	s_andn2_b64 vcc, exec, s[10:11]
	s_cbranch_vccnz .LBB153_440
.LBB153_439:
	s_xor_b64 s[10:11], s[28:29], -1
	s_or_b64 s[10:11], s[30:31], s[10:11]
	s_andn2_b64 s[14:15], s[14:15], exec
	s_and_b64 s[10:11], s[10:11], exec
	s_or_b64 s[14:15], s[14:15], s[10:11]
.LBB153_440:
	s_movk_i32 s10, 0xff
	v_cndmask_b32_e64 v8, 0, 1, s[14:15]
	v_and_b32_sdwa v7, v3, s10 dst_sel:DWORD dst_unused:UNUSED_PAD src0_sel:WORD_1 src1_sel:DWORD
	v_lshlrev_b16_e32 v8, 8, v8
	v_or_b32_sdwa v7, v7, v8 dst_sel:WORD_1 dst_unused:UNUSED_PAD src0_sel:DWORD src1_sel:DWORD
	s_mov_b32 s10, 0xffff
	v_and_or_b32 v3, v3, s10, v7
.LBB153_441:
	s_or_b64 exec, exec, s[2:3]
	v_or_b32_e32 v7, 0xc00, v0
	v_cmp_gt_i32_e32 vcc, s12, v7
	s_and_saveexec_b64 s[2:3], vcc
	s_cbranch_execz .LBB153_456
; %bb.442:
	s_cmp_lt_i32 s13, 1
	s_mov_b64 s[10:11], 0
	s_cbranch_scc1 .LBB153_447
; %bb.443:
	s_cmp_gt_i32 s13, 1
	s_cbranch_scc0 .LBB153_448
; %bb.444:
	s_cmp_eq_u32 s13, 2
	s_cbranch_scc0 .LBB153_546
; %bb.445:
	s_xor_b64 s[14:15], s[24:25], -1
	s_or_b64 s[14:15], s[26:27], s[14:15]
	s_mov_b64 s[28:29], 0
	s_branch .LBB153_450
.LBB153_446:
	s_xor_b64 s[10:11], s[30:31], -1
	s_and_b64 s[34:35], s[28:29], s[10:11]
	s_andn2_b64 s[14:15], s[14:15], exec
	s_and_b64 s[34:35], s[34:35], exec
	s_or_b64 s[14:15], s[14:15], s[34:35]
	s_cbranch_execz .LBB153_439
	s_branch .LBB153_440
.LBB153_447:
                                        ; implicit-def: $sgpr14_sgpr15
	s_mov_b64 s[28:29], 0
	s_cbranch_execnz .LBB153_451
	s_branch .LBB153_452
.LBB153_448:
	s_mov_b64 s[28:29], 0
                                        ; implicit-def: $sgpr14_sgpr15
	s_cbranch_execz .LBB153_450
; %bb.449:
	s_xor_b64 s[30:31], s[26:27], -1
	s_and_b64 s[30:31], s[24:25], s[30:31]
	s_andn2_b64 s[14:15], s[14:15], exec
	s_and_b64 s[30:31], s[30:31], exec
	s_or_b64 s[14:15], s[14:15], s[30:31]
.LBB153_450:
	s_branch .LBB153_452
.LBB153_451:
	s_cmp_lg_u32 s13, 0
	s_mov_b64 s[10:11], -1
	s_cselect_b64 s[28:29], -1, 0
.LBB153_452:
	s_andn2_b64 vcc, exec, s[28:29]
	s_cbranch_vccz .LBB153_461
; %bb.453:
	s_andn2_b64 vcc, exec, s[10:11]
	s_cbranch_vccnz .LBB153_455
.LBB153_454:
	s_xor_b64 s[10:11], s[26:27], -1
	s_or_b64 s[10:11], s[24:25], s[10:11]
	s_andn2_b64 s[14:15], s[14:15], exec
	s_and_b64 s[10:11], s[10:11], exec
	s_or_b64 s[14:15], s[14:15], s[10:11]
.LBB153_455:
	v_and_b32_e32 v7, 0xffffff00, v2
	v_cndmask_b32_e64 v8, 0, 1, s[14:15]
	v_or_b32_e32 v7, v8, v7
	v_and_b32_e32 v7, 0xffff, v7
	s_mov_b32 s10, 0xffff0000
	v_and_or_b32 v2, v2, s10, v7
.LBB153_456:
	s_or_b64 exec, exec, s[2:3]
	v_or_b32_e32 v7, 0xd00, v0
	v_cmp_gt_i32_e32 vcc, s12, v7
	s_and_saveexec_b64 s[2:3], vcc
	s_cbranch_execz .LBB153_471
; %bb.457:
	s_cmp_lt_i32 s13, 1
	s_mov_b64 s[10:11], 0
	s_cbranch_scc1 .LBB153_462
; %bb.458:
	s_cmp_gt_i32 s13, 1
	s_cbranch_scc0 .LBB153_463
; %bb.459:
	s_cmp_eq_u32 s13, 2
	s_cbranch_scc0 .LBB153_547
; %bb.460:
	s_xor_b64 s[14:15], s[22:23], -1
	s_or_b64 s[14:15], s[20:21], s[14:15]
	s_mov_b64 s[24:25], 0
	s_branch .LBB153_465
.LBB153_461:
	s_xor_b64 s[10:11], s[24:25], -1
	s_and_b64 s[28:29], s[26:27], s[10:11]
	s_andn2_b64 s[14:15], s[14:15], exec
	s_and_b64 s[28:29], s[28:29], exec
	s_or_b64 s[14:15], s[14:15], s[28:29]
	s_cbranch_execz .LBB153_454
	s_branch .LBB153_455
.LBB153_462:
                                        ; implicit-def: $sgpr14_sgpr15
	s_mov_b64 s[24:25], 0
	s_cbranch_execnz .LBB153_466
	s_branch .LBB153_467
.LBB153_463:
	s_mov_b64 s[24:25], 0
                                        ; implicit-def: $sgpr14_sgpr15
	s_cbranch_execz .LBB153_465
; %bb.464:
	s_xor_b64 s[26:27], s[20:21], -1
	s_and_b64 s[26:27], s[22:23], s[26:27]
	s_andn2_b64 s[14:15], s[14:15], exec
	s_and_b64 s[26:27], s[26:27], exec
	s_or_b64 s[14:15], s[14:15], s[26:27]
.LBB153_465:
	s_branch .LBB153_467
.LBB153_466:
	s_cmp_lg_u32 s13, 0
	s_mov_b64 s[10:11], -1
	s_cselect_b64 s[24:25], -1, 0
.LBB153_467:
	s_andn2_b64 vcc, exec, s[24:25]
	s_cbranch_vccz .LBB153_476
; %bb.468:
	s_andn2_b64 vcc, exec, s[10:11]
	s_cbranch_vccnz .LBB153_470
.LBB153_469:
	s_xor_b64 s[10:11], s[20:21], -1
	s_or_b64 s[10:11], s[22:23], s[10:11]
	s_andn2_b64 s[14:15], s[14:15], exec
	s_and_b64 s[10:11], s[10:11], exec
	s_or_b64 s[14:15], s[14:15], s[10:11]
.LBB153_470:
	v_cndmask_b32_e64 v7, 0, 1, s[14:15]
	v_lshlrev_b16_e32 v7, 8, v7
	v_or_b32_sdwa v7, v2, v7 dst_sel:DWORD dst_unused:UNUSED_PAD src0_sel:BYTE_0 src1_sel:DWORD
	v_and_b32_e32 v7, 0xffff, v7
	s_mov_b32 s10, 0xffff0000
	v_and_or_b32 v2, v2, s10, v7
.LBB153_471:
	s_or_b64 exec, exec, s[2:3]
	v_or_b32_e32 v7, 0xe00, v0
	v_cmp_gt_i32_e32 vcc, s12, v7
	s_and_saveexec_b64 s[2:3], vcc
	s_cbranch_execz .LBB153_486
; %bb.472:
	s_cmp_lt_i32 s13, 1
	s_mov_b64 s[10:11], 0
	s_cbranch_scc1 .LBB153_477
; %bb.473:
	s_cmp_gt_i32 s13, 1
	s_cbranch_scc0 .LBB153_478
; %bb.474:
	s_cmp_eq_u32 s13, 2
	s_cbranch_scc0 .LBB153_548
; %bb.475:
	s_xor_b64 s[14:15], s[16:17], -1
	s_or_b64 s[14:15], s[18:19], s[14:15]
	s_mov_b64 s[20:21], 0
	s_branch .LBB153_480
.LBB153_476:
	s_xor_b64 s[10:11], s[22:23], -1
	s_and_b64 s[24:25], s[20:21], s[10:11]
	s_andn2_b64 s[14:15], s[14:15], exec
	s_and_b64 s[24:25], s[24:25], exec
	s_or_b64 s[14:15], s[14:15], s[24:25]
	s_cbranch_execz .LBB153_469
	s_branch .LBB153_470
.LBB153_477:
                                        ; implicit-def: $sgpr14_sgpr15
	s_mov_b64 s[20:21], 0
	s_cbranch_execnz .LBB153_481
	s_branch .LBB153_482
.LBB153_478:
	s_mov_b64 s[20:21], 0
                                        ; implicit-def: $sgpr14_sgpr15
	s_cbranch_execz .LBB153_480
; %bb.479:
	s_xor_b64 s[22:23], s[18:19], -1
	s_and_b64 s[22:23], s[16:17], s[22:23]
	s_andn2_b64 s[14:15], s[14:15], exec
	s_and_b64 s[22:23], s[22:23], exec
	s_or_b64 s[14:15], s[14:15], s[22:23]
.LBB153_480:
	s_branch .LBB153_482
.LBB153_481:
	s_cmp_lg_u32 s13, 0
	s_mov_b64 s[10:11], -1
	s_cselect_b64 s[20:21], -1, 0
.LBB153_482:
	s_andn2_b64 vcc, exec, s[20:21]
	s_cbranch_vccz .LBB153_491
; %bb.483:
	s_andn2_b64 vcc, exec, s[10:11]
	s_cbranch_vccnz .LBB153_485
.LBB153_484:
	s_xor_b64 s[10:11], s[18:19], -1
	s_or_b64 s[10:11], s[16:17], s[10:11]
	s_andn2_b64 s[14:15], s[14:15], exec
	s_and_b64 s[10:11], s[10:11], exec
	s_or_b64 s[14:15], s[14:15], s[10:11]
.LBB153_485:
	s_movk_i32 s10, 0xff00
	v_and_b32_sdwa v7, v2, s10 dst_sel:DWORD dst_unused:UNUSED_PAD src0_sel:WORD_1 src1_sel:DWORD
	v_cndmask_b32_e64 v8, 0, 1, s[14:15]
	v_or_b32_sdwa v7, v8, v7 dst_sel:WORD_1 dst_unused:UNUSED_PAD src0_sel:DWORD src1_sel:DWORD
	s_mov_b32 s10, 0xffff
	v_and_or_b32 v2, v2, s10, v7
.LBB153_486:
	s_or_b64 exec, exec, s[2:3]
	v_or_b32_e32 v7, 0xf00, v0
	v_cmp_gt_i32_e32 vcc, s12, v7
	s_and_saveexec_b64 s[2:3], vcc
	s_cbranch_execz .LBB153_501
; %bb.487:
	s_cmp_lt_i32 s13, 1
	s_mov_b64 s[10:11], 0
	s_cbranch_scc1 .LBB153_492
; %bb.488:
	s_cmp_gt_i32 s13, 1
	s_cbranch_scc0 .LBB153_493
; %bb.489:
	s_cmp_eq_u32 s13, 2
	s_cbranch_scc0 .LBB153_549
; %bb.490:
	s_xor_b64 s[14:15], s[6:7], -1
	s_or_b64 s[14:15], s[4:5], s[14:15]
	s_mov_b64 s[16:17], 0
	s_branch .LBB153_495
.LBB153_491:
	s_xor_b64 s[10:11], s[16:17], -1
	s_and_b64 s[20:21], s[18:19], s[10:11]
	s_andn2_b64 s[14:15], s[14:15], exec
	s_and_b64 s[20:21], s[20:21], exec
	s_or_b64 s[14:15], s[14:15], s[20:21]
	s_cbranch_execz .LBB153_484
	s_branch .LBB153_485
.LBB153_492:
                                        ; implicit-def: $sgpr14_sgpr15
	s_mov_b64 s[16:17], 0
	s_cbranch_execnz .LBB153_496
	s_branch .LBB153_497
.LBB153_493:
	s_mov_b64 s[16:17], 0
                                        ; implicit-def: $sgpr14_sgpr15
	s_cbranch_execz .LBB153_495
; %bb.494:
	s_xor_b64 s[18:19], s[4:5], -1
	s_and_b64 s[18:19], s[6:7], s[18:19]
	s_andn2_b64 s[14:15], s[14:15], exec
	s_and_b64 s[18:19], s[18:19], exec
	s_or_b64 s[14:15], s[14:15], s[18:19]
.LBB153_495:
	s_branch .LBB153_497
.LBB153_496:
	s_cmp_lg_u32 s13, 0
	s_mov_b64 s[10:11], -1
	s_cselect_b64 s[16:17], -1, 0
.LBB153_497:
	s_andn2_b64 vcc, exec, s[16:17]
	s_cbranch_vccz .LBB153_534
; %bb.498:
	s_andn2_b64 vcc, exec, s[10:11]
	s_cbranch_vccnz .LBB153_500
.LBB153_499:
	s_xor_b64 s[4:5], s[4:5], -1
	s_or_b64 s[4:5], s[6:7], s[4:5]
	s_andn2_b64 s[6:7], s[14:15], exec
	s_and_b64 s[4:5], s[4:5], exec
	s_or_b64 s[14:15], s[6:7], s[4:5]
.LBB153_500:
	s_movk_i32 s4, 0xff
	v_cndmask_b32_e64 v8, 0, 1, s[14:15]
	v_and_b32_sdwa v7, v2, s4 dst_sel:DWORD dst_unused:UNUSED_PAD src0_sel:WORD_1 src1_sel:DWORD
	v_lshlrev_b16_e32 v8, 8, v8
	v_or_b32_sdwa v7, v7, v8 dst_sel:WORD_1 dst_unused:UNUSED_PAD src0_sel:DWORD src1_sel:DWORD
	s_mov_b32 s4, 0xffff
	v_and_or_b32 v2, v2, s4, v7
.LBB153_501:
	s_or_b64 exec, exec, s[2:3]
	s_and_saveexec_b64 s[2:3], s[0:1]
	s_xor_b64 s[0:1], exec, s[2:3]
	s_cbranch_execz .LBB153_503
; %bb.502:
	v_mov_b32_e32 v0, v6
	global_store_byte v1, v5, s[8:9]
.LBB153_503:
	s_or_b64 exec, exec, s[0:1]
	v_cmp_gt_i32_e32 vcc, s12, v0
	s_and_saveexec_b64 s[0:1], vcc
	s_cbranch_execnz .LBB153_520
; %bb.504:
	s_or_b64 exec, exec, s[0:1]
	v_cmp_gt_i32_e32 vcc, s12, v0
	s_and_saveexec_b64 s[0:1], vcc
	s_cbranch_execnz .LBB153_521
.LBB153_505:
	s_or_b64 exec, exec, s[0:1]
	v_cmp_gt_i32_e32 vcc, s12, v0
	s_and_saveexec_b64 s[0:1], vcc
	s_cbranch_execnz .LBB153_522
.LBB153_506:
	s_or_b64 exec, exec, s[0:1]
	v_cmp_gt_i32_e32 vcc, s12, v0
	s_and_saveexec_b64 s[0:1], vcc
	s_cbranch_execnz .LBB153_523
.LBB153_507:
	s_or_b64 exec, exec, s[0:1]
	v_cmp_gt_i32_e32 vcc, s12, v0
	s_and_saveexec_b64 s[0:1], vcc
	s_cbranch_execnz .LBB153_524
.LBB153_508:
	s_or_b64 exec, exec, s[0:1]
	v_cmp_gt_i32_e32 vcc, s12, v0
	s_and_saveexec_b64 s[0:1], vcc
	s_cbranch_execnz .LBB153_525
.LBB153_509:
	s_or_b64 exec, exec, s[0:1]
	v_cmp_gt_i32_e32 vcc, s12, v0
	s_and_saveexec_b64 s[0:1], vcc
	s_cbranch_execnz .LBB153_526
.LBB153_510:
	s_or_b64 exec, exec, s[0:1]
	v_cmp_gt_i32_e32 vcc, s12, v0
	s_and_saveexec_b64 s[0:1], vcc
	s_cbranch_execnz .LBB153_527
.LBB153_511:
	s_or_b64 exec, exec, s[0:1]
	v_cmp_gt_i32_e32 vcc, s12, v0
	s_and_saveexec_b64 s[0:1], vcc
	s_cbranch_execnz .LBB153_528
.LBB153_512:
	s_or_b64 exec, exec, s[0:1]
	v_cmp_gt_i32_e32 vcc, s12, v0
	s_and_saveexec_b64 s[0:1], vcc
	s_cbranch_execnz .LBB153_529
.LBB153_513:
	s_or_b64 exec, exec, s[0:1]
	v_cmp_gt_i32_e32 vcc, s12, v0
	s_and_saveexec_b64 s[0:1], vcc
	s_cbranch_execnz .LBB153_530
.LBB153_514:
	s_or_b64 exec, exec, s[0:1]
	v_cmp_gt_i32_e32 vcc, s12, v0
	s_and_saveexec_b64 s[0:1], vcc
	s_cbranch_execnz .LBB153_531
.LBB153_515:
	s_or_b64 exec, exec, s[0:1]
	v_cmp_gt_i32_e32 vcc, s12, v0
	s_and_saveexec_b64 s[0:1], vcc
	s_cbranch_execnz .LBB153_532
.LBB153_516:
	s_or_b64 exec, exec, s[0:1]
	v_cmp_gt_i32_e32 vcc, s12, v0
	s_and_saveexec_b64 s[0:1], vcc
	s_cbranch_execnz .LBB153_533
.LBB153_517:
	s_or_b64 exec, exec, s[0:1]
	v_cmp_gt_i32_e32 vcc, s12, v0
	s_and_saveexec_b64 s[0:1], vcc
	s_cbranch_execz .LBB153_519
.LBB153_518:
	v_lshrrev_b32_e32 v1, 24, v2
	v_add_u32_e32 v0, s33, v0
	global_store_byte v0, v1, s[8:9]
.LBB153_519:
	s_endpgm
.LBB153_520:
	v_lshrrev_b32_e32 v1, 8, v5
	v_add_u32_e32 v6, s33, v0
	v_add_u32_e32 v0, 0x100, v0
	global_store_byte v6, v1, s[8:9]
	s_or_b64 exec, exec, s[0:1]
	v_cmp_gt_i32_e32 vcc, s12, v0
	s_and_saveexec_b64 s[0:1], vcc
	s_cbranch_execz .LBB153_505
.LBB153_521:
	v_add_u32_e32 v1, s33, v0
	v_add_u32_e32 v0, 0x100, v0
	global_store_byte_d16_hi v1, v5, s[8:9]
	s_or_b64 exec, exec, s[0:1]
	v_cmp_gt_i32_e32 vcc, s12, v0
	s_and_saveexec_b64 s[0:1], vcc
	s_cbranch_execz .LBB153_506
.LBB153_522:
	v_lshrrev_b32_e32 v1, 24, v5
	v_add_u32_e32 v5, s33, v0
	v_add_u32_e32 v0, 0x100, v0
	global_store_byte v5, v1, s[8:9]
	s_or_b64 exec, exec, s[0:1]
	v_cmp_gt_i32_e32 vcc, s12, v0
	s_and_saveexec_b64 s[0:1], vcc
	s_cbranch_execz .LBB153_507
.LBB153_523:
	v_add_u32_e32 v1, s33, v0
	v_add_u32_e32 v0, 0x100, v0
	global_store_byte v1, v4, s[8:9]
	s_or_b64 exec, exec, s[0:1]
	v_cmp_gt_i32_e32 vcc, s12, v0
	s_and_saveexec_b64 s[0:1], vcc
	s_cbranch_execz .LBB153_508
.LBB153_524:
	v_lshrrev_b32_e32 v1, 8, v4
	v_add_u32_e32 v5, s33, v0
	v_add_u32_e32 v0, 0x100, v0
	global_store_byte v5, v1, s[8:9]
	s_or_b64 exec, exec, s[0:1]
	v_cmp_gt_i32_e32 vcc, s12, v0
	s_and_saveexec_b64 s[0:1], vcc
	s_cbranch_execz .LBB153_509
.LBB153_525:
	v_add_u32_e32 v1, s33, v0
	v_add_u32_e32 v0, 0x100, v0
	global_store_byte_d16_hi v1, v4, s[8:9]
	s_or_b64 exec, exec, s[0:1]
	v_cmp_gt_i32_e32 vcc, s12, v0
	s_and_saveexec_b64 s[0:1], vcc
	s_cbranch_execz .LBB153_510
.LBB153_526:
	v_lshrrev_b32_e32 v1, 24, v4
	v_add_u32_e32 v4, s33, v0
	v_add_u32_e32 v0, 0x100, v0
	global_store_byte v4, v1, s[8:9]
	s_or_b64 exec, exec, s[0:1]
	v_cmp_gt_i32_e32 vcc, s12, v0
	s_and_saveexec_b64 s[0:1], vcc
	s_cbranch_execz .LBB153_511
.LBB153_527:
	v_add_u32_e32 v1, s33, v0
	v_add_u32_e32 v0, 0x100, v0
	global_store_byte v1, v3, s[8:9]
	s_or_b64 exec, exec, s[0:1]
	v_cmp_gt_i32_e32 vcc, s12, v0
	s_and_saveexec_b64 s[0:1], vcc
	s_cbranch_execz .LBB153_512
.LBB153_528:
	v_lshrrev_b32_e32 v1, 8, v3
	v_add_u32_e32 v4, s33, v0
	v_add_u32_e32 v0, 0x100, v0
	global_store_byte v4, v1, s[8:9]
	s_or_b64 exec, exec, s[0:1]
	v_cmp_gt_i32_e32 vcc, s12, v0
	s_and_saveexec_b64 s[0:1], vcc
	s_cbranch_execz .LBB153_513
.LBB153_529:
	v_add_u32_e32 v1, s33, v0
	v_add_u32_e32 v0, 0x100, v0
	global_store_byte_d16_hi v1, v3, s[8:9]
	s_or_b64 exec, exec, s[0:1]
	v_cmp_gt_i32_e32 vcc, s12, v0
	s_and_saveexec_b64 s[0:1], vcc
	s_cbranch_execz .LBB153_514
.LBB153_530:
	v_lshrrev_b32_e32 v1, 24, v3
	v_add_u32_e32 v3, s33, v0
	v_add_u32_e32 v0, 0x100, v0
	global_store_byte v3, v1, s[8:9]
	s_or_b64 exec, exec, s[0:1]
	v_cmp_gt_i32_e32 vcc, s12, v0
	s_and_saveexec_b64 s[0:1], vcc
	s_cbranch_execz .LBB153_515
.LBB153_531:
	v_add_u32_e32 v1, s33, v0
	v_add_u32_e32 v0, 0x100, v0
	global_store_byte v1, v2, s[8:9]
	s_or_b64 exec, exec, s[0:1]
	v_cmp_gt_i32_e32 vcc, s12, v0
	s_and_saveexec_b64 s[0:1], vcc
	s_cbranch_execz .LBB153_516
.LBB153_532:
	v_lshrrev_b32_e32 v1, 8, v2
	v_add_u32_e32 v3, s33, v0
	v_add_u32_e32 v0, 0x100, v0
	global_store_byte v3, v1, s[8:9]
	s_or_b64 exec, exec, s[0:1]
	v_cmp_gt_i32_e32 vcc, s12, v0
	s_and_saveexec_b64 s[0:1], vcc
	s_cbranch_execz .LBB153_517
.LBB153_533:
	v_add_u32_e32 v1, s33, v0
	v_add_u32_e32 v0, 0x100, v0
	global_store_byte_d16_hi v1, v2, s[8:9]
	s_or_b64 exec, exec, s[0:1]
	v_cmp_gt_i32_e32 vcc, s12, v0
	s_and_saveexec_b64 s[0:1], vcc
	s_cbranch_execnz .LBB153_518
	s_branch .LBB153_519
.LBB153_534:
	s_xor_b64 s[10:11], s[6:7], -1
	s_and_b64 s[16:17], s[4:5], s[10:11]
	s_andn2_b64 s[14:15], s[14:15], exec
	s_and_b64 s[16:17], s[16:17], exec
	s_or_b64 s[14:15], s[14:15], s[16:17]
	s_cbranch_execz .LBB153_499
	s_branch .LBB153_500
.LBB153_535:
	s_mov_b64 s[74:75], -1
                                        ; implicit-def: $sgpr14_sgpr15
	s_branch .LBB153_285
.LBB153_536:
	s_mov_b64 s[70:71], -1
                                        ; implicit-def: $sgpr14_sgpr15
	s_branch .LBB153_300
.LBB153_537:
	s_mov_b64 s[66:67], -1
                                        ; implicit-def: $sgpr14_sgpr15
	s_branch .LBB153_315
.LBB153_538:
	s_mov_b64 s[62:63], -1
                                        ; implicit-def: $sgpr14_sgpr15
	s_branch .LBB153_330
.LBB153_539:
	s_mov_b64 s[58:59], -1
                                        ; implicit-def: $sgpr14_sgpr15
	s_branch .LBB153_345
.LBB153_540:
	s_mov_b64 s[54:55], -1
                                        ; implicit-def: $sgpr14_sgpr15
	s_branch .LBB153_360
.LBB153_541:
	s_mov_b64 s[50:51], -1
                                        ; implicit-def: $sgpr14_sgpr15
	s_branch .LBB153_375
.LBB153_542:
	s_mov_b64 s[46:47], -1
                                        ; implicit-def: $sgpr14_sgpr15
	s_branch .LBB153_390
.LBB153_543:
	s_mov_b64 s[42:43], -1
                                        ; implicit-def: $sgpr14_sgpr15
	s_branch .LBB153_405
.LBB153_544:
	s_mov_b64 s[38:39], -1
                                        ; implicit-def: $sgpr14_sgpr15
	s_branch .LBB153_420
.LBB153_545:
	s_mov_b64 s[34:35], -1
                                        ; implicit-def: $sgpr14_sgpr15
	s_branch .LBB153_435
.LBB153_546:
	s_mov_b64 s[28:29], -1
                                        ; implicit-def: $sgpr14_sgpr15
	s_branch .LBB153_450
.LBB153_547:
	s_mov_b64 s[24:25], -1
                                        ; implicit-def: $sgpr14_sgpr15
	s_branch .LBB153_465
.LBB153_548:
	s_mov_b64 s[20:21], -1
                                        ; implicit-def: $sgpr14_sgpr15
	s_branch .LBB153_480
.LBB153_549:
	s_mov_b64 s[16:17], -1
                                        ; implicit-def: $sgpr14_sgpr15
	s_branch .LBB153_495
	.section	.rodata,"a",@progbits
	.p2align	6, 0x0
	.amdhsa_kernel _ZN2at6native29vectorized_elementwise_kernelILi8ENS0_12_GLOBAL__N_114CompareFunctorIbEESt5arrayIPcLm3EEEEviT0_T1_
		.amdhsa_group_segment_fixed_size 0
		.amdhsa_private_segment_fixed_size 0
		.amdhsa_kernarg_size 32
		.amdhsa_user_sgpr_count 6
		.amdhsa_user_sgpr_private_segment_buffer 1
		.amdhsa_user_sgpr_dispatch_ptr 0
		.amdhsa_user_sgpr_queue_ptr 0
		.amdhsa_user_sgpr_kernarg_segment_ptr 1
		.amdhsa_user_sgpr_dispatch_id 0
		.amdhsa_user_sgpr_flat_scratch_init 0
		.amdhsa_user_sgpr_private_segment_size 0
		.amdhsa_uses_dynamic_stack 0
		.amdhsa_system_sgpr_private_segment_wavefront_offset 0
		.amdhsa_system_sgpr_workgroup_id_x 1
		.amdhsa_system_sgpr_workgroup_id_y 0
		.amdhsa_system_sgpr_workgroup_id_z 0
		.amdhsa_system_sgpr_workgroup_info 0
		.amdhsa_system_vgpr_workitem_id 0
		.amdhsa_next_free_vgpr 11
		.amdhsa_next_free_sgpr 82
		.amdhsa_reserve_vcc 1
		.amdhsa_reserve_flat_scratch 0
		.amdhsa_float_round_mode_32 0
		.amdhsa_float_round_mode_16_64 0
		.amdhsa_float_denorm_mode_32 3
		.amdhsa_float_denorm_mode_16_64 3
		.amdhsa_dx10_clamp 1
		.amdhsa_ieee_mode 1
		.amdhsa_fp16_overflow 0
		.amdhsa_exception_fp_ieee_invalid_op 0
		.amdhsa_exception_fp_denorm_src 0
		.amdhsa_exception_fp_ieee_div_zero 0
		.amdhsa_exception_fp_ieee_overflow 0
		.amdhsa_exception_fp_ieee_underflow 0
		.amdhsa_exception_fp_ieee_inexact 0
		.amdhsa_exception_int_div_zero 0
	.end_amdhsa_kernel
	.section	.text._ZN2at6native29vectorized_elementwise_kernelILi8ENS0_12_GLOBAL__N_114CompareFunctorIbEESt5arrayIPcLm3EEEEviT0_T1_,"axG",@progbits,_ZN2at6native29vectorized_elementwise_kernelILi8ENS0_12_GLOBAL__N_114CompareFunctorIbEESt5arrayIPcLm3EEEEviT0_T1_,comdat
.Lfunc_end153:
	.size	_ZN2at6native29vectorized_elementwise_kernelILi8ENS0_12_GLOBAL__N_114CompareFunctorIbEESt5arrayIPcLm3EEEEviT0_T1_, .Lfunc_end153-_ZN2at6native29vectorized_elementwise_kernelILi8ENS0_12_GLOBAL__N_114CompareFunctorIbEESt5arrayIPcLm3EEEEviT0_T1_
                                        ; -- End function
	.set _ZN2at6native29vectorized_elementwise_kernelILi8ENS0_12_GLOBAL__N_114CompareFunctorIbEESt5arrayIPcLm3EEEEviT0_T1_.num_vgpr, 11
	.set _ZN2at6native29vectorized_elementwise_kernelILi8ENS0_12_GLOBAL__N_114CompareFunctorIbEESt5arrayIPcLm3EEEEviT0_T1_.num_agpr, 0
	.set _ZN2at6native29vectorized_elementwise_kernelILi8ENS0_12_GLOBAL__N_114CompareFunctorIbEESt5arrayIPcLm3EEEEviT0_T1_.numbered_sgpr, 82
	.set _ZN2at6native29vectorized_elementwise_kernelILi8ENS0_12_GLOBAL__N_114CompareFunctorIbEESt5arrayIPcLm3EEEEviT0_T1_.num_named_barrier, 0
	.set _ZN2at6native29vectorized_elementwise_kernelILi8ENS0_12_GLOBAL__N_114CompareFunctorIbEESt5arrayIPcLm3EEEEviT0_T1_.private_seg_size, 0
	.set _ZN2at6native29vectorized_elementwise_kernelILi8ENS0_12_GLOBAL__N_114CompareFunctorIbEESt5arrayIPcLm3EEEEviT0_T1_.uses_vcc, 1
	.set _ZN2at6native29vectorized_elementwise_kernelILi8ENS0_12_GLOBAL__N_114CompareFunctorIbEESt5arrayIPcLm3EEEEviT0_T1_.uses_flat_scratch, 0
	.set _ZN2at6native29vectorized_elementwise_kernelILi8ENS0_12_GLOBAL__N_114CompareFunctorIbEESt5arrayIPcLm3EEEEviT0_T1_.has_dyn_sized_stack, 0
	.set _ZN2at6native29vectorized_elementwise_kernelILi8ENS0_12_GLOBAL__N_114CompareFunctorIbEESt5arrayIPcLm3EEEEviT0_T1_.has_recursion, 0
	.set _ZN2at6native29vectorized_elementwise_kernelILi8ENS0_12_GLOBAL__N_114CompareFunctorIbEESt5arrayIPcLm3EEEEviT0_T1_.has_indirect_call, 0
	.section	.AMDGPU.csdata,"",@progbits
; Kernel info:
; codeLenInByte = 9560
; TotalNumSgprs: 86
; NumVgprs: 11
; ScratchSize: 0
; MemoryBound: 0
; FloatMode: 240
; IeeeMode: 1
; LDSByteSize: 0 bytes/workgroup (compile time only)
; SGPRBlocks: 10
; VGPRBlocks: 2
; NumSGPRsForWavesPerEU: 86
; NumVGPRsForWavesPerEU: 11
; Occupancy: 9
; WaveLimiterHint : 1
; COMPUTE_PGM_RSRC2:SCRATCH_EN: 0
; COMPUTE_PGM_RSRC2:USER_SGPR: 6
; COMPUTE_PGM_RSRC2:TRAP_HANDLER: 0
; COMPUTE_PGM_RSRC2:TGID_X_EN: 1
; COMPUTE_PGM_RSRC2:TGID_Y_EN: 0
; COMPUTE_PGM_RSRC2:TGID_Z_EN: 0
; COMPUTE_PGM_RSRC2:TIDIG_COMP_CNT: 0
	.section	.text._ZN2at6native29vectorized_elementwise_kernelILi4ENS0_12_GLOBAL__N_114CompareFunctorIbEESt5arrayIPcLm3EEEEviT0_T1_,"axG",@progbits,_ZN2at6native29vectorized_elementwise_kernelILi4ENS0_12_GLOBAL__N_114CompareFunctorIbEESt5arrayIPcLm3EEEEviT0_T1_,comdat
	.globl	_ZN2at6native29vectorized_elementwise_kernelILi4ENS0_12_GLOBAL__N_114CompareFunctorIbEESt5arrayIPcLm3EEEEviT0_T1_ ; -- Begin function _ZN2at6native29vectorized_elementwise_kernelILi4ENS0_12_GLOBAL__N_114CompareFunctorIbEESt5arrayIPcLm3EEEEviT0_T1_
	.p2align	8
	.type	_ZN2at6native29vectorized_elementwise_kernelILi4ENS0_12_GLOBAL__N_114CompareFunctorIbEESt5arrayIPcLm3EEEEviT0_T1_,@function
_ZN2at6native29vectorized_elementwise_kernelILi4ENS0_12_GLOBAL__N_114CompareFunctorIbEESt5arrayIPcLm3EEEEviT0_T1_: ; @_ZN2at6native29vectorized_elementwise_kernelILi4ENS0_12_GLOBAL__N_114CompareFunctorIbEESt5arrayIPcLm3EEEEviT0_T1_
; %bb.0:
	s_load_dwordx2 s[12:13], s[4:5], 0x0
	s_load_dwordx4 s[8:11], s[4:5], 0x8
	s_load_dwordx2 s[14:15], s[4:5], 0x18
	s_lshl_b32 s33, s6, 12
	s_mov_b64 s[0:1], -1
	s_waitcnt lgkmcnt(0)
	s_sub_i32 s12, s12, s33
	s_cmpk_gt_i32 s12, 0xfff
	s_cbranch_scc0 .LBB154_211
; %bb.1:
	s_ashr_i32 s52, s33, 31
	s_add_u32 s0, s10, s33
	s_addc_u32 s1, s11, s52
	v_lshlrev_b32_e32 v1, 2, v0
	s_add_u32 s2, s14, s33
	s_addc_u32 s3, s15, s52
	global_load_dword v8, v1, s[0:1]
	global_load_dword v6, v1, s[0:1] offset:1024
	global_load_dword v4, v1, s[0:1] offset:2048
	;; [unrolled: 1-line block ×3, first 2 shown]
	global_load_dword v9, v1, s[2:3]
	global_load_dword v7, v1, s[2:3] offset:1024
	global_load_dword v5, v1, s[2:3] offset:2048
	;; [unrolled: 1-line block ×3, first 2 shown]
	v_mov_b32_e32 v10, 0
	s_cmp_lt_i32 s13, 1
	s_mov_b64 s[6:7], 0
	s_waitcnt vmcnt(7)
	v_cmp_ne_u32_sdwa s[0:1], v8, v10 src0_sel:BYTE_0 src1_sel:DWORD
	s_waitcnt vmcnt(3)
	v_cmp_ne_u32_sdwa s[2:3], v9, v10 src0_sel:BYTE_0 src1_sel:DWORD
	s_cbranch_scc1 .LBB154_5
; %bb.2:
	s_cmp_gt_i32 s13, 1
	s_cbranch_scc0 .LBB154_6
; %bb.3:
	s_cmp_eq_u32 s13, 2
	s_cbranch_scc0 .LBB154_7
; %bb.4:
	s_xor_b64 s[4:5], s[0:1], -1
	s_or_b64 s[4:5], s[2:3], s[4:5]
	s_mov_b64 s[16:17], 0
	s_branch .LBB154_8
.LBB154_5:
                                        ; implicit-def: $sgpr4_sgpr5
	s_mov_b64 s[16:17], 0
	s_cbranch_execnz .LBB154_11
	s_branch .LBB154_12
.LBB154_6:
	s_mov_b64 s[16:17], 0
                                        ; implicit-def: $sgpr4_sgpr5
	s_cbranch_execnz .LBB154_9
	s_branch .LBB154_10
.LBB154_7:
	s_mov_b64 s[16:17], -1
                                        ; implicit-def: $sgpr4_sgpr5
.LBB154_8:
	s_branch .LBB154_10
.LBB154_9:
	s_xor_b64 s[18:19], s[2:3], -1
	s_and_b64 s[18:19], s[0:1], s[18:19]
	s_andn2_b64 s[4:5], s[4:5], exec
	s_and_b64 s[18:19], s[18:19], exec
	s_or_b64 s[4:5], s[4:5], s[18:19]
.LBB154_10:
	s_branch .LBB154_12
.LBB154_11:
	s_cmp_lg_u32 s13, 0
	s_mov_b64 s[6:7], -1
	s_cselect_b64 s[16:17], -1, 0
.LBB154_12:
	s_andn2_b64 vcc, exec, s[16:17]
	s_cbranch_vccz .LBB154_19
; %bb.13:
	s_andn2_b64 vcc, exec, s[6:7]
	s_cbranch_vccnz .LBB154_15
.LBB154_14:
	s_xor_b64 s[2:3], s[2:3], -1
	s_or_b64 s[0:1], s[0:1], s[2:3]
	s_andn2_b64 s[2:3], s[4:5], exec
	s_and_b64 s[0:1], s[0:1], exec
	s_or_b64 s[4:5], s[2:3], s[0:1]
.LBB154_15:
	v_and_b32_e32 v10, 0xff00, v8
	v_cmp_ne_u32_e64 s[0:1], 0, v10
	v_and_b32_e32 v10, 0xff00, v9
	v_cmp_ne_u32_e64 s[2:3], 0, v10
	s_cmp_lt_i32 s13, 1
	s_mov_b64 s[16:17], 0
	s_cbranch_scc1 .LBB154_20
; %bb.16:
	s_cmp_gt_i32 s13, 1
	s_cbranch_scc0 .LBB154_21
; %bb.17:
	s_cmp_eq_u32 s13, 2
	s_cbranch_scc0 .LBB154_251
; %bb.18:
	s_xor_b64 s[6:7], s[0:1], -1
	s_or_b64 s[6:7], s[2:3], s[6:7]
	s_mov_b64 s[18:19], 0
	s_branch .LBB154_23
.LBB154_19:
	s_xor_b64 s[6:7], s[0:1], -1
	s_and_b64 s[16:17], s[2:3], s[6:7]
	s_andn2_b64 s[4:5], s[4:5], exec
	s_and_b64 s[16:17], s[16:17], exec
	s_or_b64 s[4:5], s[4:5], s[16:17]
	s_cbranch_execz .LBB154_14
	s_branch .LBB154_15
.LBB154_20:
                                        ; implicit-def: $sgpr6_sgpr7
	s_mov_b64 s[18:19], 0
	s_cbranch_execnz .LBB154_24
	s_branch .LBB154_25
.LBB154_21:
	s_mov_b64 s[18:19], 0
                                        ; implicit-def: $sgpr6_sgpr7
	s_cbranch_execz .LBB154_23
; %bb.22:
	s_xor_b64 s[20:21], s[2:3], -1
	s_and_b64 s[20:21], s[0:1], s[20:21]
	s_andn2_b64 s[6:7], s[6:7], exec
	s_and_b64 s[20:21], s[20:21], exec
	s_or_b64 s[6:7], s[6:7], s[20:21]
.LBB154_23:
	s_branch .LBB154_25
.LBB154_24:
	s_cmp_lg_u32 s13, 0
	s_mov_b64 s[16:17], -1
	s_cselect_b64 s[18:19], -1, 0
.LBB154_25:
	s_andn2_b64 vcc, exec, s[18:19]
	s_cbranch_vccz .LBB154_32
; %bb.26:
	s_andn2_b64 vcc, exec, s[16:17]
	s_cbranch_vccnz .LBB154_28
.LBB154_27:
	s_xor_b64 s[2:3], s[2:3], -1
	s_or_b64 s[0:1], s[0:1], s[2:3]
	s_andn2_b64 s[2:3], s[6:7], exec
	s_and_b64 s[0:1], s[0:1], exec
	s_or_b64 s[6:7], s[2:3], s[0:1]
.LBB154_28:
	v_and_b32_e32 v10, 0xff0000, v8
	v_cmp_ne_u32_e64 s[0:1], 0, v10
	v_and_b32_e32 v10, 0xff0000, v9
	v_cmp_ne_u32_e64 s[2:3], 0, v10
	s_cmp_lt_i32 s13, 1
	s_mov_b64 s[18:19], 0
	s_cbranch_scc1 .LBB154_33
; %bb.29:
	s_cmp_gt_i32 s13, 1
	s_cbranch_scc0 .LBB154_34
; %bb.30:
	s_cmp_eq_u32 s13, 2
	s_cbranch_scc0 .LBB154_252
; %bb.31:
	s_xor_b64 s[16:17], s[0:1], -1
	s_or_b64 s[16:17], s[2:3], s[16:17]
	s_mov_b64 s[20:21], 0
	s_branch .LBB154_36
.LBB154_32:
	s_xor_b64 s[16:17], s[0:1], -1
	s_and_b64 s[18:19], s[2:3], s[16:17]
	s_andn2_b64 s[6:7], s[6:7], exec
	s_and_b64 s[18:19], s[18:19], exec
	s_or_b64 s[6:7], s[6:7], s[18:19]
	s_cbranch_execz .LBB154_27
	s_branch .LBB154_28
.LBB154_33:
                                        ; implicit-def: $sgpr16_sgpr17
	s_mov_b64 s[20:21], 0
	s_cbranch_execnz .LBB154_37
	s_branch .LBB154_38
.LBB154_34:
	s_mov_b64 s[20:21], 0
                                        ; implicit-def: $sgpr16_sgpr17
	s_cbranch_execz .LBB154_36
; %bb.35:
	s_xor_b64 s[22:23], s[2:3], -1
	s_and_b64 s[22:23], s[0:1], s[22:23]
	s_andn2_b64 s[16:17], s[16:17], exec
	s_and_b64 s[22:23], s[22:23], exec
	s_or_b64 s[16:17], s[16:17], s[22:23]
.LBB154_36:
	s_branch .LBB154_38
.LBB154_37:
	s_cmp_lg_u32 s13, 0
	s_mov_b64 s[18:19], -1
	s_cselect_b64 s[20:21], -1, 0
.LBB154_38:
	s_andn2_b64 vcc, exec, s[20:21]
	s_cbranch_vccz .LBB154_45
; %bb.39:
	s_andn2_b64 vcc, exec, s[18:19]
	s_cbranch_vccnz .LBB154_41
.LBB154_40:
	s_xor_b64 s[2:3], s[2:3], -1
	s_or_b64 s[0:1], s[0:1], s[2:3]
	s_andn2_b64 s[2:3], s[16:17], exec
	s_and_b64 s[0:1], s[0:1], exec
	s_or_b64 s[16:17], s[2:3], s[0:1]
.LBB154_41:
	s_mov_b32 s2, 0xffffff
	v_cmp_lt_u32_e64 s[0:1], s2, v8
	v_cmp_lt_u32_e64 s[2:3], s2, v9
	s_cmp_lt_i32 s13, 1
	s_mov_b64 s[20:21], 0
	s_cbranch_scc1 .LBB154_46
; %bb.42:
	s_cmp_gt_i32 s13, 1
	s_cbranch_scc0 .LBB154_47
; %bb.43:
	s_cmp_eq_u32 s13, 2
	s_cbranch_scc0 .LBB154_253
; %bb.44:
	s_xor_b64 s[18:19], s[0:1], -1
	s_or_b64 s[18:19], s[2:3], s[18:19]
	s_mov_b64 s[22:23], 0
	s_branch .LBB154_49
.LBB154_45:
	s_xor_b64 s[18:19], s[0:1], -1
	s_and_b64 s[20:21], s[2:3], s[18:19]
	s_andn2_b64 s[16:17], s[16:17], exec
	s_and_b64 s[20:21], s[20:21], exec
	s_or_b64 s[16:17], s[16:17], s[20:21]
	s_cbranch_execz .LBB154_40
	s_branch .LBB154_41
.LBB154_46:
                                        ; implicit-def: $sgpr18_sgpr19
	s_mov_b64 s[22:23], 0
	s_cbranch_execnz .LBB154_50
	s_branch .LBB154_51
.LBB154_47:
	s_mov_b64 s[22:23], 0
                                        ; implicit-def: $sgpr18_sgpr19
	s_cbranch_execz .LBB154_49
; %bb.48:
	s_xor_b64 s[24:25], s[2:3], -1
	s_and_b64 s[24:25], s[0:1], s[24:25]
	s_andn2_b64 s[18:19], s[18:19], exec
	s_and_b64 s[24:25], s[24:25], exec
	s_or_b64 s[18:19], s[18:19], s[24:25]
.LBB154_49:
	s_branch .LBB154_51
.LBB154_50:
	s_cmp_lg_u32 s13, 0
	s_mov_b64 s[20:21], -1
	s_cselect_b64 s[22:23], -1, 0
.LBB154_51:
	s_andn2_b64 vcc, exec, s[22:23]
	s_cbranch_vccz .LBB154_58
; %bb.52:
	s_andn2_b64 vcc, exec, s[20:21]
	s_cbranch_vccnz .LBB154_54
.LBB154_53:
	s_xor_b64 s[2:3], s[2:3], -1
	s_or_b64 s[0:1], s[0:1], s[2:3]
	s_andn2_b64 s[2:3], s[18:19], exec
	s_and_b64 s[0:1], s[0:1], exec
	s_or_b64 s[18:19], s[2:3], s[0:1]
.LBB154_54:
	v_mov_b32_e32 v8, 0
	v_cmp_ne_u32_sdwa s[0:1], v6, v8 src0_sel:BYTE_0 src1_sel:DWORD
	s_waitcnt vmcnt(2)
	v_cmp_ne_u32_sdwa s[2:3], v7, v8 src0_sel:BYTE_0 src1_sel:DWORD
	s_cmp_lt_i32 s13, 1
	s_mov_b64 s[22:23], 0
	s_cbranch_scc1 .LBB154_59
; %bb.55:
	s_cmp_gt_i32 s13, 1
	s_cbranch_scc0 .LBB154_60
; %bb.56:
	s_cmp_eq_u32 s13, 2
	s_cbranch_scc0 .LBB154_254
; %bb.57:
	s_xor_b64 s[20:21], s[0:1], -1
	s_or_b64 s[20:21], s[2:3], s[20:21]
	s_mov_b64 s[24:25], 0
	s_branch .LBB154_62
.LBB154_58:
	s_xor_b64 s[20:21], s[0:1], -1
	s_and_b64 s[22:23], s[2:3], s[20:21]
	s_andn2_b64 s[18:19], s[18:19], exec
	s_and_b64 s[22:23], s[22:23], exec
	s_or_b64 s[18:19], s[18:19], s[22:23]
	s_cbranch_execz .LBB154_53
	s_branch .LBB154_54
.LBB154_59:
                                        ; implicit-def: $sgpr20_sgpr21
	s_mov_b64 s[24:25], 0
	s_cbranch_execnz .LBB154_63
	s_branch .LBB154_64
.LBB154_60:
	s_mov_b64 s[24:25], 0
                                        ; implicit-def: $sgpr20_sgpr21
	s_cbranch_execz .LBB154_62
; %bb.61:
	s_xor_b64 s[26:27], s[2:3], -1
	s_and_b64 s[26:27], s[0:1], s[26:27]
	s_andn2_b64 s[20:21], s[20:21], exec
	s_and_b64 s[26:27], s[26:27], exec
	s_or_b64 s[20:21], s[20:21], s[26:27]
.LBB154_62:
	s_branch .LBB154_64
.LBB154_63:
	s_cmp_lg_u32 s13, 0
	s_mov_b64 s[22:23], -1
	s_cselect_b64 s[24:25], -1, 0
.LBB154_64:
	s_andn2_b64 vcc, exec, s[24:25]
	s_cbranch_vccz .LBB154_71
; %bb.65:
	s_andn2_b64 vcc, exec, s[22:23]
	s_cbranch_vccnz .LBB154_67
.LBB154_66:
	s_xor_b64 s[2:3], s[2:3], -1
	s_or_b64 s[0:1], s[0:1], s[2:3]
	s_andn2_b64 s[2:3], s[20:21], exec
	s_and_b64 s[0:1], s[0:1], exec
	s_or_b64 s[20:21], s[2:3], s[0:1]
.LBB154_67:
	v_and_b32_e32 v8, 0xff00, v6
	v_cmp_ne_u32_e64 s[0:1], 0, v8
	v_and_b32_e32 v8, 0xff00, v7
	v_cmp_ne_u32_e64 s[2:3], 0, v8
	s_cmp_lt_i32 s13, 1
	s_mov_b64 s[24:25], 0
	s_cbranch_scc1 .LBB154_72
; %bb.68:
	s_cmp_gt_i32 s13, 1
	s_cbranch_scc0 .LBB154_73
; %bb.69:
	s_cmp_eq_u32 s13, 2
	s_cbranch_scc0 .LBB154_255
; %bb.70:
	s_xor_b64 s[22:23], s[0:1], -1
	s_or_b64 s[22:23], s[2:3], s[22:23]
	s_mov_b64 s[26:27], 0
	s_branch .LBB154_75
.LBB154_71:
	s_xor_b64 s[22:23], s[0:1], -1
	s_and_b64 s[24:25], s[2:3], s[22:23]
	s_andn2_b64 s[20:21], s[20:21], exec
	s_and_b64 s[24:25], s[24:25], exec
	s_or_b64 s[20:21], s[20:21], s[24:25]
	s_cbranch_execz .LBB154_66
	s_branch .LBB154_67
.LBB154_72:
                                        ; implicit-def: $sgpr22_sgpr23
	s_mov_b64 s[26:27], 0
	s_cbranch_execnz .LBB154_76
	s_branch .LBB154_77
.LBB154_73:
	s_mov_b64 s[26:27], 0
                                        ; implicit-def: $sgpr22_sgpr23
	s_cbranch_execz .LBB154_75
; %bb.74:
	s_xor_b64 s[28:29], s[2:3], -1
	s_and_b64 s[28:29], s[0:1], s[28:29]
	s_andn2_b64 s[22:23], s[22:23], exec
	s_and_b64 s[28:29], s[28:29], exec
	s_or_b64 s[22:23], s[22:23], s[28:29]
.LBB154_75:
	s_branch .LBB154_77
.LBB154_76:
	s_cmp_lg_u32 s13, 0
	s_mov_b64 s[24:25], -1
	s_cselect_b64 s[26:27], -1, 0
.LBB154_77:
	s_andn2_b64 vcc, exec, s[26:27]
	s_cbranch_vccz .LBB154_84
; %bb.78:
	s_andn2_b64 vcc, exec, s[24:25]
	s_cbranch_vccnz .LBB154_80
.LBB154_79:
	s_xor_b64 s[2:3], s[2:3], -1
	s_or_b64 s[0:1], s[0:1], s[2:3]
	s_andn2_b64 s[2:3], s[22:23], exec
	s_and_b64 s[0:1], s[0:1], exec
	s_or_b64 s[22:23], s[2:3], s[0:1]
.LBB154_80:
	v_and_b32_e32 v8, 0xff0000, v6
	v_cmp_ne_u32_e64 s[0:1], 0, v8
	v_and_b32_e32 v8, 0xff0000, v7
	v_cmp_ne_u32_e64 s[2:3], 0, v8
	s_cmp_lt_i32 s13, 1
	s_mov_b64 s[26:27], 0
	s_cbranch_scc1 .LBB154_85
; %bb.81:
	s_cmp_gt_i32 s13, 1
	s_cbranch_scc0 .LBB154_86
; %bb.82:
	s_cmp_eq_u32 s13, 2
	s_cbranch_scc0 .LBB154_256
; %bb.83:
	s_xor_b64 s[24:25], s[0:1], -1
	s_or_b64 s[24:25], s[2:3], s[24:25]
	s_mov_b64 s[28:29], 0
	s_branch .LBB154_88
.LBB154_84:
	s_xor_b64 s[24:25], s[0:1], -1
	s_and_b64 s[26:27], s[2:3], s[24:25]
	s_andn2_b64 s[22:23], s[22:23], exec
	s_and_b64 s[26:27], s[26:27], exec
	s_or_b64 s[22:23], s[22:23], s[26:27]
	s_cbranch_execz .LBB154_79
	s_branch .LBB154_80
.LBB154_85:
                                        ; implicit-def: $sgpr24_sgpr25
	s_mov_b64 s[28:29], 0
	s_cbranch_execnz .LBB154_89
	s_branch .LBB154_90
.LBB154_86:
	s_mov_b64 s[28:29], 0
                                        ; implicit-def: $sgpr24_sgpr25
	s_cbranch_execz .LBB154_88
; %bb.87:
	s_xor_b64 s[30:31], s[2:3], -1
	s_and_b64 s[30:31], s[0:1], s[30:31]
	s_andn2_b64 s[24:25], s[24:25], exec
	s_and_b64 s[30:31], s[30:31], exec
	s_or_b64 s[24:25], s[24:25], s[30:31]
.LBB154_88:
	s_branch .LBB154_90
.LBB154_89:
	s_cmp_lg_u32 s13, 0
	s_mov_b64 s[26:27], -1
	s_cselect_b64 s[28:29], -1, 0
.LBB154_90:
	s_andn2_b64 vcc, exec, s[28:29]
	s_cbranch_vccz .LBB154_97
; %bb.91:
	s_andn2_b64 vcc, exec, s[26:27]
	s_cbranch_vccnz .LBB154_93
.LBB154_92:
	s_xor_b64 s[2:3], s[2:3], -1
	s_or_b64 s[0:1], s[0:1], s[2:3]
	s_andn2_b64 s[2:3], s[24:25], exec
	s_and_b64 s[0:1], s[0:1], exec
	s_or_b64 s[24:25], s[2:3], s[0:1]
.LBB154_93:
	s_mov_b32 s2, 0xffffff
	v_cmp_lt_u32_e64 s[0:1], s2, v6
	v_cmp_lt_u32_e64 s[2:3], s2, v7
	s_cmp_lt_i32 s13, 1
	s_mov_b64 s[28:29], 0
	s_cbranch_scc1 .LBB154_98
; %bb.94:
	s_cmp_gt_i32 s13, 1
	s_cbranch_scc0 .LBB154_99
; %bb.95:
	s_cmp_eq_u32 s13, 2
	s_cbranch_scc0 .LBB154_257
; %bb.96:
	s_xor_b64 s[26:27], s[0:1], -1
	s_or_b64 s[26:27], s[2:3], s[26:27]
	s_mov_b64 s[30:31], 0
	s_branch .LBB154_101
.LBB154_97:
	s_xor_b64 s[26:27], s[0:1], -1
	s_and_b64 s[28:29], s[2:3], s[26:27]
	s_andn2_b64 s[24:25], s[24:25], exec
	s_and_b64 s[28:29], s[28:29], exec
	s_or_b64 s[24:25], s[24:25], s[28:29]
	s_cbranch_execz .LBB154_92
	s_branch .LBB154_93
.LBB154_98:
                                        ; implicit-def: $sgpr26_sgpr27
	s_mov_b64 s[30:31], 0
	s_cbranch_execnz .LBB154_102
	s_branch .LBB154_103
.LBB154_99:
	s_mov_b64 s[30:31], 0
                                        ; implicit-def: $sgpr26_sgpr27
	s_cbranch_execz .LBB154_101
; %bb.100:
	s_xor_b64 s[34:35], s[2:3], -1
	s_and_b64 s[34:35], s[0:1], s[34:35]
	s_andn2_b64 s[26:27], s[26:27], exec
	s_and_b64 s[34:35], s[34:35], exec
	s_or_b64 s[26:27], s[26:27], s[34:35]
.LBB154_101:
	s_branch .LBB154_103
.LBB154_102:
	s_cmp_lg_u32 s13, 0
	s_mov_b64 s[28:29], -1
	s_cselect_b64 s[30:31], -1, 0
.LBB154_103:
	s_andn2_b64 vcc, exec, s[30:31]
	s_cbranch_vccz .LBB154_110
; %bb.104:
	s_andn2_b64 vcc, exec, s[28:29]
	s_cbranch_vccnz .LBB154_106
.LBB154_105:
	s_xor_b64 s[2:3], s[2:3], -1
	s_or_b64 s[0:1], s[0:1], s[2:3]
	s_andn2_b64 s[2:3], s[26:27], exec
	s_and_b64 s[0:1], s[0:1], exec
	s_or_b64 s[26:27], s[2:3], s[0:1]
.LBB154_106:
	v_mov_b32_e32 v6, 0
	v_cmp_ne_u32_sdwa s[0:1], v4, v6 src0_sel:BYTE_0 src1_sel:DWORD
	s_waitcnt vmcnt(1)
	v_cmp_ne_u32_sdwa s[2:3], v5, v6 src0_sel:BYTE_0 src1_sel:DWORD
	s_cmp_lt_i32 s13, 1
	s_mov_b64 s[30:31], 0
	s_cbranch_scc1 .LBB154_111
; %bb.107:
	s_cmp_gt_i32 s13, 1
	s_cbranch_scc0 .LBB154_112
; %bb.108:
	s_cmp_eq_u32 s13, 2
	s_cbranch_scc0 .LBB154_258
; %bb.109:
	s_xor_b64 s[28:29], s[0:1], -1
	s_or_b64 s[28:29], s[2:3], s[28:29]
	s_mov_b64 s[34:35], 0
	s_branch .LBB154_114
.LBB154_110:
	s_xor_b64 s[28:29], s[0:1], -1
	s_and_b64 s[30:31], s[2:3], s[28:29]
	s_andn2_b64 s[26:27], s[26:27], exec
	s_and_b64 s[30:31], s[30:31], exec
	s_or_b64 s[26:27], s[26:27], s[30:31]
	s_cbranch_execz .LBB154_105
	s_branch .LBB154_106
.LBB154_111:
                                        ; implicit-def: $sgpr28_sgpr29
	s_mov_b64 s[34:35], 0
	s_cbranch_execnz .LBB154_115
	s_branch .LBB154_116
.LBB154_112:
	s_mov_b64 s[34:35], 0
                                        ; implicit-def: $sgpr28_sgpr29
	s_cbranch_execz .LBB154_114
; %bb.113:
	s_xor_b64 s[36:37], s[2:3], -1
	s_and_b64 s[36:37], s[0:1], s[36:37]
	s_andn2_b64 s[28:29], s[28:29], exec
	s_and_b64 s[36:37], s[36:37], exec
	s_or_b64 s[28:29], s[28:29], s[36:37]
.LBB154_114:
	s_branch .LBB154_116
.LBB154_115:
	s_cmp_lg_u32 s13, 0
	s_mov_b64 s[30:31], -1
	s_cselect_b64 s[34:35], -1, 0
.LBB154_116:
	s_andn2_b64 vcc, exec, s[34:35]
	s_cbranch_vccz .LBB154_123
; %bb.117:
	s_andn2_b64 vcc, exec, s[30:31]
	s_cbranch_vccnz .LBB154_119
.LBB154_118:
	s_xor_b64 s[2:3], s[2:3], -1
	s_or_b64 s[0:1], s[0:1], s[2:3]
	s_andn2_b64 s[2:3], s[28:29], exec
	s_and_b64 s[0:1], s[0:1], exec
	s_or_b64 s[28:29], s[2:3], s[0:1]
.LBB154_119:
	v_and_b32_e32 v6, 0xff00, v4
	v_cmp_ne_u32_e64 s[0:1], 0, v6
	v_and_b32_e32 v6, 0xff00, v5
	v_cmp_ne_u32_e64 s[2:3], 0, v6
	s_cmp_lt_i32 s13, 1
	s_mov_b64 s[34:35], 0
	s_cbranch_scc1 .LBB154_124
; %bb.120:
	s_cmp_gt_i32 s13, 1
	s_cbranch_scc0 .LBB154_125
; %bb.121:
	s_cmp_eq_u32 s13, 2
	s_cbranch_scc0 .LBB154_259
; %bb.122:
	s_xor_b64 s[30:31], s[0:1], -1
	s_or_b64 s[30:31], s[2:3], s[30:31]
	s_mov_b64 s[36:37], 0
	s_branch .LBB154_127
.LBB154_123:
	s_xor_b64 s[30:31], s[0:1], -1
	s_and_b64 s[34:35], s[2:3], s[30:31]
	s_andn2_b64 s[28:29], s[28:29], exec
	s_and_b64 s[34:35], s[34:35], exec
	s_or_b64 s[28:29], s[28:29], s[34:35]
	s_cbranch_execz .LBB154_118
	s_branch .LBB154_119
.LBB154_124:
                                        ; implicit-def: $sgpr30_sgpr31
	s_mov_b64 s[36:37], 0
	s_cbranch_execnz .LBB154_128
	s_branch .LBB154_129
.LBB154_125:
	s_mov_b64 s[36:37], 0
                                        ; implicit-def: $sgpr30_sgpr31
	s_cbranch_execz .LBB154_127
; %bb.126:
	s_xor_b64 s[38:39], s[2:3], -1
	s_and_b64 s[38:39], s[0:1], s[38:39]
	s_andn2_b64 s[30:31], s[30:31], exec
	s_and_b64 s[38:39], s[38:39], exec
	s_or_b64 s[30:31], s[30:31], s[38:39]
.LBB154_127:
	s_branch .LBB154_129
.LBB154_128:
	s_cmp_lg_u32 s13, 0
	s_mov_b64 s[34:35], -1
	s_cselect_b64 s[36:37], -1, 0
.LBB154_129:
	s_andn2_b64 vcc, exec, s[36:37]
	s_cbranch_vccz .LBB154_136
; %bb.130:
	s_andn2_b64 vcc, exec, s[34:35]
	s_cbranch_vccnz .LBB154_132
.LBB154_131:
	s_xor_b64 s[2:3], s[2:3], -1
	s_or_b64 s[0:1], s[0:1], s[2:3]
	s_andn2_b64 s[2:3], s[30:31], exec
	s_and_b64 s[0:1], s[0:1], exec
	s_or_b64 s[30:31], s[2:3], s[0:1]
.LBB154_132:
	v_and_b32_e32 v6, 0xff0000, v4
	v_cmp_ne_u32_e64 s[0:1], 0, v6
	v_and_b32_e32 v6, 0xff0000, v5
	v_cmp_ne_u32_e64 s[2:3], 0, v6
	s_cmp_lt_i32 s13, 1
	s_mov_b64 s[36:37], 0
	s_cbranch_scc1 .LBB154_137
; %bb.133:
	s_cmp_gt_i32 s13, 1
	s_cbranch_scc0 .LBB154_138
; %bb.134:
	s_cmp_eq_u32 s13, 2
	s_cbranch_scc0 .LBB154_260
; %bb.135:
	s_xor_b64 s[34:35], s[0:1], -1
	s_or_b64 s[34:35], s[2:3], s[34:35]
	s_mov_b64 s[38:39], 0
	s_branch .LBB154_140
.LBB154_136:
	s_xor_b64 s[34:35], s[0:1], -1
	s_and_b64 s[36:37], s[2:3], s[34:35]
	s_andn2_b64 s[30:31], s[30:31], exec
	s_and_b64 s[36:37], s[36:37], exec
	s_or_b64 s[30:31], s[30:31], s[36:37]
	s_cbranch_execz .LBB154_131
	s_branch .LBB154_132
.LBB154_137:
                                        ; implicit-def: $sgpr34_sgpr35
	s_mov_b64 s[38:39], 0
	s_cbranch_execnz .LBB154_141
	s_branch .LBB154_142
.LBB154_138:
	s_mov_b64 s[38:39], 0
                                        ; implicit-def: $sgpr34_sgpr35
	s_cbranch_execz .LBB154_140
; %bb.139:
	s_xor_b64 s[40:41], s[2:3], -1
	s_and_b64 s[40:41], s[0:1], s[40:41]
	s_andn2_b64 s[34:35], s[34:35], exec
	s_and_b64 s[40:41], s[40:41], exec
	s_or_b64 s[34:35], s[34:35], s[40:41]
.LBB154_140:
	s_branch .LBB154_142
.LBB154_141:
	s_cmp_lg_u32 s13, 0
	s_mov_b64 s[36:37], -1
	s_cselect_b64 s[38:39], -1, 0
.LBB154_142:
	s_andn2_b64 vcc, exec, s[38:39]
	s_cbranch_vccz .LBB154_149
; %bb.143:
	s_andn2_b64 vcc, exec, s[36:37]
	s_cbranch_vccnz .LBB154_145
.LBB154_144:
	s_xor_b64 s[2:3], s[2:3], -1
	s_or_b64 s[0:1], s[0:1], s[2:3]
	s_andn2_b64 s[2:3], s[34:35], exec
	s_and_b64 s[0:1], s[0:1], exec
	s_or_b64 s[34:35], s[2:3], s[0:1]
.LBB154_145:
	s_mov_b32 s2, 0xffffff
	v_cmp_lt_u32_e64 s[0:1], s2, v4
	v_cmp_lt_u32_e64 s[2:3], s2, v5
	s_cmp_lt_i32 s13, 1
	s_mov_b64 s[38:39], 0
	s_cbranch_scc1 .LBB154_150
; %bb.146:
	s_cmp_gt_i32 s13, 1
	s_cbranch_scc0 .LBB154_151
; %bb.147:
	s_cmp_eq_u32 s13, 2
	s_cbranch_scc0 .LBB154_261
; %bb.148:
	s_xor_b64 s[36:37], s[0:1], -1
	s_or_b64 s[36:37], s[2:3], s[36:37]
	s_mov_b64 s[40:41], 0
	s_branch .LBB154_153
.LBB154_149:
	s_xor_b64 s[36:37], s[0:1], -1
	s_and_b64 s[38:39], s[2:3], s[36:37]
	s_andn2_b64 s[34:35], s[34:35], exec
	s_and_b64 s[38:39], s[38:39], exec
	s_or_b64 s[34:35], s[34:35], s[38:39]
	s_cbranch_execz .LBB154_144
	s_branch .LBB154_145
.LBB154_150:
                                        ; implicit-def: $sgpr36_sgpr37
	s_mov_b64 s[40:41], 0
	s_cbranch_execnz .LBB154_154
	s_branch .LBB154_155
.LBB154_151:
	s_mov_b64 s[40:41], 0
                                        ; implicit-def: $sgpr36_sgpr37
	s_cbranch_execz .LBB154_153
; %bb.152:
	s_xor_b64 s[42:43], s[2:3], -1
	s_and_b64 s[42:43], s[0:1], s[42:43]
	s_andn2_b64 s[36:37], s[36:37], exec
	s_and_b64 s[42:43], s[42:43], exec
	s_or_b64 s[36:37], s[36:37], s[42:43]
.LBB154_153:
	s_branch .LBB154_155
.LBB154_154:
	s_cmp_lg_u32 s13, 0
	s_mov_b64 s[38:39], -1
	s_cselect_b64 s[40:41], -1, 0
.LBB154_155:
	s_andn2_b64 vcc, exec, s[40:41]
	s_cbranch_vccz .LBB154_162
; %bb.156:
	s_andn2_b64 vcc, exec, s[38:39]
	s_cbranch_vccnz .LBB154_158
.LBB154_157:
	s_xor_b64 s[2:3], s[2:3], -1
	s_or_b64 s[0:1], s[0:1], s[2:3]
	s_andn2_b64 s[2:3], s[36:37], exec
	s_and_b64 s[0:1], s[0:1], exec
	s_or_b64 s[36:37], s[2:3], s[0:1]
.LBB154_158:
	v_mov_b32_e32 v4, 0
	v_cmp_ne_u32_sdwa s[0:1], v2, v4 src0_sel:BYTE_0 src1_sel:DWORD
	s_waitcnt vmcnt(0)
	v_cmp_ne_u32_sdwa s[2:3], v3, v4 src0_sel:BYTE_0 src1_sel:DWORD
	s_cmp_lt_i32 s13, 1
	s_mov_b64 s[40:41], 0
	s_cbranch_scc1 .LBB154_163
; %bb.159:
	s_cmp_gt_i32 s13, 1
	s_cbranch_scc0 .LBB154_164
; %bb.160:
	s_cmp_eq_u32 s13, 2
	s_cbranch_scc0 .LBB154_262
; %bb.161:
	s_xor_b64 s[38:39], s[0:1], -1
	s_or_b64 s[38:39], s[2:3], s[38:39]
	s_mov_b64 s[42:43], 0
	s_branch .LBB154_166
.LBB154_162:
	s_xor_b64 s[38:39], s[0:1], -1
	s_and_b64 s[40:41], s[2:3], s[38:39]
	s_andn2_b64 s[36:37], s[36:37], exec
	s_and_b64 s[40:41], s[40:41], exec
	s_or_b64 s[36:37], s[36:37], s[40:41]
	s_cbranch_execz .LBB154_157
	s_branch .LBB154_158
.LBB154_163:
                                        ; implicit-def: $sgpr38_sgpr39
	s_mov_b64 s[42:43], 0
	s_cbranch_execnz .LBB154_167
	s_branch .LBB154_168
.LBB154_164:
	s_mov_b64 s[42:43], 0
                                        ; implicit-def: $sgpr38_sgpr39
	s_cbranch_execz .LBB154_166
; %bb.165:
	s_xor_b64 s[44:45], s[2:3], -1
	s_and_b64 s[44:45], s[0:1], s[44:45]
	s_andn2_b64 s[38:39], s[38:39], exec
	s_and_b64 s[44:45], s[44:45], exec
	s_or_b64 s[38:39], s[38:39], s[44:45]
.LBB154_166:
	s_branch .LBB154_168
.LBB154_167:
	s_cmp_lg_u32 s13, 0
	s_mov_b64 s[40:41], -1
	s_cselect_b64 s[42:43], -1, 0
.LBB154_168:
	s_andn2_b64 vcc, exec, s[42:43]
	s_cbranch_vccz .LBB154_175
; %bb.169:
	s_andn2_b64 vcc, exec, s[40:41]
	s_cbranch_vccnz .LBB154_171
.LBB154_170:
	s_xor_b64 s[2:3], s[2:3], -1
	s_or_b64 s[0:1], s[0:1], s[2:3]
	s_andn2_b64 s[2:3], s[38:39], exec
	s_and_b64 s[0:1], s[0:1], exec
	s_or_b64 s[38:39], s[2:3], s[0:1]
.LBB154_171:
	v_and_b32_e32 v4, 0xff00, v2
	v_cmp_ne_u32_e64 s[0:1], 0, v4
	v_and_b32_e32 v4, 0xff00, v3
	v_cmp_ne_u32_e64 s[2:3], 0, v4
	s_cmp_lt_i32 s13, 1
	s_mov_b64 s[42:43], 0
	s_cbranch_scc1 .LBB154_176
; %bb.172:
	s_cmp_gt_i32 s13, 1
	s_cbranch_scc0 .LBB154_177
; %bb.173:
	s_cmp_eq_u32 s13, 2
	s_cbranch_scc0 .LBB154_263
; %bb.174:
	s_xor_b64 s[40:41], s[0:1], -1
	s_or_b64 s[40:41], s[2:3], s[40:41]
	s_mov_b64 s[44:45], 0
	s_branch .LBB154_179
.LBB154_175:
	s_xor_b64 s[40:41], s[0:1], -1
	s_and_b64 s[42:43], s[2:3], s[40:41]
	s_andn2_b64 s[38:39], s[38:39], exec
	s_and_b64 s[42:43], s[42:43], exec
	s_or_b64 s[38:39], s[38:39], s[42:43]
	s_cbranch_execz .LBB154_170
	s_branch .LBB154_171
.LBB154_176:
                                        ; implicit-def: $sgpr40_sgpr41
	s_mov_b64 s[44:45], 0
	s_cbranch_execnz .LBB154_180
	s_branch .LBB154_181
.LBB154_177:
	s_mov_b64 s[44:45], 0
                                        ; implicit-def: $sgpr40_sgpr41
	s_cbranch_execz .LBB154_179
; %bb.178:
	s_xor_b64 s[46:47], s[2:3], -1
	s_and_b64 s[46:47], s[0:1], s[46:47]
	s_andn2_b64 s[40:41], s[40:41], exec
	s_and_b64 s[46:47], s[46:47], exec
	s_or_b64 s[40:41], s[40:41], s[46:47]
.LBB154_179:
	s_branch .LBB154_181
.LBB154_180:
	s_cmp_lg_u32 s13, 0
	s_mov_b64 s[42:43], -1
	s_cselect_b64 s[44:45], -1, 0
.LBB154_181:
	s_andn2_b64 vcc, exec, s[44:45]
	s_cbranch_vccz .LBB154_188
; %bb.182:
	s_andn2_b64 vcc, exec, s[42:43]
	s_cbranch_vccnz .LBB154_184
.LBB154_183:
	s_xor_b64 s[2:3], s[2:3], -1
	s_or_b64 s[0:1], s[0:1], s[2:3]
	s_andn2_b64 s[2:3], s[40:41], exec
	s_and_b64 s[0:1], s[0:1], exec
	s_or_b64 s[40:41], s[2:3], s[0:1]
.LBB154_184:
	v_and_b32_e32 v4, 0xff0000, v2
	v_cmp_ne_u32_e64 s[0:1], 0, v4
	v_and_b32_e32 v4, 0xff0000, v3
	v_cmp_ne_u32_e64 s[2:3], 0, v4
	s_cmp_lt_i32 s13, 1
	s_mov_b64 s[44:45], 0
	s_cbranch_scc1 .LBB154_189
; %bb.185:
	s_cmp_gt_i32 s13, 1
	s_cbranch_scc0 .LBB154_190
; %bb.186:
	s_cmp_eq_u32 s13, 2
	s_cbranch_scc0 .LBB154_264
; %bb.187:
	s_xor_b64 s[42:43], s[0:1], -1
	s_or_b64 s[42:43], s[2:3], s[42:43]
	s_mov_b64 s[46:47], 0
	s_branch .LBB154_192
.LBB154_188:
	s_xor_b64 s[42:43], s[0:1], -1
	s_and_b64 s[44:45], s[2:3], s[42:43]
	s_andn2_b64 s[40:41], s[40:41], exec
	s_and_b64 s[44:45], s[44:45], exec
	s_or_b64 s[40:41], s[40:41], s[44:45]
	s_cbranch_execz .LBB154_183
	s_branch .LBB154_184
.LBB154_189:
                                        ; implicit-def: $sgpr42_sgpr43
	s_mov_b64 s[46:47], 0
	s_cbranch_execnz .LBB154_193
	s_branch .LBB154_194
.LBB154_190:
	s_mov_b64 s[46:47], 0
                                        ; implicit-def: $sgpr42_sgpr43
	s_cbranch_execz .LBB154_192
; %bb.191:
	s_xor_b64 s[48:49], s[2:3], -1
	s_and_b64 s[48:49], s[0:1], s[48:49]
	s_andn2_b64 s[42:43], s[42:43], exec
	s_and_b64 s[48:49], s[48:49], exec
	s_or_b64 s[42:43], s[42:43], s[48:49]
.LBB154_192:
	s_branch .LBB154_194
.LBB154_193:
	s_cmp_lg_u32 s13, 0
	s_mov_b64 s[44:45], -1
	s_cselect_b64 s[46:47], -1, 0
.LBB154_194:
	s_andn2_b64 vcc, exec, s[46:47]
	s_cbranch_vccz .LBB154_201
; %bb.195:
	s_andn2_b64 vcc, exec, s[44:45]
	s_cbranch_vccnz .LBB154_197
.LBB154_196:
	s_xor_b64 s[2:3], s[2:3], -1
	s_or_b64 s[0:1], s[0:1], s[2:3]
	s_andn2_b64 s[2:3], s[42:43], exec
	s_and_b64 s[0:1], s[0:1], exec
	s_or_b64 s[42:43], s[2:3], s[0:1]
.LBB154_197:
	s_mov_b32 s2, 0xffffff
	v_cmp_lt_u32_e64 s[0:1], s2, v2
	v_cmp_lt_u32_e64 s[2:3], s2, v3
	s_cmp_lt_i32 s13, 1
	s_mov_b64 s[46:47], 0
	s_cbranch_scc1 .LBB154_202
; %bb.198:
	s_cmp_gt_i32 s13, 1
	s_cbranch_scc0 .LBB154_203
; %bb.199:
	s_cmp_eq_u32 s13, 2
	s_cbranch_scc0 .LBB154_265
; %bb.200:
	s_xor_b64 s[44:45], s[0:1], -1
	s_or_b64 s[44:45], s[2:3], s[44:45]
	s_mov_b64 s[48:49], 0
	s_branch .LBB154_205
.LBB154_201:
	s_xor_b64 s[44:45], s[0:1], -1
	s_and_b64 s[46:47], s[2:3], s[44:45]
	s_andn2_b64 s[42:43], s[42:43], exec
	s_and_b64 s[46:47], s[46:47], exec
	s_or_b64 s[42:43], s[42:43], s[46:47]
	s_cbranch_execz .LBB154_196
	s_branch .LBB154_197
.LBB154_202:
                                        ; implicit-def: $sgpr44_sgpr45
	s_mov_b64 s[48:49], 0
	s_cbranch_execnz .LBB154_206
	s_branch .LBB154_207
.LBB154_203:
	s_mov_b64 s[48:49], 0
                                        ; implicit-def: $sgpr44_sgpr45
	s_cbranch_execz .LBB154_205
; %bb.204:
	s_xor_b64 s[50:51], s[2:3], -1
	s_and_b64 s[50:51], s[0:1], s[50:51]
	s_andn2_b64 s[44:45], s[44:45], exec
	s_and_b64 s[50:51], s[50:51], exec
	s_or_b64 s[44:45], s[44:45], s[50:51]
.LBB154_205:
	s_branch .LBB154_207
.LBB154_206:
	s_cmp_lg_u32 s13, 0
	s_mov_b64 s[46:47], -1
	s_cselect_b64 s[48:49], -1, 0
.LBB154_207:
	s_andn2_b64 vcc, exec, s[48:49]
	s_cbranch_vccz .LBB154_249
; %bb.208:
	s_andn2_b64 vcc, exec, s[46:47]
	s_cbranch_vccnz .LBB154_210
.LBB154_209:
	s_xor_b64 s[2:3], s[2:3], -1
	s_or_b64 s[0:1], s[0:1], s[2:3]
	s_andn2_b64 s[2:3], s[44:45], exec
	s_and_b64 s[0:1], s[0:1], exec
	s_or_b64 s[44:45], s[2:3], s[0:1]
.LBB154_210:
	v_cndmask_b32_e64 v2, 0, 1, s[6:7]
	v_lshlrev_b16_e32 v2, 8, v2
	v_cndmask_b32_e64 v3, 0, 1, s[4:5]
	v_or_b32_e32 v2, v3, v2
	v_cndmask_b32_e64 v3, 0, 1, s[18:19]
	v_lshlrev_b16_e32 v3, 8, v3
	v_cndmask_b32_e64 v4, 0, 1, s[16:17]
	v_or_b32_sdwa v3, v4, v3 dst_sel:WORD_1 dst_unused:UNUSED_PAD src0_sel:DWORD src1_sel:DWORD
	v_or_b32_sdwa v2, v2, v3 dst_sel:DWORD dst_unused:UNUSED_PAD src0_sel:WORD_0 src1_sel:DWORD
	v_cndmask_b32_e64 v3, 0, 1, s[22:23]
	v_lshlrev_b16_e32 v3, 8, v3
	v_cndmask_b32_e64 v4, 0, 1, s[20:21]
	v_or_b32_e32 v3, v4, v3
	v_cndmask_b32_e64 v4, 0, 1, s[26:27]
	v_lshlrev_b16_e32 v4, 8, v4
	v_cndmask_b32_e64 v5, 0, 1, s[24:25]
	v_or_b32_sdwa v4, v5, v4 dst_sel:WORD_1 dst_unused:UNUSED_PAD src0_sel:DWORD src1_sel:DWORD
	v_or_b32_sdwa v3, v3, v4 dst_sel:DWORD dst_unused:UNUSED_PAD src0_sel:WORD_0 src1_sel:DWORD
	;; [unrolled: 9-line block ×3, first 2 shown]
	v_cndmask_b32_e64 v5, 0, 1, s[40:41]
	v_lshlrev_b16_e32 v5, 8, v5
	v_cndmask_b32_e64 v6, 0, 1, s[38:39]
	v_or_b32_e32 v5, v6, v5
	v_cndmask_b32_e64 v6, 0, 1, s[44:45]
	v_lshlrev_b16_e32 v6, 8, v6
	v_cndmask_b32_e64 v7, 0, 1, s[42:43]
	s_add_u32 s0, s8, s33
	v_or_b32_sdwa v6, v7, v6 dst_sel:WORD_1 dst_unused:UNUSED_PAD src0_sel:DWORD src1_sel:DWORD
	s_addc_u32 s1, s9, s52
	v_or_b32_sdwa v5, v5, v6 dst_sel:DWORD dst_unused:UNUSED_PAD src0_sel:WORD_0 src1_sel:DWORD
	global_store_dword v1, v2, s[0:1]
	global_store_dword v1, v3, s[0:1] offset:1024
	global_store_dword v1, v4, s[0:1] offset:2048
	;; [unrolled: 1-line block ×3, first 2 shown]
	s_mov_b64 s[0:1], 0
.LBB154_211:
	s_and_b64 vcc, exec, s[0:1]
	s_cbranch_vccz .LBB154_519
; %bb.212:
	v_cmp_gt_i32_e64 s[0:1], s12, v0
	s_mov_b64 s[70:71], 0
	v_or_b32_e32 v1, s33, v0
	s_mov_b64 s[76:77], 0
	s_mov_b64 s[74:75], 0
	v_mov_b32_e32 v2, v0
	s_and_saveexec_b64 s[4:5], s[0:1]
	s_cbranch_execz .LBB154_214
; %bb.213:
	global_load_ubyte v3, v1, s[10:11]
	global_load_ubyte v4, v1, s[14:15]
	v_or_b32_e32 v2, 0x100, v0
	s_waitcnt vmcnt(1)
	v_cmp_ne_u16_e32 vcc, 0, v3
	s_waitcnt vmcnt(0)
	v_cmp_ne_u16_e64 s[2:3], 0, v4
	s_and_b64 s[74:75], vcc, exec
	s_and_b64 s[76:77], s[2:3], exec
.LBB154_214:
	s_or_b64 exec, exec, s[4:5]
	v_cmp_gt_i32_e32 vcc, s12, v2
	s_mov_b64 s[72:73], 0
	s_and_saveexec_b64 s[4:5], vcc
	s_cbranch_execz .LBB154_216
; %bb.215:
	v_add_u32_e32 v3, s33, v2
	global_load_ubyte v4, v3, s[10:11]
	global_load_ubyte v5, v3, s[14:15]
	v_add_u32_e32 v2, 0x100, v2
	s_waitcnt vmcnt(1)
	v_cmp_ne_u16_e32 vcc, 0, v4
	s_waitcnt vmcnt(0)
	v_cmp_ne_u16_e64 s[2:3], 0, v5
	s_and_b64 s[72:73], vcc, exec
	s_and_b64 s[70:71], s[2:3], exec
.LBB154_216:
	s_or_b64 exec, exec, s[4:5]
	v_cmp_gt_i32_e32 vcc, s12, v2
	s_mov_b64 s[62:63], 0
	s_mov_b64 s[68:69], 0
	s_mov_b64 s[66:67], 0
	s_and_saveexec_b64 s[4:5], vcc
	s_cbranch_execz .LBB154_218
; %bb.217:
	v_add_u32_e32 v3, s33, v2
	global_load_ubyte v4, v3, s[10:11]
	global_load_ubyte v5, v3, s[14:15]
	v_add_u32_e32 v2, 0x100, v2
	s_waitcnt vmcnt(1)
	v_cmp_ne_u16_e32 vcc, 0, v4
	s_waitcnt vmcnt(0)
	v_cmp_ne_u16_e64 s[2:3], 0, v5
	s_and_b64 s[66:67], vcc, exec
	s_and_b64 s[68:69], s[2:3], exec
.LBB154_218:
	s_or_b64 exec, exec, s[4:5]
	v_cmp_gt_i32_e32 vcc, s12, v2
	s_mov_b64 s[64:65], 0
	s_and_saveexec_b64 s[4:5], vcc
	s_cbranch_execz .LBB154_220
; %bb.219:
	v_add_u32_e32 v3, s33, v2
	global_load_ubyte v4, v3, s[10:11]
	global_load_ubyte v5, v3, s[14:15]
	v_add_u32_e32 v2, 0x100, v2
	s_waitcnt vmcnt(1)
	v_cmp_ne_u16_e32 vcc, 0, v4
	s_waitcnt vmcnt(0)
	v_cmp_ne_u16_e64 s[2:3], 0, v5
	s_and_b64 s[64:65], vcc, exec
	s_and_b64 s[62:63], s[2:3], exec
.LBB154_220:
	s_or_b64 exec, exec, s[4:5]
	v_cmp_gt_i32_e32 vcc, s12, v2
	s_mov_b64 s[54:55], 0
	s_mov_b64 s[60:61], 0
	s_mov_b64 s[58:59], 0
	s_and_saveexec_b64 s[4:5], vcc
	s_cbranch_execz .LBB154_222
; %bb.221:
	v_add_u32_e32 v3, s33, v2
	global_load_ubyte v4, v3, s[10:11]
	global_load_ubyte v5, v3, s[14:15]
	v_add_u32_e32 v2, 0x100, v2
	s_waitcnt vmcnt(1)
	v_cmp_ne_u16_e32 vcc, 0, v4
	s_waitcnt vmcnt(0)
	v_cmp_ne_u16_e64 s[2:3], 0, v5
	s_and_b64 s[58:59], vcc, exec
	s_and_b64 s[60:61], s[2:3], exec
.LBB154_222:
	;; [unrolled: 36-line block ×4, first 2 shown]
	s_or_b64 exec, exec, s[4:5]
	v_cmp_gt_i32_e32 vcc, s12, v2
	s_mov_b64 s[40:41], 0
	s_and_saveexec_b64 s[4:5], vcc
	s_cbranch_execz .LBB154_232
; %bb.231:
	v_add_u32_e32 v3, s33, v2
	global_load_ubyte v4, v3, s[10:11]
	s_nop 0
	global_load_ubyte v3, v3, s[14:15]
	v_add_u32_e32 v2, 0x100, v2
	s_waitcnt vmcnt(1)
	v_cmp_ne_u16_e32 vcc, 0, v4
	s_waitcnt vmcnt(0)
	v_cmp_ne_u16_e64 s[2:3], 0, v3
	s_and_b64 s[40:41], vcc, exec
	s_and_b64 s[38:39], s[2:3], exec
.LBB154_232:
	s_or_b64 exec, exec, s[4:5]
	v_cmp_gt_i32_e32 vcc, s12, v2
	s_mov_b64 s[28:29], 0
	s_mov_b64 s[36:37], 0
	s_mov_b64 s[34:35], 0
	s_and_saveexec_b64 s[4:5], vcc
	s_cbranch_execz .LBB154_234
; %bb.233:
	v_add_u32_e32 v3, s33, v2
	global_load_ubyte v4, v3, s[10:11]
	s_nop 0
	global_load_ubyte v3, v3, s[14:15]
	v_add_u32_e32 v2, 0x100, v2
	s_waitcnt vmcnt(1)
	v_cmp_ne_u16_e32 vcc, 0, v4
	s_waitcnt vmcnt(0)
	v_cmp_ne_u16_e64 s[2:3], 0, v3
	s_and_b64 s[34:35], vcc, exec
	s_and_b64 s[36:37], s[2:3], exec
.LBB154_234:
	s_or_b64 exec, exec, s[4:5]
	v_cmp_gt_i32_e32 vcc, s12, v2
	s_mov_b64 s[30:31], 0
	s_and_saveexec_b64 s[4:5], vcc
	s_cbranch_execz .LBB154_236
; %bb.235:
	v_add_u32_e32 v3, s33, v2
	global_load_ubyte v4, v3, s[10:11]
	s_nop 0
	global_load_ubyte v3, v3, s[14:15]
	v_add_u32_e32 v2, 0x100, v2
	s_waitcnt vmcnt(1)
	v_cmp_ne_u16_e32 vcc, 0, v4
	s_waitcnt vmcnt(0)
	v_cmp_ne_u16_e64 s[2:3], 0, v3
	s_and_b64 s[30:31], vcc, exec
	s_and_b64 s[28:29], s[2:3], exec
.LBB154_236:
	s_or_b64 exec, exec, s[4:5]
	v_cmp_gt_i32_e32 vcc, s12, v2
	s_mov_b64 s[20:21], 0
	s_mov_b64 s[26:27], 0
	s_mov_b64 s[24:25], 0
	s_and_saveexec_b64 s[4:5], vcc
	s_cbranch_execz .LBB154_238
; %bb.237:
	v_add_u32_e32 v3, s33, v2
	global_load_ubyte v4, v3, s[10:11]
	s_nop 0
	global_load_ubyte v3, v3, s[14:15]
	v_add_u32_e32 v2, 0x100, v2
	s_waitcnt vmcnt(1)
	v_cmp_ne_u16_e32 vcc, 0, v4
	s_waitcnt vmcnt(0)
	v_cmp_ne_u16_e64 s[2:3], 0, v3
	s_and_b64 s[24:25], vcc, exec
	s_and_b64 s[26:27], s[2:3], exec
.LBB154_238:
	;; [unrolled: 38-line block ×3, first 2 shown]
	s_or_b64 exec, exec, s[6:7]
	v_cmp_gt_i32_e32 vcc, s12, v2
	s_mov_b64 s[6:7], 0
	s_and_saveexec_b64 s[78:79], vcc
	s_cbranch_execz .LBB154_244
; %bb.243:
	v_add_u32_e32 v2, s33, v2
	global_load_ubyte v3, v2, s[10:11]
	s_nop 0
	global_load_ubyte v2, v2, s[14:15]
	s_waitcnt vmcnt(1)
	v_cmp_ne_u16_e32 vcc, 0, v3
	s_waitcnt vmcnt(0)
	v_cmp_ne_u16_e64 s[2:3], 0, v2
	s_and_b64 s[6:7], vcc, exec
	s_and_b64 s[4:5], s[2:3], exec
.LBB154_244:
	s_or_b64 exec, exec, s[78:79]
	v_mov_b32_e32 v5, 0
	v_mov_b32_e32 v4, v5
	;; [unrolled: 1-line block ×4, first 2 shown]
	s_and_saveexec_b64 s[2:3], s[0:1]
	s_cbranch_execz .LBB154_276
; %bb.245:
	s_cmp_lt_i32 s13, 1
	s_mov_b64 s[10:11], 0
	s_cbranch_scc1 .LBB154_250
; %bb.246:
	s_cmp_gt_i32 s13, 1
	s_cbranch_scc0 .LBB154_266
; %bb.247:
	s_cmp_eq_u32 s13, 2
	s_cbranch_scc0 .LBB154_267
; %bb.248:
	s_xor_b64 s[14:15], s[74:75], -1
	s_or_b64 s[14:15], s[76:77], s[14:15]
	s_mov_b64 s[78:79], 0
	s_branch .LBB154_268
.LBB154_249:
	s_xor_b64 s[46:47], s[0:1], -1
	s_and_b64 s[48:49], s[2:3], s[46:47]
	s_andn2_b64 s[44:45], s[44:45], exec
	s_and_b64 s[48:49], s[48:49], exec
	s_or_b64 s[44:45], s[44:45], s[48:49]
	s_cbranch_execz .LBB154_209
	s_branch .LBB154_210
.LBB154_250:
                                        ; implicit-def: $sgpr14_sgpr15
	s_mov_b64 s[78:79], 0
	s_cbranch_execnz .LBB154_271
	s_branch .LBB154_272
.LBB154_251:
	s_mov_b64 s[18:19], -1
                                        ; implicit-def: $sgpr6_sgpr7
	s_branch .LBB154_23
.LBB154_252:
	s_mov_b64 s[20:21], -1
                                        ; implicit-def: $sgpr16_sgpr17
	s_branch .LBB154_36
.LBB154_253:
	s_mov_b64 s[22:23], -1
                                        ; implicit-def: $sgpr18_sgpr19
	s_branch .LBB154_49
.LBB154_254:
	s_mov_b64 s[24:25], -1
                                        ; implicit-def: $sgpr20_sgpr21
	s_branch .LBB154_62
.LBB154_255:
	s_mov_b64 s[26:27], -1
                                        ; implicit-def: $sgpr22_sgpr23
	s_branch .LBB154_75
.LBB154_256:
	s_mov_b64 s[28:29], -1
                                        ; implicit-def: $sgpr24_sgpr25
	s_branch .LBB154_88
.LBB154_257:
	s_mov_b64 s[30:31], -1
                                        ; implicit-def: $sgpr26_sgpr27
	s_branch .LBB154_101
.LBB154_258:
	s_mov_b64 s[34:35], -1
                                        ; implicit-def: $sgpr28_sgpr29
	s_branch .LBB154_114
.LBB154_259:
	s_mov_b64 s[36:37], -1
                                        ; implicit-def: $sgpr30_sgpr31
	s_branch .LBB154_127
.LBB154_260:
	s_mov_b64 s[38:39], -1
                                        ; implicit-def: $sgpr34_sgpr35
	s_branch .LBB154_140
.LBB154_261:
	s_mov_b64 s[40:41], -1
                                        ; implicit-def: $sgpr36_sgpr37
	s_branch .LBB154_153
.LBB154_262:
	s_mov_b64 s[42:43], -1
                                        ; implicit-def: $sgpr38_sgpr39
	s_branch .LBB154_166
.LBB154_263:
	s_mov_b64 s[44:45], -1
                                        ; implicit-def: $sgpr40_sgpr41
	s_branch .LBB154_179
.LBB154_264:
	s_mov_b64 s[46:47], -1
                                        ; implicit-def: $sgpr42_sgpr43
	s_branch .LBB154_192
.LBB154_265:
	s_mov_b64 s[48:49], -1
                                        ; implicit-def: $sgpr44_sgpr45
	s_branch .LBB154_205
.LBB154_266:
	s_mov_b64 s[78:79], 0
                                        ; implicit-def: $sgpr14_sgpr15
	s_cbranch_execnz .LBB154_269
	s_branch .LBB154_270
.LBB154_267:
	s_mov_b64 s[78:79], -1
                                        ; implicit-def: $sgpr14_sgpr15
.LBB154_268:
	s_branch .LBB154_270
.LBB154_269:
	s_xor_b64 s[80:81], s[76:77], -1
	s_and_b64 s[80:81], s[74:75], s[80:81]
	s_andn2_b64 s[14:15], s[14:15], exec
	s_and_b64 s[80:81], s[80:81], exec
	s_or_b64 s[14:15], s[14:15], s[80:81]
.LBB154_270:
	s_branch .LBB154_272
.LBB154_271:
	s_cmp_lg_u32 s13, 0
	s_mov_b64 s[10:11], -1
	s_cselect_b64 s[78:79], -1, 0
.LBB154_272:
	s_andn2_b64 vcc, exec, s[78:79]
	s_cbranch_vccz .LBB154_281
; %bb.273:
	s_andn2_b64 vcc, exec, s[10:11]
	s_cbranch_vccnz .LBB154_275
.LBB154_274:
	s_xor_b64 s[10:11], s[76:77], -1
	s_or_b64 s[10:11], s[74:75], s[10:11]
	s_andn2_b64 s[14:15], s[14:15], exec
	s_and_b64 s[10:11], s[10:11], exec
	s_or_b64 s[14:15], s[14:15], s[10:11]
.LBB154_275:
	v_cndmask_b32_e64 v2, 0, 1, s[14:15]
	v_mov_b32_e32 v4, 0
	v_and_b32_e32 v5, 0xffff, v2
	v_mov_b32_e32 v3, v4
	v_mov_b32_e32 v2, v4
.LBB154_276:
	s_or_b64 exec, exec, s[2:3]
	v_or_b32_e32 v6, 0x100, v0
	v_cmp_gt_i32_e32 vcc, s12, v6
	s_and_saveexec_b64 s[2:3], vcc
	s_cbranch_execz .LBB154_291
; %bb.277:
	s_cmp_lt_i32 s13, 1
	s_mov_b64 s[10:11], 0
	s_cbranch_scc1 .LBB154_282
; %bb.278:
	s_cmp_gt_i32 s13, 1
	s_cbranch_scc0 .LBB154_283
; %bb.279:
	s_cmp_eq_u32 s13, 2
	s_cbranch_scc0 .LBB154_535
; %bb.280:
	s_xor_b64 s[14:15], s[72:73], -1
	s_or_b64 s[14:15], s[70:71], s[14:15]
	s_mov_b64 s[74:75], 0
	s_branch .LBB154_285
.LBB154_281:
	s_xor_b64 s[10:11], s[74:75], -1
	s_and_b64 s[78:79], s[76:77], s[10:11]
	s_andn2_b64 s[14:15], s[14:15], exec
	s_and_b64 s[78:79], s[78:79], exec
	s_or_b64 s[14:15], s[14:15], s[78:79]
	s_cbranch_execz .LBB154_274
	s_branch .LBB154_275
.LBB154_282:
                                        ; implicit-def: $sgpr14_sgpr15
	s_mov_b64 s[74:75], 0
	s_cbranch_execnz .LBB154_286
	s_branch .LBB154_287
.LBB154_283:
	s_mov_b64 s[74:75], 0
                                        ; implicit-def: $sgpr14_sgpr15
	s_cbranch_execz .LBB154_285
; %bb.284:
	s_xor_b64 s[76:77], s[70:71], -1
	s_and_b64 s[76:77], s[72:73], s[76:77]
	s_andn2_b64 s[14:15], s[14:15], exec
	s_and_b64 s[76:77], s[76:77], exec
	s_or_b64 s[14:15], s[14:15], s[76:77]
.LBB154_285:
	s_branch .LBB154_287
.LBB154_286:
	s_cmp_lg_u32 s13, 0
	s_mov_b64 s[10:11], -1
	s_cselect_b64 s[74:75], -1, 0
.LBB154_287:
	s_andn2_b64 vcc, exec, s[74:75]
	s_cbranch_vccz .LBB154_296
; %bb.288:
	s_andn2_b64 vcc, exec, s[10:11]
	s_cbranch_vccnz .LBB154_290
.LBB154_289:
	s_xor_b64 s[10:11], s[70:71], -1
	s_or_b64 s[10:11], s[72:73], s[10:11]
	s_andn2_b64 s[14:15], s[14:15], exec
	s_and_b64 s[10:11], s[10:11], exec
	s_or_b64 s[14:15], s[14:15], s[10:11]
.LBB154_290:
	v_cndmask_b32_e64 v7, 0, 1, s[14:15]
	v_lshlrev_b16_e32 v7, 8, v7
	v_or_b32_sdwa v7, v5, v7 dst_sel:DWORD dst_unused:UNUSED_PAD src0_sel:BYTE_0 src1_sel:DWORD
	v_and_b32_e32 v7, 0xffff, v7
	s_mov_b32 s10, 0xffff0000
	v_and_or_b32 v5, v5, s10, v7
.LBB154_291:
	s_or_b64 exec, exec, s[2:3]
	v_or_b32_e32 v7, 0x200, v0
	v_cmp_gt_i32_e32 vcc, s12, v7
	s_and_saveexec_b64 s[2:3], vcc
	s_cbranch_execz .LBB154_306
; %bb.292:
	s_cmp_lt_i32 s13, 1
	s_mov_b64 s[10:11], 0
	s_cbranch_scc1 .LBB154_297
; %bb.293:
	s_cmp_gt_i32 s13, 1
	s_cbranch_scc0 .LBB154_298
; %bb.294:
	s_cmp_eq_u32 s13, 2
	s_cbranch_scc0 .LBB154_536
; %bb.295:
	s_xor_b64 s[14:15], s[66:67], -1
	s_or_b64 s[14:15], s[68:69], s[14:15]
	s_mov_b64 s[70:71], 0
	s_branch .LBB154_300
.LBB154_296:
	s_xor_b64 s[10:11], s[72:73], -1
	s_and_b64 s[74:75], s[70:71], s[10:11]
	s_andn2_b64 s[14:15], s[14:15], exec
	s_and_b64 s[74:75], s[74:75], exec
	s_or_b64 s[14:15], s[14:15], s[74:75]
	s_cbranch_execz .LBB154_289
	s_branch .LBB154_290
.LBB154_297:
                                        ; implicit-def: $sgpr14_sgpr15
	s_mov_b64 s[70:71], 0
	s_cbranch_execnz .LBB154_301
	s_branch .LBB154_302
.LBB154_298:
	s_mov_b64 s[70:71], 0
                                        ; implicit-def: $sgpr14_sgpr15
	s_cbranch_execz .LBB154_300
; %bb.299:
	s_xor_b64 s[72:73], s[68:69], -1
	s_and_b64 s[72:73], s[66:67], s[72:73]
	s_andn2_b64 s[14:15], s[14:15], exec
	s_and_b64 s[72:73], s[72:73], exec
	s_or_b64 s[14:15], s[14:15], s[72:73]
.LBB154_300:
	s_branch .LBB154_302
.LBB154_301:
	s_cmp_lg_u32 s13, 0
	s_mov_b64 s[10:11], -1
	s_cselect_b64 s[70:71], -1, 0
.LBB154_302:
	s_andn2_b64 vcc, exec, s[70:71]
	s_cbranch_vccz .LBB154_311
; %bb.303:
	s_andn2_b64 vcc, exec, s[10:11]
	s_cbranch_vccnz .LBB154_305
.LBB154_304:
	s_xor_b64 s[10:11], s[68:69], -1
	s_or_b64 s[10:11], s[66:67], s[10:11]
	s_andn2_b64 s[14:15], s[14:15], exec
	s_and_b64 s[10:11], s[10:11], exec
	s_or_b64 s[14:15], s[14:15], s[10:11]
.LBB154_305:
	s_movk_i32 s10, 0xff00
	v_and_b32_sdwa v7, v5, s10 dst_sel:DWORD dst_unused:UNUSED_PAD src0_sel:WORD_1 src1_sel:DWORD
	v_cndmask_b32_e64 v8, 0, 1, s[14:15]
	v_or_b32_sdwa v7, v8, v7 dst_sel:WORD_1 dst_unused:UNUSED_PAD src0_sel:DWORD src1_sel:DWORD
	s_mov_b32 s10, 0xffff
	v_and_or_b32 v5, v5, s10, v7
.LBB154_306:
	s_or_b64 exec, exec, s[2:3]
	v_or_b32_e32 v7, 0x300, v0
	v_cmp_gt_i32_e32 vcc, s12, v7
	s_and_saveexec_b64 s[2:3], vcc
	s_cbranch_execz .LBB154_321
; %bb.307:
	s_cmp_lt_i32 s13, 1
	s_mov_b64 s[10:11], 0
	s_cbranch_scc1 .LBB154_312
; %bb.308:
	s_cmp_gt_i32 s13, 1
	s_cbranch_scc0 .LBB154_313
; %bb.309:
	s_cmp_eq_u32 s13, 2
	s_cbranch_scc0 .LBB154_537
; %bb.310:
	s_xor_b64 s[14:15], s[64:65], -1
	s_or_b64 s[14:15], s[62:63], s[14:15]
	s_mov_b64 s[66:67], 0
	s_branch .LBB154_315
.LBB154_311:
	s_xor_b64 s[10:11], s[66:67], -1
	s_and_b64 s[70:71], s[68:69], s[10:11]
	s_andn2_b64 s[14:15], s[14:15], exec
	s_and_b64 s[70:71], s[70:71], exec
	s_or_b64 s[14:15], s[14:15], s[70:71]
	s_cbranch_execz .LBB154_304
	s_branch .LBB154_305
.LBB154_312:
                                        ; implicit-def: $sgpr14_sgpr15
	s_mov_b64 s[66:67], 0
	s_cbranch_execnz .LBB154_316
	s_branch .LBB154_317
.LBB154_313:
	s_mov_b64 s[66:67], 0
                                        ; implicit-def: $sgpr14_sgpr15
	s_cbranch_execz .LBB154_315
; %bb.314:
	s_xor_b64 s[68:69], s[62:63], -1
	s_and_b64 s[68:69], s[64:65], s[68:69]
	s_andn2_b64 s[14:15], s[14:15], exec
	s_and_b64 s[68:69], s[68:69], exec
	s_or_b64 s[14:15], s[14:15], s[68:69]
.LBB154_315:
	s_branch .LBB154_317
.LBB154_316:
	s_cmp_lg_u32 s13, 0
	s_mov_b64 s[10:11], -1
	s_cselect_b64 s[66:67], -1, 0
.LBB154_317:
	s_andn2_b64 vcc, exec, s[66:67]
	s_cbranch_vccz .LBB154_326
; %bb.318:
	s_andn2_b64 vcc, exec, s[10:11]
	s_cbranch_vccnz .LBB154_320
.LBB154_319:
	s_xor_b64 s[10:11], s[62:63], -1
	s_or_b64 s[10:11], s[64:65], s[10:11]
	s_andn2_b64 s[14:15], s[14:15], exec
	s_and_b64 s[10:11], s[10:11], exec
	s_or_b64 s[14:15], s[14:15], s[10:11]
.LBB154_320:
	s_movk_i32 s10, 0xff
	v_cndmask_b32_e64 v8, 0, 1, s[14:15]
	v_and_b32_sdwa v7, v5, s10 dst_sel:DWORD dst_unused:UNUSED_PAD src0_sel:WORD_1 src1_sel:DWORD
	v_lshlrev_b16_e32 v8, 8, v8
	v_or_b32_sdwa v7, v7, v8 dst_sel:WORD_1 dst_unused:UNUSED_PAD src0_sel:DWORD src1_sel:DWORD
	s_mov_b32 s10, 0xffff
	v_and_or_b32 v5, v5, s10, v7
.LBB154_321:
	s_or_b64 exec, exec, s[2:3]
	v_or_b32_e32 v7, 0x400, v0
	v_cmp_gt_i32_e32 vcc, s12, v7
	s_and_saveexec_b64 s[2:3], vcc
	s_cbranch_execz .LBB154_336
; %bb.322:
	s_cmp_lt_i32 s13, 1
	s_mov_b64 s[10:11], 0
	s_cbranch_scc1 .LBB154_327
; %bb.323:
	s_cmp_gt_i32 s13, 1
	s_cbranch_scc0 .LBB154_328
; %bb.324:
	s_cmp_eq_u32 s13, 2
	s_cbranch_scc0 .LBB154_538
; %bb.325:
	s_xor_b64 s[14:15], s[58:59], -1
	s_or_b64 s[14:15], s[60:61], s[14:15]
	s_mov_b64 s[62:63], 0
	s_branch .LBB154_330
.LBB154_326:
	s_xor_b64 s[10:11], s[64:65], -1
	s_and_b64 s[66:67], s[62:63], s[10:11]
	s_andn2_b64 s[14:15], s[14:15], exec
	s_and_b64 s[66:67], s[66:67], exec
	s_or_b64 s[14:15], s[14:15], s[66:67]
	s_cbranch_execz .LBB154_319
	s_branch .LBB154_320
.LBB154_327:
                                        ; implicit-def: $sgpr14_sgpr15
	s_mov_b64 s[62:63], 0
	s_cbranch_execnz .LBB154_331
	s_branch .LBB154_332
.LBB154_328:
	s_mov_b64 s[62:63], 0
                                        ; implicit-def: $sgpr14_sgpr15
	s_cbranch_execz .LBB154_330
; %bb.329:
	s_xor_b64 s[64:65], s[60:61], -1
	s_and_b64 s[64:65], s[58:59], s[64:65]
	s_andn2_b64 s[14:15], s[14:15], exec
	s_and_b64 s[64:65], s[64:65], exec
	s_or_b64 s[14:15], s[14:15], s[64:65]
.LBB154_330:
	s_branch .LBB154_332
.LBB154_331:
	s_cmp_lg_u32 s13, 0
	s_mov_b64 s[10:11], -1
	s_cselect_b64 s[62:63], -1, 0
.LBB154_332:
	s_andn2_b64 vcc, exec, s[62:63]
	s_cbranch_vccz .LBB154_341
; %bb.333:
	s_andn2_b64 vcc, exec, s[10:11]
	s_cbranch_vccnz .LBB154_335
.LBB154_334:
	s_xor_b64 s[10:11], s[60:61], -1
	s_or_b64 s[10:11], s[58:59], s[10:11]
	s_andn2_b64 s[14:15], s[14:15], exec
	s_and_b64 s[10:11], s[10:11], exec
	s_or_b64 s[14:15], s[14:15], s[10:11]
.LBB154_335:
	v_and_b32_e32 v7, 0xffffff00, v4
	v_cndmask_b32_e64 v8, 0, 1, s[14:15]
	v_or_b32_e32 v7, v8, v7
	v_and_b32_e32 v7, 0xffff, v7
	s_mov_b32 s10, 0xffff0000
	v_and_or_b32 v4, v4, s10, v7
.LBB154_336:
	s_or_b64 exec, exec, s[2:3]
	v_or_b32_e32 v7, 0x500, v0
	v_cmp_gt_i32_e32 vcc, s12, v7
	s_and_saveexec_b64 s[2:3], vcc
	s_cbranch_execz .LBB154_351
; %bb.337:
	s_cmp_lt_i32 s13, 1
	s_mov_b64 s[10:11], 0
	s_cbranch_scc1 .LBB154_342
; %bb.338:
	s_cmp_gt_i32 s13, 1
	s_cbranch_scc0 .LBB154_343
; %bb.339:
	s_cmp_eq_u32 s13, 2
	s_cbranch_scc0 .LBB154_539
; %bb.340:
	s_xor_b64 s[14:15], s[56:57], -1
	s_or_b64 s[14:15], s[54:55], s[14:15]
	s_mov_b64 s[58:59], 0
	s_branch .LBB154_345
.LBB154_341:
	s_xor_b64 s[10:11], s[58:59], -1
	s_and_b64 s[62:63], s[60:61], s[10:11]
	s_andn2_b64 s[14:15], s[14:15], exec
	s_and_b64 s[62:63], s[62:63], exec
	s_or_b64 s[14:15], s[14:15], s[62:63]
	s_cbranch_execz .LBB154_334
	s_branch .LBB154_335
.LBB154_342:
                                        ; implicit-def: $sgpr14_sgpr15
	s_mov_b64 s[58:59], 0
	s_cbranch_execnz .LBB154_346
	s_branch .LBB154_347
.LBB154_343:
	s_mov_b64 s[58:59], 0
                                        ; implicit-def: $sgpr14_sgpr15
	s_cbranch_execz .LBB154_345
; %bb.344:
	s_xor_b64 s[60:61], s[54:55], -1
	s_and_b64 s[60:61], s[56:57], s[60:61]
	s_andn2_b64 s[14:15], s[14:15], exec
	s_and_b64 s[60:61], s[60:61], exec
	s_or_b64 s[14:15], s[14:15], s[60:61]
.LBB154_345:
	s_branch .LBB154_347
.LBB154_346:
	s_cmp_lg_u32 s13, 0
	s_mov_b64 s[10:11], -1
	s_cselect_b64 s[58:59], -1, 0
.LBB154_347:
	s_andn2_b64 vcc, exec, s[58:59]
	s_cbranch_vccz .LBB154_356
; %bb.348:
	s_andn2_b64 vcc, exec, s[10:11]
	s_cbranch_vccnz .LBB154_350
.LBB154_349:
	s_xor_b64 s[10:11], s[54:55], -1
	s_or_b64 s[10:11], s[56:57], s[10:11]
	s_andn2_b64 s[14:15], s[14:15], exec
	s_and_b64 s[10:11], s[10:11], exec
	s_or_b64 s[14:15], s[14:15], s[10:11]
.LBB154_350:
	v_cndmask_b32_e64 v7, 0, 1, s[14:15]
	v_lshlrev_b16_e32 v7, 8, v7
	v_or_b32_sdwa v7, v4, v7 dst_sel:DWORD dst_unused:UNUSED_PAD src0_sel:BYTE_0 src1_sel:DWORD
	v_and_b32_e32 v7, 0xffff, v7
	s_mov_b32 s10, 0xffff0000
	v_and_or_b32 v4, v4, s10, v7
.LBB154_351:
	s_or_b64 exec, exec, s[2:3]
	v_or_b32_e32 v7, 0x600, v0
	v_cmp_gt_i32_e32 vcc, s12, v7
	s_and_saveexec_b64 s[2:3], vcc
	s_cbranch_execz .LBB154_366
; %bb.352:
	s_cmp_lt_i32 s13, 1
	s_mov_b64 s[10:11], 0
	s_cbranch_scc1 .LBB154_357
; %bb.353:
	s_cmp_gt_i32 s13, 1
	s_cbranch_scc0 .LBB154_358
; %bb.354:
	s_cmp_eq_u32 s13, 2
	s_cbranch_scc0 .LBB154_540
; %bb.355:
	s_xor_b64 s[14:15], s[50:51], -1
	s_or_b64 s[14:15], s[52:53], s[14:15]
	s_mov_b64 s[54:55], 0
	s_branch .LBB154_360
.LBB154_356:
	s_xor_b64 s[10:11], s[56:57], -1
	s_and_b64 s[58:59], s[54:55], s[10:11]
	s_andn2_b64 s[14:15], s[14:15], exec
	s_and_b64 s[58:59], s[58:59], exec
	s_or_b64 s[14:15], s[14:15], s[58:59]
	s_cbranch_execz .LBB154_349
	s_branch .LBB154_350
.LBB154_357:
                                        ; implicit-def: $sgpr14_sgpr15
	s_mov_b64 s[54:55], 0
	s_cbranch_execnz .LBB154_361
	s_branch .LBB154_362
.LBB154_358:
	s_mov_b64 s[54:55], 0
                                        ; implicit-def: $sgpr14_sgpr15
	s_cbranch_execz .LBB154_360
; %bb.359:
	s_xor_b64 s[56:57], s[52:53], -1
	s_and_b64 s[56:57], s[50:51], s[56:57]
	s_andn2_b64 s[14:15], s[14:15], exec
	s_and_b64 s[56:57], s[56:57], exec
	s_or_b64 s[14:15], s[14:15], s[56:57]
.LBB154_360:
	s_branch .LBB154_362
.LBB154_361:
	s_cmp_lg_u32 s13, 0
	s_mov_b64 s[10:11], -1
	s_cselect_b64 s[54:55], -1, 0
.LBB154_362:
	s_andn2_b64 vcc, exec, s[54:55]
	s_cbranch_vccz .LBB154_371
; %bb.363:
	s_andn2_b64 vcc, exec, s[10:11]
	s_cbranch_vccnz .LBB154_365
.LBB154_364:
	s_xor_b64 s[10:11], s[52:53], -1
	s_or_b64 s[10:11], s[50:51], s[10:11]
	s_andn2_b64 s[14:15], s[14:15], exec
	s_and_b64 s[10:11], s[10:11], exec
	s_or_b64 s[14:15], s[14:15], s[10:11]
.LBB154_365:
	s_movk_i32 s10, 0xff00
	v_and_b32_sdwa v7, v4, s10 dst_sel:DWORD dst_unused:UNUSED_PAD src0_sel:WORD_1 src1_sel:DWORD
	v_cndmask_b32_e64 v8, 0, 1, s[14:15]
	v_or_b32_sdwa v7, v8, v7 dst_sel:WORD_1 dst_unused:UNUSED_PAD src0_sel:DWORD src1_sel:DWORD
	s_mov_b32 s10, 0xffff
	v_and_or_b32 v4, v4, s10, v7
.LBB154_366:
	s_or_b64 exec, exec, s[2:3]
	v_or_b32_e32 v7, 0x700, v0
	v_cmp_gt_i32_e32 vcc, s12, v7
	s_and_saveexec_b64 s[2:3], vcc
	s_cbranch_execz .LBB154_381
; %bb.367:
	s_cmp_lt_i32 s13, 1
	s_mov_b64 s[10:11], 0
	s_cbranch_scc1 .LBB154_372
; %bb.368:
	s_cmp_gt_i32 s13, 1
	s_cbranch_scc0 .LBB154_373
; %bb.369:
	s_cmp_eq_u32 s13, 2
	s_cbranch_scc0 .LBB154_541
; %bb.370:
	s_xor_b64 s[14:15], s[48:49], -1
	s_or_b64 s[14:15], s[46:47], s[14:15]
	s_mov_b64 s[50:51], 0
	s_branch .LBB154_375
.LBB154_371:
	s_xor_b64 s[10:11], s[50:51], -1
	s_and_b64 s[54:55], s[52:53], s[10:11]
	s_andn2_b64 s[14:15], s[14:15], exec
	s_and_b64 s[54:55], s[54:55], exec
	s_or_b64 s[14:15], s[14:15], s[54:55]
	s_cbranch_execz .LBB154_364
	s_branch .LBB154_365
.LBB154_372:
                                        ; implicit-def: $sgpr14_sgpr15
	s_mov_b64 s[50:51], 0
	s_cbranch_execnz .LBB154_376
	s_branch .LBB154_377
.LBB154_373:
	s_mov_b64 s[50:51], 0
                                        ; implicit-def: $sgpr14_sgpr15
	s_cbranch_execz .LBB154_375
; %bb.374:
	s_xor_b64 s[52:53], s[46:47], -1
	s_and_b64 s[52:53], s[48:49], s[52:53]
	s_andn2_b64 s[14:15], s[14:15], exec
	s_and_b64 s[52:53], s[52:53], exec
	s_or_b64 s[14:15], s[14:15], s[52:53]
.LBB154_375:
	s_branch .LBB154_377
.LBB154_376:
	s_cmp_lg_u32 s13, 0
	s_mov_b64 s[10:11], -1
	s_cselect_b64 s[50:51], -1, 0
.LBB154_377:
	s_andn2_b64 vcc, exec, s[50:51]
	s_cbranch_vccz .LBB154_386
; %bb.378:
	s_andn2_b64 vcc, exec, s[10:11]
	s_cbranch_vccnz .LBB154_380
.LBB154_379:
	s_xor_b64 s[10:11], s[46:47], -1
	s_or_b64 s[10:11], s[48:49], s[10:11]
	s_andn2_b64 s[14:15], s[14:15], exec
	s_and_b64 s[10:11], s[10:11], exec
	s_or_b64 s[14:15], s[14:15], s[10:11]
.LBB154_380:
	s_movk_i32 s10, 0xff
	v_cndmask_b32_e64 v8, 0, 1, s[14:15]
	v_and_b32_sdwa v7, v4, s10 dst_sel:DWORD dst_unused:UNUSED_PAD src0_sel:WORD_1 src1_sel:DWORD
	v_lshlrev_b16_e32 v8, 8, v8
	v_or_b32_sdwa v7, v7, v8 dst_sel:WORD_1 dst_unused:UNUSED_PAD src0_sel:DWORD src1_sel:DWORD
	s_mov_b32 s10, 0xffff
	v_and_or_b32 v4, v4, s10, v7
.LBB154_381:
	s_or_b64 exec, exec, s[2:3]
	v_or_b32_e32 v7, 0x800, v0
	v_cmp_gt_i32_e32 vcc, s12, v7
	s_and_saveexec_b64 s[2:3], vcc
	s_cbranch_execz .LBB154_396
; %bb.382:
	s_cmp_lt_i32 s13, 1
	s_mov_b64 s[10:11], 0
	s_cbranch_scc1 .LBB154_387
; %bb.383:
	s_cmp_gt_i32 s13, 1
	s_cbranch_scc0 .LBB154_388
; %bb.384:
	s_cmp_eq_u32 s13, 2
	s_cbranch_scc0 .LBB154_542
; %bb.385:
	s_xor_b64 s[14:15], s[42:43], -1
	s_or_b64 s[14:15], s[44:45], s[14:15]
	s_mov_b64 s[46:47], 0
	s_branch .LBB154_390
.LBB154_386:
	s_xor_b64 s[10:11], s[48:49], -1
	s_and_b64 s[50:51], s[46:47], s[10:11]
	s_andn2_b64 s[14:15], s[14:15], exec
	s_and_b64 s[50:51], s[50:51], exec
	s_or_b64 s[14:15], s[14:15], s[50:51]
	s_cbranch_execz .LBB154_379
	s_branch .LBB154_380
.LBB154_387:
                                        ; implicit-def: $sgpr14_sgpr15
	s_mov_b64 s[46:47], 0
	s_cbranch_execnz .LBB154_391
	s_branch .LBB154_392
.LBB154_388:
	s_mov_b64 s[46:47], 0
                                        ; implicit-def: $sgpr14_sgpr15
	s_cbranch_execz .LBB154_390
; %bb.389:
	s_xor_b64 s[48:49], s[44:45], -1
	s_and_b64 s[48:49], s[42:43], s[48:49]
	s_andn2_b64 s[14:15], s[14:15], exec
	s_and_b64 s[48:49], s[48:49], exec
	s_or_b64 s[14:15], s[14:15], s[48:49]
.LBB154_390:
	s_branch .LBB154_392
.LBB154_391:
	s_cmp_lg_u32 s13, 0
	s_mov_b64 s[10:11], -1
	s_cselect_b64 s[46:47], -1, 0
.LBB154_392:
	s_andn2_b64 vcc, exec, s[46:47]
	s_cbranch_vccz .LBB154_401
; %bb.393:
	s_andn2_b64 vcc, exec, s[10:11]
	s_cbranch_vccnz .LBB154_395
.LBB154_394:
	s_xor_b64 s[10:11], s[44:45], -1
	s_or_b64 s[10:11], s[42:43], s[10:11]
	s_andn2_b64 s[14:15], s[14:15], exec
	s_and_b64 s[10:11], s[10:11], exec
	s_or_b64 s[14:15], s[14:15], s[10:11]
.LBB154_395:
	v_and_b32_e32 v7, 0xffffff00, v3
	v_cndmask_b32_e64 v8, 0, 1, s[14:15]
	v_or_b32_e32 v7, v8, v7
	v_and_b32_e32 v7, 0xffff, v7
	s_mov_b32 s10, 0xffff0000
	v_and_or_b32 v3, v3, s10, v7
.LBB154_396:
	s_or_b64 exec, exec, s[2:3]
	v_or_b32_e32 v7, 0x900, v0
	v_cmp_gt_i32_e32 vcc, s12, v7
	s_and_saveexec_b64 s[2:3], vcc
	s_cbranch_execz .LBB154_411
; %bb.397:
	s_cmp_lt_i32 s13, 1
	s_mov_b64 s[10:11], 0
	s_cbranch_scc1 .LBB154_402
; %bb.398:
	s_cmp_gt_i32 s13, 1
	s_cbranch_scc0 .LBB154_403
; %bb.399:
	s_cmp_eq_u32 s13, 2
	s_cbranch_scc0 .LBB154_543
; %bb.400:
	s_xor_b64 s[14:15], s[40:41], -1
	s_or_b64 s[14:15], s[38:39], s[14:15]
	s_mov_b64 s[42:43], 0
	s_branch .LBB154_405
.LBB154_401:
	s_xor_b64 s[10:11], s[42:43], -1
	s_and_b64 s[46:47], s[44:45], s[10:11]
	s_andn2_b64 s[14:15], s[14:15], exec
	s_and_b64 s[46:47], s[46:47], exec
	s_or_b64 s[14:15], s[14:15], s[46:47]
	s_cbranch_execz .LBB154_394
	s_branch .LBB154_395
.LBB154_402:
                                        ; implicit-def: $sgpr14_sgpr15
	s_mov_b64 s[42:43], 0
	s_cbranch_execnz .LBB154_406
	s_branch .LBB154_407
.LBB154_403:
	s_mov_b64 s[42:43], 0
                                        ; implicit-def: $sgpr14_sgpr15
	s_cbranch_execz .LBB154_405
; %bb.404:
	s_xor_b64 s[44:45], s[38:39], -1
	s_and_b64 s[44:45], s[40:41], s[44:45]
	s_andn2_b64 s[14:15], s[14:15], exec
	s_and_b64 s[44:45], s[44:45], exec
	s_or_b64 s[14:15], s[14:15], s[44:45]
.LBB154_405:
	s_branch .LBB154_407
.LBB154_406:
	s_cmp_lg_u32 s13, 0
	s_mov_b64 s[10:11], -1
	s_cselect_b64 s[42:43], -1, 0
.LBB154_407:
	s_andn2_b64 vcc, exec, s[42:43]
	s_cbranch_vccz .LBB154_416
; %bb.408:
	s_andn2_b64 vcc, exec, s[10:11]
	s_cbranch_vccnz .LBB154_410
.LBB154_409:
	s_xor_b64 s[10:11], s[38:39], -1
	s_or_b64 s[10:11], s[40:41], s[10:11]
	s_andn2_b64 s[14:15], s[14:15], exec
	s_and_b64 s[10:11], s[10:11], exec
	s_or_b64 s[14:15], s[14:15], s[10:11]
.LBB154_410:
	v_cndmask_b32_e64 v7, 0, 1, s[14:15]
	v_lshlrev_b16_e32 v7, 8, v7
	v_or_b32_sdwa v7, v3, v7 dst_sel:DWORD dst_unused:UNUSED_PAD src0_sel:BYTE_0 src1_sel:DWORD
	v_and_b32_e32 v7, 0xffff, v7
	s_mov_b32 s10, 0xffff0000
	v_and_or_b32 v3, v3, s10, v7
.LBB154_411:
	s_or_b64 exec, exec, s[2:3]
	v_or_b32_e32 v7, 0xa00, v0
	v_cmp_gt_i32_e32 vcc, s12, v7
	s_and_saveexec_b64 s[2:3], vcc
	s_cbranch_execz .LBB154_426
; %bb.412:
	s_cmp_lt_i32 s13, 1
	s_mov_b64 s[10:11], 0
	s_cbranch_scc1 .LBB154_417
; %bb.413:
	s_cmp_gt_i32 s13, 1
	s_cbranch_scc0 .LBB154_418
; %bb.414:
	s_cmp_eq_u32 s13, 2
	s_cbranch_scc0 .LBB154_544
; %bb.415:
	s_xor_b64 s[14:15], s[34:35], -1
	s_or_b64 s[14:15], s[36:37], s[14:15]
	s_mov_b64 s[38:39], 0
	s_branch .LBB154_420
.LBB154_416:
	s_xor_b64 s[10:11], s[40:41], -1
	s_and_b64 s[42:43], s[38:39], s[10:11]
	s_andn2_b64 s[14:15], s[14:15], exec
	s_and_b64 s[42:43], s[42:43], exec
	s_or_b64 s[14:15], s[14:15], s[42:43]
	s_cbranch_execz .LBB154_409
	s_branch .LBB154_410
.LBB154_417:
                                        ; implicit-def: $sgpr14_sgpr15
	s_mov_b64 s[38:39], 0
	s_cbranch_execnz .LBB154_421
	s_branch .LBB154_422
.LBB154_418:
	s_mov_b64 s[38:39], 0
                                        ; implicit-def: $sgpr14_sgpr15
	s_cbranch_execz .LBB154_420
; %bb.419:
	s_xor_b64 s[40:41], s[36:37], -1
	s_and_b64 s[40:41], s[34:35], s[40:41]
	s_andn2_b64 s[14:15], s[14:15], exec
	s_and_b64 s[40:41], s[40:41], exec
	s_or_b64 s[14:15], s[14:15], s[40:41]
.LBB154_420:
	s_branch .LBB154_422
.LBB154_421:
	s_cmp_lg_u32 s13, 0
	s_mov_b64 s[10:11], -1
	s_cselect_b64 s[38:39], -1, 0
.LBB154_422:
	s_andn2_b64 vcc, exec, s[38:39]
	s_cbranch_vccz .LBB154_431
; %bb.423:
	s_andn2_b64 vcc, exec, s[10:11]
	s_cbranch_vccnz .LBB154_425
.LBB154_424:
	s_xor_b64 s[10:11], s[36:37], -1
	s_or_b64 s[10:11], s[34:35], s[10:11]
	s_andn2_b64 s[14:15], s[14:15], exec
	s_and_b64 s[10:11], s[10:11], exec
	s_or_b64 s[14:15], s[14:15], s[10:11]
.LBB154_425:
	s_movk_i32 s10, 0xff00
	v_and_b32_sdwa v7, v3, s10 dst_sel:DWORD dst_unused:UNUSED_PAD src0_sel:WORD_1 src1_sel:DWORD
	v_cndmask_b32_e64 v8, 0, 1, s[14:15]
	v_or_b32_sdwa v7, v8, v7 dst_sel:WORD_1 dst_unused:UNUSED_PAD src0_sel:DWORD src1_sel:DWORD
	s_mov_b32 s10, 0xffff
	v_and_or_b32 v3, v3, s10, v7
.LBB154_426:
	s_or_b64 exec, exec, s[2:3]
	v_or_b32_e32 v7, 0xb00, v0
	v_cmp_gt_i32_e32 vcc, s12, v7
	s_and_saveexec_b64 s[2:3], vcc
	s_cbranch_execz .LBB154_441
; %bb.427:
	s_cmp_lt_i32 s13, 1
	s_mov_b64 s[10:11], 0
	s_cbranch_scc1 .LBB154_432
; %bb.428:
	s_cmp_gt_i32 s13, 1
	s_cbranch_scc0 .LBB154_433
; %bb.429:
	s_cmp_eq_u32 s13, 2
	s_cbranch_scc0 .LBB154_545
; %bb.430:
	s_xor_b64 s[14:15], s[30:31], -1
	s_or_b64 s[14:15], s[28:29], s[14:15]
	s_mov_b64 s[34:35], 0
	s_branch .LBB154_435
.LBB154_431:
	s_xor_b64 s[10:11], s[34:35], -1
	s_and_b64 s[38:39], s[36:37], s[10:11]
	s_andn2_b64 s[14:15], s[14:15], exec
	s_and_b64 s[38:39], s[38:39], exec
	s_or_b64 s[14:15], s[14:15], s[38:39]
	s_cbranch_execz .LBB154_424
	s_branch .LBB154_425
.LBB154_432:
                                        ; implicit-def: $sgpr14_sgpr15
	s_mov_b64 s[34:35], 0
	s_cbranch_execnz .LBB154_436
	s_branch .LBB154_437
.LBB154_433:
	s_mov_b64 s[34:35], 0
                                        ; implicit-def: $sgpr14_sgpr15
	s_cbranch_execz .LBB154_435
; %bb.434:
	s_xor_b64 s[36:37], s[28:29], -1
	s_and_b64 s[36:37], s[30:31], s[36:37]
	s_andn2_b64 s[14:15], s[14:15], exec
	s_and_b64 s[36:37], s[36:37], exec
	s_or_b64 s[14:15], s[14:15], s[36:37]
.LBB154_435:
	s_branch .LBB154_437
.LBB154_436:
	s_cmp_lg_u32 s13, 0
	s_mov_b64 s[10:11], -1
	s_cselect_b64 s[34:35], -1, 0
.LBB154_437:
	s_andn2_b64 vcc, exec, s[34:35]
	s_cbranch_vccz .LBB154_446
; %bb.438:
	s_andn2_b64 vcc, exec, s[10:11]
	s_cbranch_vccnz .LBB154_440
.LBB154_439:
	s_xor_b64 s[10:11], s[28:29], -1
	s_or_b64 s[10:11], s[30:31], s[10:11]
	s_andn2_b64 s[14:15], s[14:15], exec
	s_and_b64 s[10:11], s[10:11], exec
	s_or_b64 s[14:15], s[14:15], s[10:11]
.LBB154_440:
	s_movk_i32 s10, 0xff
	v_cndmask_b32_e64 v8, 0, 1, s[14:15]
	v_and_b32_sdwa v7, v3, s10 dst_sel:DWORD dst_unused:UNUSED_PAD src0_sel:WORD_1 src1_sel:DWORD
	v_lshlrev_b16_e32 v8, 8, v8
	v_or_b32_sdwa v7, v7, v8 dst_sel:WORD_1 dst_unused:UNUSED_PAD src0_sel:DWORD src1_sel:DWORD
	s_mov_b32 s10, 0xffff
	v_and_or_b32 v3, v3, s10, v7
.LBB154_441:
	s_or_b64 exec, exec, s[2:3]
	v_or_b32_e32 v7, 0xc00, v0
	v_cmp_gt_i32_e32 vcc, s12, v7
	s_and_saveexec_b64 s[2:3], vcc
	s_cbranch_execz .LBB154_456
; %bb.442:
	s_cmp_lt_i32 s13, 1
	s_mov_b64 s[10:11], 0
	s_cbranch_scc1 .LBB154_447
; %bb.443:
	s_cmp_gt_i32 s13, 1
	s_cbranch_scc0 .LBB154_448
; %bb.444:
	s_cmp_eq_u32 s13, 2
	s_cbranch_scc0 .LBB154_546
; %bb.445:
	s_xor_b64 s[14:15], s[24:25], -1
	s_or_b64 s[14:15], s[26:27], s[14:15]
	s_mov_b64 s[28:29], 0
	s_branch .LBB154_450
.LBB154_446:
	s_xor_b64 s[10:11], s[30:31], -1
	s_and_b64 s[34:35], s[28:29], s[10:11]
	s_andn2_b64 s[14:15], s[14:15], exec
	s_and_b64 s[34:35], s[34:35], exec
	s_or_b64 s[14:15], s[14:15], s[34:35]
	s_cbranch_execz .LBB154_439
	s_branch .LBB154_440
.LBB154_447:
                                        ; implicit-def: $sgpr14_sgpr15
	s_mov_b64 s[28:29], 0
	s_cbranch_execnz .LBB154_451
	s_branch .LBB154_452
.LBB154_448:
	s_mov_b64 s[28:29], 0
                                        ; implicit-def: $sgpr14_sgpr15
	s_cbranch_execz .LBB154_450
; %bb.449:
	s_xor_b64 s[30:31], s[26:27], -1
	s_and_b64 s[30:31], s[24:25], s[30:31]
	s_andn2_b64 s[14:15], s[14:15], exec
	s_and_b64 s[30:31], s[30:31], exec
	s_or_b64 s[14:15], s[14:15], s[30:31]
.LBB154_450:
	s_branch .LBB154_452
.LBB154_451:
	s_cmp_lg_u32 s13, 0
	s_mov_b64 s[10:11], -1
	s_cselect_b64 s[28:29], -1, 0
.LBB154_452:
	s_andn2_b64 vcc, exec, s[28:29]
	s_cbranch_vccz .LBB154_461
; %bb.453:
	s_andn2_b64 vcc, exec, s[10:11]
	s_cbranch_vccnz .LBB154_455
.LBB154_454:
	s_xor_b64 s[10:11], s[26:27], -1
	s_or_b64 s[10:11], s[24:25], s[10:11]
	s_andn2_b64 s[14:15], s[14:15], exec
	s_and_b64 s[10:11], s[10:11], exec
	s_or_b64 s[14:15], s[14:15], s[10:11]
.LBB154_455:
	v_and_b32_e32 v7, 0xffffff00, v2
	v_cndmask_b32_e64 v8, 0, 1, s[14:15]
	v_or_b32_e32 v7, v8, v7
	v_and_b32_e32 v7, 0xffff, v7
	s_mov_b32 s10, 0xffff0000
	v_and_or_b32 v2, v2, s10, v7
.LBB154_456:
	s_or_b64 exec, exec, s[2:3]
	v_or_b32_e32 v7, 0xd00, v0
	v_cmp_gt_i32_e32 vcc, s12, v7
	s_and_saveexec_b64 s[2:3], vcc
	s_cbranch_execz .LBB154_471
; %bb.457:
	s_cmp_lt_i32 s13, 1
	s_mov_b64 s[10:11], 0
	s_cbranch_scc1 .LBB154_462
; %bb.458:
	s_cmp_gt_i32 s13, 1
	s_cbranch_scc0 .LBB154_463
; %bb.459:
	s_cmp_eq_u32 s13, 2
	s_cbranch_scc0 .LBB154_547
; %bb.460:
	s_xor_b64 s[14:15], s[22:23], -1
	s_or_b64 s[14:15], s[20:21], s[14:15]
	s_mov_b64 s[24:25], 0
	s_branch .LBB154_465
.LBB154_461:
	s_xor_b64 s[10:11], s[24:25], -1
	s_and_b64 s[28:29], s[26:27], s[10:11]
	s_andn2_b64 s[14:15], s[14:15], exec
	s_and_b64 s[28:29], s[28:29], exec
	s_or_b64 s[14:15], s[14:15], s[28:29]
	s_cbranch_execz .LBB154_454
	s_branch .LBB154_455
.LBB154_462:
                                        ; implicit-def: $sgpr14_sgpr15
	s_mov_b64 s[24:25], 0
	s_cbranch_execnz .LBB154_466
	s_branch .LBB154_467
.LBB154_463:
	s_mov_b64 s[24:25], 0
                                        ; implicit-def: $sgpr14_sgpr15
	s_cbranch_execz .LBB154_465
; %bb.464:
	s_xor_b64 s[26:27], s[20:21], -1
	s_and_b64 s[26:27], s[22:23], s[26:27]
	s_andn2_b64 s[14:15], s[14:15], exec
	s_and_b64 s[26:27], s[26:27], exec
	s_or_b64 s[14:15], s[14:15], s[26:27]
.LBB154_465:
	s_branch .LBB154_467
.LBB154_466:
	s_cmp_lg_u32 s13, 0
	s_mov_b64 s[10:11], -1
	s_cselect_b64 s[24:25], -1, 0
.LBB154_467:
	s_andn2_b64 vcc, exec, s[24:25]
	s_cbranch_vccz .LBB154_476
; %bb.468:
	s_andn2_b64 vcc, exec, s[10:11]
	s_cbranch_vccnz .LBB154_470
.LBB154_469:
	s_xor_b64 s[10:11], s[20:21], -1
	s_or_b64 s[10:11], s[22:23], s[10:11]
	s_andn2_b64 s[14:15], s[14:15], exec
	s_and_b64 s[10:11], s[10:11], exec
	s_or_b64 s[14:15], s[14:15], s[10:11]
.LBB154_470:
	v_cndmask_b32_e64 v7, 0, 1, s[14:15]
	v_lshlrev_b16_e32 v7, 8, v7
	v_or_b32_sdwa v7, v2, v7 dst_sel:DWORD dst_unused:UNUSED_PAD src0_sel:BYTE_0 src1_sel:DWORD
	v_and_b32_e32 v7, 0xffff, v7
	s_mov_b32 s10, 0xffff0000
	v_and_or_b32 v2, v2, s10, v7
.LBB154_471:
	s_or_b64 exec, exec, s[2:3]
	v_or_b32_e32 v7, 0xe00, v0
	v_cmp_gt_i32_e32 vcc, s12, v7
	s_and_saveexec_b64 s[2:3], vcc
	s_cbranch_execz .LBB154_486
; %bb.472:
	s_cmp_lt_i32 s13, 1
	s_mov_b64 s[10:11], 0
	s_cbranch_scc1 .LBB154_477
; %bb.473:
	s_cmp_gt_i32 s13, 1
	s_cbranch_scc0 .LBB154_478
; %bb.474:
	s_cmp_eq_u32 s13, 2
	s_cbranch_scc0 .LBB154_548
; %bb.475:
	s_xor_b64 s[14:15], s[16:17], -1
	s_or_b64 s[14:15], s[18:19], s[14:15]
	s_mov_b64 s[20:21], 0
	s_branch .LBB154_480
.LBB154_476:
	s_xor_b64 s[10:11], s[22:23], -1
	s_and_b64 s[24:25], s[20:21], s[10:11]
	s_andn2_b64 s[14:15], s[14:15], exec
	s_and_b64 s[24:25], s[24:25], exec
	s_or_b64 s[14:15], s[14:15], s[24:25]
	s_cbranch_execz .LBB154_469
	s_branch .LBB154_470
.LBB154_477:
                                        ; implicit-def: $sgpr14_sgpr15
	s_mov_b64 s[20:21], 0
	s_cbranch_execnz .LBB154_481
	s_branch .LBB154_482
.LBB154_478:
	s_mov_b64 s[20:21], 0
                                        ; implicit-def: $sgpr14_sgpr15
	s_cbranch_execz .LBB154_480
; %bb.479:
	s_xor_b64 s[22:23], s[18:19], -1
	s_and_b64 s[22:23], s[16:17], s[22:23]
	s_andn2_b64 s[14:15], s[14:15], exec
	s_and_b64 s[22:23], s[22:23], exec
	s_or_b64 s[14:15], s[14:15], s[22:23]
.LBB154_480:
	s_branch .LBB154_482
.LBB154_481:
	s_cmp_lg_u32 s13, 0
	s_mov_b64 s[10:11], -1
	s_cselect_b64 s[20:21], -1, 0
.LBB154_482:
	s_andn2_b64 vcc, exec, s[20:21]
	s_cbranch_vccz .LBB154_491
; %bb.483:
	s_andn2_b64 vcc, exec, s[10:11]
	s_cbranch_vccnz .LBB154_485
.LBB154_484:
	s_xor_b64 s[10:11], s[18:19], -1
	s_or_b64 s[10:11], s[16:17], s[10:11]
	s_andn2_b64 s[14:15], s[14:15], exec
	s_and_b64 s[10:11], s[10:11], exec
	s_or_b64 s[14:15], s[14:15], s[10:11]
.LBB154_485:
	s_movk_i32 s10, 0xff00
	v_and_b32_sdwa v7, v2, s10 dst_sel:DWORD dst_unused:UNUSED_PAD src0_sel:WORD_1 src1_sel:DWORD
	v_cndmask_b32_e64 v8, 0, 1, s[14:15]
	v_or_b32_sdwa v7, v8, v7 dst_sel:WORD_1 dst_unused:UNUSED_PAD src0_sel:DWORD src1_sel:DWORD
	s_mov_b32 s10, 0xffff
	v_and_or_b32 v2, v2, s10, v7
.LBB154_486:
	s_or_b64 exec, exec, s[2:3]
	v_or_b32_e32 v7, 0xf00, v0
	v_cmp_gt_i32_e32 vcc, s12, v7
	s_and_saveexec_b64 s[2:3], vcc
	s_cbranch_execz .LBB154_501
; %bb.487:
	s_cmp_lt_i32 s13, 1
	s_mov_b64 s[10:11], 0
	s_cbranch_scc1 .LBB154_492
; %bb.488:
	s_cmp_gt_i32 s13, 1
	s_cbranch_scc0 .LBB154_493
; %bb.489:
	s_cmp_eq_u32 s13, 2
	s_cbranch_scc0 .LBB154_549
; %bb.490:
	s_xor_b64 s[14:15], s[6:7], -1
	s_or_b64 s[14:15], s[4:5], s[14:15]
	s_mov_b64 s[16:17], 0
	s_branch .LBB154_495
.LBB154_491:
	s_xor_b64 s[10:11], s[16:17], -1
	s_and_b64 s[20:21], s[18:19], s[10:11]
	s_andn2_b64 s[14:15], s[14:15], exec
	s_and_b64 s[20:21], s[20:21], exec
	s_or_b64 s[14:15], s[14:15], s[20:21]
	s_cbranch_execz .LBB154_484
	s_branch .LBB154_485
.LBB154_492:
                                        ; implicit-def: $sgpr14_sgpr15
	s_mov_b64 s[16:17], 0
	s_cbranch_execnz .LBB154_496
	s_branch .LBB154_497
.LBB154_493:
	s_mov_b64 s[16:17], 0
                                        ; implicit-def: $sgpr14_sgpr15
	s_cbranch_execz .LBB154_495
; %bb.494:
	s_xor_b64 s[18:19], s[4:5], -1
	s_and_b64 s[18:19], s[6:7], s[18:19]
	s_andn2_b64 s[14:15], s[14:15], exec
	s_and_b64 s[18:19], s[18:19], exec
	s_or_b64 s[14:15], s[14:15], s[18:19]
.LBB154_495:
	s_branch .LBB154_497
.LBB154_496:
	s_cmp_lg_u32 s13, 0
	s_mov_b64 s[10:11], -1
	s_cselect_b64 s[16:17], -1, 0
.LBB154_497:
	s_andn2_b64 vcc, exec, s[16:17]
	s_cbranch_vccz .LBB154_534
; %bb.498:
	s_andn2_b64 vcc, exec, s[10:11]
	s_cbranch_vccnz .LBB154_500
.LBB154_499:
	s_xor_b64 s[4:5], s[4:5], -1
	s_or_b64 s[4:5], s[6:7], s[4:5]
	s_andn2_b64 s[6:7], s[14:15], exec
	s_and_b64 s[4:5], s[4:5], exec
	s_or_b64 s[14:15], s[6:7], s[4:5]
.LBB154_500:
	s_movk_i32 s4, 0xff
	v_cndmask_b32_e64 v8, 0, 1, s[14:15]
	v_and_b32_sdwa v7, v2, s4 dst_sel:DWORD dst_unused:UNUSED_PAD src0_sel:WORD_1 src1_sel:DWORD
	v_lshlrev_b16_e32 v8, 8, v8
	v_or_b32_sdwa v7, v7, v8 dst_sel:WORD_1 dst_unused:UNUSED_PAD src0_sel:DWORD src1_sel:DWORD
	s_mov_b32 s4, 0xffff
	v_and_or_b32 v2, v2, s4, v7
.LBB154_501:
	s_or_b64 exec, exec, s[2:3]
	s_and_saveexec_b64 s[2:3], s[0:1]
	s_xor_b64 s[0:1], exec, s[2:3]
	s_cbranch_execz .LBB154_503
; %bb.502:
	v_mov_b32_e32 v0, v6
	global_store_byte v1, v5, s[8:9]
.LBB154_503:
	s_or_b64 exec, exec, s[0:1]
	v_cmp_gt_i32_e32 vcc, s12, v0
	s_and_saveexec_b64 s[0:1], vcc
	s_cbranch_execnz .LBB154_520
; %bb.504:
	s_or_b64 exec, exec, s[0:1]
	v_cmp_gt_i32_e32 vcc, s12, v0
	s_and_saveexec_b64 s[0:1], vcc
	s_cbranch_execnz .LBB154_521
.LBB154_505:
	s_or_b64 exec, exec, s[0:1]
	v_cmp_gt_i32_e32 vcc, s12, v0
	s_and_saveexec_b64 s[0:1], vcc
	s_cbranch_execnz .LBB154_522
.LBB154_506:
	s_or_b64 exec, exec, s[0:1]
	v_cmp_gt_i32_e32 vcc, s12, v0
	s_and_saveexec_b64 s[0:1], vcc
	s_cbranch_execnz .LBB154_523
.LBB154_507:
	s_or_b64 exec, exec, s[0:1]
	v_cmp_gt_i32_e32 vcc, s12, v0
	s_and_saveexec_b64 s[0:1], vcc
	s_cbranch_execnz .LBB154_524
.LBB154_508:
	s_or_b64 exec, exec, s[0:1]
	v_cmp_gt_i32_e32 vcc, s12, v0
	s_and_saveexec_b64 s[0:1], vcc
	s_cbranch_execnz .LBB154_525
.LBB154_509:
	s_or_b64 exec, exec, s[0:1]
	v_cmp_gt_i32_e32 vcc, s12, v0
	s_and_saveexec_b64 s[0:1], vcc
	s_cbranch_execnz .LBB154_526
.LBB154_510:
	s_or_b64 exec, exec, s[0:1]
	v_cmp_gt_i32_e32 vcc, s12, v0
	s_and_saveexec_b64 s[0:1], vcc
	s_cbranch_execnz .LBB154_527
.LBB154_511:
	s_or_b64 exec, exec, s[0:1]
	v_cmp_gt_i32_e32 vcc, s12, v0
	s_and_saveexec_b64 s[0:1], vcc
	s_cbranch_execnz .LBB154_528
.LBB154_512:
	s_or_b64 exec, exec, s[0:1]
	v_cmp_gt_i32_e32 vcc, s12, v0
	s_and_saveexec_b64 s[0:1], vcc
	s_cbranch_execnz .LBB154_529
.LBB154_513:
	s_or_b64 exec, exec, s[0:1]
	v_cmp_gt_i32_e32 vcc, s12, v0
	s_and_saveexec_b64 s[0:1], vcc
	s_cbranch_execnz .LBB154_530
.LBB154_514:
	s_or_b64 exec, exec, s[0:1]
	v_cmp_gt_i32_e32 vcc, s12, v0
	s_and_saveexec_b64 s[0:1], vcc
	s_cbranch_execnz .LBB154_531
.LBB154_515:
	s_or_b64 exec, exec, s[0:1]
	v_cmp_gt_i32_e32 vcc, s12, v0
	s_and_saveexec_b64 s[0:1], vcc
	s_cbranch_execnz .LBB154_532
.LBB154_516:
	s_or_b64 exec, exec, s[0:1]
	v_cmp_gt_i32_e32 vcc, s12, v0
	s_and_saveexec_b64 s[0:1], vcc
	s_cbranch_execnz .LBB154_533
.LBB154_517:
	s_or_b64 exec, exec, s[0:1]
	v_cmp_gt_i32_e32 vcc, s12, v0
	s_and_saveexec_b64 s[0:1], vcc
	s_cbranch_execz .LBB154_519
.LBB154_518:
	v_lshrrev_b32_e32 v1, 24, v2
	v_add_u32_e32 v0, s33, v0
	global_store_byte v0, v1, s[8:9]
.LBB154_519:
	s_endpgm
.LBB154_520:
	v_lshrrev_b32_e32 v1, 8, v5
	v_add_u32_e32 v6, s33, v0
	v_add_u32_e32 v0, 0x100, v0
	global_store_byte v6, v1, s[8:9]
	s_or_b64 exec, exec, s[0:1]
	v_cmp_gt_i32_e32 vcc, s12, v0
	s_and_saveexec_b64 s[0:1], vcc
	s_cbranch_execz .LBB154_505
.LBB154_521:
	v_add_u32_e32 v1, s33, v0
	v_add_u32_e32 v0, 0x100, v0
	global_store_byte_d16_hi v1, v5, s[8:9]
	s_or_b64 exec, exec, s[0:1]
	v_cmp_gt_i32_e32 vcc, s12, v0
	s_and_saveexec_b64 s[0:1], vcc
	s_cbranch_execz .LBB154_506
.LBB154_522:
	v_lshrrev_b32_e32 v1, 24, v5
	v_add_u32_e32 v5, s33, v0
	v_add_u32_e32 v0, 0x100, v0
	global_store_byte v5, v1, s[8:9]
	s_or_b64 exec, exec, s[0:1]
	v_cmp_gt_i32_e32 vcc, s12, v0
	s_and_saveexec_b64 s[0:1], vcc
	s_cbranch_execz .LBB154_507
.LBB154_523:
	v_add_u32_e32 v1, s33, v0
	v_add_u32_e32 v0, 0x100, v0
	global_store_byte v1, v4, s[8:9]
	s_or_b64 exec, exec, s[0:1]
	v_cmp_gt_i32_e32 vcc, s12, v0
	s_and_saveexec_b64 s[0:1], vcc
	s_cbranch_execz .LBB154_508
.LBB154_524:
	v_lshrrev_b32_e32 v1, 8, v4
	v_add_u32_e32 v5, s33, v0
	v_add_u32_e32 v0, 0x100, v0
	global_store_byte v5, v1, s[8:9]
	s_or_b64 exec, exec, s[0:1]
	v_cmp_gt_i32_e32 vcc, s12, v0
	s_and_saveexec_b64 s[0:1], vcc
	s_cbranch_execz .LBB154_509
.LBB154_525:
	v_add_u32_e32 v1, s33, v0
	v_add_u32_e32 v0, 0x100, v0
	global_store_byte_d16_hi v1, v4, s[8:9]
	s_or_b64 exec, exec, s[0:1]
	v_cmp_gt_i32_e32 vcc, s12, v0
	s_and_saveexec_b64 s[0:1], vcc
	s_cbranch_execz .LBB154_510
.LBB154_526:
	v_lshrrev_b32_e32 v1, 24, v4
	v_add_u32_e32 v4, s33, v0
	v_add_u32_e32 v0, 0x100, v0
	global_store_byte v4, v1, s[8:9]
	s_or_b64 exec, exec, s[0:1]
	v_cmp_gt_i32_e32 vcc, s12, v0
	s_and_saveexec_b64 s[0:1], vcc
	s_cbranch_execz .LBB154_511
.LBB154_527:
	v_add_u32_e32 v1, s33, v0
	v_add_u32_e32 v0, 0x100, v0
	global_store_byte v1, v3, s[8:9]
	s_or_b64 exec, exec, s[0:1]
	v_cmp_gt_i32_e32 vcc, s12, v0
	s_and_saveexec_b64 s[0:1], vcc
	s_cbranch_execz .LBB154_512
.LBB154_528:
	v_lshrrev_b32_e32 v1, 8, v3
	v_add_u32_e32 v4, s33, v0
	v_add_u32_e32 v0, 0x100, v0
	global_store_byte v4, v1, s[8:9]
	s_or_b64 exec, exec, s[0:1]
	v_cmp_gt_i32_e32 vcc, s12, v0
	s_and_saveexec_b64 s[0:1], vcc
	s_cbranch_execz .LBB154_513
.LBB154_529:
	v_add_u32_e32 v1, s33, v0
	v_add_u32_e32 v0, 0x100, v0
	global_store_byte_d16_hi v1, v3, s[8:9]
	s_or_b64 exec, exec, s[0:1]
	v_cmp_gt_i32_e32 vcc, s12, v0
	s_and_saveexec_b64 s[0:1], vcc
	s_cbranch_execz .LBB154_514
.LBB154_530:
	v_lshrrev_b32_e32 v1, 24, v3
	v_add_u32_e32 v3, s33, v0
	v_add_u32_e32 v0, 0x100, v0
	global_store_byte v3, v1, s[8:9]
	s_or_b64 exec, exec, s[0:1]
	v_cmp_gt_i32_e32 vcc, s12, v0
	s_and_saveexec_b64 s[0:1], vcc
	s_cbranch_execz .LBB154_515
.LBB154_531:
	v_add_u32_e32 v1, s33, v0
	v_add_u32_e32 v0, 0x100, v0
	global_store_byte v1, v2, s[8:9]
	s_or_b64 exec, exec, s[0:1]
	v_cmp_gt_i32_e32 vcc, s12, v0
	s_and_saveexec_b64 s[0:1], vcc
	s_cbranch_execz .LBB154_516
.LBB154_532:
	v_lshrrev_b32_e32 v1, 8, v2
	v_add_u32_e32 v3, s33, v0
	v_add_u32_e32 v0, 0x100, v0
	global_store_byte v3, v1, s[8:9]
	s_or_b64 exec, exec, s[0:1]
	v_cmp_gt_i32_e32 vcc, s12, v0
	s_and_saveexec_b64 s[0:1], vcc
	s_cbranch_execz .LBB154_517
.LBB154_533:
	v_add_u32_e32 v1, s33, v0
	v_add_u32_e32 v0, 0x100, v0
	global_store_byte_d16_hi v1, v2, s[8:9]
	s_or_b64 exec, exec, s[0:1]
	v_cmp_gt_i32_e32 vcc, s12, v0
	s_and_saveexec_b64 s[0:1], vcc
	s_cbranch_execnz .LBB154_518
	s_branch .LBB154_519
.LBB154_534:
	s_xor_b64 s[10:11], s[6:7], -1
	s_and_b64 s[16:17], s[4:5], s[10:11]
	s_andn2_b64 s[14:15], s[14:15], exec
	s_and_b64 s[16:17], s[16:17], exec
	s_or_b64 s[14:15], s[14:15], s[16:17]
	s_cbranch_execz .LBB154_499
	s_branch .LBB154_500
.LBB154_535:
	s_mov_b64 s[74:75], -1
                                        ; implicit-def: $sgpr14_sgpr15
	s_branch .LBB154_285
.LBB154_536:
	s_mov_b64 s[70:71], -1
                                        ; implicit-def: $sgpr14_sgpr15
	s_branch .LBB154_300
.LBB154_537:
	s_mov_b64 s[66:67], -1
                                        ; implicit-def: $sgpr14_sgpr15
	s_branch .LBB154_315
.LBB154_538:
	s_mov_b64 s[62:63], -1
                                        ; implicit-def: $sgpr14_sgpr15
	s_branch .LBB154_330
.LBB154_539:
	s_mov_b64 s[58:59], -1
                                        ; implicit-def: $sgpr14_sgpr15
	s_branch .LBB154_345
.LBB154_540:
	s_mov_b64 s[54:55], -1
                                        ; implicit-def: $sgpr14_sgpr15
	s_branch .LBB154_360
.LBB154_541:
	s_mov_b64 s[50:51], -1
                                        ; implicit-def: $sgpr14_sgpr15
	s_branch .LBB154_375
.LBB154_542:
	s_mov_b64 s[46:47], -1
                                        ; implicit-def: $sgpr14_sgpr15
	s_branch .LBB154_390
.LBB154_543:
	s_mov_b64 s[42:43], -1
                                        ; implicit-def: $sgpr14_sgpr15
	s_branch .LBB154_405
.LBB154_544:
	s_mov_b64 s[38:39], -1
                                        ; implicit-def: $sgpr14_sgpr15
	s_branch .LBB154_420
.LBB154_545:
	s_mov_b64 s[34:35], -1
                                        ; implicit-def: $sgpr14_sgpr15
	s_branch .LBB154_435
.LBB154_546:
	s_mov_b64 s[28:29], -1
                                        ; implicit-def: $sgpr14_sgpr15
	s_branch .LBB154_450
.LBB154_547:
	s_mov_b64 s[24:25], -1
                                        ; implicit-def: $sgpr14_sgpr15
	s_branch .LBB154_465
.LBB154_548:
	s_mov_b64 s[20:21], -1
                                        ; implicit-def: $sgpr14_sgpr15
	s_branch .LBB154_480
.LBB154_549:
	s_mov_b64 s[16:17], -1
                                        ; implicit-def: $sgpr14_sgpr15
	s_branch .LBB154_495
	.section	.rodata,"a",@progbits
	.p2align	6, 0x0
	.amdhsa_kernel _ZN2at6native29vectorized_elementwise_kernelILi4ENS0_12_GLOBAL__N_114CompareFunctorIbEESt5arrayIPcLm3EEEEviT0_T1_
		.amdhsa_group_segment_fixed_size 0
		.amdhsa_private_segment_fixed_size 0
		.amdhsa_kernarg_size 32
		.amdhsa_user_sgpr_count 6
		.amdhsa_user_sgpr_private_segment_buffer 1
		.amdhsa_user_sgpr_dispatch_ptr 0
		.amdhsa_user_sgpr_queue_ptr 0
		.amdhsa_user_sgpr_kernarg_segment_ptr 1
		.amdhsa_user_sgpr_dispatch_id 0
		.amdhsa_user_sgpr_flat_scratch_init 0
		.amdhsa_user_sgpr_private_segment_size 0
		.amdhsa_uses_dynamic_stack 0
		.amdhsa_system_sgpr_private_segment_wavefront_offset 0
		.amdhsa_system_sgpr_workgroup_id_x 1
		.amdhsa_system_sgpr_workgroup_id_y 0
		.amdhsa_system_sgpr_workgroup_id_z 0
		.amdhsa_system_sgpr_workgroup_info 0
		.amdhsa_system_vgpr_workitem_id 0
		.amdhsa_next_free_vgpr 11
		.amdhsa_next_free_sgpr 82
		.amdhsa_reserve_vcc 1
		.amdhsa_reserve_flat_scratch 0
		.amdhsa_float_round_mode_32 0
		.amdhsa_float_round_mode_16_64 0
		.amdhsa_float_denorm_mode_32 3
		.amdhsa_float_denorm_mode_16_64 3
		.amdhsa_dx10_clamp 1
		.amdhsa_ieee_mode 1
		.amdhsa_fp16_overflow 0
		.amdhsa_exception_fp_ieee_invalid_op 0
		.amdhsa_exception_fp_denorm_src 0
		.amdhsa_exception_fp_ieee_div_zero 0
		.amdhsa_exception_fp_ieee_overflow 0
		.amdhsa_exception_fp_ieee_underflow 0
		.amdhsa_exception_fp_ieee_inexact 0
		.amdhsa_exception_int_div_zero 0
	.end_amdhsa_kernel
	.section	.text._ZN2at6native29vectorized_elementwise_kernelILi4ENS0_12_GLOBAL__N_114CompareFunctorIbEESt5arrayIPcLm3EEEEviT0_T1_,"axG",@progbits,_ZN2at6native29vectorized_elementwise_kernelILi4ENS0_12_GLOBAL__N_114CompareFunctorIbEESt5arrayIPcLm3EEEEviT0_T1_,comdat
.Lfunc_end154:
	.size	_ZN2at6native29vectorized_elementwise_kernelILi4ENS0_12_GLOBAL__N_114CompareFunctorIbEESt5arrayIPcLm3EEEEviT0_T1_, .Lfunc_end154-_ZN2at6native29vectorized_elementwise_kernelILi4ENS0_12_GLOBAL__N_114CompareFunctorIbEESt5arrayIPcLm3EEEEviT0_T1_
                                        ; -- End function
	.set _ZN2at6native29vectorized_elementwise_kernelILi4ENS0_12_GLOBAL__N_114CompareFunctorIbEESt5arrayIPcLm3EEEEviT0_T1_.num_vgpr, 11
	.set _ZN2at6native29vectorized_elementwise_kernelILi4ENS0_12_GLOBAL__N_114CompareFunctorIbEESt5arrayIPcLm3EEEEviT0_T1_.num_agpr, 0
	.set _ZN2at6native29vectorized_elementwise_kernelILi4ENS0_12_GLOBAL__N_114CompareFunctorIbEESt5arrayIPcLm3EEEEviT0_T1_.numbered_sgpr, 82
	.set _ZN2at6native29vectorized_elementwise_kernelILi4ENS0_12_GLOBAL__N_114CompareFunctorIbEESt5arrayIPcLm3EEEEviT0_T1_.num_named_barrier, 0
	.set _ZN2at6native29vectorized_elementwise_kernelILi4ENS0_12_GLOBAL__N_114CompareFunctorIbEESt5arrayIPcLm3EEEEviT0_T1_.private_seg_size, 0
	.set _ZN2at6native29vectorized_elementwise_kernelILi4ENS0_12_GLOBAL__N_114CompareFunctorIbEESt5arrayIPcLm3EEEEviT0_T1_.uses_vcc, 1
	.set _ZN2at6native29vectorized_elementwise_kernelILi4ENS0_12_GLOBAL__N_114CompareFunctorIbEESt5arrayIPcLm3EEEEviT0_T1_.uses_flat_scratch, 0
	.set _ZN2at6native29vectorized_elementwise_kernelILi4ENS0_12_GLOBAL__N_114CompareFunctorIbEESt5arrayIPcLm3EEEEviT0_T1_.has_dyn_sized_stack, 0
	.set _ZN2at6native29vectorized_elementwise_kernelILi4ENS0_12_GLOBAL__N_114CompareFunctorIbEESt5arrayIPcLm3EEEEviT0_T1_.has_recursion, 0
	.set _ZN2at6native29vectorized_elementwise_kernelILi4ENS0_12_GLOBAL__N_114CompareFunctorIbEESt5arrayIPcLm3EEEEviT0_T1_.has_indirect_call, 0
	.section	.AMDGPU.csdata,"",@progbits
; Kernel info:
; codeLenInByte = 9612
; TotalNumSgprs: 86
; NumVgprs: 11
; ScratchSize: 0
; MemoryBound: 0
; FloatMode: 240
; IeeeMode: 1
; LDSByteSize: 0 bytes/workgroup (compile time only)
; SGPRBlocks: 10
; VGPRBlocks: 2
; NumSGPRsForWavesPerEU: 86
; NumVGPRsForWavesPerEU: 11
; Occupancy: 9
; WaveLimiterHint : 1
; COMPUTE_PGM_RSRC2:SCRATCH_EN: 0
; COMPUTE_PGM_RSRC2:USER_SGPR: 6
; COMPUTE_PGM_RSRC2:TRAP_HANDLER: 0
; COMPUTE_PGM_RSRC2:TGID_X_EN: 1
; COMPUTE_PGM_RSRC2:TGID_Y_EN: 0
; COMPUTE_PGM_RSRC2:TGID_Z_EN: 0
; COMPUTE_PGM_RSRC2:TIDIG_COMP_CNT: 0
	.section	.text._ZN2at6native29vectorized_elementwise_kernelILi2ENS0_12_GLOBAL__N_114CompareFunctorIbEESt5arrayIPcLm3EEEEviT0_T1_,"axG",@progbits,_ZN2at6native29vectorized_elementwise_kernelILi2ENS0_12_GLOBAL__N_114CompareFunctorIbEESt5arrayIPcLm3EEEEviT0_T1_,comdat
	.globl	_ZN2at6native29vectorized_elementwise_kernelILi2ENS0_12_GLOBAL__N_114CompareFunctorIbEESt5arrayIPcLm3EEEEviT0_T1_ ; -- Begin function _ZN2at6native29vectorized_elementwise_kernelILi2ENS0_12_GLOBAL__N_114CompareFunctorIbEESt5arrayIPcLm3EEEEviT0_T1_
	.p2align	8
	.type	_ZN2at6native29vectorized_elementwise_kernelILi2ENS0_12_GLOBAL__N_114CompareFunctorIbEESt5arrayIPcLm3EEEEviT0_T1_,@function
_ZN2at6native29vectorized_elementwise_kernelILi2ENS0_12_GLOBAL__N_114CompareFunctorIbEESt5arrayIPcLm3EEEEviT0_T1_: ; @_ZN2at6native29vectorized_elementwise_kernelILi2ENS0_12_GLOBAL__N_114CompareFunctorIbEESt5arrayIPcLm3EEEEviT0_T1_
; %bb.0:
	s_load_dwordx2 s[12:13], s[4:5], 0x0
	s_load_dwordx4 s[8:11], s[4:5], 0x8
	s_load_dwordx2 s[14:15], s[4:5], 0x18
	s_lshl_b32 s33, s6, 12
	s_mov_b64 s[0:1], -1
	s_waitcnt lgkmcnt(0)
	s_sub_i32 s12, s12, s33
	s_cmpk_gt_i32 s12, 0xfff
	s_cbranch_scc0 .LBB155_211
; %bb.1:
	s_ashr_i32 s52, s33, 31
	s_add_u32 s0, s10, s33
	s_addc_u32 s1, s11, s52
	v_lshlrev_b32_e32 v1, 1, v0
	global_load_ushort v16, v1, s[0:1]
	global_load_ushort v14, v1, s[0:1] offset:512
	global_load_ushort v12, v1, s[0:1] offset:1024
	;; [unrolled: 1-line block ×7, first 2 shown]
	s_add_u32 s0, s14, s33
	s_addc_u32 s1, s15, s52
	global_load_ushort v17, v1, s[0:1]
	global_load_ushort v15, v1, s[0:1] offset:512
	global_load_ushort v13, v1, s[0:1] offset:1024
	;; [unrolled: 1-line block ×7, first 2 shown]
	v_mov_b32_e32 v18, 0
	s_cmp_lt_i32 s13, 1
	s_mov_b64 s[6:7], 0
	s_waitcnt vmcnt(15)
	v_cmp_ne_u16_sdwa s[0:1], v16, v18 src0_sel:BYTE_0 src1_sel:DWORD
	s_waitcnt vmcnt(7)
	v_cmp_ne_u16_sdwa s[2:3], v17, v18 src0_sel:BYTE_0 src1_sel:DWORD
	s_cbranch_scc1 .LBB155_5
; %bb.2:
	s_cmp_gt_i32 s13, 1
	s_cbranch_scc0 .LBB155_6
; %bb.3:
	s_cmp_eq_u32 s13, 2
	s_cbranch_scc0 .LBB155_7
; %bb.4:
	s_xor_b64 s[4:5], s[0:1], -1
	s_or_b64 s[4:5], s[2:3], s[4:5]
	s_mov_b64 s[16:17], 0
	s_branch .LBB155_8
.LBB155_5:
                                        ; implicit-def: $sgpr4_sgpr5
	s_mov_b64 s[16:17], 0
	s_cbranch_execnz .LBB155_11
	s_branch .LBB155_12
.LBB155_6:
	s_mov_b64 s[16:17], 0
                                        ; implicit-def: $sgpr4_sgpr5
	s_cbranch_execnz .LBB155_9
	s_branch .LBB155_10
.LBB155_7:
	s_mov_b64 s[16:17], -1
                                        ; implicit-def: $sgpr4_sgpr5
.LBB155_8:
	s_branch .LBB155_10
.LBB155_9:
	s_xor_b64 s[18:19], s[2:3], -1
	s_and_b64 s[18:19], s[0:1], s[18:19]
	s_andn2_b64 s[4:5], s[4:5], exec
	s_and_b64 s[18:19], s[18:19], exec
	s_or_b64 s[4:5], s[4:5], s[18:19]
.LBB155_10:
	s_branch .LBB155_12
.LBB155_11:
	s_cmp_lg_u32 s13, 0
	s_mov_b64 s[6:7], -1
	s_cselect_b64 s[16:17], -1, 0
.LBB155_12:
	s_andn2_b64 vcc, exec, s[16:17]
	s_cbranch_vccz .LBB155_19
; %bb.13:
	s_andn2_b64 vcc, exec, s[6:7]
	s_cbranch_vccnz .LBB155_15
.LBB155_14:
	s_xor_b64 s[2:3], s[2:3], -1
	s_or_b64 s[0:1], s[0:1], s[2:3]
	s_andn2_b64 s[2:3], s[4:5], exec
	s_and_b64 s[0:1], s[0:1], exec
	s_or_b64 s[4:5], s[2:3], s[0:1]
.LBB155_15:
	s_movk_i32 s2, 0xff
	v_cmp_lt_u16_e64 s[0:1], s2, v16
	v_cmp_lt_u16_e64 s[2:3], s2, v17
	s_cmp_lt_i32 s13, 1
	s_mov_b64 s[16:17], 0
	s_cbranch_scc1 .LBB155_20
; %bb.16:
	s_cmp_gt_i32 s13, 1
	s_cbranch_scc0 .LBB155_21
; %bb.17:
	s_cmp_eq_u32 s13, 2
	s_cbranch_scc0 .LBB155_251
; %bb.18:
	s_xor_b64 s[6:7], s[0:1], -1
	s_or_b64 s[6:7], s[2:3], s[6:7]
	s_mov_b64 s[18:19], 0
	s_branch .LBB155_23
.LBB155_19:
	s_xor_b64 s[6:7], s[0:1], -1
	s_and_b64 s[16:17], s[2:3], s[6:7]
	s_andn2_b64 s[4:5], s[4:5], exec
	s_and_b64 s[16:17], s[16:17], exec
	s_or_b64 s[4:5], s[4:5], s[16:17]
	s_cbranch_execz .LBB155_14
	s_branch .LBB155_15
.LBB155_20:
                                        ; implicit-def: $sgpr6_sgpr7
	s_mov_b64 s[18:19], 0
	s_cbranch_execnz .LBB155_24
	s_branch .LBB155_25
.LBB155_21:
	s_mov_b64 s[18:19], 0
                                        ; implicit-def: $sgpr6_sgpr7
	s_cbranch_execz .LBB155_23
; %bb.22:
	s_xor_b64 s[20:21], s[2:3], -1
	s_and_b64 s[20:21], s[0:1], s[20:21]
	s_andn2_b64 s[6:7], s[6:7], exec
	s_and_b64 s[20:21], s[20:21], exec
	s_or_b64 s[6:7], s[6:7], s[20:21]
.LBB155_23:
	s_branch .LBB155_25
.LBB155_24:
	s_cmp_lg_u32 s13, 0
	s_mov_b64 s[16:17], -1
	s_cselect_b64 s[18:19], -1, 0
.LBB155_25:
	s_andn2_b64 vcc, exec, s[18:19]
	s_cbranch_vccz .LBB155_32
; %bb.26:
	s_andn2_b64 vcc, exec, s[16:17]
	s_cbranch_vccnz .LBB155_28
.LBB155_27:
	s_xor_b64 s[2:3], s[2:3], -1
	s_or_b64 s[0:1], s[0:1], s[2:3]
	s_andn2_b64 s[2:3], s[6:7], exec
	s_and_b64 s[0:1], s[0:1], exec
	s_or_b64 s[6:7], s[2:3], s[0:1]
.LBB155_28:
	v_mov_b32_e32 v16, 0
	v_cmp_ne_u16_sdwa s[0:1], v14, v16 src0_sel:BYTE_0 src1_sel:DWORD
	s_waitcnt vmcnt(6)
	v_cmp_ne_u16_sdwa s[2:3], v15, v16 src0_sel:BYTE_0 src1_sel:DWORD
	s_cmp_lt_i32 s13, 1
	s_mov_b64 s[18:19], 0
	s_cbranch_scc1 .LBB155_33
; %bb.29:
	s_cmp_gt_i32 s13, 1
	s_cbranch_scc0 .LBB155_34
; %bb.30:
	s_cmp_eq_u32 s13, 2
	s_cbranch_scc0 .LBB155_252
; %bb.31:
	s_xor_b64 s[16:17], s[0:1], -1
	s_or_b64 s[16:17], s[2:3], s[16:17]
	s_mov_b64 s[20:21], 0
	s_branch .LBB155_36
.LBB155_32:
	s_xor_b64 s[16:17], s[0:1], -1
	s_and_b64 s[18:19], s[2:3], s[16:17]
	s_andn2_b64 s[6:7], s[6:7], exec
	s_and_b64 s[18:19], s[18:19], exec
	s_or_b64 s[6:7], s[6:7], s[18:19]
	s_cbranch_execz .LBB155_27
	s_branch .LBB155_28
.LBB155_33:
                                        ; implicit-def: $sgpr16_sgpr17
	s_mov_b64 s[20:21], 0
	s_cbranch_execnz .LBB155_37
	s_branch .LBB155_38
.LBB155_34:
	s_mov_b64 s[20:21], 0
                                        ; implicit-def: $sgpr16_sgpr17
	s_cbranch_execz .LBB155_36
; %bb.35:
	s_xor_b64 s[22:23], s[2:3], -1
	s_and_b64 s[22:23], s[0:1], s[22:23]
	s_andn2_b64 s[16:17], s[16:17], exec
	s_and_b64 s[22:23], s[22:23], exec
	s_or_b64 s[16:17], s[16:17], s[22:23]
.LBB155_36:
	s_branch .LBB155_38
.LBB155_37:
	s_cmp_lg_u32 s13, 0
	s_mov_b64 s[18:19], -1
	s_cselect_b64 s[20:21], -1, 0
.LBB155_38:
	s_andn2_b64 vcc, exec, s[20:21]
	s_cbranch_vccz .LBB155_45
; %bb.39:
	s_andn2_b64 vcc, exec, s[18:19]
	s_cbranch_vccnz .LBB155_41
.LBB155_40:
	s_xor_b64 s[2:3], s[2:3], -1
	s_or_b64 s[0:1], s[0:1], s[2:3]
	s_andn2_b64 s[2:3], s[16:17], exec
	s_and_b64 s[0:1], s[0:1], exec
	s_or_b64 s[16:17], s[2:3], s[0:1]
.LBB155_41:
	s_movk_i32 s2, 0xff
	v_cmp_lt_u16_e64 s[0:1], s2, v14
	v_cmp_lt_u16_e64 s[2:3], s2, v15
	s_cmp_lt_i32 s13, 1
	s_mov_b64 s[20:21], 0
	s_cbranch_scc1 .LBB155_46
; %bb.42:
	s_cmp_gt_i32 s13, 1
	s_cbranch_scc0 .LBB155_47
; %bb.43:
	s_cmp_eq_u32 s13, 2
	s_cbranch_scc0 .LBB155_253
; %bb.44:
	s_xor_b64 s[18:19], s[0:1], -1
	s_or_b64 s[18:19], s[2:3], s[18:19]
	s_mov_b64 s[22:23], 0
	s_branch .LBB155_49
.LBB155_45:
	s_xor_b64 s[18:19], s[0:1], -1
	s_and_b64 s[20:21], s[2:3], s[18:19]
	s_andn2_b64 s[16:17], s[16:17], exec
	s_and_b64 s[20:21], s[20:21], exec
	s_or_b64 s[16:17], s[16:17], s[20:21]
	s_cbranch_execz .LBB155_40
	s_branch .LBB155_41
.LBB155_46:
                                        ; implicit-def: $sgpr18_sgpr19
	s_mov_b64 s[22:23], 0
	s_cbranch_execnz .LBB155_50
	s_branch .LBB155_51
.LBB155_47:
	s_mov_b64 s[22:23], 0
                                        ; implicit-def: $sgpr18_sgpr19
	s_cbranch_execz .LBB155_49
; %bb.48:
	s_xor_b64 s[24:25], s[2:3], -1
	s_and_b64 s[24:25], s[0:1], s[24:25]
	s_andn2_b64 s[18:19], s[18:19], exec
	s_and_b64 s[24:25], s[24:25], exec
	s_or_b64 s[18:19], s[18:19], s[24:25]
.LBB155_49:
	s_branch .LBB155_51
.LBB155_50:
	s_cmp_lg_u32 s13, 0
	s_mov_b64 s[20:21], -1
	s_cselect_b64 s[22:23], -1, 0
.LBB155_51:
	s_andn2_b64 vcc, exec, s[22:23]
	s_cbranch_vccz .LBB155_58
; %bb.52:
	s_andn2_b64 vcc, exec, s[20:21]
	s_cbranch_vccnz .LBB155_54
.LBB155_53:
	s_xor_b64 s[2:3], s[2:3], -1
	s_or_b64 s[0:1], s[0:1], s[2:3]
	s_andn2_b64 s[2:3], s[18:19], exec
	s_and_b64 s[0:1], s[0:1], exec
	s_or_b64 s[18:19], s[2:3], s[0:1]
.LBB155_54:
	v_mov_b32_e32 v14, 0
	v_cmp_ne_u16_sdwa s[0:1], v12, v14 src0_sel:BYTE_0 src1_sel:DWORD
	s_waitcnt vmcnt(5)
	v_cmp_ne_u16_sdwa s[2:3], v13, v14 src0_sel:BYTE_0 src1_sel:DWORD
	s_cmp_lt_i32 s13, 1
	s_mov_b64 s[22:23], 0
	s_cbranch_scc1 .LBB155_59
; %bb.55:
	s_cmp_gt_i32 s13, 1
	s_cbranch_scc0 .LBB155_60
; %bb.56:
	s_cmp_eq_u32 s13, 2
	s_cbranch_scc0 .LBB155_254
; %bb.57:
	s_xor_b64 s[20:21], s[0:1], -1
	s_or_b64 s[20:21], s[2:3], s[20:21]
	s_mov_b64 s[24:25], 0
	s_branch .LBB155_62
.LBB155_58:
	s_xor_b64 s[20:21], s[0:1], -1
	s_and_b64 s[22:23], s[2:3], s[20:21]
	s_andn2_b64 s[18:19], s[18:19], exec
	s_and_b64 s[22:23], s[22:23], exec
	s_or_b64 s[18:19], s[18:19], s[22:23]
	s_cbranch_execz .LBB155_53
	s_branch .LBB155_54
.LBB155_59:
                                        ; implicit-def: $sgpr20_sgpr21
	s_mov_b64 s[24:25], 0
	s_cbranch_execnz .LBB155_63
	s_branch .LBB155_64
.LBB155_60:
	s_mov_b64 s[24:25], 0
                                        ; implicit-def: $sgpr20_sgpr21
	s_cbranch_execz .LBB155_62
; %bb.61:
	s_xor_b64 s[26:27], s[2:3], -1
	s_and_b64 s[26:27], s[0:1], s[26:27]
	s_andn2_b64 s[20:21], s[20:21], exec
	s_and_b64 s[26:27], s[26:27], exec
	s_or_b64 s[20:21], s[20:21], s[26:27]
.LBB155_62:
	s_branch .LBB155_64
.LBB155_63:
	s_cmp_lg_u32 s13, 0
	s_mov_b64 s[22:23], -1
	s_cselect_b64 s[24:25], -1, 0
.LBB155_64:
	s_andn2_b64 vcc, exec, s[24:25]
	s_cbranch_vccz .LBB155_71
; %bb.65:
	s_andn2_b64 vcc, exec, s[22:23]
	s_cbranch_vccnz .LBB155_67
.LBB155_66:
	s_xor_b64 s[2:3], s[2:3], -1
	s_or_b64 s[0:1], s[0:1], s[2:3]
	s_andn2_b64 s[2:3], s[20:21], exec
	s_and_b64 s[0:1], s[0:1], exec
	s_or_b64 s[20:21], s[2:3], s[0:1]
.LBB155_67:
	s_movk_i32 s2, 0xff
	v_cmp_lt_u16_e64 s[0:1], s2, v12
	v_cmp_lt_u16_e64 s[2:3], s2, v13
	s_cmp_lt_i32 s13, 1
	s_mov_b64 s[24:25], 0
	s_cbranch_scc1 .LBB155_72
; %bb.68:
	s_cmp_gt_i32 s13, 1
	s_cbranch_scc0 .LBB155_73
; %bb.69:
	s_cmp_eq_u32 s13, 2
	s_cbranch_scc0 .LBB155_255
; %bb.70:
	s_xor_b64 s[22:23], s[0:1], -1
	s_or_b64 s[22:23], s[2:3], s[22:23]
	s_mov_b64 s[26:27], 0
	s_branch .LBB155_75
.LBB155_71:
	s_xor_b64 s[22:23], s[0:1], -1
	s_and_b64 s[24:25], s[2:3], s[22:23]
	s_andn2_b64 s[20:21], s[20:21], exec
	s_and_b64 s[24:25], s[24:25], exec
	s_or_b64 s[20:21], s[20:21], s[24:25]
	s_cbranch_execz .LBB155_66
	s_branch .LBB155_67
.LBB155_72:
                                        ; implicit-def: $sgpr22_sgpr23
	s_mov_b64 s[26:27], 0
	s_cbranch_execnz .LBB155_76
	s_branch .LBB155_77
.LBB155_73:
	s_mov_b64 s[26:27], 0
                                        ; implicit-def: $sgpr22_sgpr23
	s_cbranch_execz .LBB155_75
; %bb.74:
	s_xor_b64 s[28:29], s[2:3], -1
	s_and_b64 s[28:29], s[0:1], s[28:29]
	s_andn2_b64 s[22:23], s[22:23], exec
	s_and_b64 s[28:29], s[28:29], exec
	s_or_b64 s[22:23], s[22:23], s[28:29]
.LBB155_75:
	s_branch .LBB155_77
.LBB155_76:
	s_cmp_lg_u32 s13, 0
	s_mov_b64 s[24:25], -1
	s_cselect_b64 s[26:27], -1, 0
.LBB155_77:
	s_andn2_b64 vcc, exec, s[26:27]
	s_cbranch_vccz .LBB155_84
; %bb.78:
	s_andn2_b64 vcc, exec, s[24:25]
	s_cbranch_vccnz .LBB155_80
.LBB155_79:
	s_xor_b64 s[2:3], s[2:3], -1
	s_or_b64 s[0:1], s[0:1], s[2:3]
	s_andn2_b64 s[2:3], s[22:23], exec
	s_and_b64 s[0:1], s[0:1], exec
	s_or_b64 s[22:23], s[2:3], s[0:1]
.LBB155_80:
	v_mov_b32_e32 v12, 0
	v_cmp_ne_u16_sdwa s[0:1], v10, v12 src0_sel:BYTE_0 src1_sel:DWORD
	s_waitcnt vmcnt(4)
	v_cmp_ne_u16_sdwa s[2:3], v11, v12 src0_sel:BYTE_0 src1_sel:DWORD
	s_cmp_lt_i32 s13, 1
	s_mov_b64 s[26:27], 0
	s_cbranch_scc1 .LBB155_85
; %bb.81:
	s_cmp_gt_i32 s13, 1
	s_cbranch_scc0 .LBB155_86
; %bb.82:
	s_cmp_eq_u32 s13, 2
	s_cbranch_scc0 .LBB155_256
; %bb.83:
	s_xor_b64 s[24:25], s[0:1], -1
	s_or_b64 s[24:25], s[2:3], s[24:25]
	s_mov_b64 s[28:29], 0
	s_branch .LBB155_88
.LBB155_84:
	s_xor_b64 s[24:25], s[0:1], -1
	s_and_b64 s[26:27], s[2:3], s[24:25]
	s_andn2_b64 s[22:23], s[22:23], exec
	s_and_b64 s[26:27], s[26:27], exec
	s_or_b64 s[22:23], s[22:23], s[26:27]
	s_cbranch_execz .LBB155_79
	s_branch .LBB155_80
.LBB155_85:
                                        ; implicit-def: $sgpr24_sgpr25
	s_mov_b64 s[28:29], 0
	s_cbranch_execnz .LBB155_89
	s_branch .LBB155_90
.LBB155_86:
	s_mov_b64 s[28:29], 0
                                        ; implicit-def: $sgpr24_sgpr25
	s_cbranch_execz .LBB155_88
; %bb.87:
	s_xor_b64 s[30:31], s[2:3], -1
	s_and_b64 s[30:31], s[0:1], s[30:31]
	s_andn2_b64 s[24:25], s[24:25], exec
	s_and_b64 s[30:31], s[30:31], exec
	s_or_b64 s[24:25], s[24:25], s[30:31]
.LBB155_88:
	s_branch .LBB155_90
.LBB155_89:
	s_cmp_lg_u32 s13, 0
	s_mov_b64 s[26:27], -1
	s_cselect_b64 s[28:29], -1, 0
.LBB155_90:
	s_andn2_b64 vcc, exec, s[28:29]
	s_cbranch_vccz .LBB155_97
; %bb.91:
	s_andn2_b64 vcc, exec, s[26:27]
	s_cbranch_vccnz .LBB155_93
.LBB155_92:
	s_xor_b64 s[2:3], s[2:3], -1
	s_or_b64 s[0:1], s[0:1], s[2:3]
	s_andn2_b64 s[2:3], s[24:25], exec
	s_and_b64 s[0:1], s[0:1], exec
	s_or_b64 s[24:25], s[2:3], s[0:1]
.LBB155_93:
	s_movk_i32 s2, 0xff
	v_cmp_lt_u16_e64 s[0:1], s2, v10
	v_cmp_lt_u16_e64 s[2:3], s2, v11
	s_cmp_lt_i32 s13, 1
	s_mov_b64 s[28:29], 0
	s_cbranch_scc1 .LBB155_98
; %bb.94:
	s_cmp_gt_i32 s13, 1
	s_cbranch_scc0 .LBB155_99
; %bb.95:
	s_cmp_eq_u32 s13, 2
	s_cbranch_scc0 .LBB155_257
; %bb.96:
	s_xor_b64 s[26:27], s[0:1], -1
	s_or_b64 s[26:27], s[2:3], s[26:27]
	s_mov_b64 s[30:31], 0
	s_branch .LBB155_101
.LBB155_97:
	s_xor_b64 s[26:27], s[0:1], -1
	s_and_b64 s[28:29], s[2:3], s[26:27]
	s_andn2_b64 s[24:25], s[24:25], exec
	s_and_b64 s[28:29], s[28:29], exec
	s_or_b64 s[24:25], s[24:25], s[28:29]
	s_cbranch_execz .LBB155_92
	s_branch .LBB155_93
.LBB155_98:
                                        ; implicit-def: $sgpr26_sgpr27
	s_mov_b64 s[30:31], 0
	s_cbranch_execnz .LBB155_102
	s_branch .LBB155_103
.LBB155_99:
	s_mov_b64 s[30:31], 0
                                        ; implicit-def: $sgpr26_sgpr27
	s_cbranch_execz .LBB155_101
; %bb.100:
	s_xor_b64 s[34:35], s[2:3], -1
	s_and_b64 s[34:35], s[0:1], s[34:35]
	s_andn2_b64 s[26:27], s[26:27], exec
	s_and_b64 s[34:35], s[34:35], exec
	s_or_b64 s[26:27], s[26:27], s[34:35]
.LBB155_101:
	s_branch .LBB155_103
.LBB155_102:
	s_cmp_lg_u32 s13, 0
	s_mov_b64 s[28:29], -1
	s_cselect_b64 s[30:31], -1, 0
.LBB155_103:
	s_andn2_b64 vcc, exec, s[30:31]
	s_cbranch_vccz .LBB155_110
; %bb.104:
	s_andn2_b64 vcc, exec, s[28:29]
	s_cbranch_vccnz .LBB155_106
.LBB155_105:
	s_xor_b64 s[2:3], s[2:3], -1
	s_or_b64 s[0:1], s[0:1], s[2:3]
	s_andn2_b64 s[2:3], s[26:27], exec
	s_and_b64 s[0:1], s[0:1], exec
	s_or_b64 s[26:27], s[2:3], s[0:1]
.LBB155_106:
	v_mov_b32_e32 v10, 0
	v_cmp_ne_u16_sdwa s[0:1], v8, v10 src0_sel:BYTE_0 src1_sel:DWORD
	s_waitcnt vmcnt(3)
	v_cmp_ne_u16_sdwa s[2:3], v9, v10 src0_sel:BYTE_0 src1_sel:DWORD
	s_cmp_lt_i32 s13, 1
	s_mov_b64 s[30:31], 0
	s_cbranch_scc1 .LBB155_111
; %bb.107:
	s_cmp_gt_i32 s13, 1
	s_cbranch_scc0 .LBB155_112
; %bb.108:
	s_cmp_eq_u32 s13, 2
	s_cbranch_scc0 .LBB155_258
; %bb.109:
	s_xor_b64 s[28:29], s[0:1], -1
	s_or_b64 s[28:29], s[2:3], s[28:29]
	s_mov_b64 s[34:35], 0
	s_branch .LBB155_114
.LBB155_110:
	s_xor_b64 s[28:29], s[0:1], -1
	s_and_b64 s[30:31], s[2:3], s[28:29]
	s_andn2_b64 s[26:27], s[26:27], exec
	s_and_b64 s[30:31], s[30:31], exec
	s_or_b64 s[26:27], s[26:27], s[30:31]
	s_cbranch_execz .LBB155_105
	s_branch .LBB155_106
.LBB155_111:
                                        ; implicit-def: $sgpr28_sgpr29
	s_mov_b64 s[34:35], 0
	s_cbranch_execnz .LBB155_115
	s_branch .LBB155_116
.LBB155_112:
	s_mov_b64 s[34:35], 0
                                        ; implicit-def: $sgpr28_sgpr29
	s_cbranch_execz .LBB155_114
; %bb.113:
	s_xor_b64 s[36:37], s[2:3], -1
	s_and_b64 s[36:37], s[0:1], s[36:37]
	s_andn2_b64 s[28:29], s[28:29], exec
	s_and_b64 s[36:37], s[36:37], exec
	s_or_b64 s[28:29], s[28:29], s[36:37]
.LBB155_114:
	s_branch .LBB155_116
.LBB155_115:
	s_cmp_lg_u32 s13, 0
	s_mov_b64 s[30:31], -1
	s_cselect_b64 s[34:35], -1, 0
.LBB155_116:
	s_andn2_b64 vcc, exec, s[34:35]
	s_cbranch_vccz .LBB155_123
; %bb.117:
	s_andn2_b64 vcc, exec, s[30:31]
	s_cbranch_vccnz .LBB155_119
.LBB155_118:
	s_xor_b64 s[2:3], s[2:3], -1
	s_or_b64 s[0:1], s[0:1], s[2:3]
	s_andn2_b64 s[2:3], s[28:29], exec
	s_and_b64 s[0:1], s[0:1], exec
	s_or_b64 s[28:29], s[2:3], s[0:1]
.LBB155_119:
	s_movk_i32 s2, 0xff
	v_cmp_lt_u16_e64 s[0:1], s2, v8
	v_cmp_lt_u16_e64 s[2:3], s2, v9
	s_cmp_lt_i32 s13, 1
	s_mov_b64 s[34:35], 0
	s_cbranch_scc1 .LBB155_124
; %bb.120:
	s_cmp_gt_i32 s13, 1
	s_cbranch_scc0 .LBB155_125
; %bb.121:
	s_cmp_eq_u32 s13, 2
	s_cbranch_scc0 .LBB155_259
; %bb.122:
	s_xor_b64 s[30:31], s[0:1], -1
	s_or_b64 s[30:31], s[2:3], s[30:31]
	s_mov_b64 s[36:37], 0
	s_branch .LBB155_127
.LBB155_123:
	s_xor_b64 s[30:31], s[0:1], -1
	s_and_b64 s[34:35], s[2:3], s[30:31]
	s_andn2_b64 s[28:29], s[28:29], exec
	s_and_b64 s[34:35], s[34:35], exec
	s_or_b64 s[28:29], s[28:29], s[34:35]
	s_cbranch_execz .LBB155_118
	s_branch .LBB155_119
.LBB155_124:
                                        ; implicit-def: $sgpr30_sgpr31
	s_mov_b64 s[36:37], 0
	s_cbranch_execnz .LBB155_128
	s_branch .LBB155_129
.LBB155_125:
	s_mov_b64 s[36:37], 0
                                        ; implicit-def: $sgpr30_sgpr31
	s_cbranch_execz .LBB155_127
; %bb.126:
	s_xor_b64 s[38:39], s[2:3], -1
	s_and_b64 s[38:39], s[0:1], s[38:39]
	s_andn2_b64 s[30:31], s[30:31], exec
	s_and_b64 s[38:39], s[38:39], exec
	s_or_b64 s[30:31], s[30:31], s[38:39]
.LBB155_127:
	s_branch .LBB155_129
.LBB155_128:
	s_cmp_lg_u32 s13, 0
	s_mov_b64 s[34:35], -1
	s_cselect_b64 s[36:37], -1, 0
.LBB155_129:
	s_andn2_b64 vcc, exec, s[36:37]
	s_cbranch_vccz .LBB155_136
; %bb.130:
	s_andn2_b64 vcc, exec, s[34:35]
	s_cbranch_vccnz .LBB155_132
.LBB155_131:
	s_xor_b64 s[2:3], s[2:3], -1
	s_or_b64 s[0:1], s[0:1], s[2:3]
	s_andn2_b64 s[2:3], s[30:31], exec
	s_and_b64 s[0:1], s[0:1], exec
	s_or_b64 s[30:31], s[2:3], s[0:1]
.LBB155_132:
	v_mov_b32_e32 v8, 0
	v_cmp_ne_u16_sdwa s[0:1], v6, v8 src0_sel:BYTE_0 src1_sel:DWORD
	s_waitcnt vmcnt(2)
	v_cmp_ne_u16_sdwa s[2:3], v7, v8 src0_sel:BYTE_0 src1_sel:DWORD
	s_cmp_lt_i32 s13, 1
	s_mov_b64 s[36:37], 0
	s_cbranch_scc1 .LBB155_137
; %bb.133:
	s_cmp_gt_i32 s13, 1
	s_cbranch_scc0 .LBB155_138
; %bb.134:
	s_cmp_eq_u32 s13, 2
	s_cbranch_scc0 .LBB155_260
; %bb.135:
	s_xor_b64 s[34:35], s[0:1], -1
	s_or_b64 s[34:35], s[2:3], s[34:35]
	s_mov_b64 s[38:39], 0
	s_branch .LBB155_140
.LBB155_136:
	s_xor_b64 s[34:35], s[0:1], -1
	s_and_b64 s[36:37], s[2:3], s[34:35]
	s_andn2_b64 s[30:31], s[30:31], exec
	s_and_b64 s[36:37], s[36:37], exec
	s_or_b64 s[30:31], s[30:31], s[36:37]
	s_cbranch_execz .LBB155_131
	s_branch .LBB155_132
.LBB155_137:
                                        ; implicit-def: $sgpr34_sgpr35
	s_mov_b64 s[38:39], 0
	s_cbranch_execnz .LBB155_141
	s_branch .LBB155_142
.LBB155_138:
	s_mov_b64 s[38:39], 0
                                        ; implicit-def: $sgpr34_sgpr35
	s_cbranch_execz .LBB155_140
; %bb.139:
	s_xor_b64 s[40:41], s[2:3], -1
	s_and_b64 s[40:41], s[0:1], s[40:41]
	s_andn2_b64 s[34:35], s[34:35], exec
	s_and_b64 s[40:41], s[40:41], exec
	s_or_b64 s[34:35], s[34:35], s[40:41]
.LBB155_140:
	s_branch .LBB155_142
.LBB155_141:
	s_cmp_lg_u32 s13, 0
	s_mov_b64 s[36:37], -1
	s_cselect_b64 s[38:39], -1, 0
.LBB155_142:
	s_andn2_b64 vcc, exec, s[38:39]
	s_cbranch_vccz .LBB155_149
; %bb.143:
	s_andn2_b64 vcc, exec, s[36:37]
	s_cbranch_vccnz .LBB155_145
.LBB155_144:
	s_xor_b64 s[2:3], s[2:3], -1
	s_or_b64 s[0:1], s[0:1], s[2:3]
	s_andn2_b64 s[2:3], s[34:35], exec
	s_and_b64 s[0:1], s[0:1], exec
	s_or_b64 s[34:35], s[2:3], s[0:1]
.LBB155_145:
	s_movk_i32 s2, 0xff
	v_cmp_lt_u16_e64 s[0:1], s2, v6
	v_cmp_lt_u16_e64 s[2:3], s2, v7
	s_cmp_lt_i32 s13, 1
	s_mov_b64 s[38:39], 0
	s_cbranch_scc1 .LBB155_150
; %bb.146:
	s_cmp_gt_i32 s13, 1
	s_cbranch_scc0 .LBB155_151
; %bb.147:
	s_cmp_eq_u32 s13, 2
	s_cbranch_scc0 .LBB155_261
; %bb.148:
	s_xor_b64 s[36:37], s[0:1], -1
	s_or_b64 s[36:37], s[2:3], s[36:37]
	s_mov_b64 s[40:41], 0
	s_branch .LBB155_153
.LBB155_149:
	s_xor_b64 s[36:37], s[0:1], -1
	s_and_b64 s[38:39], s[2:3], s[36:37]
	s_andn2_b64 s[34:35], s[34:35], exec
	s_and_b64 s[38:39], s[38:39], exec
	s_or_b64 s[34:35], s[34:35], s[38:39]
	s_cbranch_execz .LBB155_144
	s_branch .LBB155_145
.LBB155_150:
                                        ; implicit-def: $sgpr36_sgpr37
	s_mov_b64 s[40:41], 0
	s_cbranch_execnz .LBB155_154
	s_branch .LBB155_155
.LBB155_151:
	s_mov_b64 s[40:41], 0
                                        ; implicit-def: $sgpr36_sgpr37
	s_cbranch_execz .LBB155_153
; %bb.152:
	s_xor_b64 s[42:43], s[2:3], -1
	s_and_b64 s[42:43], s[0:1], s[42:43]
	s_andn2_b64 s[36:37], s[36:37], exec
	s_and_b64 s[42:43], s[42:43], exec
	s_or_b64 s[36:37], s[36:37], s[42:43]
.LBB155_153:
	s_branch .LBB155_155
.LBB155_154:
	s_cmp_lg_u32 s13, 0
	s_mov_b64 s[38:39], -1
	s_cselect_b64 s[40:41], -1, 0
.LBB155_155:
	s_andn2_b64 vcc, exec, s[40:41]
	s_cbranch_vccz .LBB155_162
; %bb.156:
	s_andn2_b64 vcc, exec, s[38:39]
	s_cbranch_vccnz .LBB155_158
.LBB155_157:
	s_xor_b64 s[2:3], s[2:3], -1
	s_or_b64 s[0:1], s[0:1], s[2:3]
	s_andn2_b64 s[2:3], s[36:37], exec
	s_and_b64 s[0:1], s[0:1], exec
	s_or_b64 s[36:37], s[2:3], s[0:1]
.LBB155_158:
	v_mov_b32_e32 v6, 0
	v_cmp_ne_u16_sdwa s[0:1], v4, v6 src0_sel:BYTE_0 src1_sel:DWORD
	s_waitcnt vmcnt(1)
	v_cmp_ne_u16_sdwa s[2:3], v5, v6 src0_sel:BYTE_0 src1_sel:DWORD
	s_cmp_lt_i32 s13, 1
	s_mov_b64 s[40:41], 0
	s_cbranch_scc1 .LBB155_163
; %bb.159:
	s_cmp_gt_i32 s13, 1
	s_cbranch_scc0 .LBB155_164
; %bb.160:
	s_cmp_eq_u32 s13, 2
	s_cbranch_scc0 .LBB155_262
; %bb.161:
	s_xor_b64 s[38:39], s[0:1], -1
	s_or_b64 s[38:39], s[2:3], s[38:39]
	s_mov_b64 s[42:43], 0
	s_branch .LBB155_166
.LBB155_162:
	s_xor_b64 s[38:39], s[0:1], -1
	s_and_b64 s[40:41], s[2:3], s[38:39]
	s_andn2_b64 s[36:37], s[36:37], exec
	s_and_b64 s[40:41], s[40:41], exec
	s_or_b64 s[36:37], s[36:37], s[40:41]
	s_cbranch_execz .LBB155_157
	s_branch .LBB155_158
.LBB155_163:
                                        ; implicit-def: $sgpr38_sgpr39
	s_mov_b64 s[42:43], 0
	s_cbranch_execnz .LBB155_167
	s_branch .LBB155_168
.LBB155_164:
	s_mov_b64 s[42:43], 0
                                        ; implicit-def: $sgpr38_sgpr39
	s_cbranch_execz .LBB155_166
; %bb.165:
	s_xor_b64 s[44:45], s[2:3], -1
	s_and_b64 s[44:45], s[0:1], s[44:45]
	s_andn2_b64 s[38:39], s[38:39], exec
	s_and_b64 s[44:45], s[44:45], exec
	s_or_b64 s[38:39], s[38:39], s[44:45]
.LBB155_166:
	s_branch .LBB155_168
.LBB155_167:
	s_cmp_lg_u32 s13, 0
	s_mov_b64 s[40:41], -1
	s_cselect_b64 s[42:43], -1, 0
.LBB155_168:
	s_andn2_b64 vcc, exec, s[42:43]
	s_cbranch_vccz .LBB155_175
; %bb.169:
	s_andn2_b64 vcc, exec, s[40:41]
	s_cbranch_vccnz .LBB155_171
.LBB155_170:
	s_xor_b64 s[2:3], s[2:3], -1
	s_or_b64 s[0:1], s[0:1], s[2:3]
	s_andn2_b64 s[2:3], s[38:39], exec
	s_and_b64 s[0:1], s[0:1], exec
	s_or_b64 s[38:39], s[2:3], s[0:1]
.LBB155_171:
	s_movk_i32 s2, 0xff
	v_cmp_lt_u16_e64 s[0:1], s2, v4
	v_cmp_lt_u16_e64 s[2:3], s2, v5
	s_cmp_lt_i32 s13, 1
	s_mov_b64 s[42:43], 0
	s_cbranch_scc1 .LBB155_176
; %bb.172:
	s_cmp_gt_i32 s13, 1
	s_cbranch_scc0 .LBB155_177
; %bb.173:
	s_cmp_eq_u32 s13, 2
	s_cbranch_scc0 .LBB155_263
; %bb.174:
	s_xor_b64 s[40:41], s[0:1], -1
	s_or_b64 s[40:41], s[2:3], s[40:41]
	s_mov_b64 s[44:45], 0
	s_branch .LBB155_179
.LBB155_175:
	s_xor_b64 s[40:41], s[0:1], -1
	s_and_b64 s[42:43], s[2:3], s[40:41]
	s_andn2_b64 s[38:39], s[38:39], exec
	s_and_b64 s[42:43], s[42:43], exec
	s_or_b64 s[38:39], s[38:39], s[42:43]
	s_cbranch_execz .LBB155_170
	s_branch .LBB155_171
.LBB155_176:
                                        ; implicit-def: $sgpr40_sgpr41
	s_mov_b64 s[44:45], 0
	s_cbranch_execnz .LBB155_180
	s_branch .LBB155_181
.LBB155_177:
	s_mov_b64 s[44:45], 0
                                        ; implicit-def: $sgpr40_sgpr41
	s_cbranch_execz .LBB155_179
; %bb.178:
	s_xor_b64 s[46:47], s[2:3], -1
	s_and_b64 s[46:47], s[0:1], s[46:47]
	s_andn2_b64 s[40:41], s[40:41], exec
	s_and_b64 s[46:47], s[46:47], exec
	s_or_b64 s[40:41], s[40:41], s[46:47]
.LBB155_179:
	s_branch .LBB155_181
.LBB155_180:
	s_cmp_lg_u32 s13, 0
	s_mov_b64 s[42:43], -1
	s_cselect_b64 s[44:45], -1, 0
.LBB155_181:
	s_andn2_b64 vcc, exec, s[44:45]
	s_cbranch_vccz .LBB155_188
; %bb.182:
	s_andn2_b64 vcc, exec, s[42:43]
	s_cbranch_vccnz .LBB155_184
.LBB155_183:
	s_xor_b64 s[2:3], s[2:3], -1
	s_or_b64 s[0:1], s[0:1], s[2:3]
	s_andn2_b64 s[2:3], s[40:41], exec
	s_and_b64 s[0:1], s[0:1], exec
	s_or_b64 s[40:41], s[2:3], s[0:1]
.LBB155_184:
	v_mov_b32_e32 v4, 0
	v_cmp_ne_u16_sdwa s[0:1], v2, v4 src0_sel:BYTE_0 src1_sel:DWORD
	s_waitcnt vmcnt(0)
	v_cmp_ne_u16_sdwa s[2:3], v3, v4 src0_sel:BYTE_0 src1_sel:DWORD
	s_cmp_lt_i32 s13, 1
	s_mov_b64 s[44:45], 0
	s_cbranch_scc1 .LBB155_189
; %bb.185:
	s_cmp_gt_i32 s13, 1
	s_cbranch_scc0 .LBB155_190
; %bb.186:
	s_cmp_eq_u32 s13, 2
	s_cbranch_scc0 .LBB155_264
; %bb.187:
	s_xor_b64 s[42:43], s[0:1], -1
	s_or_b64 s[42:43], s[2:3], s[42:43]
	s_mov_b64 s[46:47], 0
	s_branch .LBB155_192
.LBB155_188:
	s_xor_b64 s[42:43], s[0:1], -1
	s_and_b64 s[44:45], s[2:3], s[42:43]
	s_andn2_b64 s[40:41], s[40:41], exec
	s_and_b64 s[44:45], s[44:45], exec
	s_or_b64 s[40:41], s[40:41], s[44:45]
	s_cbranch_execz .LBB155_183
	s_branch .LBB155_184
.LBB155_189:
                                        ; implicit-def: $sgpr42_sgpr43
	s_mov_b64 s[46:47], 0
	s_cbranch_execnz .LBB155_193
	s_branch .LBB155_194
.LBB155_190:
	s_mov_b64 s[46:47], 0
                                        ; implicit-def: $sgpr42_sgpr43
	s_cbranch_execz .LBB155_192
; %bb.191:
	s_xor_b64 s[48:49], s[2:3], -1
	s_and_b64 s[48:49], s[0:1], s[48:49]
	s_andn2_b64 s[42:43], s[42:43], exec
	s_and_b64 s[48:49], s[48:49], exec
	s_or_b64 s[42:43], s[42:43], s[48:49]
.LBB155_192:
	s_branch .LBB155_194
.LBB155_193:
	s_cmp_lg_u32 s13, 0
	s_mov_b64 s[44:45], -1
	s_cselect_b64 s[46:47], -1, 0
.LBB155_194:
	s_andn2_b64 vcc, exec, s[46:47]
	s_cbranch_vccz .LBB155_201
; %bb.195:
	s_andn2_b64 vcc, exec, s[44:45]
	s_cbranch_vccnz .LBB155_197
.LBB155_196:
	s_xor_b64 s[2:3], s[2:3], -1
	s_or_b64 s[0:1], s[0:1], s[2:3]
	s_andn2_b64 s[2:3], s[42:43], exec
	s_and_b64 s[0:1], s[0:1], exec
	s_or_b64 s[42:43], s[2:3], s[0:1]
.LBB155_197:
	s_movk_i32 s2, 0xff
	v_cmp_lt_u16_e64 s[0:1], s2, v2
	v_cmp_lt_u16_e64 s[2:3], s2, v3
	s_cmp_lt_i32 s13, 1
	s_mov_b64 s[46:47], 0
	s_cbranch_scc1 .LBB155_202
; %bb.198:
	s_cmp_gt_i32 s13, 1
	s_cbranch_scc0 .LBB155_203
; %bb.199:
	s_cmp_eq_u32 s13, 2
	s_cbranch_scc0 .LBB155_265
; %bb.200:
	s_xor_b64 s[44:45], s[0:1], -1
	s_or_b64 s[44:45], s[2:3], s[44:45]
	s_mov_b64 s[48:49], 0
	s_branch .LBB155_205
.LBB155_201:
	s_xor_b64 s[44:45], s[0:1], -1
	s_and_b64 s[46:47], s[2:3], s[44:45]
	s_andn2_b64 s[42:43], s[42:43], exec
	s_and_b64 s[46:47], s[46:47], exec
	s_or_b64 s[42:43], s[42:43], s[46:47]
	s_cbranch_execz .LBB155_196
	s_branch .LBB155_197
.LBB155_202:
                                        ; implicit-def: $sgpr44_sgpr45
	s_mov_b64 s[48:49], 0
	s_cbranch_execnz .LBB155_206
	s_branch .LBB155_207
.LBB155_203:
	s_mov_b64 s[48:49], 0
                                        ; implicit-def: $sgpr44_sgpr45
	s_cbranch_execz .LBB155_205
; %bb.204:
	s_xor_b64 s[50:51], s[2:3], -1
	s_and_b64 s[50:51], s[0:1], s[50:51]
	s_andn2_b64 s[44:45], s[44:45], exec
	s_and_b64 s[50:51], s[50:51], exec
	s_or_b64 s[44:45], s[44:45], s[50:51]
.LBB155_205:
	s_branch .LBB155_207
.LBB155_206:
	s_cmp_lg_u32 s13, 0
	s_mov_b64 s[46:47], -1
	s_cselect_b64 s[48:49], -1, 0
.LBB155_207:
	s_andn2_b64 vcc, exec, s[48:49]
	s_cbranch_vccz .LBB155_249
; %bb.208:
	s_andn2_b64 vcc, exec, s[46:47]
	s_cbranch_vccnz .LBB155_210
.LBB155_209:
	s_xor_b64 s[2:3], s[2:3], -1
	s_or_b64 s[0:1], s[0:1], s[2:3]
	s_andn2_b64 s[2:3], s[44:45], exec
	s_and_b64 s[0:1], s[0:1], exec
	s_or_b64 s[44:45], s[2:3], s[0:1]
.LBB155_210:
	v_cndmask_b32_e64 v2, 0, 1, s[18:19]
	v_lshlrev_b16_e32 v2, 8, v2
	v_cndmask_b32_e64 v3, 0, 1, s[16:17]
	v_or_b32_e32 v2, v3, v2
	v_cndmask_b32_e64 v3, 0, 1, s[6:7]
	v_lshlrev_b16_e32 v3, 8, v3
	v_cndmask_b32_e64 v4, 0, 1, s[4:5]
	v_or_b32_e32 v3, v4, v3
	;; [unrolled: 4-line block ×7, first 2 shown]
	v_cndmask_b32_e64 v9, 0, 1, s[40:41]
	s_add_u32 s0, s8, s33
	v_lshlrev_b16_e32 v9, 8, v9
	v_cndmask_b32_e64 v10, 0, 1, s[38:39]
	s_addc_u32 s1, s9, s52
	v_or_b32_e32 v9, v10, v9
	global_store_short v1, v3, s[0:1]
	global_store_short v1, v2, s[0:1] offset:512
	global_store_short v1, v5, s[0:1] offset:1024
	global_store_short v1, v4, s[0:1] offset:1536
	global_store_short v1, v7, s[0:1] offset:2048
	global_store_short v1, v6, s[0:1] offset:2560
	global_store_short v1, v9, s[0:1] offset:3072
	global_store_short v1, v8, s[0:1] offset:3584
	s_mov_b64 s[0:1], 0
.LBB155_211:
	s_and_b64 vcc, exec, s[0:1]
	s_cbranch_vccz .LBB155_519
; %bb.212:
	v_cmp_gt_i32_e64 s[0:1], s12, v0
	s_mov_b64 s[70:71], 0
	v_or_b32_e32 v1, s33, v0
	s_mov_b64 s[76:77], 0
	s_mov_b64 s[74:75], 0
	v_mov_b32_e32 v2, v0
	s_and_saveexec_b64 s[4:5], s[0:1]
	s_cbranch_execz .LBB155_214
; %bb.213:
	global_load_ubyte v3, v1, s[10:11]
	global_load_ubyte v4, v1, s[14:15]
	v_or_b32_e32 v2, 0x100, v0
	s_waitcnt vmcnt(1)
	v_cmp_ne_u16_e32 vcc, 0, v3
	s_waitcnt vmcnt(0)
	v_cmp_ne_u16_e64 s[2:3], 0, v4
	s_and_b64 s[74:75], vcc, exec
	s_and_b64 s[76:77], s[2:3], exec
.LBB155_214:
	s_or_b64 exec, exec, s[4:5]
	v_cmp_gt_i32_e32 vcc, s12, v2
	s_mov_b64 s[72:73], 0
	s_and_saveexec_b64 s[4:5], vcc
	s_cbranch_execz .LBB155_216
; %bb.215:
	v_add_u32_e32 v3, s33, v2
	global_load_ubyte v4, v3, s[10:11]
	global_load_ubyte v5, v3, s[14:15]
	v_add_u32_e32 v2, 0x100, v2
	s_waitcnt vmcnt(1)
	v_cmp_ne_u16_e32 vcc, 0, v4
	s_waitcnt vmcnt(0)
	v_cmp_ne_u16_e64 s[2:3], 0, v5
	s_and_b64 s[72:73], vcc, exec
	s_and_b64 s[70:71], s[2:3], exec
.LBB155_216:
	s_or_b64 exec, exec, s[4:5]
	v_cmp_gt_i32_e32 vcc, s12, v2
	s_mov_b64 s[62:63], 0
	s_mov_b64 s[68:69], 0
	s_mov_b64 s[66:67], 0
	s_and_saveexec_b64 s[4:5], vcc
	s_cbranch_execz .LBB155_218
; %bb.217:
	v_add_u32_e32 v3, s33, v2
	global_load_ubyte v4, v3, s[10:11]
	global_load_ubyte v5, v3, s[14:15]
	v_add_u32_e32 v2, 0x100, v2
	s_waitcnt vmcnt(1)
	v_cmp_ne_u16_e32 vcc, 0, v4
	s_waitcnt vmcnt(0)
	v_cmp_ne_u16_e64 s[2:3], 0, v5
	s_and_b64 s[66:67], vcc, exec
	s_and_b64 s[68:69], s[2:3], exec
.LBB155_218:
	s_or_b64 exec, exec, s[4:5]
	v_cmp_gt_i32_e32 vcc, s12, v2
	s_mov_b64 s[64:65], 0
	s_and_saveexec_b64 s[4:5], vcc
	s_cbranch_execz .LBB155_220
; %bb.219:
	v_add_u32_e32 v3, s33, v2
	global_load_ubyte v4, v3, s[10:11]
	global_load_ubyte v5, v3, s[14:15]
	v_add_u32_e32 v2, 0x100, v2
	s_waitcnt vmcnt(1)
	v_cmp_ne_u16_e32 vcc, 0, v4
	s_waitcnt vmcnt(0)
	v_cmp_ne_u16_e64 s[2:3], 0, v5
	s_and_b64 s[64:65], vcc, exec
	s_and_b64 s[62:63], s[2:3], exec
.LBB155_220:
	s_or_b64 exec, exec, s[4:5]
	v_cmp_gt_i32_e32 vcc, s12, v2
	s_mov_b64 s[54:55], 0
	s_mov_b64 s[60:61], 0
	s_mov_b64 s[58:59], 0
	s_and_saveexec_b64 s[4:5], vcc
	s_cbranch_execz .LBB155_222
; %bb.221:
	v_add_u32_e32 v3, s33, v2
	global_load_ubyte v4, v3, s[10:11]
	global_load_ubyte v5, v3, s[14:15]
	v_add_u32_e32 v2, 0x100, v2
	s_waitcnt vmcnt(1)
	v_cmp_ne_u16_e32 vcc, 0, v4
	s_waitcnt vmcnt(0)
	v_cmp_ne_u16_e64 s[2:3], 0, v5
	s_and_b64 s[58:59], vcc, exec
	s_and_b64 s[60:61], s[2:3], exec
.LBB155_222:
	s_or_b64 exec, exec, s[4:5]
	v_cmp_gt_i32_e32 vcc, s12, v2
	s_mov_b64 s[56:57], 0
	s_and_saveexec_b64 s[4:5], vcc
	s_cbranch_execz .LBB155_224
; %bb.223:
	v_add_u32_e32 v3, s33, v2
	global_load_ubyte v4, v3, s[10:11]
	global_load_ubyte v5, v3, s[14:15]
	v_add_u32_e32 v2, 0x100, v2
	s_waitcnt vmcnt(1)
	v_cmp_ne_u16_e32 vcc, 0, v4
	s_waitcnt vmcnt(0)
	v_cmp_ne_u16_e64 s[2:3], 0, v5
	s_and_b64 s[56:57], vcc, exec
	s_and_b64 s[54:55], s[2:3], exec
.LBB155_224:
	s_or_b64 exec, exec, s[4:5]
	v_cmp_gt_i32_e32 vcc, s12, v2
	s_mov_b64 s[46:47], 0
	s_mov_b64 s[52:53], 0
	s_mov_b64 s[50:51], 0
	s_and_saveexec_b64 s[4:5], vcc
	s_cbranch_execz .LBB155_226
; %bb.225:
	v_add_u32_e32 v3, s33, v2
	global_load_ubyte v4, v3, s[10:11]
	global_load_ubyte v5, v3, s[14:15]
	v_add_u32_e32 v2, 0x100, v2
	s_waitcnt vmcnt(1)
	v_cmp_ne_u16_e32 vcc, 0, v4
	s_waitcnt vmcnt(0)
	v_cmp_ne_u16_e64 s[2:3], 0, v5
	s_and_b64 s[50:51], vcc, exec
	s_and_b64 s[52:53], s[2:3], exec
.LBB155_226:
	s_or_b64 exec, exec, s[4:5]
	v_cmp_gt_i32_e32 vcc, s12, v2
	s_mov_b64 s[48:49], 0
	s_and_saveexec_b64 s[4:5], vcc
	s_cbranch_execz .LBB155_228
; %bb.227:
	v_add_u32_e32 v3, s33, v2
	global_load_ubyte v4, v3, s[10:11]
	global_load_ubyte v5, v3, s[14:15]
	v_add_u32_e32 v2, 0x100, v2
	s_waitcnt vmcnt(1)
	v_cmp_ne_u16_e32 vcc, 0, v4
	s_waitcnt vmcnt(0)
	v_cmp_ne_u16_e64 s[2:3], 0, v5
	s_and_b64 s[48:49], vcc, exec
	s_and_b64 s[46:47], s[2:3], exec
.LBB155_228:
	s_or_b64 exec, exec, s[4:5]
	v_cmp_gt_i32_e32 vcc, s12, v2
	s_mov_b64 s[38:39], 0
	s_mov_b64 s[44:45], 0
	s_mov_b64 s[42:43], 0
	s_and_saveexec_b64 s[4:5], vcc
	s_cbranch_execz .LBB155_230
; %bb.229:
	v_add_u32_e32 v3, s33, v2
	global_load_ubyte v4, v3, s[10:11]
	global_load_ubyte v5, v3, s[14:15]
	v_add_u32_e32 v2, 0x100, v2
	s_waitcnt vmcnt(1)
	v_cmp_ne_u16_e32 vcc, 0, v4
	s_waitcnt vmcnt(0)
	v_cmp_ne_u16_e64 s[2:3], 0, v5
	s_and_b64 s[42:43], vcc, exec
	s_and_b64 s[44:45], s[2:3], exec
.LBB155_230:
	s_or_b64 exec, exec, s[4:5]
	v_cmp_gt_i32_e32 vcc, s12, v2
	s_mov_b64 s[40:41], 0
	s_and_saveexec_b64 s[4:5], vcc
	s_cbranch_execz .LBB155_232
; %bb.231:
	v_add_u32_e32 v3, s33, v2
	global_load_ubyte v4, v3, s[10:11]
	s_nop 0
	global_load_ubyte v3, v3, s[14:15]
	v_add_u32_e32 v2, 0x100, v2
	s_waitcnt vmcnt(1)
	v_cmp_ne_u16_e32 vcc, 0, v4
	s_waitcnt vmcnt(0)
	v_cmp_ne_u16_e64 s[2:3], 0, v3
	s_and_b64 s[40:41], vcc, exec
	s_and_b64 s[38:39], s[2:3], exec
.LBB155_232:
	s_or_b64 exec, exec, s[4:5]
	v_cmp_gt_i32_e32 vcc, s12, v2
	s_mov_b64 s[28:29], 0
	s_mov_b64 s[36:37], 0
	s_mov_b64 s[34:35], 0
	s_and_saveexec_b64 s[4:5], vcc
	s_cbranch_execz .LBB155_234
; %bb.233:
	v_add_u32_e32 v3, s33, v2
	global_load_ubyte v4, v3, s[10:11]
	s_nop 0
	global_load_ubyte v3, v3, s[14:15]
	v_add_u32_e32 v2, 0x100, v2
	s_waitcnt vmcnt(1)
	v_cmp_ne_u16_e32 vcc, 0, v4
	s_waitcnt vmcnt(0)
	v_cmp_ne_u16_e64 s[2:3], 0, v3
	s_and_b64 s[34:35], vcc, exec
	s_and_b64 s[36:37], s[2:3], exec
.LBB155_234:
	s_or_b64 exec, exec, s[4:5]
	v_cmp_gt_i32_e32 vcc, s12, v2
	s_mov_b64 s[30:31], 0
	s_and_saveexec_b64 s[4:5], vcc
	s_cbranch_execz .LBB155_236
; %bb.235:
	v_add_u32_e32 v3, s33, v2
	global_load_ubyte v4, v3, s[10:11]
	s_nop 0
	global_load_ubyte v3, v3, s[14:15]
	v_add_u32_e32 v2, 0x100, v2
	s_waitcnt vmcnt(1)
	v_cmp_ne_u16_e32 vcc, 0, v4
	s_waitcnt vmcnt(0)
	v_cmp_ne_u16_e64 s[2:3], 0, v3
	s_and_b64 s[30:31], vcc, exec
	s_and_b64 s[28:29], s[2:3], exec
.LBB155_236:
	s_or_b64 exec, exec, s[4:5]
	v_cmp_gt_i32_e32 vcc, s12, v2
	s_mov_b64 s[20:21], 0
	s_mov_b64 s[26:27], 0
	s_mov_b64 s[24:25], 0
	s_and_saveexec_b64 s[4:5], vcc
	s_cbranch_execz .LBB155_238
; %bb.237:
	v_add_u32_e32 v3, s33, v2
	global_load_ubyte v4, v3, s[10:11]
	s_nop 0
	global_load_ubyte v3, v3, s[14:15]
	v_add_u32_e32 v2, 0x100, v2
	s_waitcnt vmcnt(1)
	v_cmp_ne_u16_e32 vcc, 0, v4
	s_waitcnt vmcnt(0)
	v_cmp_ne_u16_e64 s[2:3], 0, v3
	s_and_b64 s[24:25], vcc, exec
	s_and_b64 s[26:27], s[2:3], exec
.LBB155_238:
	;; [unrolled: 38-line block ×3, first 2 shown]
	s_or_b64 exec, exec, s[6:7]
	v_cmp_gt_i32_e32 vcc, s12, v2
	s_mov_b64 s[6:7], 0
	s_and_saveexec_b64 s[78:79], vcc
	s_cbranch_execz .LBB155_244
; %bb.243:
	v_add_u32_e32 v2, s33, v2
	global_load_ubyte v3, v2, s[10:11]
	s_nop 0
	global_load_ubyte v2, v2, s[14:15]
	s_waitcnt vmcnt(1)
	v_cmp_ne_u16_e32 vcc, 0, v3
	s_waitcnt vmcnt(0)
	v_cmp_ne_u16_e64 s[2:3], 0, v2
	s_and_b64 s[6:7], vcc, exec
	s_and_b64 s[4:5], s[2:3], exec
.LBB155_244:
	s_or_b64 exec, exec, s[78:79]
	v_mov_b32_e32 v5, 0
	v_mov_b32_e32 v4, v5
	;; [unrolled: 1-line block ×4, first 2 shown]
	s_and_saveexec_b64 s[2:3], s[0:1]
	s_cbranch_execz .LBB155_276
; %bb.245:
	s_cmp_lt_i32 s13, 1
	s_mov_b64 s[10:11], 0
	s_cbranch_scc1 .LBB155_250
; %bb.246:
	s_cmp_gt_i32 s13, 1
	s_cbranch_scc0 .LBB155_266
; %bb.247:
	s_cmp_eq_u32 s13, 2
	s_cbranch_scc0 .LBB155_267
; %bb.248:
	s_xor_b64 s[14:15], s[74:75], -1
	s_or_b64 s[14:15], s[76:77], s[14:15]
	s_mov_b64 s[78:79], 0
	s_branch .LBB155_268
.LBB155_249:
	s_xor_b64 s[46:47], s[0:1], -1
	s_and_b64 s[48:49], s[2:3], s[46:47]
	s_andn2_b64 s[44:45], s[44:45], exec
	s_and_b64 s[48:49], s[48:49], exec
	s_or_b64 s[44:45], s[44:45], s[48:49]
	s_cbranch_execz .LBB155_209
	s_branch .LBB155_210
.LBB155_250:
                                        ; implicit-def: $sgpr14_sgpr15
	s_mov_b64 s[78:79], 0
	s_cbranch_execnz .LBB155_271
	s_branch .LBB155_272
.LBB155_251:
	s_mov_b64 s[18:19], -1
                                        ; implicit-def: $sgpr6_sgpr7
	s_branch .LBB155_23
.LBB155_252:
	s_mov_b64 s[20:21], -1
                                        ; implicit-def: $sgpr16_sgpr17
	s_branch .LBB155_36
.LBB155_253:
	s_mov_b64 s[22:23], -1
                                        ; implicit-def: $sgpr18_sgpr19
	s_branch .LBB155_49
.LBB155_254:
	s_mov_b64 s[24:25], -1
                                        ; implicit-def: $sgpr20_sgpr21
	s_branch .LBB155_62
.LBB155_255:
	s_mov_b64 s[26:27], -1
                                        ; implicit-def: $sgpr22_sgpr23
	s_branch .LBB155_75
.LBB155_256:
	s_mov_b64 s[28:29], -1
                                        ; implicit-def: $sgpr24_sgpr25
	s_branch .LBB155_88
.LBB155_257:
	s_mov_b64 s[30:31], -1
                                        ; implicit-def: $sgpr26_sgpr27
	s_branch .LBB155_101
.LBB155_258:
	s_mov_b64 s[34:35], -1
                                        ; implicit-def: $sgpr28_sgpr29
	s_branch .LBB155_114
.LBB155_259:
	s_mov_b64 s[36:37], -1
                                        ; implicit-def: $sgpr30_sgpr31
	s_branch .LBB155_127
.LBB155_260:
	s_mov_b64 s[38:39], -1
                                        ; implicit-def: $sgpr34_sgpr35
	s_branch .LBB155_140
.LBB155_261:
	s_mov_b64 s[40:41], -1
                                        ; implicit-def: $sgpr36_sgpr37
	s_branch .LBB155_153
.LBB155_262:
	s_mov_b64 s[42:43], -1
                                        ; implicit-def: $sgpr38_sgpr39
	s_branch .LBB155_166
.LBB155_263:
	s_mov_b64 s[44:45], -1
                                        ; implicit-def: $sgpr40_sgpr41
	s_branch .LBB155_179
.LBB155_264:
	s_mov_b64 s[46:47], -1
                                        ; implicit-def: $sgpr42_sgpr43
	s_branch .LBB155_192
.LBB155_265:
	s_mov_b64 s[48:49], -1
                                        ; implicit-def: $sgpr44_sgpr45
	s_branch .LBB155_205
.LBB155_266:
	s_mov_b64 s[78:79], 0
                                        ; implicit-def: $sgpr14_sgpr15
	s_cbranch_execnz .LBB155_269
	s_branch .LBB155_270
.LBB155_267:
	s_mov_b64 s[78:79], -1
                                        ; implicit-def: $sgpr14_sgpr15
.LBB155_268:
	s_branch .LBB155_270
.LBB155_269:
	s_xor_b64 s[80:81], s[76:77], -1
	s_and_b64 s[80:81], s[74:75], s[80:81]
	s_andn2_b64 s[14:15], s[14:15], exec
	s_and_b64 s[80:81], s[80:81], exec
	s_or_b64 s[14:15], s[14:15], s[80:81]
.LBB155_270:
	s_branch .LBB155_272
.LBB155_271:
	s_cmp_lg_u32 s13, 0
	s_mov_b64 s[10:11], -1
	s_cselect_b64 s[78:79], -1, 0
.LBB155_272:
	s_andn2_b64 vcc, exec, s[78:79]
	s_cbranch_vccz .LBB155_281
; %bb.273:
	s_andn2_b64 vcc, exec, s[10:11]
	s_cbranch_vccnz .LBB155_275
.LBB155_274:
	s_xor_b64 s[10:11], s[76:77], -1
	s_or_b64 s[10:11], s[74:75], s[10:11]
	s_andn2_b64 s[14:15], s[14:15], exec
	s_and_b64 s[10:11], s[10:11], exec
	s_or_b64 s[14:15], s[14:15], s[10:11]
.LBB155_275:
	v_cndmask_b32_e64 v2, 0, 1, s[14:15]
	v_mov_b32_e32 v4, 0
	v_and_b32_e32 v5, 0xffff, v2
	v_mov_b32_e32 v3, v4
	v_mov_b32_e32 v2, v4
.LBB155_276:
	s_or_b64 exec, exec, s[2:3]
	v_or_b32_e32 v6, 0x100, v0
	v_cmp_gt_i32_e32 vcc, s12, v6
	s_and_saveexec_b64 s[2:3], vcc
	s_cbranch_execz .LBB155_291
; %bb.277:
	s_cmp_lt_i32 s13, 1
	s_mov_b64 s[10:11], 0
	s_cbranch_scc1 .LBB155_282
; %bb.278:
	s_cmp_gt_i32 s13, 1
	s_cbranch_scc0 .LBB155_283
; %bb.279:
	s_cmp_eq_u32 s13, 2
	s_cbranch_scc0 .LBB155_535
; %bb.280:
	s_xor_b64 s[14:15], s[72:73], -1
	s_or_b64 s[14:15], s[70:71], s[14:15]
	s_mov_b64 s[74:75], 0
	s_branch .LBB155_285
.LBB155_281:
	s_xor_b64 s[10:11], s[74:75], -1
	s_and_b64 s[78:79], s[76:77], s[10:11]
	s_andn2_b64 s[14:15], s[14:15], exec
	s_and_b64 s[78:79], s[78:79], exec
	s_or_b64 s[14:15], s[14:15], s[78:79]
	s_cbranch_execz .LBB155_274
	s_branch .LBB155_275
.LBB155_282:
                                        ; implicit-def: $sgpr14_sgpr15
	s_mov_b64 s[74:75], 0
	s_cbranch_execnz .LBB155_286
	s_branch .LBB155_287
.LBB155_283:
	s_mov_b64 s[74:75], 0
                                        ; implicit-def: $sgpr14_sgpr15
	s_cbranch_execz .LBB155_285
; %bb.284:
	s_xor_b64 s[76:77], s[70:71], -1
	s_and_b64 s[76:77], s[72:73], s[76:77]
	s_andn2_b64 s[14:15], s[14:15], exec
	s_and_b64 s[76:77], s[76:77], exec
	s_or_b64 s[14:15], s[14:15], s[76:77]
.LBB155_285:
	s_branch .LBB155_287
.LBB155_286:
	s_cmp_lg_u32 s13, 0
	s_mov_b64 s[10:11], -1
	s_cselect_b64 s[74:75], -1, 0
.LBB155_287:
	s_andn2_b64 vcc, exec, s[74:75]
	s_cbranch_vccz .LBB155_296
; %bb.288:
	s_andn2_b64 vcc, exec, s[10:11]
	s_cbranch_vccnz .LBB155_290
.LBB155_289:
	s_xor_b64 s[10:11], s[70:71], -1
	s_or_b64 s[10:11], s[72:73], s[10:11]
	s_andn2_b64 s[14:15], s[14:15], exec
	s_and_b64 s[10:11], s[10:11], exec
	s_or_b64 s[14:15], s[14:15], s[10:11]
.LBB155_290:
	v_cndmask_b32_e64 v7, 0, 1, s[14:15]
	v_lshlrev_b16_e32 v7, 8, v7
	v_or_b32_sdwa v7, v5, v7 dst_sel:DWORD dst_unused:UNUSED_PAD src0_sel:BYTE_0 src1_sel:DWORD
	v_and_b32_e32 v7, 0xffff, v7
	s_mov_b32 s10, 0xffff0000
	v_and_or_b32 v5, v5, s10, v7
.LBB155_291:
	s_or_b64 exec, exec, s[2:3]
	v_or_b32_e32 v7, 0x200, v0
	v_cmp_gt_i32_e32 vcc, s12, v7
	s_and_saveexec_b64 s[2:3], vcc
	s_cbranch_execz .LBB155_306
; %bb.292:
	s_cmp_lt_i32 s13, 1
	s_mov_b64 s[10:11], 0
	s_cbranch_scc1 .LBB155_297
; %bb.293:
	s_cmp_gt_i32 s13, 1
	s_cbranch_scc0 .LBB155_298
; %bb.294:
	s_cmp_eq_u32 s13, 2
	s_cbranch_scc0 .LBB155_536
; %bb.295:
	s_xor_b64 s[14:15], s[66:67], -1
	s_or_b64 s[14:15], s[68:69], s[14:15]
	s_mov_b64 s[70:71], 0
	s_branch .LBB155_300
.LBB155_296:
	s_xor_b64 s[10:11], s[72:73], -1
	s_and_b64 s[74:75], s[70:71], s[10:11]
	s_andn2_b64 s[14:15], s[14:15], exec
	s_and_b64 s[74:75], s[74:75], exec
	s_or_b64 s[14:15], s[14:15], s[74:75]
	s_cbranch_execz .LBB155_289
	s_branch .LBB155_290
.LBB155_297:
                                        ; implicit-def: $sgpr14_sgpr15
	s_mov_b64 s[70:71], 0
	s_cbranch_execnz .LBB155_301
	s_branch .LBB155_302
.LBB155_298:
	s_mov_b64 s[70:71], 0
                                        ; implicit-def: $sgpr14_sgpr15
	s_cbranch_execz .LBB155_300
; %bb.299:
	s_xor_b64 s[72:73], s[68:69], -1
	s_and_b64 s[72:73], s[66:67], s[72:73]
	s_andn2_b64 s[14:15], s[14:15], exec
	s_and_b64 s[72:73], s[72:73], exec
	s_or_b64 s[14:15], s[14:15], s[72:73]
.LBB155_300:
	s_branch .LBB155_302
.LBB155_301:
	s_cmp_lg_u32 s13, 0
	s_mov_b64 s[10:11], -1
	s_cselect_b64 s[70:71], -1, 0
.LBB155_302:
	s_andn2_b64 vcc, exec, s[70:71]
	s_cbranch_vccz .LBB155_311
; %bb.303:
	s_andn2_b64 vcc, exec, s[10:11]
	s_cbranch_vccnz .LBB155_305
.LBB155_304:
	s_xor_b64 s[10:11], s[68:69], -1
	s_or_b64 s[10:11], s[66:67], s[10:11]
	s_andn2_b64 s[14:15], s[14:15], exec
	s_and_b64 s[10:11], s[10:11], exec
	s_or_b64 s[14:15], s[14:15], s[10:11]
.LBB155_305:
	s_movk_i32 s10, 0xff00
	v_and_b32_sdwa v7, v5, s10 dst_sel:DWORD dst_unused:UNUSED_PAD src0_sel:WORD_1 src1_sel:DWORD
	v_cndmask_b32_e64 v8, 0, 1, s[14:15]
	v_or_b32_sdwa v7, v8, v7 dst_sel:WORD_1 dst_unused:UNUSED_PAD src0_sel:DWORD src1_sel:DWORD
	s_mov_b32 s10, 0xffff
	v_and_or_b32 v5, v5, s10, v7
.LBB155_306:
	s_or_b64 exec, exec, s[2:3]
	v_or_b32_e32 v7, 0x300, v0
	v_cmp_gt_i32_e32 vcc, s12, v7
	s_and_saveexec_b64 s[2:3], vcc
	s_cbranch_execz .LBB155_321
; %bb.307:
	s_cmp_lt_i32 s13, 1
	s_mov_b64 s[10:11], 0
	s_cbranch_scc1 .LBB155_312
; %bb.308:
	s_cmp_gt_i32 s13, 1
	s_cbranch_scc0 .LBB155_313
; %bb.309:
	s_cmp_eq_u32 s13, 2
	s_cbranch_scc0 .LBB155_537
; %bb.310:
	s_xor_b64 s[14:15], s[64:65], -1
	s_or_b64 s[14:15], s[62:63], s[14:15]
	s_mov_b64 s[66:67], 0
	s_branch .LBB155_315
.LBB155_311:
	s_xor_b64 s[10:11], s[66:67], -1
	s_and_b64 s[70:71], s[68:69], s[10:11]
	s_andn2_b64 s[14:15], s[14:15], exec
	s_and_b64 s[70:71], s[70:71], exec
	s_or_b64 s[14:15], s[14:15], s[70:71]
	s_cbranch_execz .LBB155_304
	s_branch .LBB155_305
.LBB155_312:
                                        ; implicit-def: $sgpr14_sgpr15
	s_mov_b64 s[66:67], 0
	s_cbranch_execnz .LBB155_316
	s_branch .LBB155_317
.LBB155_313:
	s_mov_b64 s[66:67], 0
                                        ; implicit-def: $sgpr14_sgpr15
	s_cbranch_execz .LBB155_315
; %bb.314:
	s_xor_b64 s[68:69], s[62:63], -1
	s_and_b64 s[68:69], s[64:65], s[68:69]
	s_andn2_b64 s[14:15], s[14:15], exec
	s_and_b64 s[68:69], s[68:69], exec
	s_or_b64 s[14:15], s[14:15], s[68:69]
.LBB155_315:
	s_branch .LBB155_317
.LBB155_316:
	s_cmp_lg_u32 s13, 0
	s_mov_b64 s[10:11], -1
	s_cselect_b64 s[66:67], -1, 0
.LBB155_317:
	s_andn2_b64 vcc, exec, s[66:67]
	s_cbranch_vccz .LBB155_326
; %bb.318:
	s_andn2_b64 vcc, exec, s[10:11]
	s_cbranch_vccnz .LBB155_320
.LBB155_319:
	s_xor_b64 s[10:11], s[62:63], -1
	s_or_b64 s[10:11], s[64:65], s[10:11]
	s_andn2_b64 s[14:15], s[14:15], exec
	s_and_b64 s[10:11], s[10:11], exec
	s_or_b64 s[14:15], s[14:15], s[10:11]
.LBB155_320:
	s_movk_i32 s10, 0xff
	v_cndmask_b32_e64 v8, 0, 1, s[14:15]
	v_and_b32_sdwa v7, v5, s10 dst_sel:DWORD dst_unused:UNUSED_PAD src0_sel:WORD_1 src1_sel:DWORD
	v_lshlrev_b16_e32 v8, 8, v8
	v_or_b32_sdwa v7, v7, v8 dst_sel:WORD_1 dst_unused:UNUSED_PAD src0_sel:DWORD src1_sel:DWORD
	s_mov_b32 s10, 0xffff
	v_and_or_b32 v5, v5, s10, v7
.LBB155_321:
	s_or_b64 exec, exec, s[2:3]
	v_or_b32_e32 v7, 0x400, v0
	v_cmp_gt_i32_e32 vcc, s12, v7
	s_and_saveexec_b64 s[2:3], vcc
	s_cbranch_execz .LBB155_336
; %bb.322:
	s_cmp_lt_i32 s13, 1
	s_mov_b64 s[10:11], 0
	s_cbranch_scc1 .LBB155_327
; %bb.323:
	s_cmp_gt_i32 s13, 1
	s_cbranch_scc0 .LBB155_328
; %bb.324:
	s_cmp_eq_u32 s13, 2
	s_cbranch_scc0 .LBB155_538
; %bb.325:
	s_xor_b64 s[14:15], s[58:59], -1
	s_or_b64 s[14:15], s[60:61], s[14:15]
	s_mov_b64 s[62:63], 0
	s_branch .LBB155_330
.LBB155_326:
	s_xor_b64 s[10:11], s[64:65], -1
	s_and_b64 s[66:67], s[62:63], s[10:11]
	s_andn2_b64 s[14:15], s[14:15], exec
	s_and_b64 s[66:67], s[66:67], exec
	s_or_b64 s[14:15], s[14:15], s[66:67]
	s_cbranch_execz .LBB155_319
	s_branch .LBB155_320
.LBB155_327:
                                        ; implicit-def: $sgpr14_sgpr15
	s_mov_b64 s[62:63], 0
	s_cbranch_execnz .LBB155_331
	s_branch .LBB155_332
.LBB155_328:
	s_mov_b64 s[62:63], 0
                                        ; implicit-def: $sgpr14_sgpr15
	s_cbranch_execz .LBB155_330
; %bb.329:
	s_xor_b64 s[64:65], s[60:61], -1
	s_and_b64 s[64:65], s[58:59], s[64:65]
	s_andn2_b64 s[14:15], s[14:15], exec
	s_and_b64 s[64:65], s[64:65], exec
	s_or_b64 s[14:15], s[14:15], s[64:65]
.LBB155_330:
	s_branch .LBB155_332
.LBB155_331:
	s_cmp_lg_u32 s13, 0
	s_mov_b64 s[10:11], -1
	s_cselect_b64 s[62:63], -1, 0
.LBB155_332:
	s_andn2_b64 vcc, exec, s[62:63]
	s_cbranch_vccz .LBB155_341
; %bb.333:
	s_andn2_b64 vcc, exec, s[10:11]
	s_cbranch_vccnz .LBB155_335
.LBB155_334:
	s_xor_b64 s[10:11], s[60:61], -1
	s_or_b64 s[10:11], s[58:59], s[10:11]
	s_andn2_b64 s[14:15], s[14:15], exec
	s_and_b64 s[10:11], s[10:11], exec
	s_or_b64 s[14:15], s[14:15], s[10:11]
.LBB155_335:
	v_and_b32_e32 v7, 0xffffff00, v4
	v_cndmask_b32_e64 v8, 0, 1, s[14:15]
	v_or_b32_e32 v7, v8, v7
	v_and_b32_e32 v7, 0xffff, v7
	s_mov_b32 s10, 0xffff0000
	v_and_or_b32 v4, v4, s10, v7
.LBB155_336:
	s_or_b64 exec, exec, s[2:3]
	v_or_b32_e32 v7, 0x500, v0
	v_cmp_gt_i32_e32 vcc, s12, v7
	s_and_saveexec_b64 s[2:3], vcc
	s_cbranch_execz .LBB155_351
; %bb.337:
	s_cmp_lt_i32 s13, 1
	s_mov_b64 s[10:11], 0
	s_cbranch_scc1 .LBB155_342
; %bb.338:
	s_cmp_gt_i32 s13, 1
	s_cbranch_scc0 .LBB155_343
; %bb.339:
	s_cmp_eq_u32 s13, 2
	s_cbranch_scc0 .LBB155_539
; %bb.340:
	s_xor_b64 s[14:15], s[56:57], -1
	s_or_b64 s[14:15], s[54:55], s[14:15]
	s_mov_b64 s[58:59], 0
	s_branch .LBB155_345
.LBB155_341:
	s_xor_b64 s[10:11], s[58:59], -1
	s_and_b64 s[62:63], s[60:61], s[10:11]
	s_andn2_b64 s[14:15], s[14:15], exec
	s_and_b64 s[62:63], s[62:63], exec
	s_or_b64 s[14:15], s[14:15], s[62:63]
	s_cbranch_execz .LBB155_334
	s_branch .LBB155_335
.LBB155_342:
                                        ; implicit-def: $sgpr14_sgpr15
	s_mov_b64 s[58:59], 0
	s_cbranch_execnz .LBB155_346
	s_branch .LBB155_347
.LBB155_343:
	s_mov_b64 s[58:59], 0
                                        ; implicit-def: $sgpr14_sgpr15
	s_cbranch_execz .LBB155_345
; %bb.344:
	s_xor_b64 s[60:61], s[54:55], -1
	s_and_b64 s[60:61], s[56:57], s[60:61]
	s_andn2_b64 s[14:15], s[14:15], exec
	s_and_b64 s[60:61], s[60:61], exec
	s_or_b64 s[14:15], s[14:15], s[60:61]
.LBB155_345:
	s_branch .LBB155_347
.LBB155_346:
	s_cmp_lg_u32 s13, 0
	s_mov_b64 s[10:11], -1
	s_cselect_b64 s[58:59], -1, 0
.LBB155_347:
	s_andn2_b64 vcc, exec, s[58:59]
	s_cbranch_vccz .LBB155_356
; %bb.348:
	s_andn2_b64 vcc, exec, s[10:11]
	s_cbranch_vccnz .LBB155_350
.LBB155_349:
	s_xor_b64 s[10:11], s[54:55], -1
	s_or_b64 s[10:11], s[56:57], s[10:11]
	s_andn2_b64 s[14:15], s[14:15], exec
	s_and_b64 s[10:11], s[10:11], exec
	s_or_b64 s[14:15], s[14:15], s[10:11]
.LBB155_350:
	v_cndmask_b32_e64 v7, 0, 1, s[14:15]
	v_lshlrev_b16_e32 v7, 8, v7
	v_or_b32_sdwa v7, v4, v7 dst_sel:DWORD dst_unused:UNUSED_PAD src0_sel:BYTE_0 src1_sel:DWORD
	v_and_b32_e32 v7, 0xffff, v7
	s_mov_b32 s10, 0xffff0000
	v_and_or_b32 v4, v4, s10, v7
.LBB155_351:
	s_or_b64 exec, exec, s[2:3]
	v_or_b32_e32 v7, 0x600, v0
	v_cmp_gt_i32_e32 vcc, s12, v7
	s_and_saveexec_b64 s[2:3], vcc
	s_cbranch_execz .LBB155_366
; %bb.352:
	s_cmp_lt_i32 s13, 1
	s_mov_b64 s[10:11], 0
	s_cbranch_scc1 .LBB155_357
; %bb.353:
	s_cmp_gt_i32 s13, 1
	s_cbranch_scc0 .LBB155_358
; %bb.354:
	s_cmp_eq_u32 s13, 2
	s_cbranch_scc0 .LBB155_540
; %bb.355:
	s_xor_b64 s[14:15], s[50:51], -1
	s_or_b64 s[14:15], s[52:53], s[14:15]
	s_mov_b64 s[54:55], 0
	s_branch .LBB155_360
.LBB155_356:
	s_xor_b64 s[10:11], s[56:57], -1
	s_and_b64 s[58:59], s[54:55], s[10:11]
	s_andn2_b64 s[14:15], s[14:15], exec
	s_and_b64 s[58:59], s[58:59], exec
	s_or_b64 s[14:15], s[14:15], s[58:59]
	s_cbranch_execz .LBB155_349
	s_branch .LBB155_350
.LBB155_357:
                                        ; implicit-def: $sgpr14_sgpr15
	s_mov_b64 s[54:55], 0
	s_cbranch_execnz .LBB155_361
	s_branch .LBB155_362
.LBB155_358:
	s_mov_b64 s[54:55], 0
                                        ; implicit-def: $sgpr14_sgpr15
	s_cbranch_execz .LBB155_360
; %bb.359:
	s_xor_b64 s[56:57], s[52:53], -1
	s_and_b64 s[56:57], s[50:51], s[56:57]
	s_andn2_b64 s[14:15], s[14:15], exec
	s_and_b64 s[56:57], s[56:57], exec
	s_or_b64 s[14:15], s[14:15], s[56:57]
.LBB155_360:
	s_branch .LBB155_362
.LBB155_361:
	s_cmp_lg_u32 s13, 0
	s_mov_b64 s[10:11], -1
	s_cselect_b64 s[54:55], -1, 0
.LBB155_362:
	s_andn2_b64 vcc, exec, s[54:55]
	s_cbranch_vccz .LBB155_371
; %bb.363:
	s_andn2_b64 vcc, exec, s[10:11]
	s_cbranch_vccnz .LBB155_365
.LBB155_364:
	s_xor_b64 s[10:11], s[52:53], -1
	s_or_b64 s[10:11], s[50:51], s[10:11]
	s_andn2_b64 s[14:15], s[14:15], exec
	s_and_b64 s[10:11], s[10:11], exec
	s_or_b64 s[14:15], s[14:15], s[10:11]
.LBB155_365:
	s_movk_i32 s10, 0xff00
	v_and_b32_sdwa v7, v4, s10 dst_sel:DWORD dst_unused:UNUSED_PAD src0_sel:WORD_1 src1_sel:DWORD
	v_cndmask_b32_e64 v8, 0, 1, s[14:15]
	v_or_b32_sdwa v7, v8, v7 dst_sel:WORD_1 dst_unused:UNUSED_PAD src0_sel:DWORD src1_sel:DWORD
	s_mov_b32 s10, 0xffff
	v_and_or_b32 v4, v4, s10, v7
.LBB155_366:
	s_or_b64 exec, exec, s[2:3]
	v_or_b32_e32 v7, 0x700, v0
	v_cmp_gt_i32_e32 vcc, s12, v7
	s_and_saveexec_b64 s[2:3], vcc
	s_cbranch_execz .LBB155_381
; %bb.367:
	s_cmp_lt_i32 s13, 1
	s_mov_b64 s[10:11], 0
	s_cbranch_scc1 .LBB155_372
; %bb.368:
	s_cmp_gt_i32 s13, 1
	s_cbranch_scc0 .LBB155_373
; %bb.369:
	s_cmp_eq_u32 s13, 2
	s_cbranch_scc0 .LBB155_541
; %bb.370:
	s_xor_b64 s[14:15], s[48:49], -1
	s_or_b64 s[14:15], s[46:47], s[14:15]
	s_mov_b64 s[50:51], 0
	s_branch .LBB155_375
.LBB155_371:
	s_xor_b64 s[10:11], s[50:51], -1
	s_and_b64 s[54:55], s[52:53], s[10:11]
	s_andn2_b64 s[14:15], s[14:15], exec
	s_and_b64 s[54:55], s[54:55], exec
	s_or_b64 s[14:15], s[14:15], s[54:55]
	s_cbranch_execz .LBB155_364
	s_branch .LBB155_365
.LBB155_372:
                                        ; implicit-def: $sgpr14_sgpr15
	s_mov_b64 s[50:51], 0
	s_cbranch_execnz .LBB155_376
	s_branch .LBB155_377
.LBB155_373:
	s_mov_b64 s[50:51], 0
                                        ; implicit-def: $sgpr14_sgpr15
	s_cbranch_execz .LBB155_375
; %bb.374:
	s_xor_b64 s[52:53], s[46:47], -1
	s_and_b64 s[52:53], s[48:49], s[52:53]
	s_andn2_b64 s[14:15], s[14:15], exec
	s_and_b64 s[52:53], s[52:53], exec
	s_or_b64 s[14:15], s[14:15], s[52:53]
.LBB155_375:
	s_branch .LBB155_377
.LBB155_376:
	s_cmp_lg_u32 s13, 0
	s_mov_b64 s[10:11], -1
	s_cselect_b64 s[50:51], -1, 0
.LBB155_377:
	s_andn2_b64 vcc, exec, s[50:51]
	s_cbranch_vccz .LBB155_386
; %bb.378:
	s_andn2_b64 vcc, exec, s[10:11]
	s_cbranch_vccnz .LBB155_380
.LBB155_379:
	s_xor_b64 s[10:11], s[46:47], -1
	s_or_b64 s[10:11], s[48:49], s[10:11]
	s_andn2_b64 s[14:15], s[14:15], exec
	s_and_b64 s[10:11], s[10:11], exec
	s_or_b64 s[14:15], s[14:15], s[10:11]
.LBB155_380:
	s_movk_i32 s10, 0xff
	v_cndmask_b32_e64 v8, 0, 1, s[14:15]
	v_and_b32_sdwa v7, v4, s10 dst_sel:DWORD dst_unused:UNUSED_PAD src0_sel:WORD_1 src1_sel:DWORD
	v_lshlrev_b16_e32 v8, 8, v8
	v_or_b32_sdwa v7, v7, v8 dst_sel:WORD_1 dst_unused:UNUSED_PAD src0_sel:DWORD src1_sel:DWORD
	s_mov_b32 s10, 0xffff
	v_and_or_b32 v4, v4, s10, v7
.LBB155_381:
	s_or_b64 exec, exec, s[2:3]
	v_or_b32_e32 v7, 0x800, v0
	v_cmp_gt_i32_e32 vcc, s12, v7
	s_and_saveexec_b64 s[2:3], vcc
	s_cbranch_execz .LBB155_396
; %bb.382:
	s_cmp_lt_i32 s13, 1
	s_mov_b64 s[10:11], 0
	s_cbranch_scc1 .LBB155_387
; %bb.383:
	s_cmp_gt_i32 s13, 1
	s_cbranch_scc0 .LBB155_388
; %bb.384:
	s_cmp_eq_u32 s13, 2
	s_cbranch_scc0 .LBB155_542
; %bb.385:
	s_xor_b64 s[14:15], s[42:43], -1
	s_or_b64 s[14:15], s[44:45], s[14:15]
	s_mov_b64 s[46:47], 0
	s_branch .LBB155_390
.LBB155_386:
	s_xor_b64 s[10:11], s[48:49], -1
	s_and_b64 s[50:51], s[46:47], s[10:11]
	s_andn2_b64 s[14:15], s[14:15], exec
	s_and_b64 s[50:51], s[50:51], exec
	s_or_b64 s[14:15], s[14:15], s[50:51]
	s_cbranch_execz .LBB155_379
	s_branch .LBB155_380
.LBB155_387:
                                        ; implicit-def: $sgpr14_sgpr15
	s_mov_b64 s[46:47], 0
	s_cbranch_execnz .LBB155_391
	s_branch .LBB155_392
.LBB155_388:
	s_mov_b64 s[46:47], 0
                                        ; implicit-def: $sgpr14_sgpr15
	s_cbranch_execz .LBB155_390
; %bb.389:
	s_xor_b64 s[48:49], s[44:45], -1
	s_and_b64 s[48:49], s[42:43], s[48:49]
	s_andn2_b64 s[14:15], s[14:15], exec
	s_and_b64 s[48:49], s[48:49], exec
	s_or_b64 s[14:15], s[14:15], s[48:49]
.LBB155_390:
	s_branch .LBB155_392
.LBB155_391:
	s_cmp_lg_u32 s13, 0
	s_mov_b64 s[10:11], -1
	s_cselect_b64 s[46:47], -1, 0
.LBB155_392:
	s_andn2_b64 vcc, exec, s[46:47]
	s_cbranch_vccz .LBB155_401
; %bb.393:
	s_andn2_b64 vcc, exec, s[10:11]
	s_cbranch_vccnz .LBB155_395
.LBB155_394:
	s_xor_b64 s[10:11], s[44:45], -1
	s_or_b64 s[10:11], s[42:43], s[10:11]
	s_andn2_b64 s[14:15], s[14:15], exec
	s_and_b64 s[10:11], s[10:11], exec
	s_or_b64 s[14:15], s[14:15], s[10:11]
.LBB155_395:
	v_and_b32_e32 v7, 0xffffff00, v3
	v_cndmask_b32_e64 v8, 0, 1, s[14:15]
	v_or_b32_e32 v7, v8, v7
	v_and_b32_e32 v7, 0xffff, v7
	s_mov_b32 s10, 0xffff0000
	v_and_or_b32 v3, v3, s10, v7
.LBB155_396:
	s_or_b64 exec, exec, s[2:3]
	v_or_b32_e32 v7, 0x900, v0
	v_cmp_gt_i32_e32 vcc, s12, v7
	s_and_saveexec_b64 s[2:3], vcc
	s_cbranch_execz .LBB155_411
; %bb.397:
	s_cmp_lt_i32 s13, 1
	s_mov_b64 s[10:11], 0
	s_cbranch_scc1 .LBB155_402
; %bb.398:
	s_cmp_gt_i32 s13, 1
	s_cbranch_scc0 .LBB155_403
; %bb.399:
	s_cmp_eq_u32 s13, 2
	s_cbranch_scc0 .LBB155_543
; %bb.400:
	s_xor_b64 s[14:15], s[40:41], -1
	s_or_b64 s[14:15], s[38:39], s[14:15]
	s_mov_b64 s[42:43], 0
	s_branch .LBB155_405
.LBB155_401:
	s_xor_b64 s[10:11], s[42:43], -1
	s_and_b64 s[46:47], s[44:45], s[10:11]
	s_andn2_b64 s[14:15], s[14:15], exec
	s_and_b64 s[46:47], s[46:47], exec
	s_or_b64 s[14:15], s[14:15], s[46:47]
	s_cbranch_execz .LBB155_394
	s_branch .LBB155_395
.LBB155_402:
                                        ; implicit-def: $sgpr14_sgpr15
	s_mov_b64 s[42:43], 0
	s_cbranch_execnz .LBB155_406
	s_branch .LBB155_407
.LBB155_403:
	s_mov_b64 s[42:43], 0
                                        ; implicit-def: $sgpr14_sgpr15
	s_cbranch_execz .LBB155_405
; %bb.404:
	s_xor_b64 s[44:45], s[38:39], -1
	s_and_b64 s[44:45], s[40:41], s[44:45]
	s_andn2_b64 s[14:15], s[14:15], exec
	s_and_b64 s[44:45], s[44:45], exec
	s_or_b64 s[14:15], s[14:15], s[44:45]
.LBB155_405:
	s_branch .LBB155_407
.LBB155_406:
	s_cmp_lg_u32 s13, 0
	s_mov_b64 s[10:11], -1
	s_cselect_b64 s[42:43], -1, 0
.LBB155_407:
	s_andn2_b64 vcc, exec, s[42:43]
	s_cbranch_vccz .LBB155_416
; %bb.408:
	s_andn2_b64 vcc, exec, s[10:11]
	s_cbranch_vccnz .LBB155_410
.LBB155_409:
	s_xor_b64 s[10:11], s[38:39], -1
	s_or_b64 s[10:11], s[40:41], s[10:11]
	s_andn2_b64 s[14:15], s[14:15], exec
	s_and_b64 s[10:11], s[10:11], exec
	s_or_b64 s[14:15], s[14:15], s[10:11]
.LBB155_410:
	v_cndmask_b32_e64 v7, 0, 1, s[14:15]
	v_lshlrev_b16_e32 v7, 8, v7
	v_or_b32_sdwa v7, v3, v7 dst_sel:DWORD dst_unused:UNUSED_PAD src0_sel:BYTE_0 src1_sel:DWORD
	v_and_b32_e32 v7, 0xffff, v7
	s_mov_b32 s10, 0xffff0000
	v_and_or_b32 v3, v3, s10, v7
.LBB155_411:
	s_or_b64 exec, exec, s[2:3]
	v_or_b32_e32 v7, 0xa00, v0
	v_cmp_gt_i32_e32 vcc, s12, v7
	s_and_saveexec_b64 s[2:3], vcc
	s_cbranch_execz .LBB155_426
; %bb.412:
	s_cmp_lt_i32 s13, 1
	s_mov_b64 s[10:11], 0
	s_cbranch_scc1 .LBB155_417
; %bb.413:
	s_cmp_gt_i32 s13, 1
	s_cbranch_scc0 .LBB155_418
; %bb.414:
	s_cmp_eq_u32 s13, 2
	s_cbranch_scc0 .LBB155_544
; %bb.415:
	s_xor_b64 s[14:15], s[34:35], -1
	s_or_b64 s[14:15], s[36:37], s[14:15]
	s_mov_b64 s[38:39], 0
	s_branch .LBB155_420
.LBB155_416:
	s_xor_b64 s[10:11], s[40:41], -1
	s_and_b64 s[42:43], s[38:39], s[10:11]
	s_andn2_b64 s[14:15], s[14:15], exec
	s_and_b64 s[42:43], s[42:43], exec
	s_or_b64 s[14:15], s[14:15], s[42:43]
	s_cbranch_execz .LBB155_409
	s_branch .LBB155_410
.LBB155_417:
                                        ; implicit-def: $sgpr14_sgpr15
	s_mov_b64 s[38:39], 0
	s_cbranch_execnz .LBB155_421
	s_branch .LBB155_422
.LBB155_418:
	s_mov_b64 s[38:39], 0
                                        ; implicit-def: $sgpr14_sgpr15
	s_cbranch_execz .LBB155_420
; %bb.419:
	s_xor_b64 s[40:41], s[36:37], -1
	s_and_b64 s[40:41], s[34:35], s[40:41]
	s_andn2_b64 s[14:15], s[14:15], exec
	s_and_b64 s[40:41], s[40:41], exec
	s_or_b64 s[14:15], s[14:15], s[40:41]
.LBB155_420:
	s_branch .LBB155_422
.LBB155_421:
	s_cmp_lg_u32 s13, 0
	s_mov_b64 s[10:11], -1
	s_cselect_b64 s[38:39], -1, 0
.LBB155_422:
	s_andn2_b64 vcc, exec, s[38:39]
	s_cbranch_vccz .LBB155_431
; %bb.423:
	s_andn2_b64 vcc, exec, s[10:11]
	s_cbranch_vccnz .LBB155_425
.LBB155_424:
	s_xor_b64 s[10:11], s[36:37], -1
	s_or_b64 s[10:11], s[34:35], s[10:11]
	s_andn2_b64 s[14:15], s[14:15], exec
	s_and_b64 s[10:11], s[10:11], exec
	s_or_b64 s[14:15], s[14:15], s[10:11]
.LBB155_425:
	s_movk_i32 s10, 0xff00
	v_and_b32_sdwa v7, v3, s10 dst_sel:DWORD dst_unused:UNUSED_PAD src0_sel:WORD_1 src1_sel:DWORD
	v_cndmask_b32_e64 v8, 0, 1, s[14:15]
	v_or_b32_sdwa v7, v8, v7 dst_sel:WORD_1 dst_unused:UNUSED_PAD src0_sel:DWORD src1_sel:DWORD
	s_mov_b32 s10, 0xffff
	v_and_or_b32 v3, v3, s10, v7
.LBB155_426:
	s_or_b64 exec, exec, s[2:3]
	v_or_b32_e32 v7, 0xb00, v0
	v_cmp_gt_i32_e32 vcc, s12, v7
	s_and_saveexec_b64 s[2:3], vcc
	s_cbranch_execz .LBB155_441
; %bb.427:
	s_cmp_lt_i32 s13, 1
	s_mov_b64 s[10:11], 0
	s_cbranch_scc1 .LBB155_432
; %bb.428:
	s_cmp_gt_i32 s13, 1
	s_cbranch_scc0 .LBB155_433
; %bb.429:
	s_cmp_eq_u32 s13, 2
	s_cbranch_scc0 .LBB155_545
; %bb.430:
	s_xor_b64 s[14:15], s[30:31], -1
	s_or_b64 s[14:15], s[28:29], s[14:15]
	s_mov_b64 s[34:35], 0
	s_branch .LBB155_435
.LBB155_431:
	s_xor_b64 s[10:11], s[34:35], -1
	s_and_b64 s[38:39], s[36:37], s[10:11]
	s_andn2_b64 s[14:15], s[14:15], exec
	s_and_b64 s[38:39], s[38:39], exec
	s_or_b64 s[14:15], s[14:15], s[38:39]
	s_cbranch_execz .LBB155_424
	s_branch .LBB155_425
.LBB155_432:
                                        ; implicit-def: $sgpr14_sgpr15
	s_mov_b64 s[34:35], 0
	s_cbranch_execnz .LBB155_436
	s_branch .LBB155_437
.LBB155_433:
	s_mov_b64 s[34:35], 0
                                        ; implicit-def: $sgpr14_sgpr15
	s_cbranch_execz .LBB155_435
; %bb.434:
	s_xor_b64 s[36:37], s[28:29], -1
	s_and_b64 s[36:37], s[30:31], s[36:37]
	s_andn2_b64 s[14:15], s[14:15], exec
	s_and_b64 s[36:37], s[36:37], exec
	s_or_b64 s[14:15], s[14:15], s[36:37]
.LBB155_435:
	s_branch .LBB155_437
.LBB155_436:
	s_cmp_lg_u32 s13, 0
	s_mov_b64 s[10:11], -1
	s_cselect_b64 s[34:35], -1, 0
.LBB155_437:
	s_andn2_b64 vcc, exec, s[34:35]
	s_cbranch_vccz .LBB155_446
; %bb.438:
	s_andn2_b64 vcc, exec, s[10:11]
	s_cbranch_vccnz .LBB155_440
.LBB155_439:
	s_xor_b64 s[10:11], s[28:29], -1
	s_or_b64 s[10:11], s[30:31], s[10:11]
	s_andn2_b64 s[14:15], s[14:15], exec
	s_and_b64 s[10:11], s[10:11], exec
	s_or_b64 s[14:15], s[14:15], s[10:11]
.LBB155_440:
	s_movk_i32 s10, 0xff
	v_cndmask_b32_e64 v8, 0, 1, s[14:15]
	v_and_b32_sdwa v7, v3, s10 dst_sel:DWORD dst_unused:UNUSED_PAD src0_sel:WORD_1 src1_sel:DWORD
	v_lshlrev_b16_e32 v8, 8, v8
	v_or_b32_sdwa v7, v7, v8 dst_sel:WORD_1 dst_unused:UNUSED_PAD src0_sel:DWORD src1_sel:DWORD
	s_mov_b32 s10, 0xffff
	v_and_or_b32 v3, v3, s10, v7
.LBB155_441:
	s_or_b64 exec, exec, s[2:3]
	v_or_b32_e32 v7, 0xc00, v0
	v_cmp_gt_i32_e32 vcc, s12, v7
	s_and_saveexec_b64 s[2:3], vcc
	s_cbranch_execz .LBB155_456
; %bb.442:
	s_cmp_lt_i32 s13, 1
	s_mov_b64 s[10:11], 0
	s_cbranch_scc1 .LBB155_447
; %bb.443:
	s_cmp_gt_i32 s13, 1
	s_cbranch_scc0 .LBB155_448
; %bb.444:
	s_cmp_eq_u32 s13, 2
	s_cbranch_scc0 .LBB155_546
; %bb.445:
	s_xor_b64 s[14:15], s[24:25], -1
	s_or_b64 s[14:15], s[26:27], s[14:15]
	s_mov_b64 s[28:29], 0
	s_branch .LBB155_450
.LBB155_446:
	s_xor_b64 s[10:11], s[30:31], -1
	s_and_b64 s[34:35], s[28:29], s[10:11]
	s_andn2_b64 s[14:15], s[14:15], exec
	s_and_b64 s[34:35], s[34:35], exec
	s_or_b64 s[14:15], s[14:15], s[34:35]
	s_cbranch_execz .LBB155_439
	s_branch .LBB155_440
.LBB155_447:
                                        ; implicit-def: $sgpr14_sgpr15
	s_mov_b64 s[28:29], 0
	s_cbranch_execnz .LBB155_451
	s_branch .LBB155_452
.LBB155_448:
	s_mov_b64 s[28:29], 0
                                        ; implicit-def: $sgpr14_sgpr15
	s_cbranch_execz .LBB155_450
; %bb.449:
	s_xor_b64 s[30:31], s[26:27], -1
	s_and_b64 s[30:31], s[24:25], s[30:31]
	s_andn2_b64 s[14:15], s[14:15], exec
	s_and_b64 s[30:31], s[30:31], exec
	s_or_b64 s[14:15], s[14:15], s[30:31]
.LBB155_450:
	s_branch .LBB155_452
.LBB155_451:
	s_cmp_lg_u32 s13, 0
	s_mov_b64 s[10:11], -1
	s_cselect_b64 s[28:29], -1, 0
.LBB155_452:
	s_andn2_b64 vcc, exec, s[28:29]
	s_cbranch_vccz .LBB155_461
; %bb.453:
	s_andn2_b64 vcc, exec, s[10:11]
	s_cbranch_vccnz .LBB155_455
.LBB155_454:
	s_xor_b64 s[10:11], s[26:27], -1
	s_or_b64 s[10:11], s[24:25], s[10:11]
	s_andn2_b64 s[14:15], s[14:15], exec
	s_and_b64 s[10:11], s[10:11], exec
	s_or_b64 s[14:15], s[14:15], s[10:11]
.LBB155_455:
	v_and_b32_e32 v7, 0xffffff00, v2
	v_cndmask_b32_e64 v8, 0, 1, s[14:15]
	v_or_b32_e32 v7, v8, v7
	v_and_b32_e32 v7, 0xffff, v7
	s_mov_b32 s10, 0xffff0000
	v_and_or_b32 v2, v2, s10, v7
.LBB155_456:
	s_or_b64 exec, exec, s[2:3]
	v_or_b32_e32 v7, 0xd00, v0
	v_cmp_gt_i32_e32 vcc, s12, v7
	s_and_saveexec_b64 s[2:3], vcc
	s_cbranch_execz .LBB155_471
; %bb.457:
	s_cmp_lt_i32 s13, 1
	s_mov_b64 s[10:11], 0
	s_cbranch_scc1 .LBB155_462
; %bb.458:
	s_cmp_gt_i32 s13, 1
	s_cbranch_scc0 .LBB155_463
; %bb.459:
	s_cmp_eq_u32 s13, 2
	s_cbranch_scc0 .LBB155_547
; %bb.460:
	s_xor_b64 s[14:15], s[22:23], -1
	s_or_b64 s[14:15], s[20:21], s[14:15]
	s_mov_b64 s[24:25], 0
	s_branch .LBB155_465
.LBB155_461:
	s_xor_b64 s[10:11], s[24:25], -1
	s_and_b64 s[28:29], s[26:27], s[10:11]
	s_andn2_b64 s[14:15], s[14:15], exec
	s_and_b64 s[28:29], s[28:29], exec
	s_or_b64 s[14:15], s[14:15], s[28:29]
	s_cbranch_execz .LBB155_454
	s_branch .LBB155_455
.LBB155_462:
                                        ; implicit-def: $sgpr14_sgpr15
	s_mov_b64 s[24:25], 0
	s_cbranch_execnz .LBB155_466
	s_branch .LBB155_467
.LBB155_463:
	s_mov_b64 s[24:25], 0
                                        ; implicit-def: $sgpr14_sgpr15
	s_cbranch_execz .LBB155_465
; %bb.464:
	s_xor_b64 s[26:27], s[20:21], -1
	s_and_b64 s[26:27], s[22:23], s[26:27]
	s_andn2_b64 s[14:15], s[14:15], exec
	s_and_b64 s[26:27], s[26:27], exec
	s_or_b64 s[14:15], s[14:15], s[26:27]
.LBB155_465:
	s_branch .LBB155_467
.LBB155_466:
	s_cmp_lg_u32 s13, 0
	s_mov_b64 s[10:11], -1
	s_cselect_b64 s[24:25], -1, 0
.LBB155_467:
	s_andn2_b64 vcc, exec, s[24:25]
	s_cbranch_vccz .LBB155_476
; %bb.468:
	s_andn2_b64 vcc, exec, s[10:11]
	s_cbranch_vccnz .LBB155_470
.LBB155_469:
	s_xor_b64 s[10:11], s[20:21], -1
	s_or_b64 s[10:11], s[22:23], s[10:11]
	s_andn2_b64 s[14:15], s[14:15], exec
	s_and_b64 s[10:11], s[10:11], exec
	s_or_b64 s[14:15], s[14:15], s[10:11]
.LBB155_470:
	v_cndmask_b32_e64 v7, 0, 1, s[14:15]
	v_lshlrev_b16_e32 v7, 8, v7
	v_or_b32_sdwa v7, v2, v7 dst_sel:DWORD dst_unused:UNUSED_PAD src0_sel:BYTE_0 src1_sel:DWORD
	v_and_b32_e32 v7, 0xffff, v7
	s_mov_b32 s10, 0xffff0000
	v_and_or_b32 v2, v2, s10, v7
.LBB155_471:
	s_or_b64 exec, exec, s[2:3]
	v_or_b32_e32 v7, 0xe00, v0
	v_cmp_gt_i32_e32 vcc, s12, v7
	s_and_saveexec_b64 s[2:3], vcc
	s_cbranch_execz .LBB155_486
; %bb.472:
	s_cmp_lt_i32 s13, 1
	s_mov_b64 s[10:11], 0
	s_cbranch_scc1 .LBB155_477
; %bb.473:
	s_cmp_gt_i32 s13, 1
	s_cbranch_scc0 .LBB155_478
; %bb.474:
	s_cmp_eq_u32 s13, 2
	s_cbranch_scc0 .LBB155_548
; %bb.475:
	s_xor_b64 s[14:15], s[16:17], -1
	s_or_b64 s[14:15], s[18:19], s[14:15]
	s_mov_b64 s[20:21], 0
	s_branch .LBB155_480
.LBB155_476:
	s_xor_b64 s[10:11], s[22:23], -1
	s_and_b64 s[24:25], s[20:21], s[10:11]
	s_andn2_b64 s[14:15], s[14:15], exec
	s_and_b64 s[24:25], s[24:25], exec
	s_or_b64 s[14:15], s[14:15], s[24:25]
	s_cbranch_execz .LBB155_469
	s_branch .LBB155_470
.LBB155_477:
                                        ; implicit-def: $sgpr14_sgpr15
	s_mov_b64 s[20:21], 0
	s_cbranch_execnz .LBB155_481
	s_branch .LBB155_482
.LBB155_478:
	s_mov_b64 s[20:21], 0
                                        ; implicit-def: $sgpr14_sgpr15
	s_cbranch_execz .LBB155_480
; %bb.479:
	s_xor_b64 s[22:23], s[18:19], -1
	s_and_b64 s[22:23], s[16:17], s[22:23]
	s_andn2_b64 s[14:15], s[14:15], exec
	s_and_b64 s[22:23], s[22:23], exec
	s_or_b64 s[14:15], s[14:15], s[22:23]
.LBB155_480:
	s_branch .LBB155_482
.LBB155_481:
	s_cmp_lg_u32 s13, 0
	s_mov_b64 s[10:11], -1
	s_cselect_b64 s[20:21], -1, 0
.LBB155_482:
	s_andn2_b64 vcc, exec, s[20:21]
	s_cbranch_vccz .LBB155_491
; %bb.483:
	s_andn2_b64 vcc, exec, s[10:11]
	s_cbranch_vccnz .LBB155_485
.LBB155_484:
	s_xor_b64 s[10:11], s[18:19], -1
	s_or_b64 s[10:11], s[16:17], s[10:11]
	s_andn2_b64 s[14:15], s[14:15], exec
	s_and_b64 s[10:11], s[10:11], exec
	s_or_b64 s[14:15], s[14:15], s[10:11]
.LBB155_485:
	s_movk_i32 s10, 0xff00
	v_and_b32_sdwa v7, v2, s10 dst_sel:DWORD dst_unused:UNUSED_PAD src0_sel:WORD_1 src1_sel:DWORD
	v_cndmask_b32_e64 v8, 0, 1, s[14:15]
	v_or_b32_sdwa v7, v8, v7 dst_sel:WORD_1 dst_unused:UNUSED_PAD src0_sel:DWORD src1_sel:DWORD
	s_mov_b32 s10, 0xffff
	v_and_or_b32 v2, v2, s10, v7
.LBB155_486:
	s_or_b64 exec, exec, s[2:3]
	v_or_b32_e32 v7, 0xf00, v0
	v_cmp_gt_i32_e32 vcc, s12, v7
	s_and_saveexec_b64 s[2:3], vcc
	s_cbranch_execz .LBB155_501
; %bb.487:
	s_cmp_lt_i32 s13, 1
	s_mov_b64 s[10:11], 0
	s_cbranch_scc1 .LBB155_492
; %bb.488:
	s_cmp_gt_i32 s13, 1
	s_cbranch_scc0 .LBB155_493
; %bb.489:
	s_cmp_eq_u32 s13, 2
	s_cbranch_scc0 .LBB155_549
; %bb.490:
	s_xor_b64 s[14:15], s[6:7], -1
	s_or_b64 s[14:15], s[4:5], s[14:15]
	s_mov_b64 s[16:17], 0
	s_branch .LBB155_495
.LBB155_491:
	s_xor_b64 s[10:11], s[16:17], -1
	s_and_b64 s[20:21], s[18:19], s[10:11]
	s_andn2_b64 s[14:15], s[14:15], exec
	s_and_b64 s[20:21], s[20:21], exec
	s_or_b64 s[14:15], s[14:15], s[20:21]
	s_cbranch_execz .LBB155_484
	s_branch .LBB155_485
.LBB155_492:
                                        ; implicit-def: $sgpr14_sgpr15
	s_mov_b64 s[16:17], 0
	s_cbranch_execnz .LBB155_496
	s_branch .LBB155_497
.LBB155_493:
	s_mov_b64 s[16:17], 0
                                        ; implicit-def: $sgpr14_sgpr15
	s_cbranch_execz .LBB155_495
; %bb.494:
	s_xor_b64 s[18:19], s[4:5], -1
	s_and_b64 s[18:19], s[6:7], s[18:19]
	s_andn2_b64 s[14:15], s[14:15], exec
	s_and_b64 s[18:19], s[18:19], exec
	s_or_b64 s[14:15], s[14:15], s[18:19]
.LBB155_495:
	s_branch .LBB155_497
.LBB155_496:
	s_cmp_lg_u32 s13, 0
	s_mov_b64 s[10:11], -1
	s_cselect_b64 s[16:17], -1, 0
.LBB155_497:
	s_andn2_b64 vcc, exec, s[16:17]
	s_cbranch_vccz .LBB155_534
; %bb.498:
	s_andn2_b64 vcc, exec, s[10:11]
	s_cbranch_vccnz .LBB155_500
.LBB155_499:
	s_xor_b64 s[4:5], s[4:5], -1
	s_or_b64 s[4:5], s[6:7], s[4:5]
	s_andn2_b64 s[6:7], s[14:15], exec
	s_and_b64 s[4:5], s[4:5], exec
	s_or_b64 s[14:15], s[6:7], s[4:5]
.LBB155_500:
	s_movk_i32 s4, 0xff
	v_cndmask_b32_e64 v8, 0, 1, s[14:15]
	v_and_b32_sdwa v7, v2, s4 dst_sel:DWORD dst_unused:UNUSED_PAD src0_sel:WORD_1 src1_sel:DWORD
	v_lshlrev_b16_e32 v8, 8, v8
	v_or_b32_sdwa v7, v7, v8 dst_sel:WORD_1 dst_unused:UNUSED_PAD src0_sel:DWORD src1_sel:DWORD
	s_mov_b32 s4, 0xffff
	v_and_or_b32 v2, v2, s4, v7
.LBB155_501:
	s_or_b64 exec, exec, s[2:3]
	s_and_saveexec_b64 s[2:3], s[0:1]
	s_xor_b64 s[0:1], exec, s[2:3]
	s_cbranch_execz .LBB155_503
; %bb.502:
	v_mov_b32_e32 v0, v6
	global_store_byte v1, v5, s[8:9]
.LBB155_503:
	s_or_b64 exec, exec, s[0:1]
	v_cmp_gt_i32_e32 vcc, s12, v0
	s_and_saveexec_b64 s[0:1], vcc
	s_cbranch_execnz .LBB155_520
; %bb.504:
	s_or_b64 exec, exec, s[0:1]
	v_cmp_gt_i32_e32 vcc, s12, v0
	s_and_saveexec_b64 s[0:1], vcc
	s_cbranch_execnz .LBB155_521
.LBB155_505:
	s_or_b64 exec, exec, s[0:1]
	v_cmp_gt_i32_e32 vcc, s12, v0
	s_and_saveexec_b64 s[0:1], vcc
	s_cbranch_execnz .LBB155_522
.LBB155_506:
	s_or_b64 exec, exec, s[0:1]
	v_cmp_gt_i32_e32 vcc, s12, v0
	s_and_saveexec_b64 s[0:1], vcc
	s_cbranch_execnz .LBB155_523
.LBB155_507:
	s_or_b64 exec, exec, s[0:1]
	v_cmp_gt_i32_e32 vcc, s12, v0
	s_and_saveexec_b64 s[0:1], vcc
	s_cbranch_execnz .LBB155_524
.LBB155_508:
	s_or_b64 exec, exec, s[0:1]
	v_cmp_gt_i32_e32 vcc, s12, v0
	s_and_saveexec_b64 s[0:1], vcc
	s_cbranch_execnz .LBB155_525
.LBB155_509:
	s_or_b64 exec, exec, s[0:1]
	v_cmp_gt_i32_e32 vcc, s12, v0
	s_and_saveexec_b64 s[0:1], vcc
	s_cbranch_execnz .LBB155_526
.LBB155_510:
	s_or_b64 exec, exec, s[0:1]
	v_cmp_gt_i32_e32 vcc, s12, v0
	s_and_saveexec_b64 s[0:1], vcc
	s_cbranch_execnz .LBB155_527
.LBB155_511:
	s_or_b64 exec, exec, s[0:1]
	v_cmp_gt_i32_e32 vcc, s12, v0
	s_and_saveexec_b64 s[0:1], vcc
	s_cbranch_execnz .LBB155_528
.LBB155_512:
	s_or_b64 exec, exec, s[0:1]
	v_cmp_gt_i32_e32 vcc, s12, v0
	s_and_saveexec_b64 s[0:1], vcc
	s_cbranch_execnz .LBB155_529
.LBB155_513:
	s_or_b64 exec, exec, s[0:1]
	v_cmp_gt_i32_e32 vcc, s12, v0
	s_and_saveexec_b64 s[0:1], vcc
	s_cbranch_execnz .LBB155_530
.LBB155_514:
	s_or_b64 exec, exec, s[0:1]
	v_cmp_gt_i32_e32 vcc, s12, v0
	s_and_saveexec_b64 s[0:1], vcc
	s_cbranch_execnz .LBB155_531
.LBB155_515:
	s_or_b64 exec, exec, s[0:1]
	v_cmp_gt_i32_e32 vcc, s12, v0
	s_and_saveexec_b64 s[0:1], vcc
	s_cbranch_execnz .LBB155_532
.LBB155_516:
	s_or_b64 exec, exec, s[0:1]
	v_cmp_gt_i32_e32 vcc, s12, v0
	s_and_saveexec_b64 s[0:1], vcc
	s_cbranch_execnz .LBB155_533
.LBB155_517:
	s_or_b64 exec, exec, s[0:1]
	v_cmp_gt_i32_e32 vcc, s12, v0
	s_and_saveexec_b64 s[0:1], vcc
	s_cbranch_execz .LBB155_519
.LBB155_518:
	v_lshrrev_b32_e32 v1, 24, v2
	v_add_u32_e32 v0, s33, v0
	global_store_byte v0, v1, s[8:9]
.LBB155_519:
	s_endpgm
.LBB155_520:
	v_lshrrev_b32_e32 v1, 8, v5
	v_add_u32_e32 v6, s33, v0
	v_add_u32_e32 v0, 0x100, v0
	global_store_byte v6, v1, s[8:9]
	s_or_b64 exec, exec, s[0:1]
	v_cmp_gt_i32_e32 vcc, s12, v0
	s_and_saveexec_b64 s[0:1], vcc
	s_cbranch_execz .LBB155_505
.LBB155_521:
	v_add_u32_e32 v1, s33, v0
	v_add_u32_e32 v0, 0x100, v0
	global_store_byte_d16_hi v1, v5, s[8:9]
	s_or_b64 exec, exec, s[0:1]
	v_cmp_gt_i32_e32 vcc, s12, v0
	s_and_saveexec_b64 s[0:1], vcc
	s_cbranch_execz .LBB155_506
.LBB155_522:
	v_lshrrev_b32_e32 v1, 24, v5
	v_add_u32_e32 v5, s33, v0
	v_add_u32_e32 v0, 0x100, v0
	global_store_byte v5, v1, s[8:9]
	s_or_b64 exec, exec, s[0:1]
	v_cmp_gt_i32_e32 vcc, s12, v0
	s_and_saveexec_b64 s[0:1], vcc
	s_cbranch_execz .LBB155_507
.LBB155_523:
	v_add_u32_e32 v1, s33, v0
	v_add_u32_e32 v0, 0x100, v0
	global_store_byte v1, v4, s[8:9]
	s_or_b64 exec, exec, s[0:1]
	v_cmp_gt_i32_e32 vcc, s12, v0
	s_and_saveexec_b64 s[0:1], vcc
	s_cbranch_execz .LBB155_508
.LBB155_524:
	v_lshrrev_b32_e32 v1, 8, v4
	v_add_u32_e32 v5, s33, v0
	v_add_u32_e32 v0, 0x100, v0
	global_store_byte v5, v1, s[8:9]
	s_or_b64 exec, exec, s[0:1]
	v_cmp_gt_i32_e32 vcc, s12, v0
	s_and_saveexec_b64 s[0:1], vcc
	s_cbranch_execz .LBB155_509
.LBB155_525:
	v_add_u32_e32 v1, s33, v0
	v_add_u32_e32 v0, 0x100, v0
	global_store_byte_d16_hi v1, v4, s[8:9]
	s_or_b64 exec, exec, s[0:1]
	v_cmp_gt_i32_e32 vcc, s12, v0
	s_and_saveexec_b64 s[0:1], vcc
	s_cbranch_execz .LBB155_510
.LBB155_526:
	v_lshrrev_b32_e32 v1, 24, v4
	v_add_u32_e32 v4, s33, v0
	v_add_u32_e32 v0, 0x100, v0
	global_store_byte v4, v1, s[8:9]
	s_or_b64 exec, exec, s[0:1]
	v_cmp_gt_i32_e32 vcc, s12, v0
	s_and_saveexec_b64 s[0:1], vcc
	s_cbranch_execz .LBB155_511
.LBB155_527:
	v_add_u32_e32 v1, s33, v0
	v_add_u32_e32 v0, 0x100, v0
	global_store_byte v1, v3, s[8:9]
	s_or_b64 exec, exec, s[0:1]
	v_cmp_gt_i32_e32 vcc, s12, v0
	s_and_saveexec_b64 s[0:1], vcc
	s_cbranch_execz .LBB155_512
.LBB155_528:
	v_lshrrev_b32_e32 v1, 8, v3
	v_add_u32_e32 v4, s33, v0
	v_add_u32_e32 v0, 0x100, v0
	global_store_byte v4, v1, s[8:9]
	s_or_b64 exec, exec, s[0:1]
	v_cmp_gt_i32_e32 vcc, s12, v0
	s_and_saveexec_b64 s[0:1], vcc
	s_cbranch_execz .LBB155_513
.LBB155_529:
	v_add_u32_e32 v1, s33, v0
	v_add_u32_e32 v0, 0x100, v0
	global_store_byte_d16_hi v1, v3, s[8:9]
	s_or_b64 exec, exec, s[0:1]
	v_cmp_gt_i32_e32 vcc, s12, v0
	s_and_saveexec_b64 s[0:1], vcc
	s_cbranch_execz .LBB155_514
.LBB155_530:
	v_lshrrev_b32_e32 v1, 24, v3
	v_add_u32_e32 v3, s33, v0
	v_add_u32_e32 v0, 0x100, v0
	global_store_byte v3, v1, s[8:9]
	s_or_b64 exec, exec, s[0:1]
	v_cmp_gt_i32_e32 vcc, s12, v0
	s_and_saveexec_b64 s[0:1], vcc
	s_cbranch_execz .LBB155_515
.LBB155_531:
	v_add_u32_e32 v1, s33, v0
	v_add_u32_e32 v0, 0x100, v0
	global_store_byte v1, v2, s[8:9]
	s_or_b64 exec, exec, s[0:1]
	v_cmp_gt_i32_e32 vcc, s12, v0
	s_and_saveexec_b64 s[0:1], vcc
	s_cbranch_execz .LBB155_516
.LBB155_532:
	v_lshrrev_b32_e32 v1, 8, v2
	v_add_u32_e32 v3, s33, v0
	v_add_u32_e32 v0, 0x100, v0
	global_store_byte v3, v1, s[8:9]
	s_or_b64 exec, exec, s[0:1]
	v_cmp_gt_i32_e32 vcc, s12, v0
	s_and_saveexec_b64 s[0:1], vcc
	s_cbranch_execz .LBB155_517
.LBB155_533:
	v_add_u32_e32 v1, s33, v0
	v_add_u32_e32 v0, 0x100, v0
	global_store_byte_d16_hi v1, v2, s[8:9]
	s_or_b64 exec, exec, s[0:1]
	v_cmp_gt_i32_e32 vcc, s12, v0
	s_and_saveexec_b64 s[0:1], vcc
	s_cbranch_execnz .LBB155_518
	s_branch .LBB155_519
.LBB155_534:
	s_xor_b64 s[10:11], s[6:7], -1
	s_and_b64 s[16:17], s[4:5], s[10:11]
	s_andn2_b64 s[14:15], s[14:15], exec
	s_and_b64 s[16:17], s[16:17], exec
	s_or_b64 s[14:15], s[14:15], s[16:17]
	s_cbranch_execz .LBB155_499
	s_branch .LBB155_500
.LBB155_535:
	s_mov_b64 s[74:75], -1
                                        ; implicit-def: $sgpr14_sgpr15
	s_branch .LBB155_285
.LBB155_536:
	s_mov_b64 s[70:71], -1
                                        ; implicit-def: $sgpr14_sgpr15
	s_branch .LBB155_300
.LBB155_537:
	s_mov_b64 s[66:67], -1
                                        ; implicit-def: $sgpr14_sgpr15
	s_branch .LBB155_315
.LBB155_538:
	s_mov_b64 s[62:63], -1
                                        ; implicit-def: $sgpr14_sgpr15
	s_branch .LBB155_330
.LBB155_539:
	s_mov_b64 s[58:59], -1
                                        ; implicit-def: $sgpr14_sgpr15
	s_branch .LBB155_345
.LBB155_540:
	s_mov_b64 s[54:55], -1
                                        ; implicit-def: $sgpr14_sgpr15
	s_branch .LBB155_360
.LBB155_541:
	s_mov_b64 s[50:51], -1
                                        ; implicit-def: $sgpr14_sgpr15
	s_branch .LBB155_375
.LBB155_542:
	s_mov_b64 s[46:47], -1
                                        ; implicit-def: $sgpr14_sgpr15
	s_branch .LBB155_390
.LBB155_543:
	s_mov_b64 s[42:43], -1
                                        ; implicit-def: $sgpr14_sgpr15
	s_branch .LBB155_405
.LBB155_544:
	s_mov_b64 s[38:39], -1
                                        ; implicit-def: $sgpr14_sgpr15
	s_branch .LBB155_420
.LBB155_545:
	s_mov_b64 s[34:35], -1
                                        ; implicit-def: $sgpr14_sgpr15
	s_branch .LBB155_435
.LBB155_546:
	s_mov_b64 s[28:29], -1
                                        ; implicit-def: $sgpr14_sgpr15
	s_branch .LBB155_450
.LBB155_547:
	s_mov_b64 s[24:25], -1
                                        ; implicit-def: $sgpr14_sgpr15
	s_branch .LBB155_465
.LBB155_548:
	s_mov_b64 s[20:21], -1
                                        ; implicit-def: $sgpr14_sgpr15
	s_branch .LBB155_480
.LBB155_549:
	s_mov_b64 s[16:17], -1
                                        ; implicit-def: $sgpr14_sgpr15
	s_branch .LBB155_495
	.section	.rodata,"a",@progbits
	.p2align	6, 0x0
	.amdhsa_kernel _ZN2at6native29vectorized_elementwise_kernelILi2ENS0_12_GLOBAL__N_114CompareFunctorIbEESt5arrayIPcLm3EEEEviT0_T1_
		.amdhsa_group_segment_fixed_size 0
		.amdhsa_private_segment_fixed_size 0
		.amdhsa_kernarg_size 32
		.amdhsa_user_sgpr_count 6
		.amdhsa_user_sgpr_private_segment_buffer 1
		.amdhsa_user_sgpr_dispatch_ptr 0
		.amdhsa_user_sgpr_queue_ptr 0
		.amdhsa_user_sgpr_kernarg_segment_ptr 1
		.amdhsa_user_sgpr_dispatch_id 0
		.amdhsa_user_sgpr_flat_scratch_init 0
		.amdhsa_user_sgpr_private_segment_size 0
		.amdhsa_uses_dynamic_stack 0
		.amdhsa_system_sgpr_private_segment_wavefront_offset 0
		.amdhsa_system_sgpr_workgroup_id_x 1
		.amdhsa_system_sgpr_workgroup_id_y 0
		.amdhsa_system_sgpr_workgroup_id_z 0
		.amdhsa_system_sgpr_workgroup_info 0
		.amdhsa_system_vgpr_workitem_id 0
		.amdhsa_next_free_vgpr 19
		.amdhsa_next_free_sgpr 82
		.amdhsa_reserve_vcc 1
		.amdhsa_reserve_flat_scratch 0
		.amdhsa_float_round_mode_32 0
		.amdhsa_float_round_mode_16_64 0
		.amdhsa_float_denorm_mode_32 3
		.amdhsa_float_denorm_mode_16_64 3
		.amdhsa_dx10_clamp 1
		.amdhsa_ieee_mode 1
		.amdhsa_fp16_overflow 0
		.amdhsa_exception_fp_ieee_invalid_op 0
		.amdhsa_exception_fp_denorm_src 0
		.amdhsa_exception_fp_ieee_div_zero 0
		.amdhsa_exception_fp_ieee_overflow 0
		.amdhsa_exception_fp_ieee_underflow 0
		.amdhsa_exception_fp_ieee_inexact 0
		.amdhsa_exception_int_div_zero 0
	.end_amdhsa_kernel
	.section	.text._ZN2at6native29vectorized_elementwise_kernelILi2ENS0_12_GLOBAL__N_114CompareFunctorIbEESt5arrayIPcLm3EEEEviT0_T1_,"axG",@progbits,_ZN2at6native29vectorized_elementwise_kernelILi2ENS0_12_GLOBAL__N_114CompareFunctorIbEESt5arrayIPcLm3EEEEviT0_T1_,comdat
.Lfunc_end155:
	.size	_ZN2at6native29vectorized_elementwise_kernelILi2ENS0_12_GLOBAL__N_114CompareFunctorIbEESt5arrayIPcLm3EEEEviT0_T1_, .Lfunc_end155-_ZN2at6native29vectorized_elementwise_kernelILi2ENS0_12_GLOBAL__N_114CompareFunctorIbEESt5arrayIPcLm3EEEEviT0_T1_
                                        ; -- End function
	.set _ZN2at6native29vectorized_elementwise_kernelILi2ENS0_12_GLOBAL__N_114CompareFunctorIbEESt5arrayIPcLm3EEEEviT0_T1_.num_vgpr, 19
	.set _ZN2at6native29vectorized_elementwise_kernelILi2ENS0_12_GLOBAL__N_114CompareFunctorIbEESt5arrayIPcLm3EEEEviT0_T1_.num_agpr, 0
	.set _ZN2at6native29vectorized_elementwise_kernelILi2ENS0_12_GLOBAL__N_114CompareFunctorIbEESt5arrayIPcLm3EEEEviT0_T1_.numbered_sgpr, 82
	.set _ZN2at6native29vectorized_elementwise_kernelILi2ENS0_12_GLOBAL__N_114CompareFunctorIbEESt5arrayIPcLm3EEEEviT0_T1_.num_named_barrier, 0
	.set _ZN2at6native29vectorized_elementwise_kernelILi2ENS0_12_GLOBAL__N_114CompareFunctorIbEESt5arrayIPcLm3EEEEviT0_T1_.private_seg_size, 0
	.set _ZN2at6native29vectorized_elementwise_kernelILi2ENS0_12_GLOBAL__N_114CompareFunctorIbEESt5arrayIPcLm3EEEEviT0_T1_.uses_vcc, 1
	.set _ZN2at6native29vectorized_elementwise_kernelILi2ENS0_12_GLOBAL__N_114CompareFunctorIbEESt5arrayIPcLm3EEEEviT0_T1_.uses_flat_scratch, 0
	.set _ZN2at6native29vectorized_elementwise_kernelILi2ENS0_12_GLOBAL__N_114CompareFunctorIbEESt5arrayIPcLm3EEEEviT0_T1_.has_dyn_sized_stack, 0
	.set _ZN2at6native29vectorized_elementwise_kernelILi2ENS0_12_GLOBAL__N_114CompareFunctorIbEESt5arrayIPcLm3EEEEviT0_T1_.has_recursion, 0
	.set _ZN2at6native29vectorized_elementwise_kernelILi2ENS0_12_GLOBAL__N_114CompareFunctorIbEESt5arrayIPcLm3EEEEviT0_T1_.has_indirect_call, 0
	.section	.AMDGPU.csdata,"",@progbits
; Kernel info:
; codeLenInByte = 9564
; TotalNumSgprs: 86
; NumVgprs: 19
; ScratchSize: 0
; MemoryBound: 0
; FloatMode: 240
; IeeeMode: 1
; LDSByteSize: 0 bytes/workgroup (compile time only)
; SGPRBlocks: 10
; VGPRBlocks: 4
; NumSGPRsForWavesPerEU: 86
; NumVGPRsForWavesPerEU: 19
; Occupancy: 9
; WaveLimiterHint : 1
; COMPUTE_PGM_RSRC2:SCRATCH_EN: 0
; COMPUTE_PGM_RSRC2:USER_SGPR: 6
; COMPUTE_PGM_RSRC2:TRAP_HANDLER: 0
; COMPUTE_PGM_RSRC2:TGID_X_EN: 1
; COMPUTE_PGM_RSRC2:TGID_Y_EN: 0
; COMPUTE_PGM_RSRC2:TGID_Z_EN: 0
; COMPUTE_PGM_RSRC2:TIDIG_COMP_CNT: 0
	.section	.text._ZN2at6native27unrolled_elementwise_kernelINS0_12_GLOBAL__N_114CompareFunctorIbEESt5arrayIPcLm3EELi4E23TrivialOffsetCalculatorILi2EjES8_ILi1EjENS0_6memory15LoadWithoutCastENSB_16StoreWithoutCastEEEviT_T0_T2_T3_T4_T5_,"axG",@progbits,_ZN2at6native27unrolled_elementwise_kernelINS0_12_GLOBAL__N_114CompareFunctorIbEESt5arrayIPcLm3EELi4E23TrivialOffsetCalculatorILi2EjES8_ILi1EjENS0_6memory15LoadWithoutCastENSB_16StoreWithoutCastEEEviT_T0_T2_T3_T4_T5_,comdat
	.globl	_ZN2at6native27unrolled_elementwise_kernelINS0_12_GLOBAL__N_114CompareFunctorIbEESt5arrayIPcLm3EELi4E23TrivialOffsetCalculatorILi2EjES8_ILi1EjENS0_6memory15LoadWithoutCastENSB_16StoreWithoutCastEEEviT_T0_T2_T3_T4_T5_ ; -- Begin function _ZN2at6native27unrolled_elementwise_kernelINS0_12_GLOBAL__N_114CompareFunctorIbEESt5arrayIPcLm3EELi4E23TrivialOffsetCalculatorILi2EjES8_ILi1EjENS0_6memory15LoadWithoutCastENSB_16StoreWithoutCastEEEviT_T0_T2_T3_T4_T5_
	.p2align	8
	.type	_ZN2at6native27unrolled_elementwise_kernelINS0_12_GLOBAL__N_114CompareFunctorIbEESt5arrayIPcLm3EELi4E23TrivialOffsetCalculatorILi2EjES8_ILi1EjENS0_6memory15LoadWithoutCastENSB_16StoreWithoutCastEEEviT_T0_T2_T3_T4_T5_,@function
_ZN2at6native27unrolled_elementwise_kernelINS0_12_GLOBAL__N_114CompareFunctorIbEESt5arrayIPcLm3EELi4E23TrivialOffsetCalculatorILi2EjES8_ILi1EjENS0_6memory15LoadWithoutCastENSB_16StoreWithoutCastEEEviT_T0_T2_T3_T4_T5_: ; @_ZN2at6native27unrolled_elementwise_kernelINS0_12_GLOBAL__N_114CompareFunctorIbEESt5arrayIPcLm3EELi4E23TrivialOffsetCalculatorILi2EjES8_ILi1EjENS0_6memory15LoadWithoutCastENSB_16StoreWithoutCastEEEviT_T0_T2_T3_T4_T5_
; %bb.0:
	s_load_dwordx2 s[12:13], s[4:5], 0x0
	s_load_dwordx4 s[8:11], s[4:5], 0x8
	s_load_dwordx2 s[26:27], s[4:5], 0x18
	s_lshl_b32 s33, s6, 10
	s_mov_b64 s[18:19], 0
	s_waitcnt lgkmcnt(0)
	s_sub_i32 s12, s12, s33
	v_cmp_gt_i32_e64 s[0:1], s12, v0
	v_or_b32_e32 v1, s33, v0
	s_mov_b64 s[24:25], 0
	s_mov_b64 s[22:23], 0
	v_mov_b32_e32 v2, v0
	s_and_saveexec_b64 s[4:5], s[0:1]
	s_cbranch_execz .LBB156_2
; %bb.1:
	global_load_ubyte v3, v1, s[10:11]
	global_load_ubyte v4, v1, s[26:27]
	v_or_b32_e32 v2, 0x100, v0
	s_waitcnt vmcnt(1)
	v_cmp_ne_u16_e32 vcc, 0, v3
	s_waitcnt vmcnt(0)
	v_cmp_ne_u16_e64 s[2:3], 0, v4
	s_and_b64 s[22:23], vcc, exec
	s_and_b64 s[24:25], s[2:3], exec
.LBB156_2:
	s_or_b64 exec, exec, s[4:5]
	v_cmp_gt_i32_e32 vcc, s12, v2
	s_mov_b64 s[20:21], 0
	s_and_saveexec_b64 s[4:5], vcc
	s_cbranch_execz .LBB156_4
; %bb.3:
	v_add_u32_e32 v3, s33, v2
	global_load_ubyte v4, v3, s[10:11]
	global_load_ubyte v5, v3, s[26:27]
	v_add_u32_e32 v2, 0x100, v2
	s_waitcnt vmcnt(1)
	v_cmp_ne_u16_e32 vcc, 0, v4
	s_waitcnt vmcnt(0)
	v_cmp_ne_u16_e64 s[2:3], 0, v5
	s_and_b64 s[20:21], vcc, exec
	s_and_b64 s[18:19], s[2:3], exec
.LBB156_4:
	s_or_b64 exec, exec, s[4:5]
	v_cmp_gt_i32_e32 vcc, s12, v2
	s_mov_b64 s[4:5], 0
	s_mov_b64 s[16:17], 0
	;; [unrolled: 1-line block ×3, first 2 shown]
	s_and_saveexec_b64 s[6:7], vcc
	s_cbranch_execz .LBB156_6
; %bb.5:
	v_add_u32_e32 v3, s33, v2
	global_load_ubyte v4, v3, s[10:11]
	global_load_ubyte v5, v3, s[26:27]
	v_add_u32_e32 v2, 0x100, v2
	s_waitcnt vmcnt(1)
	v_cmp_ne_u16_e32 vcc, 0, v4
	s_waitcnt vmcnt(0)
	v_cmp_ne_u16_e64 s[2:3], 0, v5
	s_and_b64 s[14:15], vcc, exec
	s_and_b64 s[16:17], s[2:3], exec
.LBB156_6:
	s_or_b64 exec, exec, s[6:7]
	v_cmp_gt_i32_e32 vcc, s12, v2
	s_mov_b64 s[6:7], 0
	s_and_saveexec_b64 s[28:29], vcc
	s_cbranch_execz .LBB156_8
; %bb.7:
	v_add_u32_e32 v2, s33, v2
	global_load_ubyte v3, v2, s[10:11]
	global_load_ubyte v4, v2, s[26:27]
	s_waitcnt vmcnt(1)
	v_cmp_ne_u16_e32 vcc, 0, v3
	s_waitcnt vmcnt(0)
	v_cmp_ne_u16_e64 s[2:3], 0, v4
	s_and_b64 s[6:7], vcc, exec
	s_and_b64 s[4:5], s[2:3], exec
.LBB156_8:
	s_or_b64 exec, exec, s[28:29]
	v_mov_b32_e32 v2, 0
	s_and_saveexec_b64 s[2:3], s[0:1]
	s_cbranch_execz .LBB156_24
; %bb.9:
	s_cmp_lt_i32 s13, 1
	s_mov_b64 s[10:11], 0
	s_cbranch_scc1 .LBB156_13
; %bb.10:
	s_cmp_gt_i32 s13, 1
	s_cbranch_scc0 .LBB156_14
; %bb.11:
	s_cmp_eq_u32 s13, 2
	s_cbranch_scc0 .LBB156_15
; %bb.12:
	s_xor_b64 s[26:27], s[22:23], -1
	s_or_b64 s[26:27], s[24:25], s[26:27]
	s_mov_b64 s[28:29], 0
	s_branch .LBB156_16
.LBB156_13:
                                        ; implicit-def: $sgpr26_sgpr27
	s_mov_b64 s[28:29], 0
	s_cbranch_execnz .LBB156_19
	s_branch .LBB156_20
.LBB156_14:
	s_mov_b64 s[28:29], 0
                                        ; implicit-def: $sgpr26_sgpr27
	s_cbranch_execnz .LBB156_17
	s_branch .LBB156_18
.LBB156_15:
	s_mov_b64 s[28:29], -1
                                        ; implicit-def: $sgpr26_sgpr27
.LBB156_16:
	s_branch .LBB156_18
.LBB156_17:
	s_xor_b64 s[30:31], s[24:25], -1
	s_and_b64 s[30:31], s[22:23], s[30:31]
	s_andn2_b64 s[26:27], s[26:27], exec
	s_and_b64 s[30:31], s[30:31], exec
	s_or_b64 s[26:27], s[26:27], s[30:31]
.LBB156_18:
	s_branch .LBB156_20
.LBB156_19:
	s_cmp_lg_u32 s13, 0
	s_mov_b64 s[10:11], -1
	s_cselect_b64 s[28:29], -1, 0
.LBB156_20:
	s_andn2_b64 vcc, exec, s[28:29]
	s_cbranch_vccz .LBB156_29
; %bb.21:
	s_andn2_b64 vcc, exec, s[10:11]
	s_cbranch_vccnz .LBB156_23
.LBB156_22:
	s_xor_b64 s[10:11], s[24:25], -1
	s_or_b64 s[10:11], s[22:23], s[10:11]
	s_andn2_b64 s[22:23], s[26:27], exec
	s_and_b64 s[10:11], s[10:11], exec
	s_or_b64 s[26:27], s[22:23], s[10:11]
.LBB156_23:
	v_cndmask_b32_e64 v2, 0, 1, s[26:27]
.LBB156_24:
	s_or_b64 exec, exec, s[2:3]
	v_or_b32_e32 v3, 0x100, v0
	v_cmp_gt_i32_e32 vcc, s12, v3
	s_and_saveexec_b64 s[2:3], vcc
	s_cbranch_execz .LBB156_39
; %bb.25:
	s_cmp_lt_i32 s13, 1
	s_mov_b64 s[10:11], 0
	s_cbranch_scc1 .LBB156_30
; %bb.26:
	s_cmp_gt_i32 s13, 1
	s_cbranch_scc0 .LBB156_31
; %bb.27:
	s_cmp_eq_u32 s13, 2
	s_cbranch_scc0 .LBB156_79
; %bb.28:
	s_xor_b64 s[22:23], s[20:21], -1
	s_or_b64 s[22:23], s[18:19], s[22:23]
	s_mov_b64 s[24:25], 0
	s_branch .LBB156_33
.LBB156_29:
	s_xor_b64 s[10:11], s[22:23], -1
	s_and_b64 s[28:29], s[24:25], s[10:11]
	s_andn2_b64 s[26:27], s[26:27], exec
	s_and_b64 s[28:29], s[28:29], exec
	s_or_b64 s[26:27], s[26:27], s[28:29]
	s_cbranch_execz .LBB156_22
	s_branch .LBB156_23
.LBB156_30:
                                        ; implicit-def: $sgpr22_sgpr23
	s_mov_b64 s[24:25], 0
	s_cbranch_execnz .LBB156_34
	s_branch .LBB156_35
.LBB156_31:
	s_mov_b64 s[24:25], 0
                                        ; implicit-def: $sgpr22_sgpr23
	s_cbranch_execz .LBB156_33
; %bb.32:
	s_xor_b64 s[26:27], s[18:19], -1
	s_and_b64 s[26:27], s[20:21], s[26:27]
	s_andn2_b64 s[22:23], s[22:23], exec
	s_and_b64 s[26:27], s[26:27], exec
	s_or_b64 s[22:23], s[22:23], s[26:27]
.LBB156_33:
	s_branch .LBB156_35
.LBB156_34:
	s_cmp_lg_u32 s13, 0
	s_mov_b64 s[10:11], -1
	s_cselect_b64 s[24:25], -1, 0
.LBB156_35:
	s_andn2_b64 vcc, exec, s[24:25]
	s_cbranch_vccz .LBB156_44
; %bb.36:
	s_andn2_b64 vcc, exec, s[10:11]
	s_cbranch_vccnz .LBB156_38
.LBB156_37:
	s_xor_b64 s[10:11], s[18:19], -1
	s_or_b64 s[10:11], s[20:21], s[10:11]
	s_andn2_b64 s[18:19], s[22:23], exec
	s_and_b64 s[10:11], s[10:11], exec
	s_or_b64 s[22:23], s[18:19], s[10:11]
.LBB156_38:
	v_cndmask_b32_e64 v4, 0, 1, s[22:23]
	v_lshlrev_b16_e32 v4, 8, v4
	v_or_b32_e32 v2, v2, v4
	v_and_b32_e32 v2, 0xffff, v2
.LBB156_39:
	s_or_b64 exec, exec, s[2:3]
	v_or_b32_e32 v4, 0x200, v0
	v_cmp_gt_i32_e32 vcc, s12, v4
	s_and_saveexec_b64 s[2:3], vcc
	s_cbranch_execz .LBB156_54
; %bb.40:
	s_cmp_lt_i32 s13, 1
	s_mov_b64 s[10:11], 0
	s_cbranch_scc1 .LBB156_45
; %bb.41:
	s_cmp_gt_i32 s13, 1
	s_cbranch_scc0 .LBB156_46
; %bb.42:
	s_cmp_eq_u32 s13, 2
	s_cbranch_scc0 .LBB156_80
; %bb.43:
	s_xor_b64 s[18:19], s[14:15], -1
	s_or_b64 s[18:19], s[16:17], s[18:19]
	s_mov_b64 s[20:21], 0
	s_branch .LBB156_48
.LBB156_44:
	s_xor_b64 s[10:11], s[20:21], -1
	s_and_b64 s[24:25], s[18:19], s[10:11]
	s_andn2_b64 s[22:23], s[22:23], exec
	s_and_b64 s[24:25], s[24:25], exec
	s_or_b64 s[22:23], s[22:23], s[24:25]
	s_cbranch_execz .LBB156_37
	s_branch .LBB156_38
.LBB156_45:
                                        ; implicit-def: $sgpr18_sgpr19
	s_mov_b64 s[20:21], 0
	s_cbranch_execnz .LBB156_49
	s_branch .LBB156_50
.LBB156_46:
	s_mov_b64 s[20:21], 0
                                        ; implicit-def: $sgpr18_sgpr19
	s_cbranch_execz .LBB156_48
; %bb.47:
	s_xor_b64 s[22:23], s[16:17], -1
	s_and_b64 s[22:23], s[14:15], s[22:23]
	s_andn2_b64 s[18:19], s[18:19], exec
	s_and_b64 s[22:23], s[22:23], exec
	s_or_b64 s[18:19], s[18:19], s[22:23]
.LBB156_48:
	s_branch .LBB156_50
.LBB156_49:
	s_cmp_lg_u32 s13, 0
	s_mov_b64 s[10:11], -1
	s_cselect_b64 s[20:21], -1, 0
.LBB156_50:
	s_andn2_b64 vcc, exec, s[20:21]
	s_cbranch_vccz .LBB156_59
; %bb.51:
	s_andn2_b64 vcc, exec, s[10:11]
	s_cbranch_vccnz .LBB156_53
.LBB156_52:
	s_xor_b64 s[10:11], s[16:17], -1
	s_or_b64 s[10:11], s[14:15], s[10:11]
	s_andn2_b64 s[14:15], s[18:19], exec
	s_and_b64 s[10:11], s[10:11], exec
	s_or_b64 s[18:19], s[14:15], s[10:11]
.LBB156_53:
	v_cndmask_b32_e64 v4, 0, 1, s[18:19]
	v_lshl_or_b32 v2, v4, 16, v2
.LBB156_54:
	s_or_b64 exec, exec, s[2:3]
	v_or_b32_e32 v4, 0x300, v0
	v_cmp_gt_i32_e32 vcc, s12, v4
	s_and_saveexec_b64 s[2:3], vcc
	s_cbranch_execz .LBB156_69
; %bb.55:
	s_cmp_lt_i32 s13, 1
	s_mov_b64 s[10:11], 0
	s_cbranch_scc1 .LBB156_60
; %bb.56:
	s_cmp_gt_i32 s13, 1
	s_cbranch_scc0 .LBB156_61
; %bb.57:
	s_cmp_eq_u32 s13, 2
	s_cbranch_scc0 .LBB156_81
; %bb.58:
	s_xor_b64 s[14:15], s[6:7], -1
	s_or_b64 s[14:15], s[4:5], s[14:15]
	s_mov_b64 s[16:17], 0
	s_branch .LBB156_63
.LBB156_59:
	s_xor_b64 s[10:11], s[14:15], -1
	s_and_b64 s[20:21], s[16:17], s[10:11]
	s_andn2_b64 s[18:19], s[18:19], exec
	s_and_b64 s[20:21], s[20:21], exec
	s_or_b64 s[18:19], s[18:19], s[20:21]
	s_cbranch_execz .LBB156_52
	s_branch .LBB156_53
.LBB156_60:
                                        ; implicit-def: $sgpr14_sgpr15
	s_mov_b64 s[16:17], 0
	s_cbranch_execnz .LBB156_64
	s_branch .LBB156_65
.LBB156_61:
	s_mov_b64 s[16:17], 0
                                        ; implicit-def: $sgpr14_sgpr15
	s_cbranch_execz .LBB156_63
; %bb.62:
	s_xor_b64 s[18:19], s[4:5], -1
	s_and_b64 s[18:19], s[6:7], s[18:19]
	s_andn2_b64 s[14:15], s[14:15], exec
	s_and_b64 s[18:19], s[18:19], exec
	s_or_b64 s[14:15], s[14:15], s[18:19]
.LBB156_63:
	s_branch .LBB156_65
.LBB156_64:
	s_cmp_lg_u32 s13, 0
	s_mov_b64 s[10:11], -1
	s_cselect_b64 s[16:17], -1, 0
.LBB156_65:
	s_andn2_b64 vcc, exec, s[16:17]
	s_cbranch_vccz .LBB156_78
; %bb.66:
	s_andn2_b64 vcc, exec, s[10:11]
	s_cbranch_vccnz .LBB156_68
.LBB156_67:
	s_xor_b64 s[4:5], s[4:5], -1
	s_or_b64 s[4:5], s[6:7], s[4:5]
	s_andn2_b64 s[6:7], s[14:15], exec
	s_and_b64 s[4:5], s[4:5], exec
	s_or_b64 s[14:15], s[6:7], s[4:5]
.LBB156_68:
	v_cndmask_b32_e64 v4, 0, 1, s[14:15]
	v_lshlrev_b16_e32 v4, 8, v4
	v_or_b32_sdwa v4, v2, v4 dst_sel:WORD_1 dst_unused:UNUSED_PAD src0_sel:WORD_1 src1_sel:DWORD
	s_mov_b32 s4, 0xffff
	v_and_or_b32 v2, v2, s4, v4
.LBB156_69:
	s_or_b64 exec, exec, s[2:3]
	s_and_saveexec_b64 s[2:3], s[0:1]
	s_xor_b64 s[0:1], exec, s[2:3]
	s_cbranch_execz .LBB156_71
; %bb.70:
	v_mov_b32_e32 v0, v3
	global_store_byte v1, v2, s[8:9]
.LBB156_71:
	s_or_b64 exec, exec, s[0:1]
	v_cmp_gt_i32_e32 vcc, s12, v0
	s_and_saveexec_b64 s[0:1], vcc
	s_cbranch_execnz .LBB156_75
; %bb.72:
	s_or_b64 exec, exec, s[0:1]
	v_cmp_gt_i32_e32 vcc, s12, v0
	s_and_saveexec_b64 s[0:1], vcc
	s_cbranch_execnz .LBB156_76
.LBB156_73:
	s_or_b64 exec, exec, s[0:1]
	v_cmp_gt_i32_e32 vcc, s12, v0
	s_and_saveexec_b64 s[0:1], vcc
	s_cbranch_execnz .LBB156_77
.LBB156_74:
	s_endpgm
.LBB156_75:
	v_add_u32_e32 v1, 0x100, v0
	v_add_u32_e32 v0, s33, v0
	v_lshrrev_b32_e32 v3, 8, v2
	global_store_byte v0, v3, s[8:9]
	v_mov_b32_e32 v0, v1
	s_or_b64 exec, exec, s[0:1]
	v_cmp_gt_i32_e32 vcc, s12, v0
	s_and_saveexec_b64 s[0:1], vcc
	s_cbranch_execz .LBB156_73
.LBB156_76:
	v_add_u32_e32 v1, 0x100, v0
	v_add_u32_e32 v0, s33, v0
	global_store_byte_d16_hi v0, v2, s[8:9]
	v_mov_b32_e32 v0, v1
	s_or_b64 exec, exec, s[0:1]
	v_cmp_gt_i32_e32 vcc, s12, v0
	s_and_saveexec_b64 s[0:1], vcc
	s_cbranch_execz .LBB156_74
.LBB156_77:
	v_add_u32_e32 v0, s33, v0
	v_lshrrev_b32_e32 v1, 24, v2
	global_store_byte v0, v1, s[8:9]
	s_endpgm
.LBB156_78:
	s_xor_b64 s[10:11], s[6:7], -1
	s_and_b64 s[16:17], s[4:5], s[10:11]
	s_andn2_b64 s[14:15], s[14:15], exec
	s_and_b64 s[16:17], s[16:17], exec
	s_or_b64 s[14:15], s[14:15], s[16:17]
	s_cbranch_execz .LBB156_67
	s_branch .LBB156_68
.LBB156_79:
	s_mov_b64 s[24:25], -1
                                        ; implicit-def: $sgpr22_sgpr23
	s_branch .LBB156_33
.LBB156_80:
	s_mov_b64 s[20:21], -1
                                        ; implicit-def: $sgpr18_sgpr19
	s_branch .LBB156_48
.LBB156_81:
	s_mov_b64 s[16:17], -1
                                        ; implicit-def: $sgpr14_sgpr15
	s_branch .LBB156_63
	.section	.rodata,"a",@progbits
	.p2align	6, 0x0
	.amdhsa_kernel _ZN2at6native27unrolled_elementwise_kernelINS0_12_GLOBAL__N_114CompareFunctorIbEESt5arrayIPcLm3EELi4E23TrivialOffsetCalculatorILi2EjES8_ILi1EjENS0_6memory15LoadWithoutCastENSB_16StoreWithoutCastEEEviT_T0_T2_T3_T4_T5_
		.amdhsa_group_segment_fixed_size 0
		.amdhsa_private_segment_fixed_size 0
		.amdhsa_kernarg_size 36
		.amdhsa_user_sgpr_count 6
		.amdhsa_user_sgpr_private_segment_buffer 1
		.amdhsa_user_sgpr_dispatch_ptr 0
		.amdhsa_user_sgpr_queue_ptr 0
		.amdhsa_user_sgpr_kernarg_segment_ptr 1
		.amdhsa_user_sgpr_dispatch_id 0
		.amdhsa_user_sgpr_flat_scratch_init 0
		.amdhsa_user_sgpr_private_segment_size 0
		.amdhsa_uses_dynamic_stack 0
		.amdhsa_system_sgpr_private_segment_wavefront_offset 0
		.amdhsa_system_sgpr_workgroup_id_x 1
		.amdhsa_system_sgpr_workgroup_id_y 0
		.amdhsa_system_sgpr_workgroup_id_z 0
		.amdhsa_system_sgpr_workgroup_info 0
		.amdhsa_system_vgpr_workitem_id 0
		.amdhsa_next_free_vgpr 6
		.amdhsa_next_free_sgpr 34
		.amdhsa_reserve_vcc 1
		.amdhsa_reserve_flat_scratch 0
		.amdhsa_float_round_mode_32 0
		.amdhsa_float_round_mode_16_64 0
		.amdhsa_float_denorm_mode_32 3
		.amdhsa_float_denorm_mode_16_64 3
		.amdhsa_dx10_clamp 1
		.amdhsa_ieee_mode 1
		.amdhsa_fp16_overflow 0
		.amdhsa_exception_fp_ieee_invalid_op 0
		.amdhsa_exception_fp_denorm_src 0
		.amdhsa_exception_fp_ieee_div_zero 0
		.amdhsa_exception_fp_ieee_overflow 0
		.amdhsa_exception_fp_ieee_underflow 0
		.amdhsa_exception_fp_ieee_inexact 0
		.amdhsa_exception_int_div_zero 0
	.end_amdhsa_kernel
	.section	.text._ZN2at6native27unrolled_elementwise_kernelINS0_12_GLOBAL__N_114CompareFunctorIbEESt5arrayIPcLm3EELi4E23TrivialOffsetCalculatorILi2EjES8_ILi1EjENS0_6memory15LoadWithoutCastENSB_16StoreWithoutCastEEEviT_T0_T2_T3_T4_T5_,"axG",@progbits,_ZN2at6native27unrolled_elementwise_kernelINS0_12_GLOBAL__N_114CompareFunctorIbEESt5arrayIPcLm3EELi4E23TrivialOffsetCalculatorILi2EjES8_ILi1EjENS0_6memory15LoadWithoutCastENSB_16StoreWithoutCastEEEviT_T0_T2_T3_T4_T5_,comdat
.Lfunc_end156:
	.size	_ZN2at6native27unrolled_elementwise_kernelINS0_12_GLOBAL__N_114CompareFunctorIbEESt5arrayIPcLm3EELi4E23TrivialOffsetCalculatorILi2EjES8_ILi1EjENS0_6memory15LoadWithoutCastENSB_16StoreWithoutCastEEEviT_T0_T2_T3_T4_T5_, .Lfunc_end156-_ZN2at6native27unrolled_elementwise_kernelINS0_12_GLOBAL__N_114CompareFunctorIbEESt5arrayIPcLm3EELi4E23TrivialOffsetCalculatorILi2EjES8_ILi1EjENS0_6memory15LoadWithoutCastENSB_16StoreWithoutCastEEEviT_T0_T2_T3_T4_T5_
                                        ; -- End function
	.set _ZN2at6native27unrolled_elementwise_kernelINS0_12_GLOBAL__N_114CompareFunctorIbEESt5arrayIPcLm3EELi4E23TrivialOffsetCalculatorILi2EjES8_ILi1EjENS0_6memory15LoadWithoutCastENSB_16StoreWithoutCastEEEviT_T0_T2_T3_T4_T5_.num_vgpr, 6
	.set _ZN2at6native27unrolled_elementwise_kernelINS0_12_GLOBAL__N_114CompareFunctorIbEESt5arrayIPcLm3EELi4E23TrivialOffsetCalculatorILi2EjES8_ILi1EjENS0_6memory15LoadWithoutCastENSB_16StoreWithoutCastEEEviT_T0_T2_T3_T4_T5_.num_agpr, 0
	.set _ZN2at6native27unrolled_elementwise_kernelINS0_12_GLOBAL__N_114CompareFunctorIbEESt5arrayIPcLm3EELi4E23TrivialOffsetCalculatorILi2EjES8_ILi1EjENS0_6memory15LoadWithoutCastENSB_16StoreWithoutCastEEEviT_T0_T2_T3_T4_T5_.numbered_sgpr, 34
	.set _ZN2at6native27unrolled_elementwise_kernelINS0_12_GLOBAL__N_114CompareFunctorIbEESt5arrayIPcLm3EELi4E23TrivialOffsetCalculatorILi2EjES8_ILi1EjENS0_6memory15LoadWithoutCastENSB_16StoreWithoutCastEEEviT_T0_T2_T3_T4_T5_.num_named_barrier, 0
	.set _ZN2at6native27unrolled_elementwise_kernelINS0_12_GLOBAL__N_114CompareFunctorIbEESt5arrayIPcLm3EELi4E23TrivialOffsetCalculatorILi2EjES8_ILi1EjENS0_6memory15LoadWithoutCastENSB_16StoreWithoutCastEEEviT_T0_T2_T3_T4_T5_.private_seg_size, 0
	.set _ZN2at6native27unrolled_elementwise_kernelINS0_12_GLOBAL__N_114CompareFunctorIbEESt5arrayIPcLm3EELi4E23TrivialOffsetCalculatorILi2EjES8_ILi1EjENS0_6memory15LoadWithoutCastENSB_16StoreWithoutCastEEEviT_T0_T2_T3_T4_T5_.uses_vcc, 1
	.set _ZN2at6native27unrolled_elementwise_kernelINS0_12_GLOBAL__N_114CompareFunctorIbEESt5arrayIPcLm3EELi4E23TrivialOffsetCalculatorILi2EjES8_ILi1EjENS0_6memory15LoadWithoutCastENSB_16StoreWithoutCastEEEviT_T0_T2_T3_T4_T5_.uses_flat_scratch, 0
	.set _ZN2at6native27unrolled_elementwise_kernelINS0_12_GLOBAL__N_114CompareFunctorIbEESt5arrayIPcLm3EELi4E23TrivialOffsetCalculatorILi2EjES8_ILi1EjENS0_6memory15LoadWithoutCastENSB_16StoreWithoutCastEEEviT_T0_T2_T3_T4_T5_.has_dyn_sized_stack, 0
	.set _ZN2at6native27unrolled_elementwise_kernelINS0_12_GLOBAL__N_114CompareFunctorIbEESt5arrayIPcLm3EELi4E23TrivialOffsetCalculatorILi2EjES8_ILi1EjENS0_6memory15LoadWithoutCastENSB_16StoreWithoutCastEEEviT_T0_T2_T3_T4_T5_.has_recursion, 0
	.set _ZN2at6native27unrolled_elementwise_kernelINS0_12_GLOBAL__N_114CompareFunctorIbEESt5arrayIPcLm3EELi4E23TrivialOffsetCalculatorILi2EjES8_ILi1EjENS0_6memory15LoadWithoutCastENSB_16StoreWithoutCastEEEviT_T0_T2_T3_T4_T5_.has_indirect_call, 0
	.section	.AMDGPU.csdata,"",@progbits
; Kernel info:
; codeLenInByte = 1400
; TotalNumSgprs: 38
; NumVgprs: 6
; ScratchSize: 0
; MemoryBound: 0
; FloatMode: 240
; IeeeMode: 1
; LDSByteSize: 0 bytes/workgroup (compile time only)
; SGPRBlocks: 4
; VGPRBlocks: 1
; NumSGPRsForWavesPerEU: 38
; NumVGPRsForWavesPerEU: 6
; Occupancy: 10
; WaveLimiterHint : 0
; COMPUTE_PGM_RSRC2:SCRATCH_EN: 0
; COMPUTE_PGM_RSRC2:USER_SGPR: 6
; COMPUTE_PGM_RSRC2:TRAP_HANDLER: 0
; COMPUTE_PGM_RSRC2:TGID_X_EN: 1
; COMPUTE_PGM_RSRC2:TGID_Y_EN: 0
; COMPUTE_PGM_RSRC2:TGID_Z_EN: 0
; COMPUTE_PGM_RSRC2:TIDIG_COMP_CNT: 0
	.section	.text._ZN2at6native32elementwise_kernel_manual_unrollILi128ELi8EZNS0_22gpu_kernel_impl_nocastINS0_12_GLOBAL__N_114CompareFunctorIbEEEEvRNS_18TensorIteratorBaseERKT_EUlibE_EEviT1_,"axG",@progbits,_ZN2at6native32elementwise_kernel_manual_unrollILi128ELi8EZNS0_22gpu_kernel_impl_nocastINS0_12_GLOBAL__N_114CompareFunctorIbEEEEvRNS_18TensorIteratorBaseERKT_EUlibE_EEviT1_,comdat
	.globl	_ZN2at6native32elementwise_kernel_manual_unrollILi128ELi8EZNS0_22gpu_kernel_impl_nocastINS0_12_GLOBAL__N_114CompareFunctorIbEEEEvRNS_18TensorIteratorBaseERKT_EUlibE_EEviT1_ ; -- Begin function _ZN2at6native32elementwise_kernel_manual_unrollILi128ELi8EZNS0_22gpu_kernel_impl_nocastINS0_12_GLOBAL__N_114CompareFunctorIbEEEEvRNS_18TensorIteratorBaseERKT_EUlibE_EEviT1_
	.p2align	8
	.type	_ZN2at6native32elementwise_kernel_manual_unrollILi128ELi8EZNS0_22gpu_kernel_impl_nocastINS0_12_GLOBAL__N_114CompareFunctorIbEEEEvRNS_18TensorIteratorBaseERKT_EUlibE_EEviT1_,@function
_ZN2at6native32elementwise_kernel_manual_unrollILi128ELi8EZNS0_22gpu_kernel_impl_nocastINS0_12_GLOBAL__N_114CompareFunctorIbEEEEvRNS_18TensorIteratorBaseERKT_EUlibE_EEviT1_: ; @_ZN2at6native32elementwise_kernel_manual_unrollILi128ELi8EZNS0_22gpu_kernel_impl_nocastINS0_12_GLOBAL__N_114CompareFunctorIbEEEEvRNS_18TensorIteratorBaseERKT_EUlibE_EEviT1_
; %bb.0:
	s_load_dword s47, s[4:5], 0x0
	s_load_dword s33, s[4:5], 0x8
	s_add_u32 s16, s4, 8
	s_addc_u32 s17, s5, 0
	v_lshl_or_b32 v18, s6, 10, v0
	v_or_b32_e32 v37, 0x380, v18
	s_waitcnt lgkmcnt(0)
	s_add_i32 s44, s33, -1
	s_cmp_gt_u32 s44, 1
	v_cmp_le_i32_e32 vcc, s47, v37
	s_cselect_b64 s[18:19], -1, 0
	s_and_saveexec_b64 s[0:1], vcc
	s_xor_b64 s[20:21], exec, s[0:1]
	s_cbranch_execz .LBB157_211
; %bb.1:
	s_load_dwordx4 s[12:15], s[16:17], 0x4
	s_load_dwordx2 s[26:27], s[16:17], 0x14
	s_load_dwordx4 s[8:11], s[16:17], 0xc4
	s_load_dwordx2 s[24:25], s[16:17], 0xd4
	s_load_dwordx2 s[22:23], s[16:17], 0x198
	s_load_dwordx4 s[4:7], s[16:17], 0x188
	s_load_dword s45, s[16:17], 0x1a0
	s_cmp_lg_u32 s33, 0
	s_cselect_b64 s[30:31], -1, 0
	s_min_u32 s46, s44, 15
	s_cmp_gt_u32 s33, 1
	s_cselect_b64 s[28:29], -1, 0
	v_cmp_gt_i32_e32 vcc, s47, v18
	s_and_saveexec_b64 s[34:35], vcc
	s_cbranch_execnz .LBB157_9
; %bb.2:
	s_or_b64 exec, exec, s[34:35]
	v_cmp_gt_i32_e32 vcc, s47, v18
	s_and_saveexec_b64 s[34:35], vcc
	s_cbranch_execnz .LBB157_35
.LBB157_3:
	s_or_b64 exec, exec, s[34:35]
	v_cmp_gt_i32_e32 vcc, s47, v18
	s_and_saveexec_b64 s[34:35], vcc
	s_cbranch_execnz .LBB157_60
.LBB157_4:
	s_or_b64 exec, exec, s[34:35]
	v_cmp_gt_i32_e32 vcc, s47, v18
	s_and_saveexec_b64 s[34:35], vcc
	s_cbranch_execnz .LBB157_85
.LBB157_5:
	s_or_b64 exec, exec, s[34:35]
	v_cmp_gt_i32_e32 vcc, s47, v18
	s_and_saveexec_b64 s[34:35], vcc
	s_cbranch_execnz .LBB157_110
.LBB157_6:
	s_or_b64 exec, exec, s[34:35]
	v_cmp_gt_i32_e32 vcc, s47, v18
	s_and_saveexec_b64 s[34:35], vcc
	s_cbranch_execnz .LBB157_135
.LBB157_7:
	s_or_b64 exec, exec, s[34:35]
	v_cmp_gt_i32_e32 vcc, s47, v18
	s_and_saveexec_b64 s[34:35], vcc
	s_cbranch_execnz .LBB157_160
.LBB157_8:
	s_or_b64 exec, exec, s[34:35]
	v_cmp_gt_i32_e32 vcc, s47, v18
	s_and_saveexec_b64 s[34:35], vcc
	s_cbranch_execnz .LBB157_185
	s_branch .LBB157_210
.LBB157_9:
	s_andn2_b64 vcc, exec, s[18:19]
	s_cbranch_vccnz .LBB157_15
; %bb.10:
	s_andn2_b64 vcc, exec, s[30:31]
	s_cbranch_vccnz .LBB157_16
; %bb.11:
	s_add_i32 s0, s46, 1
	s_and_b32 s2, s0, 30
	s_add_u32 s0, s16, 0xffffffe8
	s_addc_u32 s1, s17, -1
	v_mov_b32_e32 v2, 0
	v_mov_b32_e32 v4, 0
	;; [unrolled: 1-line block ×4, first 2 shown]
.LBB157_12:                             ; =>This Inner Loop Header: Depth=1
	s_load_dwordx4 s[36:39], s[0:1], 0x1c
	s_load_dwordx2 s[48:49], s[0:1], 0x2c
	s_load_dwordx2 s[50:51], s[0:1], 0xec
	s_load_dwordx4 s[40:43], s[0:1], 0xdc
	s_add_u32 s0, s0, 24
	s_waitcnt lgkmcnt(0)
	v_mul_hi_u32 v3, s37, v1
	s_addc_u32 s1, s1, 0
	s_add_i32 s2, s2, -2
	s_cmp_lg_u32 s2, 0
	v_add_u32_e32 v3, v1, v3
	v_lshrrev_b32_e32 v3, s38, v3
	v_mul_lo_u32 v5, v3, s36
	v_mul_hi_u32 v6, s48, v3
	v_sub_u32_e32 v5, v1, v5
	v_add_u32_e32 v1, v3, v6
	v_lshrrev_b32_e32 v1, s49, v1
	v_mul_lo_u32 v8, v1, s39
	v_mul_lo_u32 v6, v5, s40
	v_mul_lo_u32 v7, v5, s41
	v_mul_lo_u32 v5, v5, s42
	v_sub_u32_e32 v3, v3, v8
	v_mul_lo_u32 v8, v3, s43
	v_mul_lo_u32 v9, v3, s50
	;; [unrolled: 1-line block ×3, first 2 shown]
	v_add3_u32 v0, v6, v0, v8
	v_add3_u32 v4, v7, v4, v9
	v_add3_u32 v2, v5, v2, v3
	s_cbranch_scc1 .LBB157_12
; %bb.13:
	s_bitcmp1_b32 s46, 0
	s_cselect_b64 s[2:3], -1, 0
	s_and_b64 vcc, exec, s[2:3]
	s_cbranch_vccnz .LBB157_17
; %bb.14:
	s_load_dwordx2 s[2:3], s[0:1], 0x1c
	s_load_dword s38, s[0:1], 0x24
	s_load_dwordx2 s[36:37], s[0:1], 0xdc
	s_waitcnt lgkmcnt(0)
	v_mul_hi_u32 v3, s3, v1
	v_add_u32_e32 v3, v1, v3
	v_lshrrev_b32_e32 v3, s38, v3
	v_mul_lo_u32 v3, v3, s2
	s_load_dword s2, s[0:1], 0xe4
	v_sub_u32_e32 v3, v1, v3
	v_mad_u64_u32 v[0:1], s[0:1], v3, s36, v[0:1]
	v_mad_u64_u32 v[4:5], s[0:1], v3, s37, v[4:5]
	s_waitcnt lgkmcnt(0)
	v_mad_u64_u32 v[2:3], s[0:1], v3, s2, v[2:3]
	s_cbranch_execz .LBB157_18
	s_branch .LBB157_20
.LBB157_15:
                                        ; implicit-def: $vgpr0
                                        ; implicit-def: $vgpr4
                                        ; implicit-def: $vgpr2
	s_branch .LBB157_18
.LBB157_16:
	v_mov_b32_e32 v0, 0
	v_mov_b32_e32 v4, 0
	;; [unrolled: 1-line block ×3, first 2 shown]
.LBB157_17:
	s_cbranch_execnz .LBB157_20
.LBB157_18:
	s_waitcnt lgkmcnt(0)
	v_mul_hi_u32 v0, s13, v18
	s_andn2_b64 vcc, exec, s[28:29]
	v_add_u32_e32 v0, v18, v0
	v_lshrrev_b32_e32 v1, s14, v0
	v_mul_lo_u32 v0, v1, s12
	v_sub_u32_e32 v2, v18, v0
	v_mul_lo_u32 v0, v2, s8
	v_mul_lo_u32 v4, v2, s9
	;; [unrolled: 1-line block ×3, first 2 shown]
	s_cbranch_vccnz .LBB157_20
; %bb.19:
	v_mul_hi_u32 v3, s26, v1
	v_add_u32_e32 v3, v1, v3
	v_lshrrev_b32_e32 v3, s27, v3
	v_mul_lo_u32 v3, v3, s15
	v_sub_u32_e32 v3, v1, v3
	v_mad_u64_u32 v[0:1], s[0:1], v3, s11, v[0:1]
	v_mad_u64_u32 v[4:5], s[0:1], v3, s24, v[4:5]
	;; [unrolled: 1-line block ×3, first 2 shown]
.LBB157_20:
	s_waitcnt lgkmcnt(0)
	global_load_ubyte v1, v4, s[6:7]
	global_load_ubyte v3, v2, s[22:23]
	s_cmp_lt_i32 s45, 1
	s_mov_b64 s[36:37], 0
	s_waitcnt vmcnt(1)
	v_cmp_ne_u16_e64 s[0:1], 0, v1
	s_waitcnt vmcnt(0)
	v_cmp_ne_u16_e64 s[2:3], 0, v3
	s_cbranch_scc1 .LBB157_24
; %bb.21:
	s_cmp_gt_i32 s45, 1
	s_cbranch_scc0 .LBB157_25
; %bb.22:
	s_cmp_eq_u32 s45, 2
	s_cbranch_scc0 .LBB157_26
; %bb.23:
	s_xor_b64 s[38:39], s[0:1], -1
	s_or_b64 s[38:39], s[2:3], s[38:39]
	s_mov_b64 s[40:41], 0
	s_branch .LBB157_27
.LBB157_24:
                                        ; implicit-def: $sgpr38_sgpr39
	s_mov_b64 s[40:41], 0
	s_cbranch_execnz .LBB157_30
	s_branch .LBB157_31
.LBB157_25:
	s_mov_b64 s[40:41], 0
                                        ; implicit-def: $sgpr38_sgpr39
	s_cbranch_execnz .LBB157_28
	s_branch .LBB157_29
.LBB157_26:
	s_mov_b64 s[40:41], -1
                                        ; implicit-def: $sgpr38_sgpr39
.LBB157_27:
	s_branch .LBB157_29
.LBB157_28:
	s_xor_b64 s[42:43], s[2:3], -1
	s_and_b64 s[42:43], s[0:1], s[42:43]
	s_andn2_b64 s[38:39], s[38:39], exec
	s_and_b64 s[42:43], s[42:43], exec
	s_or_b64 s[38:39], s[38:39], s[42:43]
.LBB157_29:
	s_branch .LBB157_31
.LBB157_30:
	s_cmp_lg_u32 s45, 0
	s_mov_b64 s[36:37], -1
	s_cselect_b64 s[40:41], -1, 0
.LBB157_31:
	s_andn2_b64 vcc, exec, s[40:41]
	s_cbranch_vccz .LBB157_41
; %bb.32:
	s_andn2_b64 vcc, exec, s[36:37]
	s_cbranch_vccnz .LBB157_34
.LBB157_33:
	s_xor_b64 s[2:3], s[2:3], -1
	s_or_b64 s[0:1], s[0:1], s[2:3]
	s_andn2_b64 s[2:3], s[38:39], exec
	s_and_b64 s[0:1], s[0:1], exec
	s_or_b64 s[38:39], s[2:3], s[0:1]
.LBB157_34:
	v_cndmask_b32_e64 v1, 0, 1, s[38:39]
	v_add_u32_e32 v18, 0x80, v18
	global_store_byte v0, v1, s[4:5]
	s_or_b64 exec, exec, s[34:35]
	v_cmp_gt_i32_e32 vcc, s47, v18
	s_and_saveexec_b64 s[34:35], vcc
	s_cbranch_execz .LBB157_3
.LBB157_35:
	s_andn2_b64 vcc, exec, s[18:19]
	s_cbranch_vccnz .LBB157_42
; %bb.36:
	s_andn2_b64 vcc, exec, s[30:31]
	s_cbranch_vccnz .LBB157_43
; %bb.37:
	s_add_i32 s0, s46, 1
	s_and_b32 s2, s0, 30
	s_add_u32 s0, s16, 0xffffffe8
	s_addc_u32 s1, s17, -1
	v_mov_b32_e32 v2, 0
	v_mov_b32_e32 v4, 0
	;; [unrolled: 1-line block ×4, first 2 shown]
.LBB157_38:                             ; =>This Inner Loop Header: Depth=1
	s_load_dwordx4 s[36:39], s[0:1], 0x1c
	s_load_dwordx2 s[48:49], s[0:1], 0x2c
	s_load_dwordx2 s[50:51], s[0:1], 0xec
	s_load_dwordx4 s[40:43], s[0:1], 0xdc
	s_add_u32 s0, s0, 24
	s_waitcnt lgkmcnt(0)
	v_mul_hi_u32 v3, s37, v1
	s_addc_u32 s1, s1, 0
	s_add_i32 s2, s2, -2
	s_cmp_eq_u32 s2, 0
	v_add_u32_e32 v3, v1, v3
	v_lshrrev_b32_e32 v3, s38, v3
	v_mul_lo_u32 v5, v3, s36
	v_mul_hi_u32 v6, s48, v3
	v_sub_u32_e32 v5, v1, v5
	v_add_u32_e32 v1, v3, v6
	v_lshrrev_b32_e32 v1, s49, v1
	v_mul_lo_u32 v8, v1, s39
	v_mul_lo_u32 v6, v5, s40
	;; [unrolled: 1-line block ×4, first 2 shown]
	v_sub_u32_e32 v3, v3, v8
	v_mul_lo_u32 v8, v3, s43
	v_mul_lo_u32 v9, v3, s50
	;; [unrolled: 1-line block ×3, first 2 shown]
	v_add3_u32 v0, v6, v0, v8
	v_add3_u32 v4, v7, v4, v9
	;; [unrolled: 1-line block ×3, first 2 shown]
	s_cbranch_scc0 .LBB157_38
; %bb.39:
	s_bitcmp1_b32 s46, 0
	s_cselect_b64 s[2:3], -1, 0
	s_and_b64 vcc, exec, s[2:3]
	s_cbranch_vccnz .LBB157_44
; %bb.40:
	s_load_dwordx2 s[2:3], s[0:1], 0x1c
	s_load_dword s38, s[0:1], 0x24
	s_load_dwordx2 s[36:37], s[0:1], 0xdc
	s_waitcnt lgkmcnt(0)
	v_mul_hi_u32 v3, s3, v1
	v_add_u32_e32 v3, v1, v3
	v_lshrrev_b32_e32 v3, s38, v3
	v_mul_lo_u32 v3, v3, s2
	s_load_dword s2, s[0:1], 0xe4
	v_sub_u32_e32 v3, v1, v3
	v_mad_u64_u32 v[0:1], s[0:1], v3, s36, v[0:1]
	v_mad_u64_u32 v[4:5], s[0:1], v3, s37, v[4:5]
	s_waitcnt lgkmcnt(0)
	v_mad_u64_u32 v[2:3], s[0:1], v3, s2, v[2:3]
	s_branch .LBB157_44
.LBB157_41:
	s_xor_b64 s[36:37], s[0:1], -1
	s_and_b64 s[40:41], s[2:3], s[36:37]
	s_andn2_b64 s[38:39], s[38:39], exec
	s_and_b64 s[40:41], s[40:41], exec
	s_or_b64 s[38:39], s[38:39], s[40:41]
	s_cbranch_execz .LBB157_33
	s_branch .LBB157_34
.LBB157_42:
                                        ; implicit-def: $vgpr0
                                        ; implicit-def: $vgpr4
                                        ; implicit-def: $vgpr2
	s_branch .LBB157_45
.LBB157_43:
	v_mov_b32_e32 v0, 0
	v_mov_b32_e32 v4, 0
	v_mov_b32_e32 v2, 0
.LBB157_44:
	s_cbranch_execnz .LBB157_47
.LBB157_45:
	s_waitcnt lgkmcnt(0)
	v_mul_hi_u32 v0, s13, v18
	s_andn2_b64 vcc, exec, s[28:29]
	v_add_u32_e32 v0, v18, v0
	v_lshrrev_b32_e32 v1, s14, v0
	v_mul_lo_u32 v0, v1, s12
	v_sub_u32_e32 v2, v18, v0
	v_mul_lo_u32 v0, v2, s8
	v_mul_lo_u32 v4, v2, s9
	;; [unrolled: 1-line block ×3, first 2 shown]
	s_cbranch_vccnz .LBB157_47
; %bb.46:
	v_mul_hi_u32 v3, s26, v1
	v_add_u32_e32 v3, v1, v3
	v_lshrrev_b32_e32 v3, s27, v3
	v_mul_lo_u32 v3, v3, s15
	v_sub_u32_e32 v3, v1, v3
	v_mad_u64_u32 v[0:1], s[0:1], v3, s11, v[0:1]
	v_mad_u64_u32 v[4:5], s[0:1], v3, s24, v[4:5]
	v_mad_u64_u32 v[2:3], s[0:1], v3, s25, v[2:3]
.LBB157_47:
	s_waitcnt lgkmcnt(0)
	global_load_ubyte v1, v4, s[6:7]
	global_load_ubyte v3, v2, s[22:23]
	s_cmp_lt_i32 s45, 1
	s_mov_b64 s[36:37], 0
	s_waitcnt vmcnt(1)
	v_cmp_ne_u16_e64 s[0:1], 0, v1
	s_waitcnt vmcnt(0)
	v_cmp_ne_u16_e64 s[2:3], 0, v3
	s_cbranch_scc1 .LBB157_51
; %bb.48:
	s_cmp_gt_i32 s45, 1
	s_cbranch_scc0 .LBB157_52
; %bb.49:
	s_cmp_eq_u32 s45, 2
	s_cbranch_scc0 .LBB157_423
; %bb.50:
	s_xor_b64 s[38:39], s[0:1], -1
	s_or_b64 s[38:39], s[2:3], s[38:39]
	s_mov_b64 s[40:41], 0
	s_branch .LBB157_54
.LBB157_51:
                                        ; implicit-def: $sgpr38_sgpr39
	s_mov_b64 s[40:41], 0
	s_cbranch_execnz .LBB157_55
	s_branch .LBB157_56
.LBB157_52:
	s_mov_b64 s[40:41], 0
                                        ; implicit-def: $sgpr38_sgpr39
	s_cbranch_execz .LBB157_54
; %bb.53:
	s_xor_b64 s[42:43], s[2:3], -1
	s_and_b64 s[42:43], s[0:1], s[42:43]
	s_andn2_b64 s[38:39], s[38:39], exec
	s_and_b64 s[42:43], s[42:43], exec
	s_or_b64 s[38:39], s[38:39], s[42:43]
.LBB157_54:
	s_branch .LBB157_56
.LBB157_55:
	s_cmp_lg_u32 s45, 0
	s_mov_b64 s[36:37], -1
	s_cselect_b64 s[40:41], -1, 0
.LBB157_56:
	s_andn2_b64 vcc, exec, s[40:41]
	s_cbranch_vccz .LBB157_66
; %bb.57:
	s_andn2_b64 vcc, exec, s[36:37]
	s_cbranch_vccnz .LBB157_59
.LBB157_58:
	s_xor_b64 s[2:3], s[2:3], -1
	s_or_b64 s[0:1], s[0:1], s[2:3]
	s_andn2_b64 s[2:3], s[38:39], exec
	s_and_b64 s[0:1], s[0:1], exec
	s_or_b64 s[38:39], s[2:3], s[0:1]
.LBB157_59:
	v_cndmask_b32_e64 v1, 0, 1, s[38:39]
	v_add_u32_e32 v18, 0x80, v18
	global_store_byte v0, v1, s[4:5]
	s_or_b64 exec, exec, s[34:35]
	v_cmp_gt_i32_e32 vcc, s47, v18
	s_and_saveexec_b64 s[34:35], vcc
	s_cbranch_execz .LBB157_4
.LBB157_60:
	s_andn2_b64 vcc, exec, s[18:19]
	s_cbranch_vccnz .LBB157_67
; %bb.61:
	s_andn2_b64 vcc, exec, s[30:31]
	s_cbranch_vccnz .LBB157_68
; %bb.62:
	s_add_i32 s0, s46, 1
	s_and_b32 s2, s0, 30
	s_add_u32 s0, s16, 0xffffffe8
	s_addc_u32 s1, s17, -1
	v_mov_b32_e32 v2, 0
	v_mov_b32_e32 v4, 0
	;; [unrolled: 1-line block ×4, first 2 shown]
.LBB157_63:                             ; =>This Inner Loop Header: Depth=1
	s_load_dwordx4 s[36:39], s[0:1], 0x1c
	s_load_dwordx2 s[48:49], s[0:1], 0x2c
	s_load_dwordx2 s[50:51], s[0:1], 0xec
	s_load_dwordx4 s[40:43], s[0:1], 0xdc
	s_add_u32 s0, s0, 24
	s_waitcnt lgkmcnt(0)
	v_mul_hi_u32 v3, s37, v1
	s_addc_u32 s1, s1, 0
	s_add_i32 s2, s2, -2
	s_cmp_eq_u32 s2, 0
	v_add_u32_e32 v3, v1, v3
	v_lshrrev_b32_e32 v3, s38, v3
	v_mul_lo_u32 v5, v3, s36
	v_mul_hi_u32 v6, s48, v3
	v_sub_u32_e32 v5, v1, v5
	v_add_u32_e32 v1, v3, v6
	v_lshrrev_b32_e32 v1, s49, v1
	v_mul_lo_u32 v8, v1, s39
	v_mul_lo_u32 v6, v5, s40
	;; [unrolled: 1-line block ×4, first 2 shown]
	v_sub_u32_e32 v3, v3, v8
	v_mul_lo_u32 v8, v3, s43
	v_mul_lo_u32 v9, v3, s50
	;; [unrolled: 1-line block ×3, first 2 shown]
	v_add3_u32 v0, v6, v0, v8
	v_add3_u32 v4, v7, v4, v9
	;; [unrolled: 1-line block ×3, first 2 shown]
	s_cbranch_scc0 .LBB157_63
; %bb.64:
	s_bitcmp1_b32 s46, 0
	s_cselect_b64 s[2:3], -1, 0
	s_and_b64 vcc, exec, s[2:3]
	s_cbranch_vccnz .LBB157_69
; %bb.65:
	s_load_dwordx2 s[2:3], s[0:1], 0x1c
	s_load_dword s38, s[0:1], 0x24
	s_load_dwordx2 s[36:37], s[0:1], 0xdc
	s_waitcnt lgkmcnt(0)
	v_mul_hi_u32 v3, s3, v1
	v_add_u32_e32 v3, v1, v3
	v_lshrrev_b32_e32 v3, s38, v3
	v_mul_lo_u32 v3, v3, s2
	s_load_dword s2, s[0:1], 0xe4
	v_sub_u32_e32 v3, v1, v3
	v_mad_u64_u32 v[0:1], s[0:1], v3, s36, v[0:1]
	v_mad_u64_u32 v[4:5], s[0:1], v3, s37, v[4:5]
	s_waitcnt lgkmcnt(0)
	v_mad_u64_u32 v[2:3], s[0:1], v3, s2, v[2:3]
	s_branch .LBB157_69
.LBB157_66:
	s_xor_b64 s[36:37], s[0:1], -1
	s_and_b64 s[40:41], s[2:3], s[36:37]
	s_andn2_b64 s[38:39], s[38:39], exec
	s_and_b64 s[40:41], s[40:41], exec
	s_or_b64 s[38:39], s[38:39], s[40:41]
	s_cbranch_execz .LBB157_58
	s_branch .LBB157_59
.LBB157_67:
                                        ; implicit-def: $vgpr0
                                        ; implicit-def: $vgpr4
                                        ; implicit-def: $vgpr2
	s_branch .LBB157_70
.LBB157_68:
	v_mov_b32_e32 v0, 0
	v_mov_b32_e32 v4, 0
	;; [unrolled: 1-line block ×3, first 2 shown]
.LBB157_69:
	s_cbranch_execnz .LBB157_72
.LBB157_70:
	s_waitcnt lgkmcnt(0)
	v_mul_hi_u32 v0, s13, v18
	s_andn2_b64 vcc, exec, s[28:29]
	v_add_u32_e32 v0, v18, v0
	v_lshrrev_b32_e32 v1, s14, v0
	v_mul_lo_u32 v0, v1, s12
	v_sub_u32_e32 v2, v18, v0
	v_mul_lo_u32 v0, v2, s8
	v_mul_lo_u32 v4, v2, s9
	;; [unrolled: 1-line block ×3, first 2 shown]
	s_cbranch_vccnz .LBB157_72
; %bb.71:
	v_mul_hi_u32 v3, s26, v1
	v_add_u32_e32 v3, v1, v3
	v_lshrrev_b32_e32 v3, s27, v3
	v_mul_lo_u32 v3, v3, s15
	v_sub_u32_e32 v3, v1, v3
	v_mad_u64_u32 v[0:1], s[0:1], v3, s11, v[0:1]
	v_mad_u64_u32 v[4:5], s[0:1], v3, s24, v[4:5]
	;; [unrolled: 1-line block ×3, first 2 shown]
.LBB157_72:
	s_waitcnt lgkmcnt(0)
	global_load_ubyte v1, v4, s[6:7]
	global_load_ubyte v3, v2, s[22:23]
	s_cmp_lt_i32 s45, 1
	s_mov_b64 s[36:37], 0
	s_waitcnt vmcnt(1)
	v_cmp_ne_u16_e64 s[0:1], 0, v1
	s_waitcnt vmcnt(0)
	v_cmp_ne_u16_e64 s[2:3], 0, v3
	s_cbranch_scc1 .LBB157_76
; %bb.73:
	s_cmp_gt_i32 s45, 1
	s_cbranch_scc0 .LBB157_77
; %bb.74:
	s_cmp_eq_u32 s45, 2
	s_cbranch_scc0 .LBB157_424
; %bb.75:
	s_xor_b64 s[38:39], s[0:1], -1
	s_or_b64 s[38:39], s[2:3], s[38:39]
	s_mov_b64 s[40:41], 0
	s_branch .LBB157_79
.LBB157_76:
                                        ; implicit-def: $sgpr38_sgpr39
	s_mov_b64 s[40:41], 0
	s_cbranch_execnz .LBB157_80
	s_branch .LBB157_81
.LBB157_77:
	s_mov_b64 s[40:41], 0
                                        ; implicit-def: $sgpr38_sgpr39
	s_cbranch_execz .LBB157_79
; %bb.78:
	s_xor_b64 s[42:43], s[2:3], -1
	s_and_b64 s[42:43], s[0:1], s[42:43]
	s_andn2_b64 s[38:39], s[38:39], exec
	s_and_b64 s[42:43], s[42:43], exec
	s_or_b64 s[38:39], s[38:39], s[42:43]
.LBB157_79:
	s_branch .LBB157_81
.LBB157_80:
	s_cmp_lg_u32 s45, 0
	s_mov_b64 s[36:37], -1
	s_cselect_b64 s[40:41], -1, 0
.LBB157_81:
	s_andn2_b64 vcc, exec, s[40:41]
	s_cbranch_vccz .LBB157_91
; %bb.82:
	s_andn2_b64 vcc, exec, s[36:37]
	s_cbranch_vccnz .LBB157_84
.LBB157_83:
	s_xor_b64 s[2:3], s[2:3], -1
	s_or_b64 s[0:1], s[0:1], s[2:3]
	s_andn2_b64 s[2:3], s[38:39], exec
	s_and_b64 s[0:1], s[0:1], exec
	s_or_b64 s[38:39], s[2:3], s[0:1]
.LBB157_84:
	v_cndmask_b32_e64 v1, 0, 1, s[38:39]
	v_add_u32_e32 v18, 0x80, v18
	global_store_byte v0, v1, s[4:5]
	s_or_b64 exec, exec, s[34:35]
	v_cmp_gt_i32_e32 vcc, s47, v18
	s_and_saveexec_b64 s[34:35], vcc
	s_cbranch_execz .LBB157_5
.LBB157_85:
	s_andn2_b64 vcc, exec, s[18:19]
	s_cbranch_vccnz .LBB157_92
; %bb.86:
	s_andn2_b64 vcc, exec, s[30:31]
	s_cbranch_vccnz .LBB157_93
; %bb.87:
	s_add_i32 s0, s46, 1
	s_and_b32 s2, s0, 30
	s_add_u32 s0, s16, 0xffffffe8
	s_addc_u32 s1, s17, -1
	v_mov_b32_e32 v2, 0
	v_mov_b32_e32 v4, 0
	;; [unrolled: 1-line block ×4, first 2 shown]
.LBB157_88:                             ; =>This Inner Loop Header: Depth=1
	s_load_dwordx4 s[36:39], s[0:1], 0x1c
	s_load_dwordx2 s[48:49], s[0:1], 0x2c
	s_load_dwordx2 s[50:51], s[0:1], 0xec
	s_load_dwordx4 s[40:43], s[0:1], 0xdc
	s_add_u32 s0, s0, 24
	s_waitcnt lgkmcnt(0)
	v_mul_hi_u32 v3, s37, v1
	s_addc_u32 s1, s1, 0
	s_add_i32 s2, s2, -2
	s_cmp_eq_u32 s2, 0
	v_add_u32_e32 v3, v1, v3
	v_lshrrev_b32_e32 v3, s38, v3
	v_mul_lo_u32 v5, v3, s36
	v_mul_hi_u32 v6, s48, v3
	v_sub_u32_e32 v5, v1, v5
	v_add_u32_e32 v1, v3, v6
	v_lshrrev_b32_e32 v1, s49, v1
	v_mul_lo_u32 v8, v1, s39
	v_mul_lo_u32 v6, v5, s40
	;; [unrolled: 1-line block ×4, first 2 shown]
	v_sub_u32_e32 v3, v3, v8
	v_mul_lo_u32 v8, v3, s43
	v_mul_lo_u32 v9, v3, s50
	;; [unrolled: 1-line block ×3, first 2 shown]
	v_add3_u32 v0, v6, v0, v8
	v_add3_u32 v4, v7, v4, v9
	;; [unrolled: 1-line block ×3, first 2 shown]
	s_cbranch_scc0 .LBB157_88
; %bb.89:
	s_bitcmp1_b32 s46, 0
	s_cselect_b64 s[2:3], -1, 0
	s_and_b64 vcc, exec, s[2:3]
	s_cbranch_vccnz .LBB157_94
; %bb.90:
	s_load_dwordx2 s[2:3], s[0:1], 0x1c
	s_load_dword s38, s[0:1], 0x24
	s_load_dwordx2 s[36:37], s[0:1], 0xdc
	s_waitcnt lgkmcnt(0)
	v_mul_hi_u32 v3, s3, v1
	v_add_u32_e32 v3, v1, v3
	v_lshrrev_b32_e32 v3, s38, v3
	v_mul_lo_u32 v3, v3, s2
	s_load_dword s2, s[0:1], 0xe4
	v_sub_u32_e32 v3, v1, v3
	v_mad_u64_u32 v[0:1], s[0:1], v3, s36, v[0:1]
	v_mad_u64_u32 v[4:5], s[0:1], v3, s37, v[4:5]
	s_waitcnt lgkmcnt(0)
	v_mad_u64_u32 v[2:3], s[0:1], v3, s2, v[2:3]
	s_branch .LBB157_94
.LBB157_91:
	s_xor_b64 s[36:37], s[0:1], -1
	s_and_b64 s[40:41], s[2:3], s[36:37]
	s_andn2_b64 s[38:39], s[38:39], exec
	s_and_b64 s[40:41], s[40:41], exec
	s_or_b64 s[38:39], s[38:39], s[40:41]
	s_cbranch_execz .LBB157_83
	s_branch .LBB157_84
.LBB157_92:
                                        ; implicit-def: $vgpr0
                                        ; implicit-def: $vgpr4
                                        ; implicit-def: $vgpr2
	s_branch .LBB157_95
.LBB157_93:
	v_mov_b32_e32 v0, 0
	v_mov_b32_e32 v4, 0
	;; [unrolled: 1-line block ×3, first 2 shown]
.LBB157_94:
	s_cbranch_execnz .LBB157_97
.LBB157_95:
	s_waitcnt lgkmcnt(0)
	v_mul_hi_u32 v0, s13, v18
	s_andn2_b64 vcc, exec, s[28:29]
	v_add_u32_e32 v0, v18, v0
	v_lshrrev_b32_e32 v1, s14, v0
	v_mul_lo_u32 v0, v1, s12
	v_sub_u32_e32 v2, v18, v0
	v_mul_lo_u32 v0, v2, s8
	v_mul_lo_u32 v4, v2, s9
	;; [unrolled: 1-line block ×3, first 2 shown]
	s_cbranch_vccnz .LBB157_97
; %bb.96:
	v_mul_hi_u32 v3, s26, v1
	v_add_u32_e32 v3, v1, v3
	v_lshrrev_b32_e32 v3, s27, v3
	v_mul_lo_u32 v3, v3, s15
	v_sub_u32_e32 v3, v1, v3
	v_mad_u64_u32 v[0:1], s[0:1], v3, s11, v[0:1]
	v_mad_u64_u32 v[4:5], s[0:1], v3, s24, v[4:5]
	;; [unrolled: 1-line block ×3, first 2 shown]
.LBB157_97:
	s_waitcnt lgkmcnt(0)
	global_load_ubyte v1, v4, s[6:7]
	global_load_ubyte v3, v2, s[22:23]
	s_cmp_lt_i32 s45, 1
	s_mov_b64 s[36:37], 0
	s_waitcnt vmcnt(1)
	v_cmp_ne_u16_e64 s[0:1], 0, v1
	s_waitcnt vmcnt(0)
	v_cmp_ne_u16_e64 s[2:3], 0, v3
	s_cbranch_scc1 .LBB157_101
; %bb.98:
	s_cmp_gt_i32 s45, 1
	s_cbranch_scc0 .LBB157_102
; %bb.99:
	s_cmp_eq_u32 s45, 2
	s_cbranch_scc0 .LBB157_425
; %bb.100:
	s_xor_b64 s[38:39], s[0:1], -1
	s_or_b64 s[38:39], s[2:3], s[38:39]
	s_mov_b64 s[40:41], 0
	s_branch .LBB157_104
.LBB157_101:
                                        ; implicit-def: $sgpr38_sgpr39
	s_mov_b64 s[40:41], 0
	s_cbranch_execnz .LBB157_105
	s_branch .LBB157_106
.LBB157_102:
	s_mov_b64 s[40:41], 0
                                        ; implicit-def: $sgpr38_sgpr39
	s_cbranch_execz .LBB157_104
; %bb.103:
	s_xor_b64 s[42:43], s[2:3], -1
	s_and_b64 s[42:43], s[0:1], s[42:43]
	s_andn2_b64 s[38:39], s[38:39], exec
	s_and_b64 s[42:43], s[42:43], exec
	s_or_b64 s[38:39], s[38:39], s[42:43]
.LBB157_104:
	s_branch .LBB157_106
.LBB157_105:
	s_cmp_lg_u32 s45, 0
	s_mov_b64 s[36:37], -1
	s_cselect_b64 s[40:41], -1, 0
.LBB157_106:
	s_andn2_b64 vcc, exec, s[40:41]
	s_cbranch_vccz .LBB157_116
; %bb.107:
	s_andn2_b64 vcc, exec, s[36:37]
	s_cbranch_vccnz .LBB157_109
.LBB157_108:
	s_xor_b64 s[2:3], s[2:3], -1
	s_or_b64 s[0:1], s[0:1], s[2:3]
	s_andn2_b64 s[2:3], s[38:39], exec
	s_and_b64 s[0:1], s[0:1], exec
	s_or_b64 s[38:39], s[2:3], s[0:1]
.LBB157_109:
	v_cndmask_b32_e64 v1, 0, 1, s[38:39]
	v_add_u32_e32 v18, 0x80, v18
	global_store_byte v0, v1, s[4:5]
	s_or_b64 exec, exec, s[34:35]
	v_cmp_gt_i32_e32 vcc, s47, v18
	s_and_saveexec_b64 s[34:35], vcc
	s_cbranch_execz .LBB157_6
.LBB157_110:
	s_andn2_b64 vcc, exec, s[18:19]
	s_cbranch_vccnz .LBB157_117
; %bb.111:
	s_andn2_b64 vcc, exec, s[30:31]
	s_cbranch_vccnz .LBB157_118
; %bb.112:
	s_add_i32 s0, s46, 1
	s_and_b32 s2, s0, 30
	s_add_u32 s0, s16, 0xffffffe8
	s_addc_u32 s1, s17, -1
	v_mov_b32_e32 v2, 0
	v_mov_b32_e32 v4, 0
	;; [unrolled: 1-line block ×4, first 2 shown]
.LBB157_113:                            ; =>This Inner Loop Header: Depth=1
	s_load_dwordx4 s[36:39], s[0:1], 0x1c
	s_load_dwordx2 s[48:49], s[0:1], 0x2c
	s_load_dwordx2 s[50:51], s[0:1], 0xec
	s_load_dwordx4 s[40:43], s[0:1], 0xdc
	s_add_u32 s0, s0, 24
	s_waitcnt lgkmcnt(0)
	v_mul_hi_u32 v3, s37, v1
	s_addc_u32 s1, s1, 0
	s_add_i32 s2, s2, -2
	s_cmp_eq_u32 s2, 0
	v_add_u32_e32 v3, v1, v3
	v_lshrrev_b32_e32 v3, s38, v3
	v_mul_lo_u32 v5, v3, s36
	v_mul_hi_u32 v6, s48, v3
	v_sub_u32_e32 v5, v1, v5
	v_add_u32_e32 v1, v3, v6
	v_lshrrev_b32_e32 v1, s49, v1
	v_mul_lo_u32 v8, v1, s39
	v_mul_lo_u32 v6, v5, s40
	v_mul_lo_u32 v7, v5, s41
	v_mul_lo_u32 v5, v5, s42
	v_sub_u32_e32 v3, v3, v8
	v_mul_lo_u32 v8, v3, s43
	v_mul_lo_u32 v9, v3, s50
	;; [unrolled: 1-line block ×3, first 2 shown]
	v_add3_u32 v0, v6, v0, v8
	v_add3_u32 v4, v7, v4, v9
	;; [unrolled: 1-line block ×3, first 2 shown]
	s_cbranch_scc0 .LBB157_113
; %bb.114:
	s_bitcmp1_b32 s46, 0
	s_cselect_b64 s[2:3], -1, 0
	s_and_b64 vcc, exec, s[2:3]
	s_cbranch_vccnz .LBB157_119
; %bb.115:
	s_load_dwordx2 s[2:3], s[0:1], 0x1c
	s_load_dword s38, s[0:1], 0x24
	s_load_dwordx2 s[36:37], s[0:1], 0xdc
	s_waitcnt lgkmcnt(0)
	v_mul_hi_u32 v3, s3, v1
	v_add_u32_e32 v3, v1, v3
	v_lshrrev_b32_e32 v3, s38, v3
	v_mul_lo_u32 v3, v3, s2
	s_load_dword s2, s[0:1], 0xe4
	v_sub_u32_e32 v3, v1, v3
	v_mad_u64_u32 v[0:1], s[0:1], v3, s36, v[0:1]
	v_mad_u64_u32 v[4:5], s[0:1], v3, s37, v[4:5]
	s_waitcnt lgkmcnt(0)
	v_mad_u64_u32 v[2:3], s[0:1], v3, s2, v[2:3]
	s_branch .LBB157_119
.LBB157_116:
	s_xor_b64 s[36:37], s[0:1], -1
	s_and_b64 s[40:41], s[2:3], s[36:37]
	s_andn2_b64 s[38:39], s[38:39], exec
	s_and_b64 s[40:41], s[40:41], exec
	s_or_b64 s[38:39], s[38:39], s[40:41]
	s_cbranch_execz .LBB157_108
	s_branch .LBB157_109
.LBB157_117:
                                        ; implicit-def: $vgpr0
                                        ; implicit-def: $vgpr4
                                        ; implicit-def: $vgpr2
	s_branch .LBB157_120
.LBB157_118:
	v_mov_b32_e32 v0, 0
	v_mov_b32_e32 v4, 0
	;; [unrolled: 1-line block ×3, first 2 shown]
.LBB157_119:
	s_cbranch_execnz .LBB157_122
.LBB157_120:
	s_waitcnt lgkmcnt(0)
	v_mul_hi_u32 v0, s13, v18
	s_andn2_b64 vcc, exec, s[28:29]
	v_add_u32_e32 v0, v18, v0
	v_lshrrev_b32_e32 v1, s14, v0
	v_mul_lo_u32 v0, v1, s12
	v_sub_u32_e32 v2, v18, v0
	v_mul_lo_u32 v0, v2, s8
	v_mul_lo_u32 v4, v2, s9
	;; [unrolled: 1-line block ×3, first 2 shown]
	s_cbranch_vccnz .LBB157_122
; %bb.121:
	v_mul_hi_u32 v3, s26, v1
	v_add_u32_e32 v3, v1, v3
	v_lshrrev_b32_e32 v3, s27, v3
	v_mul_lo_u32 v3, v3, s15
	v_sub_u32_e32 v3, v1, v3
	v_mad_u64_u32 v[0:1], s[0:1], v3, s11, v[0:1]
	v_mad_u64_u32 v[4:5], s[0:1], v3, s24, v[4:5]
	;; [unrolled: 1-line block ×3, first 2 shown]
.LBB157_122:
	s_waitcnt lgkmcnt(0)
	global_load_ubyte v1, v4, s[6:7]
	global_load_ubyte v3, v2, s[22:23]
	s_cmp_lt_i32 s45, 1
	s_mov_b64 s[36:37], 0
	s_waitcnt vmcnt(1)
	v_cmp_ne_u16_e64 s[0:1], 0, v1
	s_waitcnt vmcnt(0)
	v_cmp_ne_u16_e64 s[2:3], 0, v3
	s_cbranch_scc1 .LBB157_126
; %bb.123:
	s_cmp_gt_i32 s45, 1
	s_cbranch_scc0 .LBB157_127
; %bb.124:
	s_cmp_eq_u32 s45, 2
	s_cbranch_scc0 .LBB157_426
; %bb.125:
	s_xor_b64 s[38:39], s[0:1], -1
	s_or_b64 s[38:39], s[2:3], s[38:39]
	s_mov_b64 s[40:41], 0
	s_branch .LBB157_129
.LBB157_126:
                                        ; implicit-def: $sgpr38_sgpr39
	s_mov_b64 s[40:41], 0
	s_cbranch_execnz .LBB157_130
	s_branch .LBB157_131
.LBB157_127:
	s_mov_b64 s[40:41], 0
                                        ; implicit-def: $sgpr38_sgpr39
	s_cbranch_execz .LBB157_129
; %bb.128:
	s_xor_b64 s[42:43], s[2:3], -1
	s_and_b64 s[42:43], s[0:1], s[42:43]
	s_andn2_b64 s[38:39], s[38:39], exec
	s_and_b64 s[42:43], s[42:43], exec
	s_or_b64 s[38:39], s[38:39], s[42:43]
.LBB157_129:
	s_branch .LBB157_131
.LBB157_130:
	s_cmp_lg_u32 s45, 0
	s_mov_b64 s[36:37], -1
	s_cselect_b64 s[40:41], -1, 0
.LBB157_131:
	s_andn2_b64 vcc, exec, s[40:41]
	s_cbranch_vccz .LBB157_141
; %bb.132:
	s_andn2_b64 vcc, exec, s[36:37]
	s_cbranch_vccnz .LBB157_134
.LBB157_133:
	s_xor_b64 s[2:3], s[2:3], -1
	s_or_b64 s[0:1], s[0:1], s[2:3]
	s_andn2_b64 s[2:3], s[38:39], exec
	s_and_b64 s[0:1], s[0:1], exec
	s_or_b64 s[38:39], s[2:3], s[0:1]
.LBB157_134:
	v_cndmask_b32_e64 v1, 0, 1, s[38:39]
	v_add_u32_e32 v18, 0x80, v18
	global_store_byte v0, v1, s[4:5]
	s_or_b64 exec, exec, s[34:35]
	v_cmp_gt_i32_e32 vcc, s47, v18
	s_and_saveexec_b64 s[34:35], vcc
	s_cbranch_execz .LBB157_7
.LBB157_135:
	s_andn2_b64 vcc, exec, s[18:19]
	s_cbranch_vccnz .LBB157_142
; %bb.136:
	s_andn2_b64 vcc, exec, s[30:31]
	s_cbranch_vccnz .LBB157_143
; %bb.137:
	s_add_i32 s0, s46, 1
	s_and_b32 s2, s0, 30
	s_add_u32 s0, s16, 0xffffffe8
	s_addc_u32 s1, s17, -1
	v_mov_b32_e32 v2, 0
	v_mov_b32_e32 v4, 0
	;; [unrolled: 1-line block ×4, first 2 shown]
.LBB157_138:                            ; =>This Inner Loop Header: Depth=1
	s_load_dwordx4 s[36:39], s[0:1], 0x1c
	s_load_dwordx2 s[48:49], s[0:1], 0x2c
	s_load_dwordx2 s[50:51], s[0:1], 0xec
	s_load_dwordx4 s[40:43], s[0:1], 0xdc
	s_add_u32 s0, s0, 24
	s_waitcnt lgkmcnt(0)
	v_mul_hi_u32 v3, s37, v1
	s_addc_u32 s1, s1, 0
	s_add_i32 s2, s2, -2
	s_cmp_eq_u32 s2, 0
	v_add_u32_e32 v3, v1, v3
	v_lshrrev_b32_e32 v3, s38, v3
	v_mul_lo_u32 v5, v3, s36
	v_mul_hi_u32 v6, s48, v3
	v_sub_u32_e32 v5, v1, v5
	v_add_u32_e32 v1, v3, v6
	v_lshrrev_b32_e32 v1, s49, v1
	v_mul_lo_u32 v8, v1, s39
	v_mul_lo_u32 v6, v5, s40
	;; [unrolled: 1-line block ×4, first 2 shown]
	v_sub_u32_e32 v3, v3, v8
	v_mul_lo_u32 v8, v3, s43
	v_mul_lo_u32 v9, v3, s50
	;; [unrolled: 1-line block ×3, first 2 shown]
	v_add3_u32 v0, v6, v0, v8
	v_add3_u32 v4, v7, v4, v9
	;; [unrolled: 1-line block ×3, first 2 shown]
	s_cbranch_scc0 .LBB157_138
; %bb.139:
	s_bitcmp1_b32 s46, 0
	s_cselect_b64 s[2:3], -1, 0
	s_and_b64 vcc, exec, s[2:3]
	s_cbranch_vccnz .LBB157_144
; %bb.140:
	s_load_dwordx2 s[2:3], s[0:1], 0x1c
	s_load_dword s38, s[0:1], 0x24
	s_load_dwordx2 s[36:37], s[0:1], 0xdc
	s_waitcnt lgkmcnt(0)
	v_mul_hi_u32 v3, s3, v1
	v_add_u32_e32 v3, v1, v3
	v_lshrrev_b32_e32 v3, s38, v3
	v_mul_lo_u32 v3, v3, s2
	s_load_dword s2, s[0:1], 0xe4
	v_sub_u32_e32 v3, v1, v3
	v_mad_u64_u32 v[0:1], s[0:1], v3, s36, v[0:1]
	v_mad_u64_u32 v[4:5], s[0:1], v3, s37, v[4:5]
	s_waitcnt lgkmcnt(0)
	v_mad_u64_u32 v[2:3], s[0:1], v3, s2, v[2:3]
	s_branch .LBB157_144
.LBB157_141:
	s_xor_b64 s[36:37], s[0:1], -1
	s_and_b64 s[40:41], s[2:3], s[36:37]
	s_andn2_b64 s[38:39], s[38:39], exec
	s_and_b64 s[40:41], s[40:41], exec
	s_or_b64 s[38:39], s[38:39], s[40:41]
	s_cbranch_execz .LBB157_133
	s_branch .LBB157_134
.LBB157_142:
                                        ; implicit-def: $vgpr0
                                        ; implicit-def: $vgpr4
                                        ; implicit-def: $vgpr2
	s_branch .LBB157_145
.LBB157_143:
	v_mov_b32_e32 v0, 0
	v_mov_b32_e32 v4, 0
	;; [unrolled: 1-line block ×3, first 2 shown]
.LBB157_144:
	s_cbranch_execnz .LBB157_147
.LBB157_145:
	s_waitcnt lgkmcnt(0)
	v_mul_hi_u32 v0, s13, v18
	s_andn2_b64 vcc, exec, s[28:29]
	v_add_u32_e32 v0, v18, v0
	v_lshrrev_b32_e32 v1, s14, v0
	v_mul_lo_u32 v0, v1, s12
	v_sub_u32_e32 v2, v18, v0
	v_mul_lo_u32 v0, v2, s8
	v_mul_lo_u32 v4, v2, s9
	;; [unrolled: 1-line block ×3, first 2 shown]
	s_cbranch_vccnz .LBB157_147
; %bb.146:
	v_mul_hi_u32 v3, s26, v1
	v_add_u32_e32 v3, v1, v3
	v_lshrrev_b32_e32 v3, s27, v3
	v_mul_lo_u32 v3, v3, s15
	v_sub_u32_e32 v3, v1, v3
	v_mad_u64_u32 v[0:1], s[0:1], v3, s11, v[0:1]
	v_mad_u64_u32 v[4:5], s[0:1], v3, s24, v[4:5]
	;; [unrolled: 1-line block ×3, first 2 shown]
.LBB157_147:
	s_waitcnt lgkmcnt(0)
	global_load_ubyte v1, v4, s[6:7]
	global_load_ubyte v3, v2, s[22:23]
	s_cmp_lt_i32 s45, 1
	s_mov_b64 s[36:37], 0
	s_waitcnt vmcnt(1)
	v_cmp_ne_u16_e64 s[0:1], 0, v1
	s_waitcnt vmcnt(0)
	v_cmp_ne_u16_e64 s[2:3], 0, v3
	s_cbranch_scc1 .LBB157_151
; %bb.148:
	s_cmp_gt_i32 s45, 1
	s_cbranch_scc0 .LBB157_152
; %bb.149:
	s_cmp_eq_u32 s45, 2
	s_cbranch_scc0 .LBB157_427
; %bb.150:
	s_xor_b64 s[38:39], s[0:1], -1
	s_or_b64 s[38:39], s[2:3], s[38:39]
	s_mov_b64 s[40:41], 0
	s_branch .LBB157_154
.LBB157_151:
                                        ; implicit-def: $sgpr38_sgpr39
	s_mov_b64 s[40:41], 0
	s_cbranch_execnz .LBB157_155
	s_branch .LBB157_156
.LBB157_152:
	s_mov_b64 s[40:41], 0
                                        ; implicit-def: $sgpr38_sgpr39
	s_cbranch_execz .LBB157_154
; %bb.153:
	s_xor_b64 s[42:43], s[2:3], -1
	s_and_b64 s[42:43], s[0:1], s[42:43]
	s_andn2_b64 s[38:39], s[38:39], exec
	s_and_b64 s[42:43], s[42:43], exec
	s_or_b64 s[38:39], s[38:39], s[42:43]
.LBB157_154:
	s_branch .LBB157_156
.LBB157_155:
	s_cmp_lg_u32 s45, 0
	s_mov_b64 s[36:37], -1
	s_cselect_b64 s[40:41], -1, 0
.LBB157_156:
	s_andn2_b64 vcc, exec, s[40:41]
	s_cbranch_vccz .LBB157_166
; %bb.157:
	s_andn2_b64 vcc, exec, s[36:37]
	s_cbranch_vccnz .LBB157_159
.LBB157_158:
	s_xor_b64 s[2:3], s[2:3], -1
	s_or_b64 s[0:1], s[0:1], s[2:3]
	s_andn2_b64 s[2:3], s[38:39], exec
	s_and_b64 s[0:1], s[0:1], exec
	s_or_b64 s[38:39], s[2:3], s[0:1]
.LBB157_159:
	v_cndmask_b32_e64 v1, 0, 1, s[38:39]
	v_add_u32_e32 v18, 0x80, v18
	global_store_byte v0, v1, s[4:5]
	s_or_b64 exec, exec, s[34:35]
	v_cmp_gt_i32_e32 vcc, s47, v18
	s_and_saveexec_b64 s[34:35], vcc
	s_cbranch_execz .LBB157_8
.LBB157_160:
	s_andn2_b64 vcc, exec, s[18:19]
	s_cbranch_vccnz .LBB157_167
; %bb.161:
	s_andn2_b64 vcc, exec, s[30:31]
	s_cbranch_vccnz .LBB157_168
; %bb.162:
	s_add_i32 s0, s46, 1
	s_and_b32 s2, s0, 30
	s_add_u32 s0, s16, 0xffffffe8
	s_addc_u32 s1, s17, -1
	v_mov_b32_e32 v2, 0
	v_mov_b32_e32 v4, 0
	;; [unrolled: 1-line block ×4, first 2 shown]
.LBB157_163:                            ; =>This Inner Loop Header: Depth=1
	s_load_dwordx4 s[36:39], s[0:1], 0x1c
	s_load_dwordx2 s[48:49], s[0:1], 0x2c
	s_load_dwordx2 s[50:51], s[0:1], 0xec
	s_load_dwordx4 s[40:43], s[0:1], 0xdc
	s_add_u32 s0, s0, 24
	s_waitcnt lgkmcnt(0)
	v_mul_hi_u32 v3, s37, v1
	s_addc_u32 s1, s1, 0
	s_add_i32 s2, s2, -2
	s_cmp_eq_u32 s2, 0
	v_add_u32_e32 v3, v1, v3
	v_lshrrev_b32_e32 v3, s38, v3
	v_mul_lo_u32 v5, v3, s36
	v_mul_hi_u32 v6, s48, v3
	v_sub_u32_e32 v5, v1, v5
	v_add_u32_e32 v1, v3, v6
	v_lshrrev_b32_e32 v1, s49, v1
	v_mul_lo_u32 v8, v1, s39
	v_mul_lo_u32 v6, v5, s40
	;; [unrolled: 1-line block ×4, first 2 shown]
	v_sub_u32_e32 v3, v3, v8
	v_mul_lo_u32 v8, v3, s43
	v_mul_lo_u32 v9, v3, s50
	;; [unrolled: 1-line block ×3, first 2 shown]
	v_add3_u32 v0, v6, v0, v8
	v_add3_u32 v4, v7, v4, v9
	;; [unrolled: 1-line block ×3, first 2 shown]
	s_cbranch_scc0 .LBB157_163
; %bb.164:
	s_bitcmp1_b32 s46, 0
	s_cselect_b64 s[2:3], -1, 0
	s_and_b64 vcc, exec, s[2:3]
	s_cbranch_vccnz .LBB157_169
; %bb.165:
	s_load_dwordx2 s[2:3], s[0:1], 0x1c
	s_load_dword s38, s[0:1], 0x24
	s_load_dwordx2 s[36:37], s[0:1], 0xdc
	s_waitcnt lgkmcnt(0)
	v_mul_hi_u32 v3, s3, v1
	v_add_u32_e32 v3, v1, v3
	v_lshrrev_b32_e32 v3, s38, v3
	v_mul_lo_u32 v3, v3, s2
	s_load_dword s2, s[0:1], 0xe4
	v_sub_u32_e32 v3, v1, v3
	v_mad_u64_u32 v[0:1], s[0:1], v3, s36, v[0:1]
	v_mad_u64_u32 v[4:5], s[0:1], v3, s37, v[4:5]
	s_waitcnt lgkmcnt(0)
	v_mad_u64_u32 v[2:3], s[0:1], v3, s2, v[2:3]
	s_branch .LBB157_169
.LBB157_166:
	s_xor_b64 s[36:37], s[0:1], -1
	s_and_b64 s[40:41], s[2:3], s[36:37]
	s_andn2_b64 s[38:39], s[38:39], exec
	s_and_b64 s[40:41], s[40:41], exec
	s_or_b64 s[38:39], s[38:39], s[40:41]
	s_cbranch_execz .LBB157_158
	s_branch .LBB157_159
.LBB157_167:
                                        ; implicit-def: $vgpr0
                                        ; implicit-def: $vgpr4
                                        ; implicit-def: $vgpr2
	s_branch .LBB157_170
.LBB157_168:
	v_mov_b32_e32 v0, 0
	v_mov_b32_e32 v4, 0
	;; [unrolled: 1-line block ×3, first 2 shown]
.LBB157_169:
	s_cbranch_execnz .LBB157_172
.LBB157_170:
	s_waitcnt lgkmcnt(0)
	v_mul_hi_u32 v0, s13, v18
	s_andn2_b64 vcc, exec, s[28:29]
	v_add_u32_e32 v0, v18, v0
	v_lshrrev_b32_e32 v1, s14, v0
	v_mul_lo_u32 v0, v1, s12
	v_sub_u32_e32 v2, v18, v0
	v_mul_lo_u32 v0, v2, s8
	v_mul_lo_u32 v4, v2, s9
	;; [unrolled: 1-line block ×3, first 2 shown]
	s_cbranch_vccnz .LBB157_172
; %bb.171:
	v_mul_hi_u32 v3, s26, v1
	v_add_u32_e32 v3, v1, v3
	v_lshrrev_b32_e32 v3, s27, v3
	v_mul_lo_u32 v3, v3, s15
	v_sub_u32_e32 v3, v1, v3
	v_mad_u64_u32 v[0:1], s[0:1], v3, s11, v[0:1]
	v_mad_u64_u32 v[4:5], s[0:1], v3, s24, v[4:5]
	;; [unrolled: 1-line block ×3, first 2 shown]
.LBB157_172:
	s_waitcnt lgkmcnt(0)
	global_load_ubyte v1, v4, s[6:7]
	global_load_ubyte v3, v2, s[22:23]
	s_cmp_lt_i32 s45, 1
	s_mov_b64 s[36:37], 0
	s_waitcnt vmcnt(1)
	v_cmp_ne_u16_e64 s[0:1], 0, v1
	s_waitcnt vmcnt(0)
	v_cmp_ne_u16_e64 s[2:3], 0, v3
	s_cbranch_scc1 .LBB157_176
; %bb.173:
	s_cmp_gt_i32 s45, 1
	s_cbranch_scc0 .LBB157_177
; %bb.174:
	s_cmp_eq_u32 s45, 2
	s_cbranch_scc0 .LBB157_428
; %bb.175:
	s_xor_b64 s[38:39], s[0:1], -1
	s_or_b64 s[38:39], s[2:3], s[38:39]
	s_mov_b64 s[40:41], 0
	s_branch .LBB157_179
.LBB157_176:
                                        ; implicit-def: $sgpr38_sgpr39
	s_mov_b64 s[40:41], 0
	s_cbranch_execnz .LBB157_180
	s_branch .LBB157_181
.LBB157_177:
	s_mov_b64 s[40:41], 0
                                        ; implicit-def: $sgpr38_sgpr39
	s_cbranch_execz .LBB157_179
; %bb.178:
	s_xor_b64 s[42:43], s[2:3], -1
	s_and_b64 s[42:43], s[0:1], s[42:43]
	s_andn2_b64 s[38:39], s[38:39], exec
	s_and_b64 s[42:43], s[42:43], exec
	s_or_b64 s[38:39], s[38:39], s[42:43]
.LBB157_179:
	s_branch .LBB157_181
.LBB157_180:
	s_cmp_lg_u32 s45, 0
	s_mov_b64 s[36:37], -1
	s_cselect_b64 s[40:41], -1, 0
.LBB157_181:
	s_andn2_b64 vcc, exec, s[40:41]
	s_cbranch_vccz .LBB157_191
; %bb.182:
	s_andn2_b64 vcc, exec, s[36:37]
	s_cbranch_vccnz .LBB157_184
.LBB157_183:
	s_xor_b64 s[2:3], s[2:3], -1
	s_or_b64 s[0:1], s[0:1], s[2:3]
	s_andn2_b64 s[2:3], s[38:39], exec
	s_and_b64 s[0:1], s[0:1], exec
	s_or_b64 s[38:39], s[2:3], s[0:1]
.LBB157_184:
	v_cndmask_b32_e64 v1, 0, 1, s[38:39]
	v_add_u32_e32 v18, 0x80, v18
	global_store_byte v0, v1, s[4:5]
	s_or_b64 exec, exec, s[34:35]
	v_cmp_gt_i32_e32 vcc, s47, v18
	s_and_saveexec_b64 s[34:35], vcc
	s_cbranch_execz .LBB157_210
.LBB157_185:
	s_andn2_b64 vcc, exec, s[18:19]
	s_cbranch_vccnz .LBB157_192
; %bb.186:
	s_andn2_b64 vcc, exec, s[30:31]
	s_cbranch_vccnz .LBB157_193
; %bb.187:
	s_add_i32 s0, s46, 1
	s_and_b32 s2, s0, 30
	s_add_u32 s0, s16, 0xffffffe8
	s_addc_u32 s1, s17, -1
	v_mov_b32_e32 v4, 0
	v_mov_b32_e32 v2, 0
	;; [unrolled: 1-line block ×4, first 2 shown]
.LBB157_188:                            ; =>This Inner Loop Header: Depth=1
	s_load_dwordx4 s[36:39], s[0:1], 0x1c
	s_load_dwordx2 s[30:31], s[0:1], 0x2c
	s_load_dwordx2 s[48:49], s[0:1], 0xec
	s_load_dwordx4 s[40:43], s[0:1], 0xdc
	s_add_u32 s0, s0, 24
	s_waitcnt lgkmcnt(0)
	v_mul_hi_u32 v3, s37, v1
	s_addc_u32 s1, s1, 0
	s_add_i32 s2, s2, -2
	s_cmp_eq_u32 s2, 0
	v_add_u32_e32 v3, v1, v3
	v_lshrrev_b32_e32 v3, s38, v3
	v_mul_lo_u32 v5, v3, s36
	v_mul_hi_u32 v6, s30, v3
	v_sub_u32_e32 v5, v1, v5
	v_add_u32_e32 v1, v3, v6
	v_lshrrev_b32_e32 v1, s31, v1
	v_mul_lo_u32 v8, v1, s39
	v_mul_lo_u32 v6, v5, s40
	;; [unrolled: 1-line block ×4, first 2 shown]
	v_sub_u32_e32 v3, v3, v8
	v_mul_lo_u32 v8, v3, s43
	v_mul_lo_u32 v9, v3, s48
	v_mul_lo_u32 v3, v3, s49
	v_add3_u32 v0, v6, v0, v8
	v_add3_u32 v2, v7, v2, v9
	;; [unrolled: 1-line block ×3, first 2 shown]
	s_cbranch_scc0 .LBB157_188
; %bb.189:
	s_bitcmp1_b32 s46, 0
	s_cselect_b64 s[2:3], -1, 0
	s_and_b64 vcc, exec, s[2:3]
	s_cbranch_vccnz .LBB157_194
; %bb.190:
	s_load_dwordx2 s[2:3], s[0:1], 0x1c
	s_load_dword s36, s[0:1], 0x24
	s_load_dwordx2 s[30:31], s[0:1], 0xdc
	s_waitcnt lgkmcnt(0)
	v_mul_hi_u32 v3, s3, v1
	v_add_u32_e32 v3, v1, v3
	v_lshrrev_b32_e32 v3, s36, v3
	v_mul_lo_u32 v3, v3, s2
	s_load_dword s2, s[0:1], 0xe4
	v_sub_u32_e32 v5, v1, v3
	v_mad_u64_u32 v[0:1], s[0:1], v5, s30, v[0:1]
	v_mad_u64_u32 v[2:3], s[0:1], v5, s31, v[2:3]
	s_waitcnt lgkmcnt(0)
	v_mad_u64_u32 v[4:5], s[0:1], v5, s2, v[4:5]
	s_branch .LBB157_194
.LBB157_191:
	s_xor_b64 s[36:37], s[0:1], -1
	s_and_b64 s[40:41], s[2:3], s[36:37]
	s_andn2_b64 s[38:39], s[38:39], exec
	s_and_b64 s[40:41], s[40:41], exec
	s_or_b64 s[38:39], s[38:39], s[40:41]
	s_cbranch_execz .LBB157_183
	s_branch .LBB157_184
.LBB157_192:
                                        ; implicit-def: $vgpr0
                                        ; implicit-def: $vgpr2
                                        ; implicit-def: $vgpr4
	s_branch .LBB157_195
.LBB157_193:
	v_mov_b32_e32 v0, 0
	v_mov_b32_e32 v2, 0
	;; [unrolled: 1-line block ×3, first 2 shown]
.LBB157_194:
	s_cbranch_execnz .LBB157_197
.LBB157_195:
	s_waitcnt lgkmcnt(0)
	v_mul_hi_u32 v0, s13, v18
	s_andn2_b64 vcc, exec, s[28:29]
	v_add_u32_e32 v0, v18, v0
	v_lshrrev_b32_e32 v1, s14, v0
	v_mul_lo_u32 v0, v1, s12
	v_sub_u32_e32 v3, v18, v0
	v_mul_lo_u32 v0, v3, s8
	v_mul_lo_u32 v2, v3, s9
	;; [unrolled: 1-line block ×3, first 2 shown]
	s_cbranch_vccnz .LBB157_197
; %bb.196:
	v_mul_hi_u32 v3, s26, v1
	v_add_u32_e32 v3, v1, v3
	v_lshrrev_b32_e32 v3, s27, v3
	v_mul_lo_u32 v3, v3, s15
	v_sub_u32_e32 v5, v1, v3
	v_mad_u64_u32 v[0:1], s[0:1], v5, s11, v[0:1]
	v_mad_u64_u32 v[2:3], s[0:1], v5, s24, v[2:3]
	;; [unrolled: 1-line block ×3, first 2 shown]
.LBB157_197:
	s_waitcnt lgkmcnt(0)
	global_load_ubyte v1, v2, s[6:7]
	global_load_ubyte v3, v4, s[22:23]
	s_cmp_lt_i32 s45, 1
	s_mov_b64 s[6:7], 0
	s_waitcnt vmcnt(1)
	v_cmp_ne_u16_e64 s[0:1], 0, v1
	s_waitcnt vmcnt(0)
	v_cmp_ne_u16_e64 s[2:3], 0, v3
	s_cbranch_scc1 .LBB157_201
; %bb.198:
	s_cmp_gt_i32 s45, 1
	s_cbranch_scc0 .LBB157_202
; %bb.199:
	s_cmp_eq_u32 s45, 2
	s_cbranch_scc0 .LBB157_429
; %bb.200:
	s_xor_b64 s[8:9], s[0:1], -1
	s_or_b64 s[8:9], s[2:3], s[8:9]
	s_mov_b64 s[10:11], 0
	s_branch .LBB157_204
.LBB157_201:
                                        ; implicit-def: $sgpr8_sgpr9
	s_mov_b64 s[10:11], 0
	s_cbranch_execnz .LBB157_205
	s_branch .LBB157_206
.LBB157_202:
	s_mov_b64 s[10:11], 0
                                        ; implicit-def: $sgpr8_sgpr9
	s_cbranch_execz .LBB157_204
; %bb.203:
	s_xor_b64 s[12:13], s[2:3], -1
	s_and_b64 s[12:13], s[0:1], s[12:13]
	s_andn2_b64 s[8:9], s[8:9], exec
	s_and_b64 s[12:13], s[12:13], exec
	s_or_b64 s[8:9], s[8:9], s[12:13]
.LBB157_204:
	s_branch .LBB157_206
.LBB157_205:
	s_cmp_lg_u32 s45, 0
	s_mov_b64 s[6:7], -1
	s_cselect_b64 s[10:11], -1, 0
.LBB157_206:
	s_andn2_b64 vcc, exec, s[10:11]
	s_cbranch_vccz .LBB157_220
; %bb.207:
	s_andn2_b64 vcc, exec, s[6:7]
	s_cbranch_vccnz .LBB157_209
.LBB157_208:
	s_xor_b64 s[2:3], s[2:3], -1
	s_or_b64 s[0:1], s[0:1], s[2:3]
	s_andn2_b64 s[2:3], s[8:9], exec
	s_and_b64 s[0:1], s[0:1], exec
	s_or_b64 s[8:9], s[2:3], s[0:1]
.LBB157_209:
	v_cndmask_b32_e64 v1, 0, 1, s[8:9]
	global_store_byte v0, v1, s[4:5]
.LBB157_210:
	s_or_b64 exec, exec, s[34:35]
                                        ; implicit-def: $vgpr37
                                        ; implicit-def: $vgpr18
.LBB157_211:
	s_andn2_saveexec_b64 s[0:1], s[20:21]
	s_cbranch_execz .LBB157_218
; %bb.212:
	v_cndmask_b32_e64 v0, 0, 1, s[18:19]
	v_cmp_ne_u32_e64 s[0:1], 1, v0
	s_andn2_b64 vcc, exec, s[18:19]
	s_cbranch_vccnz .LBB157_219
; %bb.213:
	s_cmp_lg_u32 s33, 0
	s_cbranch_scc0 .LBB157_221
; %bb.214:
	s_waitcnt lgkmcnt(0)
	s_min_u32 s4, s44, 15
	s_add_i32 s2, s4, 1
	s_and_b32 s5, s2, 30
	s_add_u32 s2, s16, 0xffffffe8
	s_addc_u32 s3, s17, -1
	v_mov_b32_e32 v6, 0
	v_mov_b32_e32 v8, 0
	v_mov_b32_e32 v0, 0
	v_mov_b32_e32 v1, v18
.LBB157_215:                            ; =>This Inner Loop Header: Depth=1
	s_load_dwordx4 s[8:11], s[2:3], 0x1c
	s_load_dwordx2 s[6:7], s[2:3], 0x2c
	s_load_dwordx2 s[18:19], s[2:3], 0xec
	s_load_dwordx4 s[12:15], s[2:3], 0xdc
	s_add_u32 s2, s2, 24
	s_waitcnt lgkmcnt(0)
	v_mul_hi_u32 v2, s9, v1
	s_addc_u32 s3, s3, 0
	s_add_i32 s5, s5, -2
	s_cmp_lg_u32 s5, 0
	v_add_u32_e32 v2, v1, v2
	v_lshrrev_b32_e32 v2, s10, v2
	v_mul_lo_u32 v3, v2, s8
	v_mul_hi_u32 v4, s6, v2
	v_sub_u32_e32 v3, v1, v3
	v_add_u32_e32 v1, v2, v4
	v_lshrrev_b32_e32 v1, s7, v1
	v_mul_lo_u32 v7, v1, s11
	v_mul_lo_u32 v4, v3, s12
	;; [unrolled: 1-line block ×4, first 2 shown]
	v_sub_u32_e32 v2, v2, v7
	v_mul_lo_u32 v7, v2, s15
	v_mul_lo_u32 v9, v2, s18
	;; [unrolled: 1-line block ×3, first 2 shown]
	v_add3_u32 v0, v4, v0, v7
	v_add3_u32 v8, v5, v8, v9
	;; [unrolled: 1-line block ×3, first 2 shown]
	s_cbranch_scc1 .LBB157_215
; %bb.216:
	s_bitcmp1_b32 s4, 0
	s_cselect_b64 s[4:5], -1, 0
	s_and_b64 vcc, exec, s[4:5]
	s_cbranch_vccnz .LBB157_222
; %bb.217:
	s_load_dwordx2 s[4:5], s[2:3], 0x1c
	s_load_dword s8, s[2:3], 0x24
	s_load_dwordx2 s[6:7], s[2:3], 0xdc
	s_waitcnt lgkmcnt(0)
	v_mul_hi_u32 v2, s5, v1
	v_add_u32_e32 v2, v1, v2
	v_lshrrev_b32_e32 v2, s8, v2
	v_mul_lo_u32 v2, v2, s4
	s_load_dword s4, s[2:3], 0xe4
	v_sub_u32_e32 v2, v1, v2
	v_mad_u64_u32 v[0:1], s[2:3], v2, s6, v[0:1]
	v_mad_u64_u32 v[8:9], s[2:3], v2, s7, v[8:9]
	s_waitcnt lgkmcnt(0)
	v_mad_u64_u32 v[6:7], s[2:3], v2, s4, v[6:7]
	s_cbranch_execz .LBB157_223
	s_branch .LBB157_225
.LBB157_218:
	s_endpgm
.LBB157_219:
                                        ; implicit-def: $vgpr0
                                        ; implicit-def: $vgpr8
                                        ; implicit-def: $vgpr6
	s_branch .LBB157_223
.LBB157_220:
	s_xor_b64 s[6:7], s[0:1], -1
	s_and_b64 s[10:11], s[2:3], s[6:7]
	s_andn2_b64 s[8:9], s[8:9], exec
	s_and_b64 s[10:11], s[10:11], exec
	s_or_b64 s[8:9], s[8:9], s[10:11]
	s_cbranch_execz .LBB157_208
	s_branch .LBB157_209
.LBB157_221:
	v_mov_b32_e32 v0, 0
	v_mov_b32_e32 v8, 0
	;; [unrolled: 1-line block ×3, first 2 shown]
.LBB157_222:
	s_cbranch_execnz .LBB157_225
.LBB157_223:
	s_waitcnt lgkmcnt(0)
	s_load_dwordx4 s[4:7], s[16:17], 0x4
	s_load_dwordx4 s[8:11], s[16:17], 0xc4
	s_cmp_lt_u32 s33, 2
	s_waitcnt lgkmcnt(0)
	v_mul_hi_u32 v0, s5, v18
	v_add_u32_e32 v0, v18, v0
	v_lshrrev_b32_e32 v1, s6, v0
	v_mul_lo_u32 v0, v1, s4
	v_sub_u32_e32 v2, v18, v0
	v_mul_lo_u32 v0, v2, s8
	v_mul_lo_u32 v8, v2, s9
	;; [unrolled: 1-line block ×3, first 2 shown]
	s_cbranch_scc1 .LBB157_225
; %bb.224:
	s_load_dwordx4 s[4:7], s[16:17], 0x10
	s_load_dwordx4 s[8:11], s[16:17], 0xd0
	s_waitcnt lgkmcnt(0)
	v_mul_hi_u32 v2, s5, v1
	v_add_u32_e32 v2, v1, v2
	v_lshrrev_b32_e32 v2, s6, v2
	v_mul_lo_u32 v2, v2, s4
	v_sub_u32_e32 v2, v1, v2
	v_mad_u64_u32 v[0:1], s[2:3], v2, s8, v[0:1]
	v_mad_u64_u32 v[8:9], s[2:3], v2, s9, v[8:9]
	;; [unrolled: 1-line block ×3, first 2 shown]
.LBB157_225:
	s_and_b64 vcc, exec, s[0:1]
	v_add_u32_e32 v3, 0x80, v18
	s_cbranch_vccnz .LBB157_231
; %bb.226:
	s_cmp_lg_u32 s33, 0
	s_cbranch_scc0 .LBB157_232
; %bb.227:
	s_waitcnt lgkmcnt(0)
	s_min_u32 s4, s44, 15
	s_add_i32 s2, s4, 1
	s_and_b32 s5, s2, 30
	s_add_u32 s2, s16, 0xffffffe8
	s_addc_u32 s3, s17, -1
	v_mov_b32_e32 v11, 0
	v_mov_b32_e32 v13, 0
	;; [unrolled: 1-line block ×4, first 2 shown]
.LBB157_228:                            ; =>This Inner Loop Header: Depth=1
	s_load_dwordx4 s[8:11], s[2:3], 0x1c
	s_load_dwordx2 s[6:7], s[2:3], 0x2c
	s_load_dwordx2 s[18:19], s[2:3], 0xec
	s_load_dwordx4 s[12:15], s[2:3], 0xdc
	s_add_u32 s2, s2, 24
	s_waitcnt lgkmcnt(0)
	v_mul_hi_u32 v4, s9, v2
	s_addc_u32 s3, s3, 0
	s_add_i32 s5, s5, -2
	s_cmp_lg_u32 s5, 0
	v_add_u32_e32 v4, v2, v4
	v_lshrrev_b32_e32 v4, s10, v4
	v_mul_lo_u32 v5, v4, s8
	v_mul_hi_u32 v7, s6, v4
	v_sub_u32_e32 v5, v2, v5
	v_add_u32_e32 v2, v4, v7
	v_lshrrev_b32_e32 v2, s7, v2
	v_mul_lo_u32 v10, v2, s11
	v_mul_lo_u32 v7, v5, s12
	;; [unrolled: 1-line block ×4, first 2 shown]
	v_sub_u32_e32 v4, v4, v10
	v_mul_lo_u32 v10, v4, s15
	v_mul_lo_u32 v12, v4, s18
	;; [unrolled: 1-line block ×3, first 2 shown]
	v_add3_u32 v1, v7, v1, v10
	v_add3_u32 v13, v9, v13, v12
	;; [unrolled: 1-line block ×3, first 2 shown]
	s_cbranch_scc1 .LBB157_228
; %bb.229:
	s_bitcmp1_b32 s4, 0
	s_cselect_b64 s[4:5], -1, 0
	s_and_b64 vcc, exec, s[4:5]
	s_cbranch_vccnz .LBB157_233
; %bb.230:
	s_load_dwordx2 s[4:5], s[2:3], 0x1c
	s_load_dword s8, s[2:3], 0x24
	s_load_dwordx2 s[6:7], s[2:3], 0xdc
	s_waitcnt lgkmcnt(0)
	v_mul_hi_u32 v4, s5, v2
	v_add_u32_e32 v4, v2, v4
	v_lshrrev_b32_e32 v4, s8, v4
	v_mul_lo_u32 v4, v4, s4
	s_load_dword s4, s[2:3], 0xe4
	v_sub_u32_e32 v4, v2, v4
	v_mad_u64_u32 v[1:2], s[2:3], v4, s6, v[1:2]
	v_mad_u64_u32 v[13:14], s[2:3], v4, s7, v[13:14]
	s_waitcnt lgkmcnt(0)
	v_mad_u64_u32 v[11:12], s[2:3], v4, s4, v[11:12]
	s_cbranch_execz .LBB157_234
	s_branch .LBB157_236
.LBB157_231:
                                        ; implicit-def: $vgpr1
                                        ; implicit-def: $vgpr13
                                        ; implicit-def: $vgpr11
	s_branch .LBB157_234
.LBB157_232:
	v_mov_b32_e32 v1, 0
	v_mov_b32_e32 v13, 0
	;; [unrolled: 1-line block ×3, first 2 shown]
.LBB157_233:
	s_cbranch_execnz .LBB157_236
.LBB157_234:
	s_waitcnt lgkmcnt(0)
	s_load_dwordx4 s[4:7], s[16:17], 0x4
	s_load_dwordx4 s[8:11], s[16:17], 0xc4
	s_cmp_lt_u32 s33, 2
	s_waitcnt lgkmcnt(0)
	v_mul_hi_u32 v1, s5, v3
	v_add_u32_e32 v1, v3, v1
	v_lshrrev_b32_e32 v2, s6, v1
	v_mul_lo_u32 v1, v2, s4
	v_sub_u32_e32 v3, v3, v1
	v_mul_lo_u32 v1, v3, s8
	v_mul_lo_u32 v13, v3, s9
	;; [unrolled: 1-line block ×3, first 2 shown]
	s_cbranch_scc1 .LBB157_236
; %bb.235:
	s_load_dwordx4 s[4:7], s[16:17], 0x10
	s_load_dwordx4 s[8:11], s[16:17], 0xd0
	s_waitcnt lgkmcnt(0)
	v_mul_hi_u32 v3, s5, v2
	v_add_u32_e32 v3, v2, v3
	v_lshrrev_b32_e32 v3, s6, v3
	v_mul_lo_u32 v3, v3, s4
	v_sub_u32_e32 v3, v2, v3
	v_mad_u64_u32 v[1:2], s[2:3], v3, s8, v[1:2]
	v_mad_u64_u32 v[13:14], s[2:3], v3, s9, v[13:14]
	;; [unrolled: 1-line block ×3, first 2 shown]
.LBB157_236:
	s_and_b64 vcc, exec, s[0:1]
	v_add_u32_e32 v4, 0x100, v18
	s_cbranch_vccnz .LBB157_242
; %bb.237:
	s_cmp_lg_u32 s33, 0
	s_cbranch_scc0 .LBB157_243
; %bb.238:
	s_waitcnt lgkmcnt(0)
	s_min_u32 s4, s44, 15
	s_add_i32 s2, s4, 1
	s_and_b32 s5, s2, 30
	s_add_u32 s2, s16, 0xffffffe8
	s_addc_u32 s3, s17, -1
	v_mov_b32_e32 v14, 0
	v_mov_b32_e32 v16, 0
	;; [unrolled: 1-line block ×4, first 2 shown]
.LBB157_239:                            ; =>This Inner Loop Header: Depth=1
	s_load_dwordx4 s[8:11], s[2:3], 0x1c
	s_load_dwordx2 s[6:7], s[2:3], 0x2c
	s_load_dwordx2 s[18:19], s[2:3], 0xec
	s_load_dwordx4 s[12:15], s[2:3], 0xdc
	s_add_u32 s2, s2, 24
	s_waitcnt lgkmcnt(0)
	v_mul_hi_u32 v5, s9, v3
	s_addc_u32 s3, s3, 0
	s_add_i32 s5, s5, -2
	s_cmp_lg_u32 s5, 0
	v_add_u32_e32 v5, v3, v5
	v_lshrrev_b32_e32 v5, s10, v5
	v_mul_lo_u32 v7, v5, s8
	v_mul_hi_u32 v9, s6, v5
	v_sub_u32_e32 v7, v3, v7
	v_add_u32_e32 v3, v5, v9
	v_lshrrev_b32_e32 v3, s7, v3
	v_mul_lo_u32 v12, v3, s11
	v_mul_lo_u32 v9, v7, s12
	;; [unrolled: 1-line block ×4, first 2 shown]
	v_sub_u32_e32 v5, v5, v12
	v_mul_lo_u32 v12, v5, s15
	v_mul_lo_u32 v15, v5, s18
	v_mul_lo_u32 v5, v5, s19
	v_add3_u32 v2, v9, v2, v12
	v_add3_u32 v16, v10, v16, v15
	v_add3_u32 v14, v7, v14, v5
	s_cbranch_scc1 .LBB157_239
; %bb.240:
	s_bitcmp1_b32 s4, 0
	s_cselect_b64 s[4:5], -1, 0
	s_and_b64 vcc, exec, s[4:5]
	s_cbranch_vccnz .LBB157_244
; %bb.241:
	s_load_dwordx2 s[4:5], s[2:3], 0x1c
	s_load_dword s8, s[2:3], 0x24
	s_load_dwordx2 s[6:7], s[2:3], 0xdc
	s_waitcnt lgkmcnt(0)
	v_mul_hi_u32 v5, s5, v3
	v_add_u32_e32 v5, v3, v5
	v_lshrrev_b32_e32 v5, s8, v5
	v_mul_lo_u32 v5, v5, s4
	s_load_dword s4, s[2:3], 0xe4
	v_sub_u32_e32 v5, v3, v5
	v_mad_u64_u32 v[2:3], s[2:3], v5, s6, v[2:3]
	v_mad_u64_u32 v[16:17], s[2:3], v5, s7, v[16:17]
	s_waitcnt lgkmcnt(0)
	v_mad_u64_u32 v[14:15], s[2:3], v5, s4, v[14:15]
	s_cbranch_execz .LBB157_245
	s_branch .LBB157_247
.LBB157_242:
                                        ; implicit-def: $vgpr2
                                        ; implicit-def: $vgpr16
                                        ; implicit-def: $vgpr14
	s_branch .LBB157_245
.LBB157_243:
	v_mov_b32_e32 v2, 0
	v_mov_b32_e32 v16, 0
	;; [unrolled: 1-line block ×3, first 2 shown]
.LBB157_244:
	s_cbranch_execnz .LBB157_247
.LBB157_245:
	s_waitcnt lgkmcnt(0)
	s_load_dwordx4 s[4:7], s[16:17], 0x4
	s_load_dwordx4 s[8:11], s[16:17], 0xc4
	s_cmp_lt_u32 s33, 2
	s_waitcnt lgkmcnt(0)
	v_mul_hi_u32 v2, s5, v4
	v_add_u32_e32 v2, v4, v2
	v_lshrrev_b32_e32 v3, s6, v2
	v_mul_lo_u32 v2, v3, s4
	v_sub_u32_e32 v4, v4, v2
	v_mul_lo_u32 v2, v4, s8
	v_mul_lo_u32 v16, v4, s9
	;; [unrolled: 1-line block ×3, first 2 shown]
	s_cbranch_scc1 .LBB157_247
; %bb.246:
	s_load_dwordx4 s[4:7], s[16:17], 0x10
	s_load_dwordx4 s[8:11], s[16:17], 0xd0
	s_waitcnt lgkmcnt(0)
	v_mul_hi_u32 v4, s5, v3
	v_add_u32_e32 v4, v3, v4
	v_lshrrev_b32_e32 v4, s6, v4
	v_mul_lo_u32 v4, v4, s4
	v_sub_u32_e32 v4, v3, v4
	v_mad_u64_u32 v[2:3], s[2:3], v4, s8, v[2:3]
	v_mad_u64_u32 v[16:17], s[2:3], v4, s9, v[16:17]
	;; [unrolled: 1-line block ×3, first 2 shown]
.LBB157_247:
	s_and_b64 vcc, exec, s[0:1]
	v_add_u32_e32 v5, 0x180, v18
	s_cbranch_vccnz .LBB157_253
; %bb.248:
	s_cmp_lg_u32 s33, 0
	s_cbranch_scc0 .LBB157_254
; %bb.249:
	s_waitcnt lgkmcnt(0)
	s_min_u32 s4, s44, 15
	s_add_i32 s2, s4, 1
	s_and_b32 s5, s2, 30
	s_add_u32 s2, s16, 0xffffffe8
	s_addc_u32 s3, s17, -1
	v_mov_b32_e32 v19, 0
	v_mov_b32_e32 v21, 0
	v_mov_b32_e32 v3, 0
	v_mov_b32_e32 v4, v5
.LBB157_250:                            ; =>This Inner Loop Header: Depth=1
	s_load_dwordx4 s[8:11], s[2:3], 0x1c
	s_load_dwordx2 s[6:7], s[2:3], 0x2c
	s_load_dwordx2 s[18:19], s[2:3], 0xec
	s_load_dwordx4 s[12:15], s[2:3], 0xdc
	s_add_u32 s2, s2, 24
	s_waitcnt lgkmcnt(0)
	v_mul_hi_u32 v7, s9, v4
	s_addc_u32 s3, s3, 0
	s_add_i32 s5, s5, -2
	s_cmp_lg_u32 s5, 0
	v_add_u32_e32 v7, v4, v7
	v_lshrrev_b32_e32 v7, s10, v7
	v_mul_lo_u32 v9, v7, s8
	v_mul_hi_u32 v10, s6, v7
	v_sub_u32_e32 v9, v4, v9
	v_add_u32_e32 v4, v7, v10
	v_lshrrev_b32_e32 v4, s7, v4
	v_mul_lo_u32 v15, v4, s11
	v_mul_lo_u32 v10, v9, s12
	;; [unrolled: 1-line block ×4, first 2 shown]
	v_sub_u32_e32 v7, v7, v15
	v_mul_lo_u32 v15, v7, s15
	v_mul_lo_u32 v17, v7, s18
	;; [unrolled: 1-line block ×3, first 2 shown]
	v_add3_u32 v3, v10, v3, v15
	v_add3_u32 v21, v12, v21, v17
	v_add3_u32 v19, v9, v19, v7
	s_cbranch_scc1 .LBB157_250
; %bb.251:
	s_bitcmp1_b32 s4, 0
	s_cselect_b64 s[4:5], -1, 0
	s_and_b64 vcc, exec, s[4:5]
	s_cbranch_vccnz .LBB157_255
; %bb.252:
	s_load_dwordx2 s[4:5], s[2:3], 0x1c
	s_load_dword s8, s[2:3], 0x24
	s_load_dwordx2 s[6:7], s[2:3], 0xdc
	s_waitcnt lgkmcnt(0)
	v_mul_hi_u32 v7, s5, v4
	v_add_u32_e32 v7, v4, v7
	v_lshrrev_b32_e32 v7, s8, v7
	v_mul_lo_u32 v7, v7, s4
	s_load_dword s4, s[2:3], 0xe4
	v_sub_u32_e32 v7, v4, v7
	v_mad_u64_u32 v[3:4], s[2:3], v7, s6, v[3:4]
	v_mad_u64_u32 v[21:22], s[2:3], v7, s7, v[21:22]
	s_waitcnt lgkmcnt(0)
	v_mad_u64_u32 v[19:20], s[2:3], v7, s4, v[19:20]
	s_cbranch_execz .LBB157_256
	s_branch .LBB157_258
.LBB157_253:
                                        ; implicit-def: $vgpr3
                                        ; implicit-def: $vgpr21
                                        ; implicit-def: $vgpr19
	s_branch .LBB157_256
.LBB157_254:
	v_mov_b32_e32 v3, 0
	v_mov_b32_e32 v21, 0
	;; [unrolled: 1-line block ×3, first 2 shown]
.LBB157_255:
	s_cbranch_execnz .LBB157_258
.LBB157_256:
	s_waitcnt lgkmcnt(0)
	s_load_dwordx4 s[4:7], s[16:17], 0x4
	s_load_dwordx4 s[8:11], s[16:17], 0xc4
	s_cmp_lt_u32 s33, 2
	s_waitcnt lgkmcnt(0)
	v_mul_hi_u32 v3, s5, v5
	v_add_u32_e32 v3, v5, v3
	v_lshrrev_b32_e32 v4, s6, v3
	v_mul_lo_u32 v3, v4, s4
	v_sub_u32_e32 v5, v5, v3
	v_mul_lo_u32 v3, v5, s8
	v_mul_lo_u32 v21, v5, s9
	;; [unrolled: 1-line block ×3, first 2 shown]
	s_cbranch_scc1 .LBB157_258
; %bb.257:
	s_load_dwordx4 s[4:7], s[16:17], 0x10
	s_load_dwordx4 s[8:11], s[16:17], 0xd0
	s_waitcnt lgkmcnt(0)
	v_mul_hi_u32 v5, s5, v4
	v_add_u32_e32 v5, v4, v5
	v_lshrrev_b32_e32 v5, s6, v5
	v_mul_lo_u32 v5, v5, s4
	v_sub_u32_e32 v5, v4, v5
	v_mad_u64_u32 v[3:4], s[2:3], v5, s8, v[3:4]
	v_mad_u64_u32 v[21:22], s[2:3], v5, s9, v[21:22]
	;; [unrolled: 1-line block ×3, first 2 shown]
.LBB157_258:
	s_and_b64 vcc, exec, s[0:1]
	v_add_u32_e32 v7, 0x200, v18
	s_cbranch_vccnz .LBB157_264
; %bb.259:
	s_cmp_lg_u32 s33, 0
	s_cbranch_scc0 .LBB157_265
; %bb.260:
	s_waitcnt lgkmcnt(0)
	s_min_u32 s4, s44, 15
	s_add_i32 s2, s4, 1
	s_and_b32 s5, s2, 30
	s_add_u32 s2, s16, 0xffffffe8
	s_addc_u32 s3, s17, -1
	v_mov_b32_e32 v22, 0
	v_mov_b32_e32 v24, 0
	;; [unrolled: 1-line block ×4, first 2 shown]
.LBB157_261:                            ; =>This Inner Loop Header: Depth=1
	s_load_dwordx4 s[8:11], s[2:3], 0x1c
	s_load_dwordx2 s[6:7], s[2:3], 0x2c
	s_load_dwordx2 s[18:19], s[2:3], 0xec
	s_load_dwordx4 s[12:15], s[2:3], 0xdc
	s_add_u32 s2, s2, 24
	s_waitcnt lgkmcnt(0)
	v_mul_hi_u32 v9, s9, v5
	s_addc_u32 s3, s3, 0
	s_add_i32 s5, s5, -2
	s_cmp_lg_u32 s5, 0
	v_add_u32_e32 v9, v5, v9
	v_lshrrev_b32_e32 v9, s10, v9
	v_mul_lo_u32 v10, v9, s8
	v_mul_hi_u32 v12, s6, v9
	v_sub_u32_e32 v10, v5, v10
	v_add_u32_e32 v5, v9, v12
	v_lshrrev_b32_e32 v5, s7, v5
	v_mul_lo_u32 v17, v5, s11
	v_mul_lo_u32 v12, v10, s12
	;; [unrolled: 1-line block ×4, first 2 shown]
	v_sub_u32_e32 v9, v9, v17
	v_mul_lo_u32 v17, v9, s15
	v_mul_lo_u32 v20, v9, s18
	;; [unrolled: 1-line block ×3, first 2 shown]
	v_add3_u32 v4, v12, v4, v17
	v_add3_u32 v24, v15, v24, v20
	;; [unrolled: 1-line block ×3, first 2 shown]
	s_cbranch_scc1 .LBB157_261
; %bb.262:
	s_bitcmp1_b32 s4, 0
	s_cselect_b64 s[4:5], -1, 0
	s_and_b64 vcc, exec, s[4:5]
	s_cbranch_vccnz .LBB157_266
; %bb.263:
	s_load_dwordx2 s[4:5], s[2:3], 0x1c
	s_load_dword s8, s[2:3], 0x24
	s_load_dwordx2 s[6:7], s[2:3], 0xdc
	s_waitcnt lgkmcnt(0)
	v_mul_hi_u32 v9, s5, v5
	v_add_u32_e32 v9, v5, v9
	v_lshrrev_b32_e32 v9, s8, v9
	v_mul_lo_u32 v9, v9, s4
	s_load_dword s4, s[2:3], 0xe4
	v_sub_u32_e32 v9, v5, v9
	v_mad_u64_u32 v[4:5], s[2:3], v9, s6, v[4:5]
	v_mad_u64_u32 v[24:25], s[2:3], v9, s7, v[24:25]
	s_waitcnt lgkmcnt(0)
	v_mad_u64_u32 v[22:23], s[2:3], v9, s4, v[22:23]
	s_cbranch_execz .LBB157_267
	s_branch .LBB157_269
.LBB157_264:
                                        ; implicit-def: $vgpr4
                                        ; implicit-def: $vgpr24
                                        ; implicit-def: $vgpr22
	s_branch .LBB157_267
.LBB157_265:
	v_mov_b32_e32 v4, 0
	v_mov_b32_e32 v24, 0
	;; [unrolled: 1-line block ×3, first 2 shown]
.LBB157_266:
	s_cbranch_execnz .LBB157_269
.LBB157_267:
	s_waitcnt lgkmcnt(0)
	s_load_dwordx4 s[4:7], s[16:17], 0x4
	s_load_dwordx4 s[8:11], s[16:17], 0xc4
	s_cmp_lt_u32 s33, 2
	s_waitcnt lgkmcnt(0)
	v_mul_hi_u32 v4, s5, v7
	v_add_u32_e32 v4, v7, v4
	v_lshrrev_b32_e32 v5, s6, v4
	v_mul_lo_u32 v4, v5, s4
	v_sub_u32_e32 v7, v7, v4
	v_mul_lo_u32 v4, v7, s8
	v_mul_lo_u32 v24, v7, s9
	v_mul_lo_u32 v22, v7, s10
	s_cbranch_scc1 .LBB157_269
; %bb.268:
	s_load_dwordx4 s[4:7], s[16:17], 0x10
	s_load_dwordx4 s[8:11], s[16:17], 0xd0
	s_waitcnt lgkmcnt(0)
	v_mul_hi_u32 v7, s5, v5
	v_add_u32_e32 v7, v5, v7
	v_lshrrev_b32_e32 v7, s6, v7
	v_mul_lo_u32 v7, v7, s4
	v_sub_u32_e32 v7, v5, v7
	v_mad_u64_u32 v[4:5], s[2:3], v7, s8, v[4:5]
	v_mad_u64_u32 v[24:25], s[2:3], v7, s9, v[24:25]
	;; [unrolled: 1-line block ×3, first 2 shown]
.LBB157_269:
	s_and_b64 vcc, exec, s[0:1]
	v_add_u32_e32 v5, 0x280, v18
	s_cbranch_vccnz .LBB157_275
; %bb.270:
	s_cmp_lg_u32 s33, 0
	s_cbranch_scc0 .LBB157_276
; %bb.271:
	s_waitcnt lgkmcnt(0)
	s_min_u32 s4, s44, 15
	s_add_i32 s2, s4, 1
	s_and_b32 s5, s2, 30
	s_add_u32 s2, s16, 0xffffffe8
	s_addc_u32 s3, s17, -1
	v_mov_b32_e32 v25, 0
	v_mov_b32_e32 v27, 0
	;; [unrolled: 1-line block ×4, first 2 shown]
.LBB157_272:                            ; =>This Inner Loop Header: Depth=1
	s_load_dwordx4 s[8:11], s[2:3], 0x1c
	s_load_dwordx2 s[6:7], s[2:3], 0x2c
	s_load_dwordx2 s[18:19], s[2:3], 0xec
	s_load_dwordx4 s[12:15], s[2:3], 0xdc
	s_add_u32 s2, s2, 24
	s_waitcnt lgkmcnt(0)
	v_mul_hi_u32 v10, s9, v7
	s_addc_u32 s3, s3, 0
	s_add_i32 s5, s5, -2
	s_cmp_lg_u32 s5, 0
	v_add_u32_e32 v10, v7, v10
	v_lshrrev_b32_e32 v10, s10, v10
	v_mul_lo_u32 v12, v10, s8
	v_mul_hi_u32 v15, s6, v10
	v_sub_u32_e32 v12, v7, v12
	v_add_u32_e32 v7, v10, v15
	v_lshrrev_b32_e32 v7, s7, v7
	v_mul_lo_u32 v20, v7, s11
	v_mul_lo_u32 v15, v12, s12
	;; [unrolled: 1-line block ×4, first 2 shown]
	v_sub_u32_e32 v10, v10, v20
	v_mul_lo_u32 v20, v10, s15
	v_mul_lo_u32 v23, v10, s18
	;; [unrolled: 1-line block ×3, first 2 shown]
	v_add3_u32 v9, v15, v9, v20
	v_add3_u32 v27, v17, v27, v23
	;; [unrolled: 1-line block ×3, first 2 shown]
	s_cbranch_scc1 .LBB157_272
; %bb.273:
	s_bitcmp1_b32 s4, 0
	s_cselect_b64 s[4:5], -1, 0
	s_and_b64 vcc, exec, s[4:5]
	s_cbranch_vccnz .LBB157_277
; %bb.274:
	s_load_dwordx2 s[4:5], s[2:3], 0x1c
	s_load_dword s8, s[2:3], 0x24
	s_load_dwordx2 s[6:7], s[2:3], 0xdc
	s_waitcnt lgkmcnt(0)
	v_mul_hi_u32 v10, s5, v7
	v_add_u32_e32 v10, v7, v10
	v_lshrrev_b32_e32 v10, s8, v10
	v_mul_lo_u32 v10, v10, s4
	s_load_dword s4, s[2:3], 0xe4
	v_sub_u32_e32 v7, v7, v10
	v_mad_u64_u32 v[9:10], s[2:3], v7, s6, v[9:10]
	v_mad_u64_u32 v[27:28], s[2:3], v7, s7, v[27:28]
	s_waitcnt lgkmcnt(0)
	v_mad_u64_u32 v[25:26], s[2:3], v7, s4, v[25:26]
	s_cbranch_execz .LBB157_278
	s_branch .LBB157_280
.LBB157_275:
                                        ; implicit-def: $vgpr9
                                        ; implicit-def: $vgpr27
                                        ; implicit-def: $vgpr25
	s_branch .LBB157_278
.LBB157_276:
	v_mov_b32_e32 v9, 0
	v_mov_b32_e32 v27, 0
	;; [unrolled: 1-line block ×3, first 2 shown]
.LBB157_277:
	s_cbranch_execnz .LBB157_280
.LBB157_278:
	s_waitcnt lgkmcnt(0)
	s_load_dwordx4 s[4:7], s[16:17], 0x4
	s_load_dwordx4 s[8:11], s[16:17], 0xc4
	s_cmp_lt_u32 s33, 2
	s_waitcnt lgkmcnt(0)
	v_mul_hi_u32 v7, s5, v5
	v_add_u32_e32 v7, v5, v7
	v_lshrrev_b32_e32 v7, s6, v7
	v_mul_lo_u32 v9, v7, s4
	v_sub_u32_e32 v5, v5, v9
	v_mul_lo_u32 v9, v5, s8
	v_mul_lo_u32 v27, v5, s9
	;; [unrolled: 1-line block ×3, first 2 shown]
	s_cbranch_scc1 .LBB157_280
; %bb.279:
	s_load_dwordx4 s[4:7], s[16:17], 0x10
	s_load_dwordx4 s[8:11], s[16:17], 0xd0
	s_waitcnt lgkmcnt(0)
	v_mul_hi_u32 v5, s5, v7
	v_add_u32_e32 v5, v7, v5
	v_lshrrev_b32_e32 v5, s6, v5
	v_mul_lo_u32 v5, v5, s4
	v_sub_u32_e32 v5, v7, v5
	v_mad_u64_u32 v[9:10], s[2:3], v5, s8, v[9:10]
	v_mad_u64_u32 v[27:28], s[2:3], v5, s9, v[27:28]
	v_mad_u64_u32 v[25:26], s[2:3], v5, s10, v[25:26]
.LBB157_280:
	s_and_b64 vcc, exec, s[0:1]
	v_add_u32_e32 v5, 0x300, v18
	s_cbranch_vccnz .LBB157_286
; %bb.281:
	s_cmp_lg_u32 s33, 0
	s_cbranch_scc0 .LBB157_287
; %bb.282:
	s_waitcnt lgkmcnt(0)
	s_min_u32 s4, s44, 15
	s_add_i32 s2, s4, 1
	s_and_b32 s5, s2, 30
	s_add_u32 s2, s16, 0xffffffe8
	s_addc_u32 s3, s17, -1
	v_mov_b32_e32 v30, 0
	v_mov_b32_e32 v32, 0
	;; [unrolled: 1-line block ×4, first 2 shown]
.LBB157_283:                            ; =>This Inner Loop Header: Depth=1
	s_load_dwordx4 s[8:11], s[2:3], 0x1c
	s_load_dwordx2 s[6:7], s[2:3], 0x2c
	s_load_dwordx2 s[18:19], s[2:3], 0xec
	s_load_dwordx4 s[12:15], s[2:3], 0xdc
	s_add_u32 s2, s2, 24
	s_waitcnt lgkmcnt(0)
	v_mul_hi_u32 v10, s9, v7
	s_addc_u32 s3, s3, 0
	s_add_i32 s5, s5, -2
	s_cmp_lg_u32 s5, 0
	v_add_u32_e32 v10, v7, v10
	v_lshrrev_b32_e32 v10, s10, v10
	v_mul_lo_u32 v12, v10, s8
	v_mul_hi_u32 v15, s6, v10
	v_sub_u32_e32 v12, v7, v12
	v_add_u32_e32 v7, v10, v15
	v_lshrrev_b32_e32 v7, s7, v7
	v_mul_lo_u32 v20, v7, s11
	v_mul_lo_u32 v15, v12, s12
	v_mul_lo_u32 v18, v12, s13
	v_mul_lo_u32 v12, v12, s14
	v_sub_u32_e32 v10, v10, v20
	v_mul_lo_u32 v20, v10, s15
	v_mul_lo_u32 v23, v10, s18
	;; [unrolled: 1-line block ×3, first 2 shown]
	v_add3_u32 v17, v15, v17, v20
	v_add3_u32 v32, v18, v32, v23
	;; [unrolled: 1-line block ×3, first 2 shown]
	s_cbranch_scc1 .LBB157_283
; %bb.284:
	s_bitcmp1_b32 s4, 0
	s_cselect_b64 s[4:5], -1, 0
	s_and_b64 vcc, exec, s[4:5]
	s_cbranch_vccnz .LBB157_288
; %bb.285:
	s_load_dwordx2 s[4:5], s[2:3], 0x1c
	s_load_dword s8, s[2:3], 0x24
	s_load_dwordx2 s[6:7], s[2:3], 0xdc
	s_waitcnt lgkmcnt(0)
	v_mul_hi_u32 v10, s5, v7
	v_add_u32_e32 v10, v7, v10
	v_lshrrev_b32_e32 v10, s8, v10
	v_mul_lo_u32 v10, v10, s4
	s_load_dword s4, s[2:3], 0xe4
	v_sub_u32_e32 v7, v7, v10
	v_mad_u64_u32 v[17:18], s[2:3], v7, s6, v[17:18]
	v_mad_u64_u32 v[32:33], s[2:3], v7, s7, v[32:33]
	s_waitcnt lgkmcnt(0)
	v_mad_u64_u32 v[30:31], s[2:3], v7, s4, v[30:31]
	s_cbranch_execz .LBB157_289
	s_branch .LBB157_291
.LBB157_286:
                                        ; implicit-def: $vgpr17
                                        ; implicit-def: $vgpr32
                                        ; implicit-def: $vgpr30
	s_branch .LBB157_289
.LBB157_287:
	v_mov_b32_e32 v17, 0
	v_mov_b32_e32 v32, 0
	;; [unrolled: 1-line block ×3, first 2 shown]
.LBB157_288:
	s_cbranch_execnz .LBB157_291
.LBB157_289:
	s_waitcnt lgkmcnt(0)
	s_load_dwordx4 s[4:7], s[16:17], 0x4
	s_load_dwordx4 s[8:11], s[16:17], 0xc4
	s_cmp_lt_u32 s33, 2
	s_waitcnt lgkmcnt(0)
	v_mul_hi_u32 v7, s5, v5
	v_add_u32_e32 v7, v5, v7
	v_lshrrev_b32_e32 v7, s6, v7
	v_mul_lo_u32 v10, v7, s4
	v_sub_u32_e32 v5, v5, v10
	v_mul_lo_u32 v17, v5, s8
	v_mul_lo_u32 v32, v5, s9
	;; [unrolled: 1-line block ×3, first 2 shown]
	s_cbranch_scc1 .LBB157_291
; %bb.290:
	s_load_dwordx4 s[4:7], s[16:17], 0x10
	s_load_dwordx4 s[8:11], s[16:17], 0xd0
	s_waitcnt lgkmcnt(0)
	v_mul_hi_u32 v5, s5, v7
	v_add_u32_e32 v5, v7, v5
	v_lshrrev_b32_e32 v5, s6, v5
	v_mul_lo_u32 v5, v5, s4
	v_sub_u32_e32 v5, v7, v5
	v_mad_u64_u32 v[17:18], s[2:3], v5, s8, v[17:18]
	v_mad_u64_u32 v[32:33], s[2:3], v5, s9, v[32:33]
	;; [unrolled: 1-line block ×3, first 2 shown]
.LBB157_291:
	s_and_b64 vcc, exec, s[0:1]
	s_cbranch_vccnz .LBB157_297
; %bb.292:
	s_cmp_lg_u32 s33, 0
	s_cbranch_scc0 .LBB157_298
; %bb.293:
	s_min_u32 s2, s44, 15
	s_add_i32 s0, s2, 1
	s_and_b32 s3, s0, 30
	s_add_u32 s0, s16, 0xffffffe8
	s_addc_u32 s1, s17, -1
	v_mov_b32_e32 v33, 0
	v_mov_b32_e32 v35, 0
	;; [unrolled: 1-line block ×4, first 2 shown]
.LBB157_294:                            ; =>This Inner Loop Header: Depth=1
	s_waitcnt lgkmcnt(0)
	s_load_dwordx4 s[4:7], s[0:1], 0x1c
	s_load_dwordx2 s[12:13], s[0:1], 0x2c
	s_load_dwordx2 s[14:15], s[0:1], 0xec
	s_load_dwordx4 s[8:11], s[0:1], 0xdc
	s_add_u32 s0, s0, 24
	s_waitcnt lgkmcnt(0)
	v_mul_hi_u32 v7, s5, v5
	s_addc_u32 s1, s1, 0
	s_add_i32 s3, s3, -2
	s_cmp_lg_u32 s3, 0
	v_add_u32_e32 v7, v5, v7
	v_lshrrev_b32_e32 v7, s6, v7
	v_mul_lo_u32 v10, v7, s4
	v_mul_hi_u32 v12, s12, v7
	v_sub_u32_e32 v10, v5, v10
	v_add_u32_e32 v5, v7, v12
	v_lshrrev_b32_e32 v5, s13, v5
	v_mul_lo_u32 v18, v5, s7
	v_mul_lo_u32 v12, v10, s8
	;; [unrolled: 1-line block ×4, first 2 shown]
	v_sub_u32_e32 v7, v7, v18
	v_mul_lo_u32 v18, v7, s11
	v_mul_lo_u32 v20, v7, s14
	;; [unrolled: 1-line block ×3, first 2 shown]
	v_add3_u32 v28, v12, v28, v18
	v_add3_u32 v35, v15, v35, v20
	;; [unrolled: 1-line block ×3, first 2 shown]
	s_cbranch_scc1 .LBB157_294
; %bb.295:
	s_bitcmp1_b32 s2, 0
	s_cselect_b64 s[2:3], -1, 0
	s_and_b64 vcc, exec, s[2:3]
	s_cbranch_vccnz .LBB157_299
; %bb.296:
	s_load_dwordx2 s[2:3], s[0:1], 0x1c
	s_load_dword s6, s[0:1], 0x24
	s_load_dwordx2 s[4:5], s[0:1], 0xdc
	s_waitcnt lgkmcnt(0)
	v_mul_hi_u32 v7, s3, v5
	v_add_u32_e32 v7, v5, v7
	v_lshrrev_b32_e32 v7, s6, v7
	v_mul_lo_u32 v7, v7, s2
	s_load_dword s2, s[0:1], 0xe4
	v_sub_u32_e32 v5, v5, v7
	v_mad_u64_u32 v[28:29], s[0:1], v5, s4, v[28:29]
	v_mad_u64_u32 v[35:36], s[0:1], v5, s5, v[35:36]
	s_waitcnt lgkmcnt(0)
	v_mad_u64_u32 v[33:34], s[0:1], v5, s2, v[33:34]
	s_cbranch_execz .LBB157_300
	s_branch .LBB157_302
.LBB157_297:
                                        ; implicit-def: $vgpr28
                                        ; implicit-def: $vgpr35
                                        ; implicit-def: $vgpr33
	s_branch .LBB157_300
.LBB157_298:
	v_mov_b32_e32 v28, 0
	v_mov_b32_e32 v35, 0
	v_mov_b32_e32 v33, 0
.LBB157_299:
	s_cbranch_execnz .LBB157_302
.LBB157_300:
	s_load_dwordx4 s[0:3], s[16:17], 0x4
	s_waitcnt lgkmcnt(0)
	s_load_dwordx4 s[4:7], s[16:17], 0xc4
	s_cmp_lt_u32 s33, 2
	v_mul_hi_u32 v5, s1, v37
	v_add_u32_e32 v5, v37, v5
	v_lshrrev_b32_e32 v5, s2, v5
	v_mul_lo_u32 v7, v5, s0
	v_sub_u32_e32 v7, v37, v7
	s_waitcnt lgkmcnt(0)
	v_mul_lo_u32 v28, v7, s4
	v_mul_lo_u32 v35, v7, s5
	;; [unrolled: 1-line block ×3, first 2 shown]
	s_cbranch_scc1 .LBB157_302
; %bb.301:
	s_load_dwordx4 s[0:3], s[16:17], 0x10
	s_load_dwordx4 s[4:7], s[16:17], 0xd0
	s_waitcnt lgkmcnt(0)
	v_mul_hi_u32 v7, s1, v5
	v_add_u32_e32 v7, v5, v7
	v_lshrrev_b32_e32 v7, s2, v7
	v_mul_lo_u32 v7, v7, s0
	v_sub_u32_e32 v5, v5, v7
	v_mad_u64_u32 v[28:29], s[0:1], v5, s4, v[28:29]
	v_mad_u64_u32 v[35:36], s[0:1], v5, s5, v[35:36]
	;; [unrolled: 1-line block ×3, first 2 shown]
.LBB157_302:
	s_waitcnt lgkmcnt(0)
	s_load_dwordx4 s[4:7], s[16:17], 0x188
	s_load_dwordx2 s[10:11], s[16:17], 0x198
	s_load_dword s30, s[16:17], 0x1a0
	s_mov_b64 s[12:13], 0
	s_waitcnt lgkmcnt(0)
	global_load_ubyte v5, v8, s[6:7]
	global_load_ubyte v7, v6, s[10:11]
	s_cmp_lt_i32 s30, 1
	s_waitcnt vmcnt(1)
	v_cmp_ne_u16_e64 s[0:1], 0, v5
	s_waitcnt vmcnt(0)
	v_cmp_ne_u16_e64 s[2:3], 0, v7
	s_cbranch_scc1 .LBB157_306
; %bb.303:
	s_cmp_gt_i32 s30, 1
	s_cbranch_scc0 .LBB157_307
; %bb.304:
	s_cmp_eq_u32 s30, 2
	s_cbranch_scc0 .LBB157_308
; %bb.305:
	s_xor_b64 s[8:9], s[0:1], -1
	s_or_b64 s[8:9], s[2:3], s[8:9]
	s_mov_b64 s[14:15], 0
	s_branch .LBB157_309
.LBB157_306:
                                        ; implicit-def: $sgpr8_sgpr9
	s_mov_b64 s[14:15], 0
	s_cbranch_execnz .LBB157_312
	s_branch .LBB157_313
.LBB157_307:
	s_mov_b64 s[14:15], 0
                                        ; implicit-def: $sgpr8_sgpr9
	s_cbranch_execnz .LBB157_310
	s_branch .LBB157_311
.LBB157_308:
	s_mov_b64 s[14:15], -1
                                        ; implicit-def: $sgpr8_sgpr9
.LBB157_309:
	s_branch .LBB157_311
.LBB157_310:
	s_xor_b64 s[16:17], s[2:3], -1
	s_and_b64 s[16:17], s[0:1], s[16:17]
	s_andn2_b64 s[8:9], s[8:9], exec
	s_and_b64 s[16:17], s[16:17], exec
	s_or_b64 s[8:9], s[8:9], s[16:17]
.LBB157_311:
	s_branch .LBB157_313
.LBB157_312:
	s_cmp_lg_u32 s30, 0
	s_mov_b64 s[12:13], -1
	s_cselect_b64 s[14:15], -1, 0
.LBB157_313:
	s_andn2_b64 vcc, exec, s[14:15]
	s_cbranch_vccz .LBB157_320
; %bb.314:
	s_andn2_b64 vcc, exec, s[12:13]
	s_cbranch_vccnz .LBB157_316
.LBB157_315:
	s_xor_b64 s[2:3], s[2:3], -1
	s_or_b64 s[0:1], s[0:1], s[2:3]
	s_andn2_b64 s[2:3], s[8:9], exec
	s_and_b64 s[0:1], s[0:1], exec
	s_or_b64 s[8:9], s[2:3], s[0:1]
.LBB157_316:
	global_load_ubyte v5, v13, s[6:7]
	global_load_ubyte v6, v11, s[10:11]
	s_cmp_lt_i32 s30, 1
	s_mov_b64 s[14:15], 0
	s_waitcnt vmcnt(1)
	v_cmp_ne_u16_e64 s[0:1], 0, v5
	s_waitcnt vmcnt(0)
	v_cmp_ne_u16_e64 s[2:3], 0, v6
	s_cbranch_scc1 .LBB157_321
; %bb.317:
	s_cmp_gt_i32 s30, 1
	s_cbranch_scc0 .LBB157_322
; %bb.318:
	s_cmp_eq_u32 s30, 2
	s_cbranch_scc0 .LBB157_323
; %bb.319:
	s_xor_b64 s[12:13], s[0:1], -1
	s_or_b64 s[12:13], s[2:3], s[12:13]
	s_mov_b64 s[16:17], 0
	s_branch .LBB157_324
.LBB157_320:
	s_xor_b64 s[12:13], s[0:1], -1
	s_and_b64 s[14:15], s[2:3], s[12:13]
	s_andn2_b64 s[8:9], s[8:9], exec
	s_and_b64 s[14:15], s[14:15], exec
	s_or_b64 s[8:9], s[8:9], s[14:15]
	s_cbranch_execz .LBB157_315
	s_branch .LBB157_316
.LBB157_321:
                                        ; implicit-def: $sgpr12_sgpr13
	s_mov_b64 s[16:17], 0
	s_cbranch_execnz .LBB157_327
	s_branch .LBB157_328
.LBB157_322:
	s_mov_b64 s[16:17], 0
                                        ; implicit-def: $sgpr12_sgpr13
	s_cbranch_execnz .LBB157_325
	s_branch .LBB157_326
.LBB157_323:
	s_mov_b64 s[16:17], -1
                                        ; implicit-def: $sgpr12_sgpr13
.LBB157_324:
	s_branch .LBB157_326
.LBB157_325:
	s_xor_b64 s[18:19], s[2:3], -1
	s_and_b64 s[18:19], s[0:1], s[18:19]
	s_andn2_b64 s[12:13], s[12:13], exec
	s_and_b64 s[18:19], s[18:19], exec
	s_or_b64 s[12:13], s[12:13], s[18:19]
.LBB157_326:
	s_branch .LBB157_328
.LBB157_327:
	s_cmp_lg_u32 s30, 0
	s_mov_b64 s[14:15], -1
	s_cselect_b64 s[16:17], -1, 0
.LBB157_328:
	s_andn2_b64 vcc, exec, s[16:17]
	s_cbranch_vccz .LBB157_335
; %bb.329:
	s_andn2_b64 vcc, exec, s[14:15]
	s_cbranch_vccnz .LBB157_331
.LBB157_330:
	s_xor_b64 s[2:3], s[2:3], -1
	s_or_b64 s[0:1], s[0:1], s[2:3]
	s_andn2_b64 s[2:3], s[12:13], exec
	s_and_b64 s[0:1], s[0:1], exec
	s_or_b64 s[12:13], s[2:3], s[0:1]
.LBB157_331:
	global_load_ubyte v5, v16, s[6:7]
	global_load_ubyte v6, v14, s[10:11]
	s_cmp_lt_i32 s30, 1
	s_mov_b64 s[16:17], 0
	s_waitcnt vmcnt(1)
	v_cmp_ne_u16_e64 s[0:1], 0, v5
	s_waitcnt vmcnt(0)
	v_cmp_ne_u16_e64 s[2:3], 0, v6
	s_cbranch_scc1 .LBB157_336
; %bb.332:
	s_cmp_gt_i32 s30, 1
	s_cbranch_scc0 .LBB157_337
; %bb.333:
	s_cmp_eq_u32 s30, 2
	s_cbranch_scc0 .LBB157_338
; %bb.334:
	s_xor_b64 s[14:15], s[0:1], -1
	s_or_b64 s[14:15], s[2:3], s[14:15]
	s_mov_b64 s[18:19], 0
	s_branch .LBB157_339
.LBB157_335:
	s_xor_b64 s[14:15], s[0:1], -1
	s_and_b64 s[16:17], s[2:3], s[14:15]
	s_andn2_b64 s[12:13], s[12:13], exec
	s_and_b64 s[16:17], s[16:17], exec
	s_or_b64 s[12:13], s[12:13], s[16:17]
	s_cbranch_execz .LBB157_330
	s_branch .LBB157_331
.LBB157_336:
                                        ; implicit-def: $sgpr14_sgpr15
	s_mov_b64 s[18:19], 0
	s_cbranch_execnz .LBB157_342
	s_branch .LBB157_343
.LBB157_337:
	s_mov_b64 s[18:19], 0
                                        ; implicit-def: $sgpr14_sgpr15
	s_cbranch_execnz .LBB157_340
	s_branch .LBB157_341
.LBB157_338:
	s_mov_b64 s[18:19], -1
                                        ; implicit-def: $sgpr14_sgpr15
.LBB157_339:
	s_branch .LBB157_341
.LBB157_340:
	s_xor_b64 s[20:21], s[2:3], -1
	s_and_b64 s[20:21], s[0:1], s[20:21]
	s_andn2_b64 s[14:15], s[14:15], exec
	s_and_b64 s[20:21], s[20:21], exec
	s_or_b64 s[14:15], s[14:15], s[20:21]
.LBB157_341:
	s_branch .LBB157_343
.LBB157_342:
	s_cmp_lg_u32 s30, 0
	s_mov_b64 s[16:17], -1
	s_cselect_b64 s[18:19], -1, 0
.LBB157_343:
	s_andn2_b64 vcc, exec, s[18:19]
	s_cbranch_vccz .LBB157_350
; %bb.344:
	s_andn2_b64 vcc, exec, s[16:17]
	s_cbranch_vccnz .LBB157_346
.LBB157_345:
	s_xor_b64 s[2:3], s[2:3], -1
	s_or_b64 s[0:1], s[0:1], s[2:3]
	s_andn2_b64 s[2:3], s[14:15], exec
	s_and_b64 s[0:1], s[0:1], exec
	s_or_b64 s[14:15], s[2:3], s[0:1]
.LBB157_346:
	global_load_ubyte v5, v21, s[6:7]
	global_load_ubyte v6, v19, s[10:11]
	s_cmp_lt_i32 s30, 1
	s_mov_b64 s[18:19], 0
	s_waitcnt vmcnt(1)
	v_cmp_ne_u16_e64 s[0:1], 0, v5
	s_waitcnt vmcnt(0)
	v_cmp_ne_u16_e64 s[2:3], 0, v6
	s_cbranch_scc1 .LBB157_351
; %bb.347:
	s_cmp_gt_i32 s30, 1
	s_cbranch_scc0 .LBB157_352
; %bb.348:
	s_cmp_eq_u32 s30, 2
	s_cbranch_scc0 .LBB157_353
; %bb.349:
	s_xor_b64 s[16:17], s[0:1], -1
	s_or_b64 s[16:17], s[2:3], s[16:17]
	s_mov_b64 s[20:21], 0
	s_branch .LBB157_354
.LBB157_350:
	s_xor_b64 s[16:17], s[0:1], -1
	s_and_b64 s[18:19], s[2:3], s[16:17]
	s_andn2_b64 s[14:15], s[14:15], exec
	s_and_b64 s[18:19], s[18:19], exec
	s_or_b64 s[14:15], s[14:15], s[18:19]
	s_cbranch_execz .LBB157_345
	s_branch .LBB157_346
.LBB157_351:
                                        ; implicit-def: $sgpr16_sgpr17
	s_mov_b64 s[20:21], 0
	s_cbranch_execnz .LBB157_357
	s_branch .LBB157_358
.LBB157_352:
	s_mov_b64 s[20:21], 0
                                        ; implicit-def: $sgpr16_sgpr17
	s_cbranch_execnz .LBB157_355
	s_branch .LBB157_356
.LBB157_353:
	s_mov_b64 s[20:21], -1
                                        ; implicit-def: $sgpr16_sgpr17
.LBB157_354:
	s_branch .LBB157_356
.LBB157_355:
	s_xor_b64 s[22:23], s[2:3], -1
	s_and_b64 s[22:23], s[0:1], s[22:23]
	s_andn2_b64 s[16:17], s[16:17], exec
	s_and_b64 s[22:23], s[22:23], exec
	s_or_b64 s[16:17], s[16:17], s[22:23]
.LBB157_356:
	s_branch .LBB157_358
.LBB157_357:
	s_cmp_lg_u32 s30, 0
	s_mov_b64 s[18:19], -1
	s_cselect_b64 s[20:21], -1, 0
.LBB157_358:
	s_andn2_b64 vcc, exec, s[20:21]
	s_cbranch_vccz .LBB157_365
; %bb.359:
	s_andn2_b64 vcc, exec, s[18:19]
	s_cbranch_vccnz .LBB157_361
.LBB157_360:
	s_xor_b64 s[2:3], s[2:3], -1
	s_or_b64 s[0:1], s[0:1], s[2:3]
	s_andn2_b64 s[2:3], s[16:17], exec
	s_and_b64 s[0:1], s[0:1], exec
	s_or_b64 s[16:17], s[2:3], s[0:1]
.LBB157_361:
	global_load_ubyte v5, v24, s[6:7]
	global_load_ubyte v6, v22, s[10:11]
	s_cmp_lt_i32 s30, 1
	s_mov_b64 s[20:21], 0
	s_waitcnt vmcnt(1)
	v_cmp_ne_u16_e64 s[0:1], 0, v5
	s_waitcnt vmcnt(0)
	v_cmp_ne_u16_e64 s[2:3], 0, v6
	s_cbranch_scc1 .LBB157_366
; %bb.362:
	s_cmp_gt_i32 s30, 1
	s_cbranch_scc0 .LBB157_367
; %bb.363:
	s_cmp_eq_u32 s30, 2
	s_cbranch_scc0 .LBB157_368
; %bb.364:
	s_xor_b64 s[18:19], s[0:1], -1
	s_or_b64 s[18:19], s[2:3], s[18:19]
	s_mov_b64 s[22:23], 0
	s_branch .LBB157_369
.LBB157_365:
	s_xor_b64 s[18:19], s[0:1], -1
	s_and_b64 s[20:21], s[2:3], s[18:19]
	s_andn2_b64 s[16:17], s[16:17], exec
	s_and_b64 s[20:21], s[20:21], exec
	s_or_b64 s[16:17], s[16:17], s[20:21]
	s_cbranch_execz .LBB157_360
	s_branch .LBB157_361
.LBB157_366:
                                        ; implicit-def: $sgpr18_sgpr19
	s_mov_b64 s[22:23], 0
	s_cbranch_execnz .LBB157_372
	s_branch .LBB157_373
.LBB157_367:
	s_mov_b64 s[22:23], 0
                                        ; implicit-def: $sgpr18_sgpr19
	s_cbranch_execnz .LBB157_370
	s_branch .LBB157_371
.LBB157_368:
	s_mov_b64 s[22:23], -1
                                        ; implicit-def: $sgpr18_sgpr19
.LBB157_369:
	s_branch .LBB157_371
.LBB157_370:
	s_xor_b64 s[24:25], s[2:3], -1
	s_and_b64 s[24:25], s[0:1], s[24:25]
	s_andn2_b64 s[18:19], s[18:19], exec
	s_and_b64 s[24:25], s[24:25], exec
	s_or_b64 s[18:19], s[18:19], s[24:25]
.LBB157_371:
	s_branch .LBB157_373
.LBB157_372:
	s_cmp_lg_u32 s30, 0
	s_mov_b64 s[20:21], -1
	s_cselect_b64 s[22:23], -1, 0
.LBB157_373:
	s_andn2_b64 vcc, exec, s[22:23]
	s_cbranch_vccz .LBB157_380
; %bb.374:
	s_andn2_b64 vcc, exec, s[20:21]
	s_cbranch_vccnz .LBB157_376
.LBB157_375:
	s_xor_b64 s[2:3], s[2:3], -1
	s_or_b64 s[0:1], s[0:1], s[2:3]
	s_andn2_b64 s[2:3], s[18:19], exec
	s_and_b64 s[0:1], s[0:1], exec
	s_or_b64 s[18:19], s[2:3], s[0:1]
.LBB157_376:
	global_load_ubyte v5, v27, s[6:7]
	global_load_ubyte v6, v25, s[10:11]
	s_cmp_lt_i32 s30, 1
	s_mov_b64 s[22:23], 0
	s_waitcnt vmcnt(1)
	v_cmp_ne_u16_e64 s[0:1], 0, v5
	s_waitcnt vmcnt(0)
	v_cmp_ne_u16_e64 s[2:3], 0, v6
	s_cbranch_scc1 .LBB157_381
; %bb.377:
	s_cmp_gt_i32 s30, 1
	s_cbranch_scc0 .LBB157_382
; %bb.378:
	s_cmp_eq_u32 s30, 2
	s_cbranch_scc0 .LBB157_383
; %bb.379:
	s_xor_b64 s[20:21], s[0:1], -1
	s_or_b64 s[20:21], s[2:3], s[20:21]
	s_mov_b64 s[24:25], 0
	s_branch .LBB157_384
.LBB157_380:
	s_xor_b64 s[20:21], s[0:1], -1
	s_and_b64 s[22:23], s[2:3], s[20:21]
	s_andn2_b64 s[18:19], s[18:19], exec
	s_and_b64 s[22:23], s[22:23], exec
	s_or_b64 s[18:19], s[18:19], s[22:23]
	s_cbranch_execz .LBB157_375
	s_branch .LBB157_376
.LBB157_381:
                                        ; implicit-def: $sgpr20_sgpr21
	s_mov_b64 s[24:25], 0
	s_cbranch_execnz .LBB157_387
	s_branch .LBB157_388
.LBB157_382:
	s_mov_b64 s[24:25], 0
                                        ; implicit-def: $sgpr20_sgpr21
	s_cbranch_execnz .LBB157_385
	s_branch .LBB157_386
.LBB157_383:
	s_mov_b64 s[24:25], -1
                                        ; implicit-def: $sgpr20_sgpr21
.LBB157_384:
	s_branch .LBB157_386
.LBB157_385:
	s_xor_b64 s[26:27], s[2:3], -1
	s_and_b64 s[26:27], s[0:1], s[26:27]
	s_andn2_b64 s[20:21], s[20:21], exec
	s_and_b64 s[26:27], s[26:27], exec
	s_or_b64 s[20:21], s[20:21], s[26:27]
.LBB157_386:
	s_branch .LBB157_388
.LBB157_387:
	s_cmp_lg_u32 s30, 0
	s_mov_b64 s[22:23], -1
	s_cselect_b64 s[24:25], -1, 0
.LBB157_388:
	s_andn2_b64 vcc, exec, s[24:25]
	s_cbranch_vccz .LBB157_395
; %bb.389:
	s_andn2_b64 vcc, exec, s[22:23]
	s_cbranch_vccnz .LBB157_391
.LBB157_390:
	s_xor_b64 s[2:3], s[2:3], -1
	s_or_b64 s[0:1], s[0:1], s[2:3]
	s_andn2_b64 s[2:3], s[20:21], exec
	s_and_b64 s[0:1], s[0:1], exec
	s_or_b64 s[20:21], s[2:3], s[0:1]
.LBB157_391:
	global_load_ubyte v5, v32, s[6:7]
	global_load_ubyte v6, v30, s[10:11]
	s_cmp_lt_i32 s30, 1
	s_mov_b64 s[24:25], 0
	s_waitcnt vmcnt(1)
	v_cmp_ne_u16_e64 s[0:1], 0, v5
	s_waitcnt vmcnt(0)
	v_cmp_ne_u16_e64 s[2:3], 0, v6
	s_cbranch_scc1 .LBB157_396
; %bb.392:
	s_cmp_gt_i32 s30, 1
	s_cbranch_scc0 .LBB157_397
; %bb.393:
	s_cmp_eq_u32 s30, 2
	s_cbranch_scc0 .LBB157_398
; %bb.394:
	s_xor_b64 s[22:23], s[0:1], -1
	s_or_b64 s[22:23], s[2:3], s[22:23]
	s_mov_b64 s[26:27], 0
	s_branch .LBB157_399
.LBB157_395:
	s_xor_b64 s[22:23], s[0:1], -1
	s_and_b64 s[24:25], s[2:3], s[22:23]
	s_andn2_b64 s[20:21], s[20:21], exec
	s_and_b64 s[24:25], s[24:25], exec
	s_or_b64 s[20:21], s[20:21], s[24:25]
	s_cbranch_execz .LBB157_390
	s_branch .LBB157_391
.LBB157_396:
                                        ; implicit-def: $sgpr22_sgpr23
	s_mov_b64 s[26:27], 0
	s_cbranch_execnz .LBB157_402
	s_branch .LBB157_403
.LBB157_397:
	s_mov_b64 s[26:27], 0
                                        ; implicit-def: $sgpr22_sgpr23
	s_cbranch_execnz .LBB157_400
	s_branch .LBB157_401
.LBB157_398:
	s_mov_b64 s[26:27], -1
                                        ; implicit-def: $sgpr22_sgpr23
.LBB157_399:
	s_branch .LBB157_401
.LBB157_400:
	s_xor_b64 s[28:29], s[2:3], -1
	s_and_b64 s[28:29], s[0:1], s[28:29]
	s_andn2_b64 s[22:23], s[22:23], exec
	s_and_b64 s[28:29], s[28:29], exec
	s_or_b64 s[22:23], s[22:23], s[28:29]
.LBB157_401:
	s_branch .LBB157_403
.LBB157_402:
	s_cmp_lg_u32 s30, 0
	s_mov_b64 s[24:25], -1
	s_cselect_b64 s[26:27], -1, 0
.LBB157_403:
	s_andn2_b64 vcc, exec, s[26:27]
	s_cbranch_vccz .LBB157_410
; %bb.404:
	s_andn2_b64 vcc, exec, s[24:25]
	s_cbranch_vccnz .LBB157_406
.LBB157_405:
	s_xor_b64 s[2:3], s[2:3], -1
	s_or_b64 s[0:1], s[0:1], s[2:3]
	s_andn2_b64 s[2:3], s[22:23], exec
	s_and_b64 s[0:1], s[0:1], exec
	s_or_b64 s[22:23], s[2:3], s[0:1]
.LBB157_406:
	global_load_ubyte v5, v35, s[6:7]
	global_load_ubyte v6, v33, s[10:11]
	s_cmp_lt_i32 s30, 1
	s_mov_b64 s[10:11], 0
	s_waitcnt vmcnt(1)
	v_cmp_ne_u16_e64 s[0:1], 0, v5
	s_waitcnt vmcnt(0)
	v_cmp_ne_u16_e64 s[2:3], 0, v6
	s_cbranch_scc1 .LBB157_411
; %bb.407:
	s_cmp_gt_i32 s30, 1
	s_cbranch_scc0 .LBB157_412
; %bb.408:
	s_cmp_eq_u32 s30, 2
	s_cbranch_scc0 .LBB157_413
; %bb.409:
	s_xor_b64 s[6:7], s[0:1], -1
	s_or_b64 s[6:7], s[2:3], s[6:7]
	s_mov_b64 s[24:25], 0
	s_branch .LBB157_414
.LBB157_410:
	s_xor_b64 s[24:25], s[0:1], -1
	s_and_b64 s[26:27], s[2:3], s[24:25]
	s_andn2_b64 s[22:23], s[22:23], exec
	s_and_b64 s[26:27], s[26:27], exec
	s_or_b64 s[22:23], s[22:23], s[26:27]
	s_cbranch_execz .LBB157_405
	s_branch .LBB157_406
.LBB157_411:
                                        ; implicit-def: $sgpr6_sgpr7
	s_mov_b64 s[24:25], 0
	s_cbranch_execnz .LBB157_417
	s_branch .LBB157_418
.LBB157_412:
	s_mov_b64 s[24:25], 0
                                        ; implicit-def: $sgpr6_sgpr7
	s_cbranch_execnz .LBB157_415
	s_branch .LBB157_416
.LBB157_413:
	s_mov_b64 s[24:25], -1
                                        ; implicit-def: $sgpr6_sgpr7
.LBB157_414:
	s_branch .LBB157_416
.LBB157_415:
	s_xor_b64 s[26:27], s[2:3], -1
	s_and_b64 s[26:27], s[0:1], s[26:27]
	s_andn2_b64 s[6:7], s[6:7], exec
	s_and_b64 s[26:27], s[26:27], exec
	s_or_b64 s[6:7], s[6:7], s[26:27]
.LBB157_416:
	s_branch .LBB157_418
.LBB157_417:
	s_cmp_lg_u32 s30, 0
	s_mov_b64 s[10:11], -1
	s_cselect_b64 s[24:25], -1, 0
.LBB157_418:
	s_andn2_b64 vcc, exec, s[24:25]
	s_cbranch_vccz .LBB157_422
; %bb.419:
	s_andn2_b64 vcc, exec, s[10:11]
	s_cbranch_vccnz .LBB157_421
.LBB157_420:
	s_xor_b64 s[2:3], s[2:3], -1
	s_or_b64 s[0:1], s[0:1], s[2:3]
	s_andn2_b64 s[2:3], s[6:7], exec
	s_and_b64 s[0:1], s[0:1], exec
	s_or_b64 s[6:7], s[2:3], s[0:1]
.LBB157_421:
	v_cndmask_b32_e64 v12, 0, 1, s[8:9]
	v_cndmask_b32_e64 v5, 0, 1, s[22:23]
	;; [unrolled: 1-line block ×8, first 2 shown]
	global_store_byte v0, v12, s[4:5]
	global_store_byte v1, v11, s[4:5]
	;; [unrolled: 1-line block ×8, first 2 shown]
	s_endpgm
.LBB157_422:
	s_xor_b64 s[10:11], s[0:1], -1
	s_and_b64 s[24:25], s[2:3], s[10:11]
	s_andn2_b64 s[6:7], s[6:7], exec
	s_and_b64 s[24:25], s[24:25], exec
	s_or_b64 s[6:7], s[6:7], s[24:25]
	s_cbranch_execz .LBB157_420
	s_branch .LBB157_421
.LBB157_423:
	s_mov_b64 s[40:41], -1
                                        ; implicit-def: $sgpr38_sgpr39
	s_branch .LBB157_54
.LBB157_424:
	s_mov_b64 s[40:41], -1
                                        ; implicit-def: $sgpr38_sgpr39
	s_branch .LBB157_79
.LBB157_425:
	s_mov_b64 s[40:41], -1
                                        ; implicit-def: $sgpr38_sgpr39
	s_branch .LBB157_104
.LBB157_426:
	s_mov_b64 s[40:41], -1
                                        ; implicit-def: $sgpr38_sgpr39
	s_branch .LBB157_129
.LBB157_427:
	s_mov_b64 s[40:41], -1
                                        ; implicit-def: $sgpr38_sgpr39
	s_branch .LBB157_154
.LBB157_428:
	s_mov_b64 s[40:41], -1
                                        ; implicit-def: $sgpr38_sgpr39
	s_branch .LBB157_179
.LBB157_429:
	s_mov_b64 s[10:11], -1
                                        ; implicit-def: $sgpr8_sgpr9
	s_branch .LBB157_204
	.section	.rodata,"a",@progbits
	.p2align	6, 0x0
	.amdhsa_kernel _ZN2at6native32elementwise_kernel_manual_unrollILi128ELi8EZNS0_22gpu_kernel_impl_nocastINS0_12_GLOBAL__N_114CompareFunctorIbEEEEvRNS_18TensorIteratorBaseERKT_EUlibE_EEviT1_
		.amdhsa_group_segment_fixed_size 0
		.amdhsa_private_segment_fixed_size 0
		.amdhsa_kernarg_size 432
		.amdhsa_user_sgpr_count 6
		.amdhsa_user_sgpr_private_segment_buffer 1
		.amdhsa_user_sgpr_dispatch_ptr 0
		.amdhsa_user_sgpr_queue_ptr 0
		.amdhsa_user_sgpr_kernarg_segment_ptr 1
		.amdhsa_user_sgpr_dispatch_id 0
		.amdhsa_user_sgpr_flat_scratch_init 0
		.amdhsa_user_sgpr_private_segment_size 0
		.amdhsa_uses_dynamic_stack 0
		.amdhsa_system_sgpr_private_segment_wavefront_offset 0
		.amdhsa_system_sgpr_workgroup_id_x 1
		.amdhsa_system_sgpr_workgroup_id_y 0
		.amdhsa_system_sgpr_workgroup_id_z 0
		.amdhsa_system_sgpr_workgroup_info 0
		.amdhsa_system_vgpr_workitem_id 0
		.amdhsa_next_free_vgpr 38
		.amdhsa_next_free_sgpr 52
		.amdhsa_reserve_vcc 1
		.amdhsa_reserve_flat_scratch 0
		.amdhsa_float_round_mode_32 0
		.amdhsa_float_round_mode_16_64 0
		.amdhsa_float_denorm_mode_32 3
		.amdhsa_float_denorm_mode_16_64 3
		.amdhsa_dx10_clamp 1
		.amdhsa_ieee_mode 1
		.amdhsa_fp16_overflow 0
		.amdhsa_exception_fp_ieee_invalid_op 0
		.amdhsa_exception_fp_denorm_src 0
		.amdhsa_exception_fp_ieee_div_zero 0
		.amdhsa_exception_fp_ieee_overflow 0
		.amdhsa_exception_fp_ieee_underflow 0
		.amdhsa_exception_fp_ieee_inexact 0
		.amdhsa_exception_int_div_zero 0
	.end_amdhsa_kernel
	.section	.text._ZN2at6native32elementwise_kernel_manual_unrollILi128ELi8EZNS0_22gpu_kernel_impl_nocastINS0_12_GLOBAL__N_114CompareFunctorIbEEEEvRNS_18TensorIteratorBaseERKT_EUlibE_EEviT1_,"axG",@progbits,_ZN2at6native32elementwise_kernel_manual_unrollILi128ELi8EZNS0_22gpu_kernel_impl_nocastINS0_12_GLOBAL__N_114CompareFunctorIbEEEEvRNS_18TensorIteratorBaseERKT_EUlibE_EEviT1_,comdat
.Lfunc_end157:
	.size	_ZN2at6native32elementwise_kernel_manual_unrollILi128ELi8EZNS0_22gpu_kernel_impl_nocastINS0_12_GLOBAL__N_114CompareFunctorIbEEEEvRNS_18TensorIteratorBaseERKT_EUlibE_EEviT1_, .Lfunc_end157-_ZN2at6native32elementwise_kernel_manual_unrollILi128ELi8EZNS0_22gpu_kernel_impl_nocastINS0_12_GLOBAL__N_114CompareFunctorIbEEEEvRNS_18TensorIteratorBaseERKT_EUlibE_EEviT1_
                                        ; -- End function
	.set _ZN2at6native32elementwise_kernel_manual_unrollILi128ELi8EZNS0_22gpu_kernel_impl_nocastINS0_12_GLOBAL__N_114CompareFunctorIbEEEEvRNS_18TensorIteratorBaseERKT_EUlibE_EEviT1_.num_vgpr, 38
	.set _ZN2at6native32elementwise_kernel_manual_unrollILi128ELi8EZNS0_22gpu_kernel_impl_nocastINS0_12_GLOBAL__N_114CompareFunctorIbEEEEvRNS_18TensorIteratorBaseERKT_EUlibE_EEviT1_.num_agpr, 0
	.set _ZN2at6native32elementwise_kernel_manual_unrollILi128ELi8EZNS0_22gpu_kernel_impl_nocastINS0_12_GLOBAL__N_114CompareFunctorIbEEEEvRNS_18TensorIteratorBaseERKT_EUlibE_EEviT1_.numbered_sgpr, 52
	.set _ZN2at6native32elementwise_kernel_manual_unrollILi128ELi8EZNS0_22gpu_kernel_impl_nocastINS0_12_GLOBAL__N_114CompareFunctorIbEEEEvRNS_18TensorIteratorBaseERKT_EUlibE_EEviT1_.num_named_barrier, 0
	.set _ZN2at6native32elementwise_kernel_manual_unrollILi128ELi8EZNS0_22gpu_kernel_impl_nocastINS0_12_GLOBAL__N_114CompareFunctorIbEEEEvRNS_18TensorIteratorBaseERKT_EUlibE_EEviT1_.private_seg_size, 0
	.set _ZN2at6native32elementwise_kernel_manual_unrollILi128ELi8EZNS0_22gpu_kernel_impl_nocastINS0_12_GLOBAL__N_114CompareFunctorIbEEEEvRNS_18TensorIteratorBaseERKT_EUlibE_EEviT1_.uses_vcc, 1
	.set _ZN2at6native32elementwise_kernel_manual_unrollILi128ELi8EZNS0_22gpu_kernel_impl_nocastINS0_12_GLOBAL__N_114CompareFunctorIbEEEEvRNS_18TensorIteratorBaseERKT_EUlibE_EEviT1_.uses_flat_scratch, 0
	.set _ZN2at6native32elementwise_kernel_manual_unrollILi128ELi8EZNS0_22gpu_kernel_impl_nocastINS0_12_GLOBAL__N_114CompareFunctorIbEEEEvRNS_18TensorIteratorBaseERKT_EUlibE_EEviT1_.has_dyn_sized_stack, 0
	.set _ZN2at6native32elementwise_kernel_manual_unrollILi128ELi8EZNS0_22gpu_kernel_impl_nocastINS0_12_GLOBAL__N_114CompareFunctorIbEEEEvRNS_18TensorIteratorBaseERKT_EUlibE_EEviT1_.has_recursion, 0
	.set _ZN2at6native32elementwise_kernel_manual_unrollILi128ELi8EZNS0_22gpu_kernel_impl_nocastINS0_12_GLOBAL__N_114CompareFunctorIbEEEEvRNS_18TensorIteratorBaseERKT_EUlibE_EEviT1_.has_indirect_call, 0
	.section	.AMDGPU.csdata,"",@progbits
; Kernel info:
; codeLenInByte = 12440
; TotalNumSgprs: 56
; NumVgprs: 38
; ScratchSize: 0
; MemoryBound: 0
; FloatMode: 240
; IeeeMode: 1
; LDSByteSize: 0 bytes/workgroup (compile time only)
; SGPRBlocks: 6
; VGPRBlocks: 9
; NumSGPRsForWavesPerEU: 56
; NumVGPRsForWavesPerEU: 38
; Occupancy: 6
; WaveLimiterHint : 1
; COMPUTE_PGM_RSRC2:SCRATCH_EN: 0
; COMPUTE_PGM_RSRC2:USER_SGPR: 6
; COMPUTE_PGM_RSRC2:TRAP_HANDLER: 0
; COMPUTE_PGM_RSRC2:TGID_X_EN: 1
; COMPUTE_PGM_RSRC2:TGID_Y_EN: 0
; COMPUTE_PGM_RSRC2:TGID_Z_EN: 0
; COMPUTE_PGM_RSRC2:TIDIG_COMP_CNT: 0
	.section	.text._ZN2at6native32elementwise_kernel_manual_unrollILi128ELi4EZNS0_15gpu_kernel_implINS0_12_GLOBAL__N_114CompareFunctorIbEEEEvRNS_18TensorIteratorBaseERKT_EUlibE_EEviT1_,"axG",@progbits,_ZN2at6native32elementwise_kernel_manual_unrollILi128ELi4EZNS0_15gpu_kernel_implINS0_12_GLOBAL__N_114CompareFunctorIbEEEEvRNS_18TensorIteratorBaseERKT_EUlibE_EEviT1_,comdat
	.globl	_ZN2at6native32elementwise_kernel_manual_unrollILi128ELi4EZNS0_15gpu_kernel_implINS0_12_GLOBAL__N_114CompareFunctorIbEEEEvRNS_18TensorIteratorBaseERKT_EUlibE_EEviT1_ ; -- Begin function _ZN2at6native32elementwise_kernel_manual_unrollILi128ELi4EZNS0_15gpu_kernel_implINS0_12_GLOBAL__N_114CompareFunctorIbEEEEvRNS_18TensorIteratorBaseERKT_EUlibE_EEviT1_
	.p2align	8
	.type	_ZN2at6native32elementwise_kernel_manual_unrollILi128ELi4EZNS0_15gpu_kernel_implINS0_12_GLOBAL__N_114CompareFunctorIbEEEEvRNS_18TensorIteratorBaseERKT_EUlibE_EEviT1_,@function
_ZN2at6native32elementwise_kernel_manual_unrollILi128ELi4EZNS0_15gpu_kernel_implINS0_12_GLOBAL__N_114CompareFunctorIbEEEEvRNS_18TensorIteratorBaseERKT_EUlibE_EEviT1_: ; @_ZN2at6native32elementwise_kernel_manual_unrollILi128ELi4EZNS0_15gpu_kernel_implINS0_12_GLOBAL__N_114CompareFunctorIbEEEEvRNS_18TensorIteratorBaseERKT_EUlibE_EEviT1_
; %bb.0:
	s_load_dword s33, s[4:5], 0x30
	s_load_dword s50, s[4:5], 0x0
	s_load_dwordx4 s[8:11], s[4:5], 0x8
	s_load_dwordx2 s[2:3], s[4:5], 0x18
	s_load_dwordx4 s[12:15], s[4:5], 0x20
	v_lshl_or_b32 v2, s6, 9, v0
	v_or_b32_e32 v0, 0x180, v2
	s_waitcnt lgkmcnt(0)
	s_lshr_b32 s57, s33, 8
	s_lshr_b32 s56, s33, 16
	v_cmp_le_i32_e32 vcc, s50, v0
	s_mov_b64 s[4:5], 0
	s_mov_b64 s[16:17], 0
	s_and_saveexec_b64 s[0:1], vcc
	s_xor_b64 s[6:7], exec, s[0:1]
	s_cbranch_execz .LBB158_1457
; %bb.1:
	v_cmp_gt_i32_e32 vcc, s50, v2
	s_mov_b64 s[24:25], -1
	s_mov_b64 s[26:27], 0
	s_mov_b64 s[20:21], 0
	;; [unrolled: 1-line block ×3, first 2 shown]
	s_and_saveexec_b64 s[22:23], vcc
	s_cbranch_execz .LBB158_360
; %bb.2:
	v_mul_lo_u32 v0, v2, s13
	v_mov_b32_e32 v1, s11
	s_and_b32 s24, s57, 0xff
	s_cmp_lt_i32 s24, 11
	v_ashrrev_i32_e32 v3, 31, v0
	v_add_co_u32_e32 v0, vcc, s10, v0
	v_addc_co_u32_e32 v1, vcc, v1, v3, vcc
	s_cbranch_scc1 .LBB158_9
; %bb.3:
	s_and_b32 s25, 0xffff, s24
	s_cmp_gt_i32 s25, 25
	s_cbranch_scc0 .LBB158_18
; %bb.4:
	s_cmp_gt_i32 s25, 28
	s_cbranch_scc0 .LBB158_20
; %bb.5:
	;; [unrolled: 3-line block ×4, first 2 shown]
	s_cmp_eq_u32 s25, 46
	s_cbranch_scc0 .LBB158_26
; %bb.8:
	global_load_dword v3, v[0:1], off
	s_mov_b64 s[0:1], -1
	s_waitcnt vmcnt(0)
	v_and_b32_e32 v3, 0x7fff7fff, v3
	v_cmp_ne_u32_e64 s[16:17], 0, v3
	s_branch .LBB158_28
.LBB158_9:
                                        ; implicit-def: $sgpr16_sgpr17
	s_mov_b64 s[0:1], 0
	s_cbranch_execnz .LBB158_74
.LBB158_10:
	s_andn2_b64 vcc, exec, s[0:1]
	s_cbranch_vccnz .LBB158_121
.LBB158_11:
	v_mul_lo_u32 v0, v2, s14
	v_mov_b32_e32 v1, s3
	s_and_b32 s28, s56, 0xff
	s_cmp_lt_i32 s28, 11
	v_ashrrev_i32_e32 v3, 31, v0
	v_add_co_u32_e32 v0, vcc, s2, v0
	v_addc_co_u32_e32 v1, vcc, v1, v3, vcc
	s_cbranch_scc1 .LBB158_19
; %bb.12:
	s_and_b32 s29, 0xffff, s28
	s_cmp_gt_i32 s29, 25
	s_cbranch_scc0 .LBB158_21
; %bb.13:
	s_cmp_gt_i32 s29, 28
	s_cbranch_scc0 .LBB158_23
; %bb.14:
	;; [unrolled: 3-line block ×4, first 2 shown]
	s_cmp_eq_u32 s29, 46
	s_mov_b64 s[20:21], 0
	s_cbranch_scc0 .LBB158_123
; %bb.17:
	global_load_dword v3, v[0:1], off
	s_mov_b64 s[0:1], -1
	s_mov_b64 s[18:19], 0
	s_waitcnt vmcnt(0)
	v_and_b32_e32 v3, 0x7fff7fff, v3
	v_cmp_ne_u32_e64 s[24:25], 0, v3
	s_branch .LBB158_125
.LBB158_18:
	s_mov_b64 s[0:1], 0
                                        ; implicit-def: $sgpr16_sgpr17
	s_cbranch_execnz .LBB158_49
	s_branch .LBB158_73
.LBB158_19:
	s_mov_b64 s[18:19], 0
                                        ; implicit-def: $sgpr24_sgpr25
	s_mov_b64 s[0:1], 0
	s_cbranch_execnz .LBB158_172
	s_branch .LBB158_220
.LBB158_20:
	s_mov_b64 s[18:19], -1
	s_mov_b64 s[0:1], 0
                                        ; implicit-def: $sgpr16_sgpr17
	s_branch .LBB158_36
.LBB158_21:
	s_mov_b64 s[20:21], -1
	s_mov_b64 s[18:19], 0
	s_mov_b64 s[0:1], 0
                                        ; implicit-def: $sgpr24_sgpr25
	s_branch .LBB158_146
.LBB158_22:
	s_mov_b64 s[18:19], -1
	s_mov_b64 s[0:1], 0
                                        ; implicit-def: $sgpr16_sgpr17
	s_branch .LBB158_31
.LBB158_23:
	s_mov_b64 s[20:21], -1
	s_mov_b64 s[18:19], 0
	s_mov_b64 s[0:1], 0
                                        ; implicit-def: $sgpr24_sgpr25
	s_branch .LBB158_133
.LBB158_24:
	s_mov_b64 s[18:19], -1
	s_branch .LBB158_27
.LBB158_25:
	s_mov_b64 s[20:21], -1
	s_mov_b64 s[18:19], 0
	s_mov_b64 s[0:1], 0
                                        ; implicit-def: $sgpr24_sgpr25
	s_branch .LBB158_128
.LBB158_26:
	s_mov_b64 s[20:21], -1
.LBB158_27:
	s_mov_b64 s[0:1], 0
                                        ; implicit-def: $sgpr16_sgpr17
.LBB158_28:
	s_and_b64 vcc, exec, s[18:19]
	s_cbranch_vccz .LBB158_30
; %bb.29:
	s_cmp_eq_u32 s25, 44
	s_mov_b64 s[20:21], -1
	s_cselect_b64 s[0:1], -1, 0
	s_or_b64 s[16:17], s[16:17], exec
.LBB158_30:
	s_mov_b64 s[18:19], 0
.LBB158_31:
	s_and_b64 vcc, exec, s[18:19]
	s_cbranch_vccz .LBB158_35
; %bb.32:
	s_cmp_eq_u32 s25, 29
	s_cbranch_scc0 .LBB158_34
; %bb.33:
	global_load_dwordx2 v[3:4], v[0:1], off
	s_mov_b64 s[20:21], 0
	s_mov_b64 s[0:1], -1
	s_mov_b64 s[18:19], 0
	s_waitcnt vmcnt(0)
	v_cmp_ne_u64_e64 s[16:17], 0, v[3:4]
	s_branch .LBB158_36
.LBB158_34:
	s_mov_b64 s[20:21], -1
                                        ; implicit-def: $sgpr16_sgpr17
.LBB158_35:
	s_mov_b64 s[18:19], 0
.LBB158_36:
	s_and_b64 vcc, exec, s[18:19]
	s_cbranch_vccz .LBB158_48
; %bb.37:
	s_cmp_lt_i32 s25, 27
	s_cbranch_scc1 .LBB158_40
; %bb.38:
	s_cmp_gt_i32 s25, 27
	s_cbranch_scc0 .LBB158_41
; %bb.39:
	global_load_dword v3, v[0:1], off
	s_mov_b64 s[0:1], 0
	s_waitcnt vmcnt(0)
	v_cmp_ne_u32_e64 s[16:17], 0, v3
	s_branch .LBB158_42
.LBB158_40:
	s_mov_b64 s[0:1], -1
                                        ; implicit-def: $sgpr16_sgpr17
	s_branch .LBB158_45
.LBB158_41:
	s_mov_b64 s[0:1], -1
                                        ; implicit-def: $sgpr16_sgpr17
.LBB158_42:
	s_andn2_b64 vcc, exec, s[0:1]
	s_cbranch_vccnz .LBB158_44
; %bb.43:
	global_load_ushort v3, v[0:1], off
	s_andn2_b64 s[0:1], s[16:17], exec
	s_waitcnt vmcnt(0)
	v_cmp_ne_u16_e32 vcc, 0, v3
	s_and_b64 s[16:17], vcc, exec
	s_or_b64 s[16:17], s[0:1], s[16:17]
.LBB158_44:
	s_mov_b64 s[0:1], 0
.LBB158_45:
	s_andn2_b64 vcc, exec, s[0:1]
	s_cbranch_vccnz .LBB158_47
; %bb.46:
	global_load_ubyte v3, v[0:1], off
	s_andn2_b64 s[0:1], s[16:17], exec
	s_waitcnt vmcnt(0)
	v_cmp_ne_u16_e32 vcc, 0, v3
	s_and_b64 s[16:17], vcc, exec
	s_or_b64 s[16:17], s[0:1], s[16:17]
.LBB158_47:
	s_mov_b64 s[0:1], -1
.LBB158_48:
	s_branch .LBB158_73
.LBB158_49:
	s_cmp_gt_i32 s25, 22
	s_cbranch_scc0 .LBB158_53
; %bb.50:
	s_cmp_lt_i32 s25, 24
	s_cbranch_scc1 .LBB158_54
; %bb.51:
	s_cmp_gt_i32 s25, 24
	s_cbranch_scc0 .LBB158_55
; %bb.52:
	global_load_ubyte v3, v[0:1], off
	s_mov_b64 s[0:1], 0
	s_waitcnt vmcnt(0)
	v_cmp_ne_u16_e64 s[16:17], 0, v3
	s_branch .LBB158_56
.LBB158_53:
	s_mov_b64 s[18:19], -1
                                        ; implicit-def: $sgpr16_sgpr17
	s_branch .LBB158_62
.LBB158_54:
	s_mov_b64 s[0:1], -1
                                        ; implicit-def: $sgpr16_sgpr17
	s_branch .LBB158_59
.LBB158_55:
	s_mov_b64 s[0:1], -1
                                        ; implicit-def: $sgpr16_sgpr17
.LBB158_56:
	s_andn2_b64 vcc, exec, s[0:1]
	s_cbranch_vccnz .LBB158_58
; %bb.57:
	global_load_ubyte v3, v[0:1], off
	s_andn2_b64 s[0:1], s[16:17], exec
	s_waitcnt vmcnt(0)
	v_and_b32_e32 v3, 0x7f, v3
	v_cmp_ne_u16_e32 vcc, 0, v3
	s_and_b64 s[16:17], vcc, exec
	s_or_b64 s[16:17], s[0:1], s[16:17]
.LBB158_58:
	s_mov_b64 s[0:1], 0
.LBB158_59:
	s_andn2_b64 vcc, exec, s[0:1]
	s_cbranch_vccnz .LBB158_61
; %bb.60:
	global_load_ubyte v3, v[0:1], off
	s_movk_i32 s0, 0x7f00
	s_brev_b32 s1, 16
	s_waitcnt vmcnt(0)
	v_lshlrev_b32_e32 v4, 8, v3
	v_lshlrev_b32_e32 v3, 25, v3
	v_lshrrev_b32_e32 v5, 4, v3
	v_and_or_b32 v4, v4, s0, 0.5
	v_or_b32_e32 v5, 0x70000000, v5
	v_add_f32_e32 v4, -0.5, v4
	v_mul_f32_e32 v5, 0x7800000, v5
	v_cmp_gt_u32_e32 vcc, s1, v3
	v_cndmask_b32_e32 v3, v5, v4, vcc
	v_cmp_neq_f32_e32 vcc, 0, v3
	s_andn2_b64 s[0:1], s[16:17], exec
	s_and_b64 s[16:17], vcc, exec
	s_or_b64 s[16:17], s[0:1], s[16:17]
.LBB158_61:
	s_mov_b64 s[18:19], 0
	s_mov_b64 s[0:1], -1
.LBB158_62:
	s_andn2_b64 vcc, exec, s[18:19]
	s_cbranch_vccnz .LBB158_73
; %bb.63:
	s_cmp_gt_i32 s25, 14
	s_cbranch_scc0 .LBB158_66
; %bb.64:
	s_cmp_eq_u32 s25, 15
	s_cbranch_scc0 .LBB158_67
; %bb.65:
	global_load_ushort v3, v[0:1], off
	s_mov_b64 s[0:1], -1
	s_mov_b64 s[20:21], 0
	s_waitcnt vmcnt(0)
	v_and_b32_e32 v3, 0x7fff, v3
	v_cmp_ne_u16_e64 s[16:17], 0, v3
	s_branch .LBB158_68
.LBB158_66:
	s_mov_b64 s[18:19], -1
                                        ; implicit-def: $sgpr16_sgpr17
	s_branch .LBB158_69
.LBB158_67:
	s_mov_b64 s[20:21], -1
                                        ; implicit-def: $sgpr16_sgpr17
.LBB158_68:
	s_mov_b64 s[18:19], 0
.LBB158_69:
	s_and_b64 vcc, exec, s[18:19]
	s_cbranch_vccz .LBB158_73
; %bb.70:
	s_cmp_eq_u32 s25, 11
	s_cbranch_scc0 .LBB158_72
; %bb.71:
	global_load_ubyte v3, v[0:1], off
	s_mov_b64 s[0:1], -1
	s_mov_b64 s[20:21], 0
	s_waitcnt vmcnt(0)
	v_cmp_ne_u16_e64 s[16:17], 0, v3
	s_branch .LBB158_73
.LBB158_72:
	s_mov_b64 s[20:21], -1
                                        ; implicit-def: $sgpr16_sgpr17
.LBB158_73:
	s_branch .LBB158_10
.LBB158_74:
	s_and_b32 s24, 0xffff, s24
	s_cmp_lt_i32 s24, 5
	s_cbranch_scc1 .LBB158_79
; %bb.75:
	s_cmp_lt_i32 s24, 8
	s_cbranch_scc1 .LBB158_80
; %bb.76:
	;; [unrolled: 3-line block ×3, first 2 shown]
	s_cmp_gt_i32 s24, 9
	s_cbranch_scc0 .LBB158_82
; %bb.78:
	global_load_dwordx4 v[3:6], v[0:1], off
	s_mov_b64 s[18:19], 0
	s_waitcnt vmcnt(0)
	v_cmp_neq_f64_e32 vcc, 0, v[3:4]
	v_cmp_neq_f64_e64 s[0:1], 0, v[5:6]
	s_or_b64 s[16:17], vcc, s[0:1]
	s_branch .LBB158_83
.LBB158_79:
                                        ; implicit-def: $sgpr16_sgpr17
	s_branch .LBB158_101
.LBB158_80:
	s_mov_b64 s[0:1], -1
                                        ; implicit-def: $sgpr16_sgpr17
	s_branch .LBB158_89
.LBB158_81:
	s_mov_b64 s[0:1], -1
                                        ; implicit-def: $sgpr16_sgpr17
	s_branch .LBB158_86
.LBB158_82:
	s_mov_b64 s[18:19], -1
                                        ; implicit-def: $sgpr16_sgpr17
.LBB158_83:
	s_andn2_b64 vcc, exec, s[18:19]
	s_cbranch_vccnz .LBB158_85
; %bb.84:
	global_load_dwordx2 v[3:4], v[0:1], off
	s_andn2_b64 s[0:1], s[16:17], exec
	s_waitcnt vmcnt(0)
	v_or_b32_e32 v3, v3, v4
	v_and_b32_e32 v3, 0x7fffffff, v3
	v_cmp_ne_u32_e32 vcc, 0, v3
	s_and_b64 s[16:17], vcc, exec
	s_or_b64 s[16:17], s[0:1], s[16:17]
.LBB158_85:
	s_mov_b64 s[0:1], 0
.LBB158_86:
	s_andn2_b64 vcc, exec, s[0:1]
	s_cbranch_vccnz .LBB158_88
; %bb.87:
	global_load_dword v3, v[0:1], off
	s_andn2_b64 s[0:1], s[16:17], exec
	s_waitcnt vmcnt(0)
	v_and_b32_e32 v3, 0x7fff7fff, v3
	v_cmp_ne_u32_e32 vcc, 0, v3
	s_and_b64 s[16:17], vcc, exec
	s_or_b64 s[16:17], s[0:1], s[16:17]
.LBB158_88:
	s_mov_b64 s[0:1], 0
.LBB158_89:
	s_andn2_b64 vcc, exec, s[0:1]
	s_cbranch_vccnz .LBB158_100
; %bb.90:
	s_cmp_lt_i32 s24, 6
	s_cbranch_scc1 .LBB158_93
; %bb.91:
	s_cmp_gt_i32 s24, 6
	s_cbranch_scc0 .LBB158_94
; %bb.92:
	global_load_dwordx2 v[3:4], v[0:1], off
	s_mov_b64 s[0:1], 0
	s_waitcnt vmcnt(0)
	v_cmp_neq_f64_e64 s[16:17], 0, v[3:4]
	s_branch .LBB158_95
.LBB158_93:
	s_mov_b64 s[0:1], -1
                                        ; implicit-def: $sgpr16_sgpr17
	s_branch .LBB158_98
.LBB158_94:
	s_mov_b64 s[0:1], -1
                                        ; implicit-def: $sgpr16_sgpr17
.LBB158_95:
	s_andn2_b64 vcc, exec, s[0:1]
	s_cbranch_vccnz .LBB158_97
; %bb.96:
	global_load_dword v3, v[0:1], off
	s_andn2_b64 s[0:1], s[16:17], exec
	s_waitcnt vmcnt(0)
	v_cmp_neq_f32_e32 vcc, 0, v3
	s_and_b64 s[16:17], vcc, exec
	s_or_b64 s[16:17], s[0:1], s[16:17]
.LBB158_97:
	s_mov_b64 s[0:1], 0
.LBB158_98:
	s_andn2_b64 vcc, exec, s[0:1]
	s_cbranch_vccnz .LBB158_100
; %bb.99:
	global_load_ushort v3, v[0:1], off
	s_andn2_b64 s[0:1], s[16:17], exec
	s_waitcnt vmcnt(0)
	v_and_b32_e32 v3, 0x7fff, v3
	v_cmp_ne_u16_e32 vcc, 0, v3
	s_and_b64 s[16:17], vcc, exec
	s_or_b64 s[16:17], s[0:1], s[16:17]
.LBB158_100:
	s_cbranch_execnz .LBB158_120
.LBB158_101:
	s_cmp_lt_i32 s24, 2
	s_cbranch_scc1 .LBB158_105
; %bb.102:
	s_cmp_lt_i32 s24, 3
	s_cbranch_scc1 .LBB158_106
; %bb.103:
	s_cmp_gt_i32 s24, 3
	s_cbranch_scc0 .LBB158_107
; %bb.104:
	global_load_dwordx2 v[3:4], v[0:1], off
	s_mov_b64 s[0:1], 0
	s_waitcnt vmcnt(0)
	v_cmp_ne_u64_e64 s[16:17], 0, v[3:4]
	s_branch .LBB158_108
.LBB158_105:
	s_mov_b64 s[0:1], -1
                                        ; implicit-def: $sgpr16_sgpr17
	s_branch .LBB158_114
.LBB158_106:
	s_mov_b64 s[0:1], -1
                                        ; implicit-def: $sgpr16_sgpr17
	s_branch .LBB158_111
.LBB158_107:
	s_mov_b64 s[0:1], -1
                                        ; implicit-def: $sgpr16_sgpr17
.LBB158_108:
	s_andn2_b64 vcc, exec, s[0:1]
	s_cbranch_vccnz .LBB158_110
; %bb.109:
	global_load_dword v3, v[0:1], off
	s_andn2_b64 s[0:1], s[16:17], exec
	s_waitcnt vmcnt(0)
	v_cmp_ne_u32_e32 vcc, 0, v3
	s_and_b64 s[16:17], vcc, exec
	s_or_b64 s[16:17], s[0:1], s[16:17]
.LBB158_110:
	s_mov_b64 s[0:1], 0
.LBB158_111:
	s_andn2_b64 vcc, exec, s[0:1]
	s_cbranch_vccnz .LBB158_113
; %bb.112:
	global_load_ushort v3, v[0:1], off
	s_andn2_b64 s[0:1], s[16:17], exec
	s_waitcnt vmcnt(0)
	v_cmp_ne_u16_e32 vcc, 0, v3
	s_and_b64 s[16:17], vcc, exec
	s_or_b64 s[16:17], s[0:1], s[16:17]
.LBB158_113:
	s_mov_b64 s[0:1], 0
.LBB158_114:
	s_andn2_b64 vcc, exec, s[0:1]
	s_cbranch_vccnz .LBB158_120
; %bb.115:
	s_cmp_gt_i32 s24, 0
	s_cbranch_scc0 .LBB158_117
; %bb.116:
	global_load_ubyte v3, v[0:1], off
	s_mov_b64 s[0:1], 0
	s_waitcnt vmcnt(0)
	v_cmp_ne_u16_e64 s[16:17], 0, v3
	s_branch .LBB158_118
.LBB158_117:
	s_mov_b64 s[0:1], -1
                                        ; implicit-def: $sgpr16_sgpr17
.LBB158_118:
	s_andn2_b64 vcc, exec, s[0:1]
	s_cbranch_vccnz .LBB158_120
; %bb.119:
	global_load_ubyte v0, v[0:1], off
	s_andn2_b64 s[0:1], s[16:17], exec
	s_waitcnt vmcnt(0)
	v_cmp_ne_u16_e32 vcc, 0, v0
	s_and_b64 s[16:17], vcc, exec
	s_or_b64 s[16:17], s[0:1], s[16:17]
.LBB158_120:
	s_branch .LBB158_11
.LBB158_121:
	s_mov_b64 s[0:1], 0
	s_mov_b64 s[18:19], 0
	s_mov_b64 s[28:29], 0
                                        ; implicit-def: $vgpr2
	s_branch .LBB158_359
.LBB158_122:
	s_mov_b64 s[20:21], -1
	s_mov_b64 s[18:19], 0
	s_branch .LBB158_124
.LBB158_123:
	s_mov_b64 s[18:19], -1
.LBB158_124:
	s_mov_b64 s[0:1], 0
                                        ; implicit-def: $sgpr24_sgpr25
.LBB158_125:
	s_and_b64 vcc, exec, s[20:21]
	s_cbranch_vccz .LBB158_127
; %bb.126:
	s_cmp_eq_u32 s29, 44
	s_mov_b64 s[18:19], -1
	s_cselect_b64 s[0:1], -1, 0
	s_or_b64 s[24:25], s[24:25], exec
.LBB158_127:
	s_mov_b64 s[20:21], 0
.LBB158_128:
	s_and_b64 vcc, exec, s[20:21]
	s_cbranch_vccz .LBB158_132
; %bb.129:
	s_cmp_eq_u32 s29, 29
	s_cbranch_scc0 .LBB158_131
; %bb.130:
	global_load_dwordx2 v[3:4], v[0:1], off
	s_mov_b64 s[18:19], 0
	s_mov_b64 s[0:1], -1
	s_mov_b64 s[20:21], 0
	s_waitcnt vmcnt(0)
	v_cmp_ne_u64_e64 s[24:25], 0, v[3:4]
	s_branch .LBB158_133
.LBB158_131:
	s_mov_b64 s[18:19], -1
                                        ; implicit-def: $sgpr24_sgpr25
.LBB158_132:
	s_mov_b64 s[20:21], 0
.LBB158_133:
	s_and_b64 vcc, exec, s[20:21]
	s_cbranch_vccz .LBB158_145
; %bb.134:
	s_cmp_lt_i32 s29, 27
	s_cbranch_scc1 .LBB158_137
; %bb.135:
	s_cmp_gt_i32 s29, 27
	s_cbranch_scc0 .LBB158_138
; %bb.136:
	global_load_dword v3, v[0:1], off
	s_mov_b64 s[0:1], 0
	s_waitcnt vmcnt(0)
	v_cmp_ne_u32_e64 s[24:25], 0, v3
	s_branch .LBB158_139
.LBB158_137:
	s_mov_b64 s[0:1], -1
                                        ; implicit-def: $sgpr24_sgpr25
	s_branch .LBB158_142
.LBB158_138:
	s_mov_b64 s[0:1], -1
                                        ; implicit-def: $sgpr24_sgpr25
.LBB158_139:
	s_andn2_b64 vcc, exec, s[0:1]
	s_cbranch_vccnz .LBB158_141
; %bb.140:
	global_load_ushort v3, v[0:1], off
	s_andn2_b64 s[0:1], s[24:25], exec
	s_waitcnt vmcnt(0)
	v_cmp_ne_u16_e32 vcc, 0, v3
	s_and_b64 s[20:21], vcc, exec
	s_or_b64 s[24:25], s[0:1], s[20:21]
.LBB158_141:
	s_mov_b64 s[0:1], 0
.LBB158_142:
	s_andn2_b64 vcc, exec, s[0:1]
	s_cbranch_vccnz .LBB158_144
; %bb.143:
	global_load_ubyte v3, v[0:1], off
	s_andn2_b64 s[0:1], s[24:25], exec
	s_waitcnt vmcnt(0)
	v_cmp_ne_u16_e32 vcc, 0, v3
	s_and_b64 s[20:21], vcc, exec
	s_or_b64 s[24:25], s[0:1], s[20:21]
.LBB158_144:
	s_mov_b64 s[0:1], -1
.LBB158_145:
	s_mov_b64 s[20:21], 0
.LBB158_146:
	s_and_b64 vcc, exec, s[20:21]
	s_cbranch_vccz .LBB158_171
; %bb.147:
	s_cmp_gt_i32 s29, 22
	s_cbranch_scc0 .LBB158_151
; %bb.148:
	s_cmp_lt_i32 s29, 24
	s_cbranch_scc1 .LBB158_152
; %bb.149:
	s_cmp_gt_i32 s29, 24
	s_cbranch_scc0 .LBB158_153
; %bb.150:
	global_load_ubyte v3, v[0:1], off
	s_mov_b64 s[0:1], 0
	s_waitcnt vmcnt(0)
	v_cmp_ne_u16_e64 s[24:25], 0, v3
	s_branch .LBB158_154
.LBB158_151:
	s_mov_b64 s[20:21], -1
                                        ; implicit-def: $sgpr24_sgpr25
	s_branch .LBB158_160
.LBB158_152:
	s_mov_b64 s[0:1], -1
                                        ; implicit-def: $sgpr24_sgpr25
	s_branch .LBB158_157
.LBB158_153:
	s_mov_b64 s[0:1], -1
                                        ; implicit-def: $sgpr24_sgpr25
.LBB158_154:
	s_andn2_b64 vcc, exec, s[0:1]
	s_cbranch_vccnz .LBB158_156
; %bb.155:
	global_load_ubyte v3, v[0:1], off
	s_andn2_b64 s[0:1], s[24:25], exec
	s_waitcnt vmcnt(0)
	v_and_b32_e32 v3, 0x7f, v3
	v_cmp_ne_u16_e32 vcc, 0, v3
	s_and_b64 s[20:21], vcc, exec
	s_or_b64 s[24:25], s[0:1], s[20:21]
.LBB158_156:
	s_mov_b64 s[0:1], 0
.LBB158_157:
	s_andn2_b64 vcc, exec, s[0:1]
	s_cbranch_vccnz .LBB158_159
; %bb.158:
	global_load_ubyte v3, v[0:1], off
	s_movk_i32 s0, 0x7f00
	s_brev_b32 s1, 16
	s_waitcnt vmcnt(0)
	v_lshlrev_b32_e32 v4, 8, v3
	v_lshlrev_b32_e32 v3, 25, v3
	v_lshrrev_b32_e32 v5, 4, v3
	v_and_or_b32 v4, v4, s0, 0.5
	v_or_b32_e32 v5, 0x70000000, v5
	v_add_f32_e32 v4, -0.5, v4
	v_mul_f32_e32 v5, 0x7800000, v5
	v_cmp_gt_u32_e32 vcc, s1, v3
	v_cndmask_b32_e32 v3, v5, v4, vcc
	v_cmp_neq_f32_e32 vcc, 0, v3
	s_andn2_b64 s[0:1], s[24:25], exec
	s_and_b64 s[20:21], vcc, exec
	s_or_b64 s[24:25], s[0:1], s[20:21]
.LBB158_159:
	s_mov_b64 s[20:21], 0
	s_mov_b64 s[0:1], -1
.LBB158_160:
	s_andn2_b64 vcc, exec, s[20:21]
	s_cbranch_vccnz .LBB158_171
; %bb.161:
	s_cmp_gt_i32 s29, 14
	s_cbranch_scc0 .LBB158_164
; %bb.162:
	s_cmp_eq_u32 s29, 15
	s_cbranch_scc0 .LBB158_165
; %bb.163:
	global_load_ushort v3, v[0:1], off
	s_mov_b64 s[0:1], -1
	s_mov_b64 s[18:19], 0
	s_waitcnt vmcnt(0)
	v_and_b32_e32 v3, 0x7fff, v3
	v_cmp_ne_u16_e64 s[24:25], 0, v3
	s_branch .LBB158_166
.LBB158_164:
	s_mov_b64 s[20:21], -1
                                        ; implicit-def: $sgpr24_sgpr25
	s_branch .LBB158_167
.LBB158_165:
	s_mov_b64 s[18:19], -1
                                        ; implicit-def: $sgpr24_sgpr25
.LBB158_166:
	s_mov_b64 s[20:21], 0
.LBB158_167:
	s_and_b64 vcc, exec, s[20:21]
	s_cbranch_vccz .LBB158_171
; %bb.168:
	s_cmp_eq_u32 s29, 11
	s_cbranch_scc0 .LBB158_170
; %bb.169:
	global_load_ubyte v3, v[0:1], off
	s_mov_b64 s[0:1], -1
	s_mov_b64 s[18:19], 0
	s_waitcnt vmcnt(0)
	v_cmp_ne_u16_e64 s[24:25], 0, v3
	s_branch .LBB158_171
.LBB158_170:
	s_mov_b64 s[18:19], -1
                                        ; implicit-def: $sgpr24_sgpr25
.LBB158_171:
	s_branch .LBB158_220
.LBB158_172:
	s_and_b32 s28, 0xffff, s28
	s_cmp_lt_i32 s28, 5
	s_cbranch_scc1 .LBB158_177
; %bb.173:
	s_cmp_lt_i32 s28, 8
	s_cbranch_scc1 .LBB158_178
; %bb.174:
	;; [unrolled: 3-line block ×3, first 2 shown]
	s_cmp_gt_i32 s28, 9
	s_cbranch_scc0 .LBB158_180
; %bb.176:
	global_load_dwordx4 v[3:6], v[0:1], off
	s_mov_b64 s[20:21], 0
	s_waitcnt vmcnt(0)
	v_cmp_neq_f64_e32 vcc, 0, v[3:4]
	v_cmp_neq_f64_e64 s[0:1], 0, v[5:6]
	s_or_b64 s[24:25], vcc, s[0:1]
	s_branch .LBB158_181
.LBB158_177:
	s_mov_b64 s[0:1], -1
                                        ; implicit-def: $sgpr24_sgpr25
	s_branch .LBB158_199
.LBB158_178:
	s_mov_b64 s[0:1], -1
                                        ; implicit-def: $sgpr24_sgpr25
	s_branch .LBB158_187
.LBB158_179:
	s_mov_b64 s[0:1], -1
                                        ; implicit-def: $sgpr24_sgpr25
	s_branch .LBB158_184
.LBB158_180:
	s_mov_b64 s[20:21], -1
                                        ; implicit-def: $sgpr24_sgpr25
.LBB158_181:
	s_andn2_b64 vcc, exec, s[20:21]
	s_cbranch_vccnz .LBB158_183
; %bb.182:
	global_load_dwordx2 v[3:4], v[0:1], off
	s_andn2_b64 s[0:1], s[24:25], exec
	s_waitcnt vmcnt(0)
	v_or_b32_e32 v3, v3, v4
	v_and_b32_e32 v3, 0x7fffffff, v3
	v_cmp_ne_u32_e32 vcc, 0, v3
	s_and_b64 s[20:21], vcc, exec
	s_or_b64 s[24:25], s[0:1], s[20:21]
.LBB158_183:
	s_mov_b64 s[0:1], 0
.LBB158_184:
	s_andn2_b64 vcc, exec, s[0:1]
	s_cbranch_vccnz .LBB158_186
; %bb.185:
	global_load_dword v3, v[0:1], off
	s_andn2_b64 s[0:1], s[24:25], exec
	s_waitcnt vmcnt(0)
	v_and_b32_e32 v3, 0x7fff7fff, v3
	v_cmp_ne_u32_e32 vcc, 0, v3
	s_and_b64 s[20:21], vcc, exec
	s_or_b64 s[24:25], s[0:1], s[20:21]
.LBB158_186:
	s_mov_b64 s[0:1], 0
.LBB158_187:
	s_andn2_b64 vcc, exec, s[0:1]
	s_cbranch_vccnz .LBB158_198
; %bb.188:
	s_cmp_lt_i32 s28, 6
	s_cbranch_scc1 .LBB158_191
; %bb.189:
	s_cmp_gt_i32 s28, 6
	s_cbranch_scc0 .LBB158_192
; %bb.190:
	global_load_dwordx2 v[3:4], v[0:1], off
	s_mov_b64 s[0:1], 0
	s_waitcnt vmcnt(0)
	v_cmp_neq_f64_e64 s[24:25], 0, v[3:4]
	s_branch .LBB158_193
.LBB158_191:
	s_mov_b64 s[0:1], -1
                                        ; implicit-def: $sgpr24_sgpr25
	s_branch .LBB158_196
.LBB158_192:
	s_mov_b64 s[0:1], -1
                                        ; implicit-def: $sgpr24_sgpr25
.LBB158_193:
	s_andn2_b64 vcc, exec, s[0:1]
	s_cbranch_vccnz .LBB158_195
; %bb.194:
	global_load_dword v3, v[0:1], off
	s_andn2_b64 s[0:1], s[24:25], exec
	s_waitcnt vmcnt(0)
	v_cmp_neq_f32_e32 vcc, 0, v3
	s_and_b64 s[20:21], vcc, exec
	s_or_b64 s[24:25], s[0:1], s[20:21]
.LBB158_195:
	s_mov_b64 s[0:1], 0
.LBB158_196:
	s_andn2_b64 vcc, exec, s[0:1]
	s_cbranch_vccnz .LBB158_198
; %bb.197:
	global_load_ushort v3, v[0:1], off
	s_andn2_b64 s[0:1], s[24:25], exec
	s_waitcnt vmcnt(0)
	v_and_b32_e32 v3, 0x7fff, v3
	v_cmp_ne_u16_e32 vcc, 0, v3
	s_and_b64 s[20:21], vcc, exec
	s_or_b64 s[24:25], s[0:1], s[20:21]
.LBB158_198:
	s_mov_b64 s[0:1], 0
.LBB158_199:
	s_andn2_b64 vcc, exec, s[0:1]
	s_cbranch_vccnz .LBB158_219
; %bb.200:
	s_cmp_lt_i32 s28, 2
	s_cbranch_scc1 .LBB158_204
; %bb.201:
	s_cmp_lt_i32 s28, 3
	s_cbranch_scc1 .LBB158_205
; %bb.202:
	s_cmp_gt_i32 s28, 3
	s_cbranch_scc0 .LBB158_206
; %bb.203:
	global_load_dwordx2 v[3:4], v[0:1], off
	s_mov_b64 s[0:1], 0
	s_waitcnt vmcnt(0)
	v_cmp_ne_u64_e64 s[24:25], 0, v[3:4]
	s_branch .LBB158_207
.LBB158_204:
	s_mov_b64 s[0:1], -1
                                        ; implicit-def: $sgpr24_sgpr25
	s_branch .LBB158_213
.LBB158_205:
	s_mov_b64 s[0:1], -1
                                        ; implicit-def: $sgpr24_sgpr25
	s_branch .LBB158_210
.LBB158_206:
	s_mov_b64 s[0:1], -1
                                        ; implicit-def: $sgpr24_sgpr25
.LBB158_207:
	s_andn2_b64 vcc, exec, s[0:1]
	s_cbranch_vccnz .LBB158_209
; %bb.208:
	global_load_dword v3, v[0:1], off
	s_andn2_b64 s[0:1], s[24:25], exec
	s_waitcnt vmcnt(0)
	v_cmp_ne_u32_e32 vcc, 0, v3
	s_and_b64 s[20:21], vcc, exec
	s_or_b64 s[24:25], s[0:1], s[20:21]
.LBB158_209:
	s_mov_b64 s[0:1], 0
.LBB158_210:
	s_andn2_b64 vcc, exec, s[0:1]
	s_cbranch_vccnz .LBB158_212
; %bb.211:
	global_load_ushort v3, v[0:1], off
	s_andn2_b64 s[0:1], s[24:25], exec
	s_waitcnt vmcnt(0)
	v_cmp_ne_u16_e32 vcc, 0, v3
	s_and_b64 s[20:21], vcc, exec
	s_or_b64 s[24:25], s[0:1], s[20:21]
.LBB158_212:
	s_mov_b64 s[0:1], 0
.LBB158_213:
	s_andn2_b64 vcc, exec, s[0:1]
	s_cbranch_vccnz .LBB158_219
; %bb.214:
	s_cmp_gt_i32 s28, 0
	s_cbranch_scc0 .LBB158_216
; %bb.215:
	global_load_ubyte v3, v[0:1], off
	s_mov_b64 s[0:1], 0
	s_waitcnt vmcnt(0)
	v_cmp_ne_u16_e64 s[24:25], 0, v3
	s_branch .LBB158_217
.LBB158_216:
	s_mov_b64 s[0:1], -1
                                        ; implicit-def: $sgpr24_sgpr25
.LBB158_217:
	s_andn2_b64 vcc, exec, s[0:1]
	s_cbranch_vccnz .LBB158_219
; %bb.218:
	global_load_ubyte v0, v[0:1], off
	s_andn2_b64 s[0:1], s[24:25], exec
	s_waitcnt vmcnt(0)
	v_cmp_ne_u16_e32 vcc, 0, v0
	s_and_b64 s[20:21], vcc, exec
	s_or_b64 s[24:25], s[0:1], s[20:21]
.LBB158_219:
	s_mov_b64 s[0:1], -1
.LBB158_220:
	s_mov_b64 s[20:21], 0
	s_andn2_b64 vcc, exec, s[0:1]
	s_mov_b64 s[0:1], 0
	s_mov_b64 s[28:29], 0
	s_cbranch_vccnz .LBB158_359
; %bb.221:
	s_cmp_lt_i32 s15, 1
	s_cbranch_scc1 .LBB158_225
; %bb.222:
	s_cmp_gt_i32 s15, 1
	s_cbranch_scc0 .LBB158_228
; %bb.223:
	s_cmp_eq_u32 s15, 2
	s_cbranch_scc0 .LBB158_229
; %bb.224:
	s_xor_b64 s[18:19], s[16:17], -1
	s_or_b64 s[18:19], s[24:25], s[18:19]
	s_branch .LBB158_230
.LBB158_225:
                                        ; implicit-def: $sgpr18_sgpr19
	s_cbranch_execnz .LBB158_234
.LBB158_226:
	s_andn2_b64 vcc, exec, s[28:29]
	s_cbranch_vccnz .LBB158_235
.LBB158_227:
	s_xor_b64 s[0:1], s[16:17], -1
	s_and_b64 s[28:29], s[24:25], s[0:1]
	s_andn2_b64 s[18:19], s[18:19], exec
	s_and_b64 s[28:29], s[28:29], exec
	s_or_b64 s[18:19], s[18:19], s[28:29]
	s_cbranch_execz .LBB158_236
	s_branch .LBB158_237
.LBB158_228:
	s_mov_b64 s[30:31], -1
                                        ; implicit-def: $sgpr18_sgpr19
	s_branch .LBB158_231
.LBB158_229:
	s_mov_b64 s[28:29], -1
                                        ; implicit-def: $sgpr18_sgpr19
.LBB158_230:
	s_mov_b64 s[30:31], 0
.LBB158_231:
	s_and_b64 vcc, exec, s[30:31]
	s_cbranch_vccz .LBB158_233
; %bb.232:
	s_xor_b64 s[30:31], s[24:25], -1
	s_and_b64 s[30:31], s[16:17], s[30:31]
	s_andn2_b64 s[18:19], s[18:19], exec
	s_and_b64 s[30:31], s[30:31], exec
	s_or_b64 s[18:19], s[18:19], s[30:31]
.LBB158_233:
	s_branch .LBB158_226
.LBB158_234:
	s_cmp_lg_u32 s15, 0
	s_mov_b64 s[0:1], -1
	s_cselect_b64 s[28:29], -1, 0
	s_andn2_b64 vcc, exec, s[28:29]
	s_cbranch_vccz .LBB158_227
.LBB158_235:
	s_andn2_b64 vcc, exec, s[0:1]
	s_cbranch_vccnz .LBB158_237
.LBB158_236:
	s_xor_b64 s[0:1], s[24:25], -1
	s_or_b64 s[0:1], s[16:17], s[0:1]
	s_andn2_b64 s[16:17], s[18:19], exec
	s_and_b64 s[0:1], s[0:1], exec
	s_or_b64 s[18:19], s[16:17], s[0:1]
.LBB158_237:
	v_mul_lo_u32 v0, v2, s12
	v_mov_b32_e32 v1, s9
	s_and_b32 s30, s33, 0xff
	s_cmp_lt_i32 s30, 11
	v_ashrrev_i32_e32 v3, 31, v0
	v_add_co_u32_e32 v0, vcc, s8, v0
	v_addc_co_u32_e32 v1, vcc, v1, v3, vcc
	s_cbranch_scc1 .LBB158_244
; %bb.238:
	s_and_b32 s31, 0xffff, s30
	s_cmp_gt_i32 s31, 25
	s_cbranch_scc0 .LBB158_245
; %bb.239:
	s_cmp_gt_i32 s31, 28
	s_cbranch_scc0 .LBB158_246
; %bb.240:
	;; [unrolled: 3-line block ×4, first 2 shown]
	s_mov_b64 s[24:25], 0
	s_mov_b64 s[0:1], -1
	s_cmp_eq_u32 s31, 46
	s_mov_b64 s[16:17], 0
	s_cbranch_scc0 .LBB158_249
; %bb.243:
	v_cndmask_b32_e64 v3, 0, 1.0, s[18:19]
	v_bfe_u32 v4, v3, 16, 1
	s_movk_i32 s0, 0x7fff
	v_add3_u32 v3, v3, v4, s0
	v_lshrrev_b32_e32 v3, 16, v3
	global_store_dword v[0:1], v3, off
	s_mov_b64 s[16:17], -1
	s_mov_b64 s[0:1], 0
	s_branch .LBB158_249
.LBB158_244:
	s_mov_b64 s[24:25], -1
	s_mov_b64 s[0:1], 0
	s_mov_b64 s[16:17], 0
	s_branch .LBB158_318
.LBB158_245:
	s_mov_b64 s[24:25], -1
	s_mov_b64 s[0:1], 0
	s_mov_b64 s[16:17], 0
	s_branch .LBB158_276
.LBB158_246:
	s_mov_b64 s[24:25], -1
	s_mov_b64 s[0:1], 0
	s_mov_b64 s[16:17], 0
	s_branch .LBB158_259
.LBB158_247:
	s_mov_b64 s[24:25], -1
	s_mov_b64 s[0:1], 0
	s_mov_b64 s[16:17], 0
	s_branch .LBB158_255
.LBB158_248:
	s_mov_b64 s[24:25], -1
	s_mov_b64 s[0:1], 0
	s_mov_b64 s[16:17], 0
.LBB158_249:
	s_and_b64 vcc, exec, s[24:25]
	s_cbranch_vccz .LBB158_254
; %bb.250:
	s_cmp_eq_u32 s31, 44
	s_mov_b64 s[0:1], -1
	s_cbranch_scc0 .LBB158_254
; %bb.251:
	v_cndmask_b32_e64 v4, 0, 1.0, s[18:19]
	v_lshrrev_b32_e32 v3, 23, v4
	s_movk_i32 s0, 0xff
	v_cmp_ne_u32_e32 vcc, s0, v3
	v_mov_b32_e32 v5, 0xff
	s_and_saveexec_b64 s[16:17], vcc
; %bb.252:
	s_mov_b32 s0, 0x3fffff
	v_and_b32_e32 v5, 0x400000, v4
	v_and_or_b32 v4, v4, s0, v3
	v_cmp_ne_u32_e32 vcc, 0, v5
	v_cmp_ne_u32_e64 s[0:1], 0, v4
	s_and_b64 s[0:1], vcc, s[0:1]
	v_cndmask_b32_e64 v4, 0, 1, s[0:1]
	v_add_u32_e32 v5, v3, v4
; %bb.253:
	s_or_b64 exec, exec, s[16:17]
	s_mov_b64 s[16:17], -1
	s_mov_b64 s[0:1], 0
	global_store_byte v[0:1], v5, off
.LBB158_254:
	s_mov_b64 s[24:25], 0
.LBB158_255:
	s_and_b64 vcc, exec, s[24:25]
	s_cbranch_vccz .LBB158_258
; %bb.256:
	s_cmp_eq_u32 s31, 29
	s_mov_b64 s[0:1], -1
	s_cbranch_scc0 .LBB158_258
; %bb.257:
	s_mov_b32 s0, 0
	v_cndmask_b32_e64 v3, 0, 1, s[18:19]
	v_mov_b32_e32 v4, s0
	global_store_dwordx2 v[0:1], v[3:4], off
	s_mov_b64 s[16:17], -1
	s_mov_b64 s[0:1], 0
.LBB158_258:
	s_mov_b64 s[24:25], 0
.LBB158_259:
	s_and_b64 vcc, exec, s[24:25]
	s_cbranch_vccz .LBB158_275
; %bb.260:
	s_cmp_lt_i32 s31, 27
	s_mov_b64 s[16:17], -1
	s_cbranch_scc1 .LBB158_266
; %bb.261:
	s_cmp_gt_i32 s31, 27
	s_cbranch_scc0 .LBB158_263
; %bb.262:
	v_cndmask_b32_e64 v3, 0, 1, s[18:19]
	s_mov_b64 s[16:17], 0
	global_store_dword v[0:1], v3, off
.LBB158_263:
	s_andn2_b64 vcc, exec, s[16:17]
	s_cbranch_vccnz .LBB158_265
; %bb.264:
	v_cndmask_b32_e64 v3, 0, 1, s[18:19]
	global_store_short v[0:1], v3, off
.LBB158_265:
	s_mov_b64 s[16:17], 0
.LBB158_266:
	s_andn2_b64 vcc, exec, s[16:17]
	s_cbranch_vccnz .LBB158_274
; %bb.267:
	v_cndmask_b32_e64 v4, 0, 1.0, s[18:19]
	s_mov_b32 s16, 0x43800000
	v_cmp_gt_u32_e32 vcc, s16, v4
	v_mov_b32_e32 v5, 0x80
	s_and_saveexec_b64 s[16:17], vcc
	s_cbranch_execz .LBB158_273
; %bb.268:
	s_mov_b32 s24, 0x3bffffff
	v_cmp_lt_u32_e32 vcc, s24, v4
	s_mov_b64 s[24:25], 0
                                        ; implicit-def: $vgpr3
	s_and_saveexec_b64 s[28:29], vcc
	s_xor_b64 s[28:29], exec, s[28:29]
	s_cbranch_execz .LBB158_389
; %bb.269:
	v_bfe_u32 v3, v4, 20, 1
	s_mov_b32 s34, 0x487ffff
	v_add3_u32 v3, v4, v3, s34
	s_mov_b64 s[24:25], exec
	v_lshrrev_b32_e32 v3, 20, v3
                                        ; implicit-def: $vgpr4
	s_andn2_saveexec_b64 s[28:29], s[28:29]
	s_cbranch_execnz .LBB158_390
.LBB158_270:
	s_or_b64 exec, exec, s[28:29]
	v_mov_b32_e32 v5, 0
	s_and_saveexec_b64 s[28:29], s[24:25]
.LBB158_271:
	v_mov_b32_e32 v5, v3
.LBB158_272:
	s_or_b64 exec, exec, s[28:29]
.LBB158_273:
	s_or_b64 exec, exec, s[16:17]
	global_store_byte v[0:1], v5, off
.LBB158_274:
	s_mov_b64 s[16:17], -1
.LBB158_275:
	s_mov_b64 s[24:25], 0
.LBB158_276:
	s_and_b64 vcc, exec, s[24:25]
	s_cbranch_vccz .LBB158_317
; %bb.277:
	s_cmp_gt_i32 s31, 22
	s_mov_b64 s[24:25], -1
	s_cbranch_scc0 .LBB158_309
; %bb.278:
	s_cmp_lt_i32 s31, 24
	s_mov_b64 s[16:17], -1
	s_cbranch_scc1 .LBB158_298
; %bb.279:
	s_cmp_gt_i32 s31, 24
	s_cbranch_scc0 .LBB158_287
; %bb.280:
	v_cndmask_b32_e64 v4, 0, 1.0, s[18:19]
	s_mov_b32 s16, 0x47800000
	v_cmp_gt_u32_e32 vcc, s16, v4
	v_mov_b32_e32 v5, 0x80
	s_and_saveexec_b64 s[16:17], vcc
	s_cbranch_execz .LBB158_286
; %bb.281:
	s_mov_b32 s24, 0x37ffffff
	v_cmp_lt_u32_e32 vcc, s24, v4
	s_mov_b64 s[24:25], 0
                                        ; implicit-def: $vgpr3
	s_and_saveexec_b64 s[28:29], vcc
	s_xor_b64 s[28:29], exec, s[28:29]
	s_cbranch_execz .LBB158_489
; %bb.282:
	v_bfe_u32 v3, v4, 21, 1
	s_mov_b32 s34, 0x88fffff
	v_add3_u32 v3, v4, v3, s34
	s_mov_b64 s[24:25], exec
	v_lshrrev_b32_e32 v3, 21, v3
                                        ; implicit-def: $vgpr4
	s_andn2_saveexec_b64 s[28:29], s[28:29]
	s_cbranch_execnz .LBB158_490
.LBB158_283:
	s_or_b64 exec, exec, s[28:29]
	v_mov_b32_e32 v5, 0
	s_and_saveexec_b64 s[28:29], s[24:25]
.LBB158_284:
	v_mov_b32_e32 v5, v3
.LBB158_285:
	s_or_b64 exec, exec, s[28:29]
.LBB158_286:
	s_or_b64 exec, exec, s[16:17]
	s_mov_b64 s[16:17], 0
	global_store_byte v[0:1], v5, off
.LBB158_287:
	s_and_b64 vcc, exec, s[16:17]
	s_cbranch_vccz .LBB158_297
; %bb.288:
	v_cndmask_b32_e64 v3, 0, 1.0, s[18:19]
	s_mov_b32 s16, 0x43f00000
	v_cmp_gt_u32_e32 vcc, s16, v3
                                        ; implicit-def: $vgpr4
	s_and_saveexec_b64 s[16:17], vcc
	s_xor_b64 s[16:17], exec, s[16:17]
	s_cbranch_execz .LBB158_294
; %bb.289:
	s_mov_b32 s24, 0x3c7fffff
	v_cmp_lt_u32_e32 vcc, s24, v3
                                        ; implicit-def: $vgpr4
	s_and_saveexec_b64 s[24:25], vcc
	s_xor_b64 s[24:25], exec, s[24:25]
; %bb.290:
	v_bfe_u32 v4, v3, 20, 1
	s_mov_b32 s28, 0x407ffff
	v_add3_u32 v3, v3, v4, s28
	v_lshrrev_b32_e32 v4, 20, v3
	v_and_b32_e32 v3, 0xff00000, v3
	s_mov_b32 s28, 0x7f00000
	v_mov_b32_e32 v5, 0x7e
	v_cmp_ne_u32_e32 vcc, s28, v3
	v_cndmask_b32_e32 v4, v5, v4, vcc
                                        ; implicit-def: $vgpr3
; %bb.291:
	s_andn2_saveexec_b64 s[24:25], s[24:25]
; %bb.292:
	v_add_f32_e32 v4, 0x46800000, v3
; %bb.293:
	s_or_b64 exec, exec, s[24:25]
                                        ; implicit-def: $vgpr3
.LBB158_294:
	s_andn2_saveexec_b64 s[16:17], s[16:17]
; %bb.295:
	s_mov_b32 s24, 0x7f800000
	v_mov_b32_e32 v4, 0x7e
	v_mov_b32_e32 v5, 0x7f
	v_cmp_lt_u32_e32 vcc, s24, v3
	v_cndmask_b32_e32 v4, v4, v5, vcc
; %bb.296:
	s_or_b64 exec, exec, s[16:17]
	global_store_byte v[0:1], v4, off
.LBB158_297:
	s_mov_b64 s[16:17], 0
.LBB158_298:
	s_andn2_b64 vcc, exec, s[16:17]
	s_cbranch_vccnz .LBB158_308
; %bb.299:
	v_cndmask_b32_e64 v3, 0, 1.0, s[18:19]
	s_mov_b32 s16, 0x47800000
	v_cmp_gt_u32_e32 vcc, s16, v3
                                        ; implicit-def: $vgpr4
	s_and_saveexec_b64 s[16:17], vcc
	s_xor_b64 s[16:17], exec, s[16:17]
	s_cbranch_execz .LBB158_305
; %bb.300:
	s_mov_b32 s24, 0x387fffff
	v_cmp_lt_u32_e32 vcc, s24, v3
                                        ; implicit-def: $vgpr4
	s_and_saveexec_b64 s[24:25], vcc
	s_xor_b64 s[24:25], exec, s[24:25]
; %bb.301:
	v_bfe_u32 v4, v3, 21, 1
	s_mov_b32 s28, 0x80fffff
	v_add3_u32 v3, v3, v4, s28
	v_lshrrev_b32_e32 v4, 21, v3
                                        ; implicit-def: $vgpr3
; %bb.302:
	s_andn2_saveexec_b64 s[24:25], s[24:25]
; %bb.303:
	v_add_f32_e32 v4, 0x43000000, v3
; %bb.304:
	s_or_b64 exec, exec, s[24:25]
                                        ; implicit-def: $vgpr3
.LBB158_305:
	s_andn2_saveexec_b64 s[16:17], s[16:17]
; %bb.306:
	s_mov_b32 s24, 0x7f800000
	v_mov_b32_e32 v4, 0x7c
	v_mov_b32_e32 v5, 0x7f
	v_cmp_lt_u32_e32 vcc, s24, v3
	v_cndmask_b32_e32 v4, v4, v5, vcc
; %bb.307:
	s_or_b64 exec, exec, s[16:17]
	global_store_byte v[0:1], v4, off
.LBB158_308:
	s_mov_b64 s[24:25], 0
	s_mov_b64 s[16:17], -1
.LBB158_309:
	s_andn2_b64 vcc, exec, s[24:25]
	s_cbranch_vccnz .LBB158_317
; %bb.310:
	s_cmp_gt_i32 s31, 14
	s_mov_b64 s[24:25], -1
	s_cbranch_scc0 .LBB158_314
; %bb.311:
	s_cmp_eq_u32 s31, 15
	s_mov_b64 s[0:1], -1
	s_cbranch_scc0 .LBB158_313
; %bb.312:
	v_cndmask_b32_e64 v3, 0, 1.0, s[18:19]
	v_bfe_u32 v4, v3, 16, 1
	s_movk_i32 s0, 0x7fff
	v_add3_u32 v3, v3, v4, s0
	global_store_short_d16_hi v[0:1], v3, off
	s_mov_b64 s[16:17], -1
	s_mov_b64 s[0:1], 0
.LBB158_313:
	s_mov_b64 s[24:25], 0
.LBB158_314:
	s_and_b64 vcc, exec, s[24:25]
	s_cbranch_vccz .LBB158_317
; %bb.315:
	s_cmp_eq_u32 s31, 11
	s_mov_b64 s[0:1], -1
	s_cbranch_scc0 .LBB158_317
; %bb.316:
	v_cndmask_b32_e64 v3, 0, 1, s[18:19]
	s_mov_b64 s[16:17], -1
	s_mov_b64 s[0:1], 0
	global_store_byte v[0:1], v3, off
.LBB158_317:
	s_mov_b64 s[24:25], 0
.LBB158_318:
	s_and_b64 vcc, exec, s[24:25]
	s_cbranch_vccz .LBB158_357
; %bb.319:
	s_and_b32 s24, 0xffff, s30
	s_cmp_lt_i32 s24, 5
	s_mov_b64 s[16:17], -1
	s_cbranch_scc1 .LBB158_340
; %bb.320:
	s_cmp_lt_i32 s24, 8
	s_cbranch_scc1 .LBB158_330
; %bb.321:
	s_cmp_lt_i32 s24, 9
	s_cbranch_scc1 .LBB158_327
; %bb.322:
	s_cmp_gt_i32 s24, 9
	s_cbranch_scc0 .LBB158_324
; %bb.323:
	v_cndmask_b32_e64 v3, 0, 1, s[18:19]
	v_cvt_f64_u32_e32 v[3:4], v3
	v_mov_b32_e32 v5, 0
	v_mov_b32_e32 v6, v5
	s_mov_b64 s[16:17], 0
	global_store_dwordx4 v[0:1], v[3:6], off
.LBB158_324:
	s_andn2_b64 vcc, exec, s[16:17]
	s_cbranch_vccnz .LBB158_326
; %bb.325:
	v_cndmask_b32_e64 v3, 0, 1.0, s[18:19]
	v_mov_b32_e32 v4, 0
	global_store_dwordx2 v[0:1], v[3:4], off
.LBB158_326:
	s_mov_b64 s[16:17], 0
.LBB158_327:
	s_andn2_b64 vcc, exec, s[16:17]
	s_cbranch_vccnz .LBB158_329
; %bb.328:
	v_cndmask_b32_e64 v3, 0, 1.0, s[18:19]
	v_cvt_f16_f32_e32 v3, v3
	global_store_dword v[0:1], v3, off
.LBB158_329:
	s_mov_b64 s[16:17], 0
.LBB158_330:
	s_andn2_b64 vcc, exec, s[16:17]
	s_cbranch_vccnz .LBB158_339
; %bb.331:
	s_cmp_lt_i32 s24, 6
	s_mov_b64 s[16:17], -1
	s_cbranch_scc1 .LBB158_337
; %bb.332:
	s_cmp_gt_i32 s24, 6
	s_cbranch_scc0 .LBB158_334
; %bb.333:
	v_cndmask_b32_e64 v3, 0, 1, s[18:19]
	v_cvt_f64_u32_e32 v[3:4], v3
	s_mov_b64 s[16:17], 0
	global_store_dwordx2 v[0:1], v[3:4], off
.LBB158_334:
	s_andn2_b64 vcc, exec, s[16:17]
	s_cbranch_vccnz .LBB158_336
; %bb.335:
	v_cndmask_b32_e64 v3, 0, 1.0, s[18:19]
	global_store_dword v[0:1], v3, off
.LBB158_336:
	s_mov_b64 s[16:17], 0
.LBB158_337:
	s_andn2_b64 vcc, exec, s[16:17]
	s_cbranch_vccnz .LBB158_339
; %bb.338:
	v_cndmask_b32_e64 v3, 0, 1.0, s[18:19]
	v_cvt_f16_f32_e32 v3, v3
	global_store_short v[0:1], v3, off
.LBB158_339:
	s_mov_b64 s[16:17], 0
.LBB158_340:
	s_andn2_b64 vcc, exec, s[16:17]
	s_cbranch_vccnz .LBB158_356
; %bb.341:
	s_cmp_lt_i32 s24, 2
	s_mov_b64 s[16:17], -1
	s_cbranch_scc1 .LBB158_351
; %bb.342:
	s_cmp_lt_i32 s24, 3
	s_cbranch_scc1 .LBB158_348
; %bb.343:
	s_cmp_gt_i32 s24, 3
	s_cbranch_scc0 .LBB158_345
; %bb.344:
	s_mov_b32 s16, 0
	v_cndmask_b32_e64 v3, 0, 1, s[18:19]
	v_mov_b32_e32 v4, s16
	global_store_dwordx2 v[0:1], v[3:4], off
	s_mov_b64 s[16:17], 0
.LBB158_345:
	s_andn2_b64 vcc, exec, s[16:17]
	s_cbranch_vccnz .LBB158_347
; %bb.346:
	v_cndmask_b32_e64 v3, 0, 1, s[18:19]
	global_store_dword v[0:1], v3, off
.LBB158_347:
	s_mov_b64 s[16:17], 0
.LBB158_348:
	s_andn2_b64 vcc, exec, s[16:17]
	s_cbranch_vccnz .LBB158_350
; %bb.349:
	v_cndmask_b32_e64 v3, 0, 1, s[18:19]
	global_store_short v[0:1], v3, off
.LBB158_350:
	s_mov_b64 s[16:17], 0
.LBB158_351:
	s_andn2_b64 vcc, exec, s[16:17]
	s_cbranch_vccnz .LBB158_356
; %bb.352:
	s_mov_b64 s[16:17], -1
	s_cmp_gt_i32 s24, 0
	v_cndmask_b32_e64 v3, 0, 1, s[18:19]
	s_cbranch_scc0 .LBB158_354
; %bb.353:
	global_store_byte v[0:1], v3, off
	s_mov_b64 s[16:17], 0
.LBB158_354:
	s_andn2_b64 vcc, exec, s[16:17]
	s_cbranch_vccnz .LBB158_356
; %bb.355:
	global_store_byte v[0:1], v3, off
.LBB158_356:
	s_mov_b64 s[16:17], -1
.LBB158_357:
	s_mov_b64 s[18:19], 0
	s_andn2_b64 vcc, exec, s[16:17]
	s_mov_b64 s[28:29], 0
	s_cbranch_vccnz .LBB158_359
; %bb.358:
	v_add_u32_e32 v2, 0x80, v2
	s_mov_b64 s[28:29], -1
.LBB158_359:
	s_and_b64 s[16:17], s[0:1], exec
	s_and_b64 s[18:19], s[18:19], exec
	;; [unrolled: 1-line block ×3, first 2 shown]
	s_orn2_b64 s[24:25], s[28:29], exec
.LBB158_360:
	s_or_b64 exec, exec, s[22:23]
	s_mov_b64 s[0:1], 0
	s_mov_b64 s[28:29], 0
                                        ; implicit-def: $sgpr34_sgpr35
                                        ; implicit-def: $sgpr58
                                        ; implicit-def: $vgpr0_vgpr1
	s_and_saveexec_b64 s[22:23], s[24:25]
	s_cbranch_execz .LBB158_369
; %bb.361:
	v_cmp_gt_i32_e32 vcc, s50, v2
	s_mov_b64 s[0:1], -1
	s_mov_b64 s[24:25], s[20:21]
	s_mov_b64 s[26:27], s[18:19]
	;; [unrolled: 1-line block ×3, first 2 shown]
	s_and_saveexec_b64 s[30:31], vcc
	s_cbranch_execz .LBB158_729
; %bb.362:
	v_mul_lo_u32 v0, v2, s13
	v_mov_b32_e32 v1, s11
	s_and_b32 s34, s57, 0xff
	s_cmp_lt_i32 s34, 11
	v_ashrrev_i32_e32 v3, 31, v0
	v_add_co_u32_e32 v0, vcc, s10, v0
	v_addc_co_u32_e32 v1, vcc, v1, v3, vcc
	s_cbranch_scc1 .LBB158_372
; %bb.363:
	s_and_b32 s35, 0xffff, s34
	s_cmp_gt_i32 s35, 25
	s_cbranch_scc0 .LBB158_381
; %bb.364:
	s_cmp_gt_i32 s35, 28
	s_cbranch_scc0 .LBB158_383
; %bb.365:
	;; [unrolled: 3-line block ×4, first 2 shown]
	s_cmp_eq_u32 s35, 46
	s_mov_b64 s[28:29], 0
	s_cbranch_scc0 .LBB158_391
; %bb.368:
	global_load_dword v3, v[0:1], off
	s_mov_b64 s[24:25], 0
	s_waitcnt vmcnt(0)
	v_and_b32_e32 v3, 0x7fff7fff, v3
	v_cmp_ne_u32_e64 s[26:27], 0, v3
	s_branch .LBB158_392
.LBB158_369:
	s_or_b64 exec, exec, s[22:23]
	s_mov_b64 s[22:23], 0
	s_and_saveexec_b64 s[24:25], s[20:21]
	s_cbranch_execnz .LBB158_1163
.LBB158_370:
	s_or_b64 exec, exec, s[24:25]
	s_and_saveexec_b64 s[20:21], s[26:27]
	s_xor_b64 s[20:21], exec, s[20:21]
	s_cbranch_execz .LBB158_1164
.LBB158_371:
	global_load_ubyte v3, v[0:1], off
	s_andn2_b64 s[24:25], s[34:35], exec
	s_or_b64 s[28:29], s[28:29], exec
	s_waitcnt vmcnt(0)
	v_cmp_ne_u16_e32 vcc, 0, v3
	s_and_b64 s[26:27], vcc, exec
	s_or_b64 s[34:35], s[24:25], s[26:27]
	s_or_b64 exec, exec, s[20:21]
	s_and_saveexec_b64 s[20:21], s[0:1]
	s_cbranch_execz .LBB158_1210
	s_branch .LBB158_1165
.LBB158_372:
	s_mov_b64 s[0:1], 0
                                        ; implicit-def: $sgpr26_sgpr27
	s_mov_b64 s[24:25], s[20:21]
	s_cbranch_execnz .LBB158_439
.LBB158_373:
	s_andn2_b64 vcc, exec, s[0:1]
	s_cbranch_vccnz .LBB158_487
.LBB158_374:
	v_mul_lo_u32 v0, v2, s14
	v_mov_b32_e32 v1, s3
	s_and_b32 s28, s56, 0xff
	s_cmp_lt_i32 s28, 11
	v_ashrrev_i32_e32 v3, 31, v0
	v_add_co_u32_e32 v0, vcc, s2, v0
	v_addc_co_u32_e32 v1, vcc, v1, v3, vcc
	s_cbranch_scc1 .LBB158_382
; %bb.375:
	s_and_b32 s29, 0xffff, s28
	s_cmp_gt_i32 s29, 25
	s_cbranch_scc0 .LBB158_384
; %bb.376:
	s_cmp_gt_i32 s29, 28
	s_cbranch_scc0 .LBB158_386
; %bb.377:
	;; [unrolled: 3-line block ×4, first 2 shown]
	s_cmp_eq_u32 s29, 46
	s_mov_b64 s[24:25], 0
	s_cbranch_scc0 .LBB158_491
; %bb.380:
	global_load_dword v3, v[0:1], off
	s_mov_b64 s[0:1], -1
	s_mov_b64 s[34:35], 0
	s_waitcnt vmcnt(0)
	v_and_b32_e32 v3, 0x7fff7fff, v3
	v_cmp_ne_u32_e64 s[36:37], 0, v3
	s_branch .LBB158_492
.LBB158_381:
	s_mov_b64 s[28:29], -1
	s_mov_b64 s[0:1], 0
	s_mov_b64 s[24:25], s[20:21]
                                        ; implicit-def: $sgpr26_sgpr27
	s_branch .LBB158_413
.LBB158_382:
	s_mov_b64 s[24:25], -1
	s_mov_b64 s[0:1], 0
                                        ; implicit-def: $sgpr36_sgpr37
	s_mov_b64 s[34:35], s[18:19]
	s_branch .LBB158_539
.LBB158_383:
	s_mov_b64 s[28:29], -1
	s_mov_b64 s[0:1], 0
	s_mov_b64 s[24:25], s[20:21]
                                        ; implicit-def: $sgpr26_sgpr27
	s_branch .LBB158_400
.LBB158_384:
	s_mov_b64 s[24:25], -1
	s_mov_b64 s[0:1], 0
	s_mov_b64 s[34:35], s[18:19]
                                        ; implicit-def: $sgpr36_sgpr37
	s_branch .LBB158_513
.LBB158_385:
	s_mov_b64 s[28:29], -1
	s_mov_b64 s[0:1], 0
	s_mov_b64 s[24:25], s[20:21]
                                        ; implicit-def: $sgpr26_sgpr27
	s_branch .LBB158_395
.LBB158_386:
	s_mov_b64 s[24:25], -1
	s_mov_b64 s[0:1], 0
	s_mov_b64 s[34:35], s[18:19]
                                        ; implicit-def: $sgpr36_sgpr37
	s_branch .LBB158_500
.LBB158_387:
	s_mov_b64 s[28:29], -1
	s_mov_b64 s[0:1], 0
	s_mov_b64 s[24:25], s[20:21]
                                        ; implicit-def: $sgpr26_sgpr27
	s_branch .LBB158_392
.LBB158_388:
	s_mov_b64 s[24:25], -1
	s_mov_b64 s[0:1], 0
	s_mov_b64 s[34:35], s[18:19]
                                        ; implicit-def: $sgpr36_sgpr37
	s_branch .LBB158_495
.LBB158_389:
	s_andn2_saveexec_b64 s[28:29], s[28:29]
	s_cbranch_execz .LBB158_270
.LBB158_390:
	v_add_f32_e32 v3, 0x46000000, v4
	v_and_b32_e32 v3, 0xff, v3
	v_cmp_ne_u32_e32 vcc, 0, v3
	s_andn2_b64 s[24:25], s[24:25], exec
	s_and_b64 s[34:35], vcc, exec
	s_or_b64 s[24:25], s[24:25], s[34:35]
	s_or_b64 exec, exec, s[28:29]
	v_mov_b32_e32 v5, 0
	s_and_saveexec_b64 s[28:29], s[24:25]
	s_cbranch_execnz .LBB158_271
	s_branch .LBB158_272
.LBB158_391:
	s_mov_b64 s[24:25], -1
                                        ; implicit-def: $sgpr26_sgpr27
	s_mov_b64 s[0:1], 0
.LBB158_392:
	s_and_b64 vcc, exec, s[28:29]
	s_cbranch_vccz .LBB158_394
; %bb.393:
	s_cmp_eq_u32 s35, 44
	s_cselect_b64 s[0:1], -1, 0
	s_or_b64 s[26:27], s[26:27], exec
	s_or_b64 s[24:25], s[24:25], exec
.LBB158_394:
	s_mov_b64 s[28:29], 0
.LBB158_395:
	s_and_b64 vcc, exec, s[28:29]
	s_cbranch_vccz .LBB158_399
; %bb.396:
	s_cmp_eq_u32 s35, 29
	s_cbranch_scc0 .LBB158_398
; %bb.397:
	global_load_dwordx2 v[3:4], v[0:1], off
	s_mov_b64 s[24:25], 0
	s_mov_b64 s[0:1], -1
	s_mov_b64 s[28:29], 0
	s_waitcnt vmcnt(0)
	v_cmp_ne_u64_e64 s[26:27], 0, v[3:4]
	s_branch .LBB158_400
.LBB158_398:
	s_mov_b64 s[24:25], -1
                                        ; implicit-def: $sgpr26_sgpr27
.LBB158_399:
	s_mov_b64 s[28:29], 0
.LBB158_400:
	s_and_b64 vcc, exec, s[28:29]
	s_cbranch_vccz .LBB158_412
; %bb.401:
	s_cmp_lt_i32 s35, 27
	s_cbranch_scc1 .LBB158_404
; %bb.402:
	s_cmp_gt_i32 s35, 27
	s_cbranch_scc0 .LBB158_405
; %bb.403:
	global_load_dword v3, v[0:1], off
	s_mov_b64 s[0:1], 0
	s_waitcnt vmcnt(0)
	v_cmp_ne_u32_e64 s[26:27], 0, v3
	s_branch .LBB158_406
.LBB158_404:
	s_mov_b64 s[0:1], -1
                                        ; implicit-def: $sgpr26_sgpr27
	s_branch .LBB158_409
.LBB158_405:
	s_mov_b64 s[0:1], -1
                                        ; implicit-def: $sgpr26_sgpr27
.LBB158_406:
	s_andn2_b64 vcc, exec, s[0:1]
	s_cbranch_vccnz .LBB158_408
; %bb.407:
	global_load_ushort v3, v[0:1], off
	s_andn2_b64 s[0:1], s[26:27], exec
	s_waitcnt vmcnt(0)
	v_cmp_ne_u16_e32 vcc, 0, v3
	s_and_b64 s[26:27], vcc, exec
	s_or_b64 s[26:27], s[0:1], s[26:27]
.LBB158_408:
	s_mov_b64 s[0:1], 0
.LBB158_409:
	s_andn2_b64 vcc, exec, s[0:1]
	s_cbranch_vccnz .LBB158_411
; %bb.410:
	global_load_ubyte v3, v[0:1], off
	s_andn2_b64 s[0:1], s[26:27], exec
	s_waitcnt vmcnt(0)
	v_cmp_ne_u16_e32 vcc, 0, v3
	s_and_b64 s[26:27], vcc, exec
	s_or_b64 s[26:27], s[0:1], s[26:27]
.LBB158_411:
	s_mov_b64 s[0:1], -1
.LBB158_412:
	s_mov_b64 s[28:29], 0
.LBB158_413:
	s_and_b64 vcc, exec, s[28:29]
	s_cbranch_vccz .LBB158_438
; %bb.414:
	s_cmp_gt_i32 s35, 22
	s_cbranch_scc0 .LBB158_418
; %bb.415:
	s_cmp_lt_i32 s35, 24
	s_cbranch_scc1 .LBB158_419
; %bb.416:
	s_cmp_gt_i32 s35, 24
	s_cbranch_scc0 .LBB158_420
; %bb.417:
	global_load_ubyte v3, v[0:1], off
	s_mov_b64 s[0:1], 0
	s_waitcnt vmcnt(0)
	v_cmp_ne_u16_e64 s[26:27], 0, v3
	s_branch .LBB158_421
.LBB158_418:
	s_mov_b64 s[28:29], -1
                                        ; implicit-def: $sgpr26_sgpr27
	s_branch .LBB158_427
.LBB158_419:
	s_mov_b64 s[0:1], -1
                                        ; implicit-def: $sgpr26_sgpr27
	s_branch .LBB158_424
.LBB158_420:
	s_mov_b64 s[0:1], -1
                                        ; implicit-def: $sgpr26_sgpr27
.LBB158_421:
	s_andn2_b64 vcc, exec, s[0:1]
	s_cbranch_vccnz .LBB158_423
; %bb.422:
	global_load_ubyte v3, v[0:1], off
	s_andn2_b64 s[0:1], s[26:27], exec
	s_waitcnt vmcnt(0)
	v_and_b32_e32 v3, 0x7f, v3
	v_cmp_ne_u16_e32 vcc, 0, v3
	s_and_b64 s[26:27], vcc, exec
	s_or_b64 s[26:27], s[0:1], s[26:27]
.LBB158_423:
	s_mov_b64 s[0:1], 0
.LBB158_424:
	s_andn2_b64 vcc, exec, s[0:1]
	s_cbranch_vccnz .LBB158_426
; %bb.425:
	global_load_ubyte v3, v[0:1], off
	s_movk_i32 s0, 0x7f00
	s_brev_b32 s1, 16
	s_waitcnt vmcnt(0)
	v_lshlrev_b32_e32 v4, 8, v3
	v_lshlrev_b32_e32 v3, 25, v3
	v_lshrrev_b32_e32 v5, 4, v3
	v_and_or_b32 v4, v4, s0, 0.5
	v_or_b32_e32 v5, 0x70000000, v5
	v_add_f32_e32 v4, -0.5, v4
	v_mul_f32_e32 v5, 0x7800000, v5
	v_cmp_gt_u32_e32 vcc, s1, v3
	v_cndmask_b32_e32 v3, v5, v4, vcc
	v_cmp_neq_f32_e32 vcc, 0, v3
	s_andn2_b64 s[0:1], s[26:27], exec
	s_and_b64 s[26:27], vcc, exec
	s_or_b64 s[26:27], s[0:1], s[26:27]
.LBB158_426:
	s_mov_b64 s[28:29], 0
	s_mov_b64 s[0:1], -1
.LBB158_427:
	s_andn2_b64 vcc, exec, s[28:29]
	s_cbranch_vccnz .LBB158_438
; %bb.428:
	s_cmp_gt_i32 s35, 14
	s_cbranch_scc0 .LBB158_431
; %bb.429:
	s_cmp_eq_u32 s35, 15
	s_cbranch_scc0 .LBB158_432
; %bb.430:
	global_load_ushort v3, v[0:1], off
	s_mov_b64 s[0:1], -1
	s_mov_b64 s[24:25], 0
	s_waitcnt vmcnt(0)
	v_and_b32_e32 v3, 0x7fff, v3
	v_cmp_ne_u16_e64 s[26:27], 0, v3
	s_branch .LBB158_433
.LBB158_431:
	s_mov_b64 s[28:29], -1
                                        ; implicit-def: $sgpr26_sgpr27
	s_branch .LBB158_434
.LBB158_432:
	s_mov_b64 s[24:25], -1
                                        ; implicit-def: $sgpr26_sgpr27
.LBB158_433:
	s_mov_b64 s[28:29], 0
.LBB158_434:
	s_and_b64 vcc, exec, s[28:29]
	s_cbranch_vccz .LBB158_438
; %bb.435:
	s_cmp_eq_u32 s35, 11
	s_cbranch_scc0 .LBB158_437
; %bb.436:
	global_load_ubyte v3, v[0:1], off
	s_mov_b64 s[0:1], -1
	s_mov_b64 s[24:25], 0
	s_waitcnt vmcnt(0)
	v_cmp_ne_u16_e64 s[26:27], 0, v3
	s_branch .LBB158_438
.LBB158_437:
	s_mov_b64 s[24:25], -1
                                        ; implicit-def: $sgpr26_sgpr27
.LBB158_438:
	s_branch .LBB158_373
.LBB158_439:
	s_and_b32 s34, 0xffff, s34
	s_cmp_lt_i32 s34, 5
	s_cbranch_scc1 .LBB158_444
; %bb.440:
	s_cmp_lt_i32 s34, 8
	s_cbranch_scc1 .LBB158_445
; %bb.441:
	;; [unrolled: 3-line block ×3, first 2 shown]
	s_cmp_gt_i32 s34, 9
	s_cbranch_scc0 .LBB158_447
; %bb.443:
	global_load_dwordx4 v[3:6], v[0:1], off
	s_mov_b64 s[28:29], 0
	s_waitcnt vmcnt(0)
	v_cmp_neq_f64_e32 vcc, 0, v[3:4]
	v_cmp_neq_f64_e64 s[0:1], 0, v[5:6]
	s_or_b64 s[26:27], vcc, s[0:1]
	s_branch .LBB158_448
.LBB158_444:
	s_mov_b64 s[0:1], -1
                                        ; implicit-def: $sgpr26_sgpr27
	s_branch .LBB158_466
.LBB158_445:
	s_mov_b64 s[0:1], -1
                                        ; implicit-def: $sgpr26_sgpr27
	s_branch .LBB158_454
.LBB158_446:
	s_mov_b64 s[0:1], -1
                                        ; implicit-def: $sgpr26_sgpr27
	s_branch .LBB158_451
.LBB158_447:
	s_mov_b64 s[28:29], -1
                                        ; implicit-def: $sgpr26_sgpr27
.LBB158_448:
	s_andn2_b64 vcc, exec, s[28:29]
	s_cbranch_vccnz .LBB158_450
; %bb.449:
	global_load_dwordx2 v[3:4], v[0:1], off
	s_andn2_b64 s[0:1], s[26:27], exec
	s_waitcnt vmcnt(0)
	v_or_b32_e32 v3, v3, v4
	v_and_b32_e32 v3, 0x7fffffff, v3
	v_cmp_ne_u32_e32 vcc, 0, v3
	s_and_b64 s[26:27], vcc, exec
	s_or_b64 s[26:27], s[0:1], s[26:27]
.LBB158_450:
	s_mov_b64 s[0:1], 0
.LBB158_451:
	s_andn2_b64 vcc, exec, s[0:1]
	s_cbranch_vccnz .LBB158_453
; %bb.452:
	global_load_dword v3, v[0:1], off
	s_andn2_b64 s[0:1], s[26:27], exec
	s_waitcnt vmcnt(0)
	v_and_b32_e32 v3, 0x7fff7fff, v3
	v_cmp_ne_u32_e32 vcc, 0, v3
	s_and_b64 s[26:27], vcc, exec
	s_or_b64 s[26:27], s[0:1], s[26:27]
.LBB158_453:
	s_mov_b64 s[0:1], 0
.LBB158_454:
	s_andn2_b64 vcc, exec, s[0:1]
	s_cbranch_vccnz .LBB158_465
; %bb.455:
	s_cmp_lt_i32 s34, 6
	s_cbranch_scc1 .LBB158_458
; %bb.456:
	s_cmp_gt_i32 s34, 6
	s_cbranch_scc0 .LBB158_459
; %bb.457:
	global_load_dwordx2 v[3:4], v[0:1], off
	s_mov_b64 s[0:1], 0
	s_waitcnt vmcnt(0)
	v_cmp_neq_f64_e64 s[26:27], 0, v[3:4]
	s_branch .LBB158_460
.LBB158_458:
	s_mov_b64 s[0:1], -1
                                        ; implicit-def: $sgpr26_sgpr27
	s_branch .LBB158_463
.LBB158_459:
	s_mov_b64 s[0:1], -1
                                        ; implicit-def: $sgpr26_sgpr27
.LBB158_460:
	s_andn2_b64 vcc, exec, s[0:1]
	s_cbranch_vccnz .LBB158_462
; %bb.461:
	global_load_dword v3, v[0:1], off
	s_andn2_b64 s[0:1], s[26:27], exec
	s_waitcnt vmcnt(0)
	v_cmp_neq_f32_e32 vcc, 0, v3
	s_and_b64 s[26:27], vcc, exec
	s_or_b64 s[26:27], s[0:1], s[26:27]
.LBB158_462:
	s_mov_b64 s[0:1], 0
.LBB158_463:
	s_andn2_b64 vcc, exec, s[0:1]
	s_cbranch_vccnz .LBB158_465
; %bb.464:
	global_load_ushort v3, v[0:1], off
	s_andn2_b64 s[0:1], s[26:27], exec
	s_waitcnt vmcnt(0)
	v_and_b32_e32 v3, 0x7fff, v3
	v_cmp_ne_u16_e32 vcc, 0, v3
	s_and_b64 s[26:27], vcc, exec
	s_or_b64 s[26:27], s[0:1], s[26:27]
.LBB158_465:
	s_mov_b64 s[0:1], 0
.LBB158_466:
	s_andn2_b64 vcc, exec, s[0:1]
	s_cbranch_vccnz .LBB158_486
; %bb.467:
	s_cmp_lt_i32 s34, 2
	s_cbranch_scc1 .LBB158_471
; %bb.468:
	s_cmp_lt_i32 s34, 3
	s_cbranch_scc1 .LBB158_472
; %bb.469:
	s_cmp_gt_i32 s34, 3
	s_cbranch_scc0 .LBB158_473
; %bb.470:
	global_load_dwordx2 v[3:4], v[0:1], off
	s_mov_b64 s[0:1], 0
	s_waitcnt vmcnt(0)
	v_cmp_ne_u64_e64 s[26:27], 0, v[3:4]
	s_branch .LBB158_474
.LBB158_471:
	s_mov_b64 s[0:1], -1
                                        ; implicit-def: $sgpr26_sgpr27
	s_branch .LBB158_480
.LBB158_472:
	s_mov_b64 s[0:1], -1
                                        ; implicit-def: $sgpr26_sgpr27
	s_branch .LBB158_477
.LBB158_473:
	s_mov_b64 s[0:1], -1
                                        ; implicit-def: $sgpr26_sgpr27
.LBB158_474:
	s_andn2_b64 vcc, exec, s[0:1]
	s_cbranch_vccnz .LBB158_476
; %bb.475:
	global_load_dword v3, v[0:1], off
	s_andn2_b64 s[0:1], s[26:27], exec
	s_waitcnt vmcnt(0)
	v_cmp_ne_u32_e32 vcc, 0, v3
	s_and_b64 s[26:27], vcc, exec
	s_or_b64 s[26:27], s[0:1], s[26:27]
.LBB158_476:
	s_mov_b64 s[0:1], 0
.LBB158_477:
	s_andn2_b64 vcc, exec, s[0:1]
	s_cbranch_vccnz .LBB158_479
; %bb.478:
	global_load_ushort v3, v[0:1], off
	s_andn2_b64 s[0:1], s[26:27], exec
	s_waitcnt vmcnt(0)
	v_cmp_ne_u16_e32 vcc, 0, v3
	s_and_b64 s[26:27], vcc, exec
	s_or_b64 s[26:27], s[0:1], s[26:27]
.LBB158_479:
	s_mov_b64 s[0:1], 0
.LBB158_480:
	s_andn2_b64 vcc, exec, s[0:1]
	s_cbranch_vccnz .LBB158_486
; %bb.481:
	s_cmp_gt_i32 s34, 0
	s_cbranch_scc0 .LBB158_483
; %bb.482:
	global_load_ubyte v3, v[0:1], off
	s_mov_b64 s[0:1], 0
	s_waitcnt vmcnt(0)
	v_cmp_ne_u16_e64 s[26:27], 0, v3
	s_branch .LBB158_484
.LBB158_483:
	s_mov_b64 s[0:1], -1
                                        ; implicit-def: $sgpr26_sgpr27
.LBB158_484:
	s_andn2_b64 vcc, exec, s[0:1]
	s_cbranch_vccnz .LBB158_486
; %bb.485:
	global_load_ubyte v0, v[0:1], off
	s_andn2_b64 s[0:1], s[26:27], exec
	s_waitcnt vmcnt(0)
	v_cmp_ne_u16_e32 vcc, 0, v0
	s_and_b64 s[26:27], vcc, exec
	s_or_b64 s[26:27], s[0:1], s[26:27]
.LBB158_486:
	s_branch .LBB158_374
.LBB158_487:
	s_mov_b64 s[38:39], 0
	s_mov_b64 s[0:1], s[16:17]
	;; [unrolled: 1-line block ×3, first 2 shown]
                                        ; implicit-def: $vgpr2
	s_branch .LBB158_728
.LBB158_488:
	s_mov_b64 s[24:25], -1
	s_mov_b64 s[0:1], 0
	s_mov_b64 s[34:35], s[18:19]
                                        ; implicit-def: $sgpr36_sgpr37
	s_branch .LBB158_492
.LBB158_489:
	s_andn2_saveexec_b64 s[28:29], s[28:29]
	s_cbranch_execz .LBB158_283
.LBB158_490:
	v_add_f32_e32 v3, 0x42800000, v4
	v_and_b32_e32 v3, 0xff, v3
	v_cmp_ne_u32_e32 vcc, 0, v3
	s_andn2_b64 s[24:25], s[24:25], exec
	s_and_b64 s[34:35], vcc, exec
	s_or_b64 s[24:25], s[24:25], s[34:35]
	s_or_b64 exec, exec, s[28:29]
	v_mov_b32_e32 v5, 0
	s_and_saveexec_b64 s[28:29], s[24:25]
	s_cbranch_execnz .LBB158_284
	s_branch .LBB158_285
.LBB158_491:
	s_mov_b64 s[34:35], -1
                                        ; implicit-def: $sgpr36_sgpr37
	s_mov_b64 s[0:1], 0
.LBB158_492:
	s_and_b64 vcc, exec, s[24:25]
	s_cbranch_vccz .LBB158_494
; %bb.493:
	s_cmp_eq_u32 s29, 44
	s_cselect_b64 s[0:1], -1, 0
	s_or_b64 s[36:37], s[36:37], exec
	s_or_b64 s[34:35], s[34:35], exec
.LBB158_494:
	s_mov_b64 s[24:25], 0
.LBB158_495:
	s_and_b64 vcc, exec, s[24:25]
	s_cbranch_vccz .LBB158_499
; %bb.496:
	s_cmp_eq_u32 s29, 29
	s_cbranch_scc0 .LBB158_498
; %bb.497:
	global_load_dwordx2 v[3:4], v[0:1], off
	s_mov_b64 s[34:35], 0
	s_mov_b64 s[0:1], -1
	s_mov_b64 s[24:25], 0
	s_waitcnt vmcnt(0)
	v_cmp_ne_u64_e64 s[36:37], 0, v[3:4]
	s_branch .LBB158_500
.LBB158_498:
	s_mov_b64 s[34:35], -1
                                        ; implicit-def: $sgpr36_sgpr37
.LBB158_499:
	s_mov_b64 s[24:25], 0
.LBB158_500:
	s_and_b64 vcc, exec, s[24:25]
	s_cbranch_vccz .LBB158_512
; %bb.501:
	s_cmp_lt_i32 s29, 27
	s_cbranch_scc1 .LBB158_504
; %bb.502:
	s_cmp_gt_i32 s29, 27
	s_cbranch_scc0 .LBB158_505
; %bb.503:
	global_load_dword v3, v[0:1], off
	s_mov_b64 s[0:1], 0
	s_waitcnt vmcnt(0)
	v_cmp_ne_u32_e64 s[36:37], 0, v3
	s_branch .LBB158_506
.LBB158_504:
	s_mov_b64 s[0:1], -1
                                        ; implicit-def: $sgpr36_sgpr37
	s_branch .LBB158_509
.LBB158_505:
	s_mov_b64 s[0:1], -1
                                        ; implicit-def: $sgpr36_sgpr37
.LBB158_506:
	s_andn2_b64 vcc, exec, s[0:1]
	s_cbranch_vccnz .LBB158_508
; %bb.507:
	global_load_ushort v3, v[0:1], off
	s_andn2_b64 s[0:1], s[36:37], exec
	s_waitcnt vmcnt(0)
	v_cmp_ne_u16_e32 vcc, 0, v3
	s_and_b64 s[24:25], vcc, exec
	s_or_b64 s[36:37], s[0:1], s[24:25]
.LBB158_508:
	s_mov_b64 s[0:1], 0
.LBB158_509:
	s_andn2_b64 vcc, exec, s[0:1]
	s_cbranch_vccnz .LBB158_511
; %bb.510:
	global_load_ubyte v3, v[0:1], off
	s_andn2_b64 s[0:1], s[36:37], exec
	s_waitcnt vmcnt(0)
	v_cmp_ne_u16_e32 vcc, 0, v3
	s_and_b64 s[24:25], vcc, exec
	s_or_b64 s[36:37], s[0:1], s[24:25]
.LBB158_511:
	s_mov_b64 s[0:1], -1
.LBB158_512:
	s_mov_b64 s[24:25], 0
.LBB158_513:
	s_and_b64 vcc, exec, s[24:25]
	s_cbranch_vccz .LBB158_538
; %bb.514:
	s_cmp_gt_i32 s29, 22
	s_cbranch_scc0 .LBB158_518
; %bb.515:
	s_cmp_lt_i32 s29, 24
	s_cbranch_scc1 .LBB158_519
; %bb.516:
	s_cmp_gt_i32 s29, 24
	s_cbranch_scc0 .LBB158_520
; %bb.517:
	global_load_ubyte v3, v[0:1], off
	s_mov_b64 s[0:1], 0
	s_waitcnt vmcnt(0)
	v_cmp_ne_u16_e64 s[36:37], 0, v3
	s_branch .LBB158_521
.LBB158_518:
	s_mov_b64 s[24:25], -1
                                        ; implicit-def: $sgpr36_sgpr37
	s_branch .LBB158_527
.LBB158_519:
	s_mov_b64 s[0:1], -1
                                        ; implicit-def: $sgpr36_sgpr37
	s_branch .LBB158_524
.LBB158_520:
	s_mov_b64 s[0:1], -1
                                        ; implicit-def: $sgpr36_sgpr37
.LBB158_521:
	s_andn2_b64 vcc, exec, s[0:1]
	s_cbranch_vccnz .LBB158_523
; %bb.522:
	global_load_ubyte v3, v[0:1], off
	s_andn2_b64 s[0:1], s[36:37], exec
	s_waitcnt vmcnt(0)
	v_and_b32_e32 v3, 0x7f, v3
	v_cmp_ne_u16_e32 vcc, 0, v3
	s_and_b64 s[24:25], vcc, exec
	s_or_b64 s[36:37], s[0:1], s[24:25]
.LBB158_523:
	s_mov_b64 s[0:1], 0
.LBB158_524:
	s_andn2_b64 vcc, exec, s[0:1]
	s_cbranch_vccnz .LBB158_526
; %bb.525:
	global_load_ubyte v3, v[0:1], off
	s_movk_i32 s0, 0x7f00
	s_brev_b32 s1, 16
	s_waitcnt vmcnt(0)
	v_lshlrev_b32_e32 v4, 8, v3
	v_lshlrev_b32_e32 v3, 25, v3
	v_lshrrev_b32_e32 v5, 4, v3
	v_and_or_b32 v4, v4, s0, 0.5
	v_or_b32_e32 v5, 0x70000000, v5
	v_add_f32_e32 v4, -0.5, v4
	v_mul_f32_e32 v5, 0x7800000, v5
	v_cmp_gt_u32_e32 vcc, s1, v3
	v_cndmask_b32_e32 v3, v5, v4, vcc
	v_cmp_neq_f32_e32 vcc, 0, v3
	s_andn2_b64 s[0:1], s[36:37], exec
	s_and_b64 s[24:25], vcc, exec
	s_or_b64 s[36:37], s[0:1], s[24:25]
.LBB158_526:
	s_mov_b64 s[24:25], 0
	s_mov_b64 s[0:1], -1
.LBB158_527:
	s_andn2_b64 vcc, exec, s[24:25]
	s_cbranch_vccnz .LBB158_538
; %bb.528:
	s_cmp_gt_i32 s29, 14
	s_cbranch_scc0 .LBB158_531
; %bb.529:
	s_cmp_eq_u32 s29, 15
	s_cbranch_scc0 .LBB158_532
; %bb.530:
	global_load_ushort v3, v[0:1], off
	s_mov_b64 s[0:1], -1
	s_mov_b64 s[34:35], 0
	s_waitcnt vmcnt(0)
	v_and_b32_e32 v3, 0x7fff, v3
	v_cmp_ne_u16_e64 s[36:37], 0, v3
	s_branch .LBB158_533
.LBB158_531:
	s_mov_b64 s[24:25], -1
                                        ; implicit-def: $sgpr36_sgpr37
	s_branch .LBB158_534
.LBB158_532:
	s_mov_b64 s[34:35], -1
                                        ; implicit-def: $sgpr36_sgpr37
.LBB158_533:
	s_mov_b64 s[24:25], 0
.LBB158_534:
	s_and_b64 vcc, exec, s[24:25]
	s_cbranch_vccz .LBB158_538
; %bb.535:
	s_cmp_eq_u32 s29, 11
	s_cbranch_scc0 .LBB158_537
; %bb.536:
	global_load_ubyte v3, v[0:1], off
	s_mov_b64 s[0:1], -1
	s_mov_b64 s[34:35], 0
	s_waitcnt vmcnt(0)
	v_cmp_ne_u16_e64 s[36:37], 0, v3
	s_branch .LBB158_538
.LBB158_537:
	s_mov_b64 s[34:35], -1
                                        ; implicit-def: $sgpr36_sgpr37
.LBB158_538:
	s_mov_b64 s[24:25], 0
.LBB158_539:
	s_and_b64 vcc, exec, s[24:25]
	s_cbranch_vccz .LBB158_588
; %bb.540:
	s_and_b32 s28, 0xffff, s28
	s_cmp_lt_i32 s28, 5
	s_cbranch_scc1 .LBB158_545
; %bb.541:
	s_cmp_lt_i32 s28, 8
	s_cbranch_scc1 .LBB158_546
; %bb.542:
	;; [unrolled: 3-line block ×3, first 2 shown]
	s_cmp_gt_i32 s28, 9
	s_cbranch_scc0 .LBB158_548
; %bb.544:
	global_load_dwordx4 v[3:6], v[0:1], off
	s_mov_b64 s[24:25], 0
	s_waitcnt vmcnt(0)
	v_cmp_neq_f64_e32 vcc, 0, v[3:4]
	v_cmp_neq_f64_e64 s[0:1], 0, v[5:6]
	s_or_b64 s[36:37], vcc, s[0:1]
	s_branch .LBB158_549
.LBB158_545:
	s_mov_b64 s[0:1], -1
                                        ; implicit-def: $sgpr36_sgpr37
	s_branch .LBB158_567
.LBB158_546:
	s_mov_b64 s[0:1], -1
                                        ; implicit-def: $sgpr36_sgpr37
	s_branch .LBB158_555
.LBB158_547:
	s_mov_b64 s[0:1], -1
                                        ; implicit-def: $sgpr36_sgpr37
	s_branch .LBB158_552
.LBB158_548:
	s_mov_b64 s[24:25], -1
                                        ; implicit-def: $sgpr36_sgpr37
.LBB158_549:
	s_andn2_b64 vcc, exec, s[24:25]
	s_cbranch_vccnz .LBB158_551
; %bb.550:
	global_load_dwordx2 v[3:4], v[0:1], off
	s_andn2_b64 s[0:1], s[36:37], exec
	s_waitcnt vmcnt(0)
	v_or_b32_e32 v3, v3, v4
	v_and_b32_e32 v3, 0x7fffffff, v3
	v_cmp_ne_u32_e32 vcc, 0, v3
	s_and_b64 s[24:25], vcc, exec
	s_or_b64 s[36:37], s[0:1], s[24:25]
.LBB158_551:
	s_mov_b64 s[0:1], 0
.LBB158_552:
	s_andn2_b64 vcc, exec, s[0:1]
	s_cbranch_vccnz .LBB158_554
; %bb.553:
	global_load_dword v3, v[0:1], off
	s_andn2_b64 s[0:1], s[36:37], exec
	s_waitcnt vmcnt(0)
	v_and_b32_e32 v3, 0x7fff7fff, v3
	v_cmp_ne_u32_e32 vcc, 0, v3
	s_and_b64 s[24:25], vcc, exec
	s_or_b64 s[36:37], s[0:1], s[24:25]
.LBB158_554:
	s_mov_b64 s[0:1], 0
.LBB158_555:
	s_andn2_b64 vcc, exec, s[0:1]
	s_cbranch_vccnz .LBB158_566
; %bb.556:
	s_cmp_lt_i32 s28, 6
	s_cbranch_scc1 .LBB158_559
; %bb.557:
	s_cmp_gt_i32 s28, 6
	s_cbranch_scc0 .LBB158_560
; %bb.558:
	global_load_dwordx2 v[3:4], v[0:1], off
	s_mov_b64 s[0:1], 0
	s_waitcnt vmcnt(0)
	v_cmp_neq_f64_e64 s[36:37], 0, v[3:4]
	s_branch .LBB158_561
.LBB158_559:
	s_mov_b64 s[0:1], -1
                                        ; implicit-def: $sgpr36_sgpr37
	s_branch .LBB158_564
.LBB158_560:
	s_mov_b64 s[0:1], -1
                                        ; implicit-def: $sgpr36_sgpr37
.LBB158_561:
	s_andn2_b64 vcc, exec, s[0:1]
	s_cbranch_vccnz .LBB158_563
; %bb.562:
	global_load_dword v3, v[0:1], off
	s_andn2_b64 s[0:1], s[36:37], exec
	s_waitcnt vmcnt(0)
	v_cmp_neq_f32_e32 vcc, 0, v3
	s_and_b64 s[24:25], vcc, exec
	s_or_b64 s[36:37], s[0:1], s[24:25]
.LBB158_563:
	s_mov_b64 s[0:1], 0
.LBB158_564:
	s_andn2_b64 vcc, exec, s[0:1]
	s_cbranch_vccnz .LBB158_566
; %bb.565:
	global_load_ushort v3, v[0:1], off
	s_andn2_b64 s[0:1], s[36:37], exec
	s_waitcnt vmcnt(0)
	v_and_b32_e32 v3, 0x7fff, v3
	v_cmp_ne_u16_e32 vcc, 0, v3
	s_and_b64 s[24:25], vcc, exec
	s_or_b64 s[36:37], s[0:1], s[24:25]
.LBB158_566:
	s_mov_b64 s[0:1], 0
.LBB158_567:
	s_andn2_b64 vcc, exec, s[0:1]
	s_cbranch_vccnz .LBB158_587
; %bb.568:
	s_cmp_lt_i32 s28, 2
	s_cbranch_scc1 .LBB158_572
; %bb.569:
	s_cmp_lt_i32 s28, 3
	s_cbranch_scc1 .LBB158_573
; %bb.570:
	s_cmp_gt_i32 s28, 3
	s_cbranch_scc0 .LBB158_574
; %bb.571:
	global_load_dwordx2 v[3:4], v[0:1], off
	s_mov_b64 s[0:1], 0
	s_waitcnt vmcnt(0)
	v_cmp_ne_u64_e64 s[36:37], 0, v[3:4]
	s_branch .LBB158_575
.LBB158_572:
	s_mov_b64 s[0:1], -1
                                        ; implicit-def: $sgpr36_sgpr37
	s_branch .LBB158_581
.LBB158_573:
	s_mov_b64 s[0:1], -1
                                        ; implicit-def: $sgpr36_sgpr37
	s_branch .LBB158_578
.LBB158_574:
	s_mov_b64 s[0:1], -1
                                        ; implicit-def: $sgpr36_sgpr37
.LBB158_575:
	s_andn2_b64 vcc, exec, s[0:1]
	s_cbranch_vccnz .LBB158_577
; %bb.576:
	global_load_dword v3, v[0:1], off
	s_andn2_b64 s[0:1], s[36:37], exec
	s_waitcnt vmcnt(0)
	v_cmp_ne_u32_e32 vcc, 0, v3
	s_and_b64 s[24:25], vcc, exec
	s_or_b64 s[36:37], s[0:1], s[24:25]
.LBB158_577:
	s_mov_b64 s[0:1], 0
.LBB158_578:
	s_andn2_b64 vcc, exec, s[0:1]
	s_cbranch_vccnz .LBB158_580
; %bb.579:
	global_load_ushort v3, v[0:1], off
	s_andn2_b64 s[0:1], s[36:37], exec
	s_waitcnt vmcnt(0)
	v_cmp_ne_u16_e32 vcc, 0, v3
	s_and_b64 s[24:25], vcc, exec
	s_or_b64 s[36:37], s[0:1], s[24:25]
.LBB158_580:
	s_mov_b64 s[0:1], 0
.LBB158_581:
	s_andn2_b64 vcc, exec, s[0:1]
	s_cbranch_vccnz .LBB158_587
; %bb.582:
	s_cmp_gt_i32 s28, 0
	s_cbranch_scc0 .LBB158_584
; %bb.583:
	global_load_ubyte v3, v[0:1], off
	s_mov_b64 s[0:1], 0
	s_waitcnt vmcnt(0)
	v_cmp_ne_u16_e64 s[36:37], 0, v3
	s_branch .LBB158_585
.LBB158_584:
	s_mov_b64 s[0:1], -1
                                        ; implicit-def: $sgpr36_sgpr37
.LBB158_585:
	s_andn2_b64 vcc, exec, s[0:1]
	s_cbranch_vccnz .LBB158_587
; %bb.586:
	global_load_ubyte v0, v[0:1], off
	s_andn2_b64 s[0:1], s[36:37], exec
	s_waitcnt vmcnt(0)
	v_cmp_ne_u16_e32 vcc, 0, v0
	s_and_b64 s[24:25], vcc, exec
	s_or_b64 s[36:37], s[0:1], s[24:25]
.LBB158_587:
	s_mov_b64 s[0:1], -1
.LBB158_588:
	s_mov_b64 s[24:25], 0
	s_andn2_b64 vcc, exec, s[0:1]
	s_mov_b64 s[0:1], s[16:17]
	s_mov_b64 s[38:39], 0
	s_cbranch_vccnz .LBB158_728
; %bb.589:
	s_cmp_lt_i32 s15, 1
	s_mov_b64 s[0:1], 0
	s_cbranch_scc1 .LBB158_593
; %bb.590:
	s_cmp_gt_i32 s15, 1
	s_cbranch_scc0 .LBB158_594
; %bb.591:
	s_cmp_eq_u32 s15, 2
	s_cbranch_scc0 .LBB158_595
; %bb.592:
	s_xor_b64 s[28:29], s[26:27], -1
	s_or_b64 s[28:29], s[36:37], s[28:29]
	s_mov_b64 s[34:35], 0
	s_branch .LBB158_597
.LBB158_593:
	s_mov_b64 s[38:39], -1
                                        ; implicit-def: $sgpr28_sgpr29
	s_mov_b64 s[34:35], 0
	s_branch .LBB158_600
.LBB158_594:
	s_mov_b64 s[38:39], -1
	s_mov_b64 s[34:35], 0
	s_branch .LBB158_596
.LBB158_595:
	s_mov_b64 s[34:35], -1
.LBB158_596:
                                        ; implicit-def: $sgpr28_sgpr29
.LBB158_597:
	s_and_b64 vcc, exec, s[38:39]
	s_cbranch_vccz .LBB158_599
; %bb.598:
	s_xor_b64 s[38:39], s[36:37], -1
	s_and_b64 s[38:39], s[26:27], s[38:39]
	s_andn2_b64 s[28:29], s[28:29], exec
	s_and_b64 s[38:39], s[38:39], exec
	s_or_b64 s[28:29], s[28:29], s[38:39]
.LBB158_599:
	s_mov_b64 s[38:39], 0
.LBB158_600:
	s_and_b64 vcc, exec, s[38:39]
	s_cbranch_vccz .LBB158_611
; %bb.601:
	s_cmp_lg_u32 s15, 0
	s_mov_b64 s[0:1], -1
	s_cselect_b64 s[34:35], -1, 0
	s_andn2_b64 vcc, exec, s[34:35]
	s_cbranch_vccz .LBB158_612
.LBB158_602:
	s_andn2_b64 vcc, exec, s[0:1]
	s_cbranch_vccnz .LBB158_604
.LBB158_603:
	s_xor_b64 s[0:1], s[36:37], -1
	s_or_b64 s[0:1], s[26:27], s[0:1]
	s_andn2_b64 s[26:27], s[28:29], exec
	s_and_b64 s[0:1], s[0:1], exec
	s_or_b64 s[28:29], s[26:27], s[0:1]
.LBB158_604:
	v_mul_lo_u32 v0, v2, s12
	v_mov_b32_e32 v1, s9
	s_and_b32 s38, s33, 0xff
	s_cmp_lt_i32 s38, 11
	v_ashrrev_i32_e32 v3, 31, v0
	v_add_co_u32_e32 v0, vcc, s8, v0
	v_addc_co_u32_e32 v1, vcc, v1, v3, vcc
	s_cbranch_scc1 .LBB158_613
; %bb.605:
	s_and_b32 s39, 0xffff, s38
	s_cmp_gt_i32 s39, 25
	s_cbranch_scc0 .LBB158_614
; %bb.606:
	s_cmp_gt_i32 s39, 28
	s_cbranch_scc0 .LBB158_615
; %bb.607:
	;; [unrolled: 3-line block ×4, first 2 shown]
	s_mov_b64 s[34:35], 0
	s_mov_b64 s[0:1], -1
	s_cmp_eq_u32 s39, 46
	s_mov_b64 s[26:27], 0
	s_cbranch_scc0 .LBB158_618
; %bb.610:
	v_cndmask_b32_e64 v3, 0, 1.0, s[28:29]
	v_bfe_u32 v4, v3, 16, 1
	s_movk_i32 s0, 0x7fff
	v_add3_u32 v3, v3, v4, s0
	v_lshrrev_b32_e32 v3, 16, v3
	global_store_dword v[0:1], v3, off
	s_mov_b64 s[26:27], -1
	s_mov_b64 s[0:1], 0
	s_branch .LBB158_618
.LBB158_611:
	s_andn2_b64 vcc, exec, s[34:35]
	s_cbranch_vccnz .LBB158_602
.LBB158_612:
	s_xor_b64 s[0:1], s[26:27], -1
	s_and_b64 s[34:35], s[36:37], s[0:1]
	s_andn2_b64 s[28:29], s[28:29], exec
	s_and_b64 s[34:35], s[34:35], exec
	s_or_b64 s[28:29], s[28:29], s[34:35]
	s_cbranch_execz .LBB158_603
	s_branch .LBB158_604
.LBB158_613:
	s_mov_b64 s[34:35], -1
	s_mov_b64 s[26:27], 0
	s_mov_b64 s[0:1], s[16:17]
	s_branch .LBB158_687
.LBB158_614:
	s_mov_b64 s[34:35], -1
	s_mov_b64 s[26:27], 0
	s_mov_b64 s[0:1], s[16:17]
	s_branch .LBB158_645
.LBB158_615:
	s_mov_b64 s[34:35], -1
	s_mov_b64 s[26:27], 0
	s_mov_b64 s[0:1], s[16:17]
	s_branch .LBB158_628
.LBB158_616:
	s_mov_b64 s[34:35], -1
	s_mov_b64 s[26:27], 0
	s_mov_b64 s[0:1], s[16:17]
	s_branch .LBB158_624
.LBB158_617:
	s_mov_b64 s[34:35], -1
	s_mov_b64 s[26:27], 0
	s_mov_b64 s[0:1], s[16:17]
.LBB158_618:
	s_and_b64 vcc, exec, s[34:35]
	s_cbranch_vccz .LBB158_623
; %bb.619:
	s_cmp_eq_u32 s39, 44
	s_mov_b64 s[0:1], -1
	s_cbranch_scc0 .LBB158_623
; %bb.620:
	v_cndmask_b32_e64 v4, 0, 1.0, s[28:29]
	v_lshrrev_b32_e32 v3, 23, v4
	s_movk_i32 s0, 0xff
	v_cmp_ne_u32_e32 vcc, s0, v3
	v_mov_b32_e32 v5, 0xff
	s_and_saveexec_b64 s[26:27], vcc
; %bb.621:
	s_mov_b32 s0, 0x3fffff
	v_and_b32_e32 v5, 0x400000, v4
	v_and_or_b32 v4, v4, s0, v3
	v_cmp_ne_u32_e32 vcc, 0, v5
	v_cmp_ne_u32_e64 s[0:1], 0, v4
	s_and_b64 s[0:1], vcc, s[0:1]
	v_cndmask_b32_e64 v4, 0, 1, s[0:1]
	v_add_u32_e32 v5, v3, v4
; %bb.622:
	s_or_b64 exec, exec, s[26:27]
	s_mov_b64 s[26:27], -1
	s_mov_b64 s[0:1], 0
	global_store_byte v[0:1], v5, off
.LBB158_623:
	s_mov_b64 s[34:35], 0
.LBB158_624:
	s_and_b64 vcc, exec, s[34:35]
	s_cbranch_vccz .LBB158_627
; %bb.625:
	s_cmp_eq_u32 s39, 29
	s_mov_b64 s[0:1], -1
	s_cbranch_scc0 .LBB158_627
; %bb.626:
	s_mov_b32 s0, 0
	v_cndmask_b32_e64 v3, 0, 1, s[28:29]
	v_mov_b32_e32 v4, s0
	global_store_dwordx2 v[0:1], v[3:4], off
	s_mov_b64 s[26:27], -1
	s_mov_b64 s[0:1], 0
.LBB158_627:
	s_mov_b64 s[34:35], 0
.LBB158_628:
	s_and_b64 vcc, exec, s[34:35]
	s_cbranch_vccz .LBB158_644
; %bb.629:
	s_cmp_lt_i32 s39, 27
	s_mov_b64 s[26:27], -1
	s_cbranch_scc1 .LBB158_635
; %bb.630:
	s_cmp_gt_i32 s39, 27
	s_cbranch_scc0 .LBB158_632
; %bb.631:
	v_cndmask_b32_e64 v3, 0, 1, s[28:29]
	s_mov_b64 s[26:27], 0
	global_store_dword v[0:1], v3, off
.LBB158_632:
	s_andn2_b64 vcc, exec, s[26:27]
	s_cbranch_vccnz .LBB158_634
; %bb.633:
	v_cndmask_b32_e64 v3, 0, 1, s[28:29]
	global_store_short v[0:1], v3, off
.LBB158_634:
	s_mov_b64 s[26:27], 0
.LBB158_635:
	s_andn2_b64 vcc, exec, s[26:27]
	s_cbranch_vccnz .LBB158_643
; %bb.636:
	v_cndmask_b32_e64 v4, 0, 1.0, s[28:29]
	s_mov_b32 s26, 0x43800000
	v_cmp_gt_u32_e32 vcc, s26, v4
	v_mov_b32_e32 v5, 0x80
	s_and_saveexec_b64 s[26:27], vcc
	s_cbranch_execz .LBB158_642
; %bb.637:
	s_mov_b32 s34, 0x3bffffff
	v_cmp_lt_u32_e32 vcc, s34, v4
	s_mov_b64 s[34:35], 0
                                        ; implicit-def: $vgpr3
	s_and_saveexec_b64 s[36:37], vcc
	s_xor_b64 s[36:37], exec, s[36:37]
	s_cbranch_execz .LBB158_743
; %bb.638:
	v_bfe_u32 v3, v4, 20, 1
	s_mov_b32 s40, 0x487ffff
	v_add3_u32 v3, v4, v3, s40
	s_mov_b64 s[34:35], exec
	v_lshrrev_b32_e32 v3, 20, v3
                                        ; implicit-def: $vgpr4
	s_andn2_saveexec_b64 s[36:37], s[36:37]
	s_cbranch_execnz .LBB158_744
.LBB158_639:
	s_or_b64 exec, exec, s[36:37]
	v_mov_b32_e32 v5, 0
	s_and_saveexec_b64 s[36:37], s[34:35]
.LBB158_640:
	v_mov_b32_e32 v5, v3
.LBB158_641:
	s_or_b64 exec, exec, s[36:37]
.LBB158_642:
	s_or_b64 exec, exec, s[26:27]
	global_store_byte v[0:1], v5, off
.LBB158_643:
	s_mov_b64 s[26:27], -1
.LBB158_644:
	s_mov_b64 s[34:35], 0
.LBB158_645:
	s_and_b64 vcc, exec, s[34:35]
	s_cbranch_vccz .LBB158_686
; %bb.646:
	s_cmp_gt_i32 s39, 22
	s_mov_b64 s[34:35], -1
	s_cbranch_scc0 .LBB158_678
; %bb.647:
	s_cmp_lt_i32 s39, 24
	s_mov_b64 s[26:27], -1
	s_cbranch_scc1 .LBB158_667
; %bb.648:
	s_cmp_gt_i32 s39, 24
	s_cbranch_scc0 .LBB158_656
; %bb.649:
	v_cndmask_b32_e64 v4, 0, 1.0, s[28:29]
	s_mov_b32 s26, 0x47800000
	v_cmp_gt_u32_e32 vcc, s26, v4
	v_mov_b32_e32 v5, 0x80
	s_and_saveexec_b64 s[26:27], vcc
	s_cbranch_execz .LBB158_655
; %bb.650:
	s_mov_b32 s34, 0x37ffffff
	v_cmp_lt_u32_e32 vcc, s34, v4
	s_mov_b64 s[34:35], 0
                                        ; implicit-def: $vgpr3
	s_and_saveexec_b64 s[36:37], vcc
	s_xor_b64 s[36:37], exec, s[36:37]
	s_cbranch_execz .LBB158_856
; %bb.651:
	v_bfe_u32 v3, v4, 21, 1
	s_mov_b32 s40, 0x88fffff
	v_add3_u32 v3, v4, v3, s40
	s_mov_b64 s[34:35], exec
	v_lshrrev_b32_e32 v3, 21, v3
                                        ; implicit-def: $vgpr4
	s_andn2_saveexec_b64 s[36:37], s[36:37]
	s_cbranch_execnz .LBB158_857
.LBB158_652:
	s_or_b64 exec, exec, s[36:37]
	v_mov_b32_e32 v5, 0
	s_and_saveexec_b64 s[36:37], s[34:35]
.LBB158_653:
	v_mov_b32_e32 v5, v3
.LBB158_654:
	s_or_b64 exec, exec, s[36:37]
.LBB158_655:
	s_or_b64 exec, exec, s[26:27]
	s_mov_b64 s[26:27], 0
	global_store_byte v[0:1], v5, off
.LBB158_656:
	s_and_b64 vcc, exec, s[26:27]
	s_cbranch_vccz .LBB158_666
; %bb.657:
	v_cndmask_b32_e64 v3, 0, 1.0, s[28:29]
	s_mov_b32 s26, 0x43f00000
	v_cmp_gt_u32_e32 vcc, s26, v3
                                        ; implicit-def: $vgpr4
	s_and_saveexec_b64 s[26:27], vcc
	s_xor_b64 s[26:27], exec, s[26:27]
	s_cbranch_execz .LBB158_663
; %bb.658:
	s_mov_b32 s34, 0x3c7fffff
	v_cmp_lt_u32_e32 vcc, s34, v3
                                        ; implicit-def: $vgpr4
	s_and_saveexec_b64 s[34:35], vcc
	s_xor_b64 s[34:35], exec, s[34:35]
; %bb.659:
	v_bfe_u32 v4, v3, 20, 1
	s_mov_b32 s36, 0x407ffff
	v_add3_u32 v3, v3, v4, s36
	v_lshrrev_b32_e32 v4, 20, v3
	v_and_b32_e32 v3, 0xff00000, v3
	s_mov_b32 s36, 0x7f00000
	v_mov_b32_e32 v5, 0x7e
	v_cmp_ne_u32_e32 vcc, s36, v3
	v_cndmask_b32_e32 v4, v5, v4, vcc
                                        ; implicit-def: $vgpr3
; %bb.660:
	s_andn2_saveexec_b64 s[34:35], s[34:35]
; %bb.661:
	v_add_f32_e32 v4, 0x46800000, v3
; %bb.662:
	s_or_b64 exec, exec, s[34:35]
                                        ; implicit-def: $vgpr3
.LBB158_663:
	s_andn2_saveexec_b64 s[26:27], s[26:27]
; %bb.664:
	s_mov_b32 s34, 0x7f800000
	v_mov_b32_e32 v4, 0x7e
	v_mov_b32_e32 v5, 0x7f
	v_cmp_lt_u32_e32 vcc, s34, v3
	v_cndmask_b32_e32 v4, v4, v5, vcc
; %bb.665:
	s_or_b64 exec, exec, s[26:27]
	global_store_byte v[0:1], v4, off
.LBB158_666:
	s_mov_b64 s[26:27], 0
.LBB158_667:
	s_andn2_b64 vcc, exec, s[26:27]
	s_cbranch_vccnz .LBB158_677
; %bb.668:
	v_cndmask_b32_e64 v3, 0, 1.0, s[28:29]
	s_mov_b32 s26, 0x47800000
	v_cmp_gt_u32_e32 vcc, s26, v3
                                        ; implicit-def: $vgpr4
	s_and_saveexec_b64 s[26:27], vcc
	s_xor_b64 s[26:27], exec, s[26:27]
	s_cbranch_execz .LBB158_674
; %bb.669:
	s_mov_b32 s34, 0x387fffff
	v_cmp_lt_u32_e32 vcc, s34, v3
                                        ; implicit-def: $vgpr4
	s_and_saveexec_b64 s[34:35], vcc
	s_xor_b64 s[34:35], exec, s[34:35]
; %bb.670:
	v_bfe_u32 v4, v3, 21, 1
	s_mov_b32 s36, 0x80fffff
	v_add3_u32 v3, v3, v4, s36
	v_lshrrev_b32_e32 v4, 21, v3
                                        ; implicit-def: $vgpr3
; %bb.671:
	s_andn2_saveexec_b64 s[34:35], s[34:35]
; %bb.672:
	v_add_f32_e32 v4, 0x43000000, v3
; %bb.673:
	s_or_b64 exec, exec, s[34:35]
                                        ; implicit-def: $vgpr3
.LBB158_674:
	s_andn2_saveexec_b64 s[26:27], s[26:27]
; %bb.675:
	s_mov_b32 s34, 0x7f800000
	v_mov_b32_e32 v4, 0x7c
	v_mov_b32_e32 v5, 0x7f
	v_cmp_lt_u32_e32 vcc, s34, v3
	v_cndmask_b32_e32 v4, v4, v5, vcc
; %bb.676:
	s_or_b64 exec, exec, s[26:27]
	global_store_byte v[0:1], v4, off
.LBB158_677:
	s_mov_b64 s[34:35], 0
	s_mov_b64 s[26:27], -1
.LBB158_678:
	s_andn2_b64 vcc, exec, s[34:35]
	s_cbranch_vccnz .LBB158_686
; %bb.679:
	s_cmp_gt_i32 s39, 14
	s_mov_b64 s[34:35], -1
	s_cbranch_scc0 .LBB158_683
; %bb.680:
	s_cmp_eq_u32 s39, 15
	s_mov_b64 s[0:1], -1
	s_cbranch_scc0 .LBB158_682
; %bb.681:
	v_cndmask_b32_e64 v3, 0, 1.0, s[28:29]
	v_bfe_u32 v4, v3, 16, 1
	s_movk_i32 s0, 0x7fff
	v_add3_u32 v3, v3, v4, s0
	global_store_short_d16_hi v[0:1], v3, off
	s_mov_b64 s[26:27], -1
	s_mov_b64 s[0:1], 0
.LBB158_682:
	s_mov_b64 s[34:35], 0
.LBB158_683:
	s_and_b64 vcc, exec, s[34:35]
	s_cbranch_vccz .LBB158_686
; %bb.684:
	s_cmp_eq_u32 s39, 11
	s_mov_b64 s[0:1], -1
	s_cbranch_scc0 .LBB158_686
; %bb.685:
	v_cndmask_b32_e64 v3, 0, 1, s[28:29]
	s_mov_b64 s[26:27], -1
	s_mov_b64 s[0:1], 0
	global_store_byte v[0:1], v3, off
.LBB158_686:
	s_mov_b64 s[34:35], 0
.LBB158_687:
	s_and_b64 vcc, exec, s[34:35]
	s_cbranch_vccz .LBB158_726
; %bb.688:
	s_and_b32 s34, 0xffff, s38
	s_cmp_lt_i32 s34, 5
	s_mov_b64 s[26:27], -1
	s_cbranch_scc1 .LBB158_709
; %bb.689:
	s_cmp_lt_i32 s34, 8
	s_cbranch_scc1 .LBB158_699
; %bb.690:
	s_cmp_lt_i32 s34, 9
	s_cbranch_scc1 .LBB158_696
; %bb.691:
	s_cmp_gt_i32 s34, 9
	s_cbranch_scc0 .LBB158_693
; %bb.692:
	v_cndmask_b32_e64 v3, 0, 1, s[28:29]
	v_cvt_f64_u32_e32 v[3:4], v3
	v_mov_b32_e32 v5, 0
	v_mov_b32_e32 v6, v5
	s_mov_b64 s[26:27], 0
	global_store_dwordx4 v[0:1], v[3:6], off
.LBB158_693:
	s_andn2_b64 vcc, exec, s[26:27]
	s_cbranch_vccnz .LBB158_695
; %bb.694:
	v_cndmask_b32_e64 v3, 0, 1.0, s[28:29]
	v_mov_b32_e32 v4, 0
	global_store_dwordx2 v[0:1], v[3:4], off
.LBB158_695:
	s_mov_b64 s[26:27], 0
.LBB158_696:
	s_andn2_b64 vcc, exec, s[26:27]
	s_cbranch_vccnz .LBB158_698
; %bb.697:
	v_cndmask_b32_e64 v3, 0, 1.0, s[28:29]
	v_cvt_f16_f32_e32 v3, v3
	global_store_dword v[0:1], v3, off
.LBB158_698:
	s_mov_b64 s[26:27], 0
.LBB158_699:
	s_andn2_b64 vcc, exec, s[26:27]
	s_cbranch_vccnz .LBB158_708
; %bb.700:
	s_cmp_lt_i32 s34, 6
	s_mov_b64 s[26:27], -1
	s_cbranch_scc1 .LBB158_706
; %bb.701:
	s_cmp_gt_i32 s34, 6
	s_cbranch_scc0 .LBB158_703
; %bb.702:
	v_cndmask_b32_e64 v3, 0, 1, s[28:29]
	v_cvt_f64_u32_e32 v[3:4], v3
	s_mov_b64 s[26:27], 0
	global_store_dwordx2 v[0:1], v[3:4], off
.LBB158_703:
	s_andn2_b64 vcc, exec, s[26:27]
	s_cbranch_vccnz .LBB158_705
; %bb.704:
	v_cndmask_b32_e64 v3, 0, 1.0, s[28:29]
	global_store_dword v[0:1], v3, off
.LBB158_705:
	s_mov_b64 s[26:27], 0
.LBB158_706:
	s_andn2_b64 vcc, exec, s[26:27]
	s_cbranch_vccnz .LBB158_708
; %bb.707:
	v_cndmask_b32_e64 v3, 0, 1.0, s[28:29]
	v_cvt_f16_f32_e32 v3, v3
	global_store_short v[0:1], v3, off
.LBB158_708:
	s_mov_b64 s[26:27], 0
.LBB158_709:
	s_andn2_b64 vcc, exec, s[26:27]
	s_cbranch_vccnz .LBB158_725
; %bb.710:
	s_cmp_lt_i32 s34, 2
	s_mov_b64 s[26:27], -1
	s_cbranch_scc1 .LBB158_720
; %bb.711:
	s_cmp_lt_i32 s34, 3
	s_cbranch_scc1 .LBB158_717
; %bb.712:
	s_cmp_gt_i32 s34, 3
	s_cbranch_scc0 .LBB158_714
; %bb.713:
	s_mov_b32 s26, 0
	v_cndmask_b32_e64 v3, 0, 1, s[28:29]
	v_mov_b32_e32 v4, s26
	s_mov_b64 s[26:27], 0
	global_store_dwordx2 v[0:1], v[3:4], off
.LBB158_714:
	s_andn2_b64 vcc, exec, s[26:27]
	s_cbranch_vccnz .LBB158_716
; %bb.715:
	v_cndmask_b32_e64 v3, 0, 1, s[28:29]
	global_store_dword v[0:1], v3, off
.LBB158_716:
	s_mov_b64 s[26:27], 0
.LBB158_717:
	s_andn2_b64 vcc, exec, s[26:27]
	s_cbranch_vccnz .LBB158_719
; %bb.718:
	v_cndmask_b32_e64 v3, 0, 1, s[28:29]
	global_store_short v[0:1], v3, off
.LBB158_719:
	s_mov_b64 s[26:27], 0
.LBB158_720:
	s_andn2_b64 vcc, exec, s[26:27]
	s_cbranch_vccnz .LBB158_725
; %bb.721:
	s_mov_b64 s[26:27], -1
	s_cmp_gt_i32 s34, 0
	v_cndmask_b32_e64 v3, 0, 1, s[28:29]
	s_cbranch_scc0 .LBB158_723
; %bb.722:
	s_mov_b64 s[26:27], 0
	global_store_byte v[0:1], v3, off
.LBB158_723:
	s_andn2_b64 vcc, exec, s[26:27]
	s_cbranch_vccnz .LBB158_725
; %bb.724:
	global_store_byte v[0:1], v3, off
.LBB158_725:
	s_mov_b64 s[26:27], -1
.LBB158_726:
	s_mov_b64 s[34:35], 0
	s_andn2_b64 vcc, exec, s[26:27]
	s_mov_b64 s[38:39], 0
	s_cbranch_vccnz .LBB158_728
; %bb.727:
	v_add_u32_e32 v2, 0x80, v2
	s_mov_b64 s[38:39], -1
.LBB158_728:
	s_andn2_b64 s[26:27], s[16:17], exec
	s_and_b64 s[0:1], s[0:1], exec
	s_or_b64 s[28:29], s[26:27], s[0:1]
	s_andn2_b64 s[0:1], s[18:19], exec
	s_and_b64 s[26:27], s[34:35], exec
	s_or_b64 s[26:27], s[0:1], s[26:27]
	;; [unrolled: 3-line block ×3, first 2 shown]
	s_orn2_b64 s[0:1], s[38:39], exec
.LBB158_729:
	s_or_b64 exec, exec, s[30:31]
	s_mov_b64 s[36:37], 0
	s_mov_b64 s[38:39], 0
	;; [unrolled: 1-line block ×3, first 2 shown]
                                        ; implicit-def: $sgpr34_sgpr35
                                        ; implicit-def: $sgpr58
                                        ; implicit-def: $vgpr0_vgpr1
	s_and_saveexec_b64 s[30:31], s[0:1]
	s_cbranch_execz .LBB158_1162
; %bb.730:
	v_cmp_gt_i32_e32 vcc, s50, v2
	s_mov_b64 s[48:49], -1
	s_mov_b64 s[0:1], s[24:25]
	s_mov_b64 s[38:39], s[26:27]
	;; [unrolled: 1-line block ×3, first 2 shown]
	s_and_saveexec_b64 s[34:35], vcc
	s_cbranch_execz .LBB158_1096
; %bb.731:
	v_mul_lo_u32 v0, v2, s13
	v_mov_b32_e32 v1, s11
	s_and_b32 s42, s57, 0xff
	s_cmp_lt_i32 s42, 11
	v_ashrrev_i32_e32 v3, 31, v0
	v_add_co_u32_e32 v0, vcc, s10, v0
	v_addc_co_u32_e32 v1, vcc, v1, v3, vcc
	s_cbranch_scc1 .LBB158_738
; %bb.732:
	s_and_b32 s43, 0xffff, s42
	s_cmp_gt_i32 s43, 25
	s_cbranch_scc0 .LBB158_739
; %bb.733:
	s_cmp_gt_i32 s43, 28
	s_cbranch_scc0 .LBB158_740
; %bb.734:
	s_cmp_gt_i32 s43, 43
	s_cbranch_scc0 .LBB158_741
; %bb.735:
	s_cmp_gt_i32 s43, 45
	s_cbranch_scc0 .LBB158_742
; %bb.736:
	s_cmp_eq_u32 s43, 46
	s_cbranch_scc0 .LBB158_745
; %bb.737:
	global_load_dword v3, v[0:1], off
	s_mov_b64 s[0:1], -1
	s_waitcnt vmcnt(0)
	v_and_b32_e32 v3, 0x7fff7fff, v3
	v_cmp_ne_u32_e64 s[38:39], 0, v3
	s_branch .LBB158_746
.LBB158_738:
	s_mov_b64 s[40:41], -1
	s_mov_b64 s[0:1], 0
                                        ; implicit-def: $sgpr38_sgpr39
	s_mov_b64 s[36:37], s[24:25]
	s_branch .LBB158_793
.LBB158_739:
	s_mov_b64 s[40:41], -1
	s_mov_b64 s[0:1], 0
	s_mov_b64 s[36:37], s[24:25]
                                        ; implicit-def: $sgpr38_sgpr39
	s_branch .LBB158_767
.LBB158_740:
	s_mov_b64 s[40:41], -1
	s_mov_b64 s[0:1], 0
	s_mov_b64 s[36:37], s[24:25]
                                        ; implicit-def: $sgpr38_sgpr39
	s_branch .LBB158_754
.LBB158_741:
	s_mov_b64 s[40:41], -1
	s_mov_b64 s[0:1], 0
	s_mov_b64 s[36:37], s[24:25]
                                        ; implicit-def: $sgpr38_sgpr39
	s_branch .LBB158_749
.LBB158_742:
	s_mov_b64 s[40:41], -1
	s_mov_b64 s[0:1], 0
	s_mov_b64 s[36:37], s[24:25]
                                        ; implicit-def: $sgpr38_sgpr39
	s_branch .LBB158_746
.LBB158_743:
	s_andn2_saveexec_b64 s[36:37], s[36:37]
	s_cbranch_execz .LBB158_639
.LBB158_744:
	v_add_f32_e32 v3, 0x46000000, v4
	v_and_b32_e32 v3, 0xff, v3
	v_cmp_ne_u32_e32 vcc, 0, v3
	s_andn2_b64 s[34:35], s[34:35], exec
	s_and_b64 s[40:41], vcc, exec
	s_or_b64 s[34:35], s[34:35], s[40:41]
	s_or_b64 exec, exec, s[36:37]
	v_mov_b32_e32 v5, 0
	s_and_saveexec_b64 s[36:37], s[34:35]
	s_cbranch_execnz .LBB158_640
	s_branch .LBB158_641
.LBB158_745:
	s_mov_b64 s[36:37], -1
                                        ; implicit-def: $sgpr38_sgpr39
	s_mov_b64 s[0:1], 0
.LBB158_746:
	s_and_b64 vcc, exec, s[40:41]
	s_cbranch_vccz .LBB158_748
; %bb.747:
	s_cmp_eq_u32 s43, 44
	s_cselect_b64 s[0:1], -1, 0
	s_or_b64 s[38:39], s[38:39], exec
	s_or_b64 s[36:37], s[36:37], exec
.LBB158_748:
	s_mov_b64 s[40:41], 0
.LBB158_749:
	s_and_b64 vcc, exec, s[40:41]
	s_cbranch_vccz .LBB158_753
; %bb.750:
	s_cmp_eq_u32 s43, 29
	s_cbranch_scc0 .LBB158_752
; %bb.751:
	global_load_dwordx2 v[3:4], v[0:1], off
	s_mov_b64 s[36:37], 0
	s_mov_b64 s[0:1], -1
	s_mov_b64 s[40:41], 0
	s_waitcnt vmcnt(0)
	v_cmp_ne_u64_e64 s[38:39], 0, v[3:4]
	s_branch .LBB158_754
.LBB158_752:
	s_mov_b64 s[36:37], -1
                                        ; implicit-def: $sgpr38_sgpr39
.LBB158_753:
	s_mov_b64 s[40:41], 0
.LBB158_754:
	s_and_b64 vcc, exec, s[40:41]
	s_cbranch_vccz .LBB158_766
; %bb.755:
	s_cmp_lt_i32 s43, 27
	s_cbranch_scc1 .LBB158_758
; %bb.756:
	s_cmp_gt_i32 s43, 27
	s_cbranch_scc0 .LBB158_759
; %bb.757:
	global_load_dword v3, v[0:1], off
	s_mov_b64 s[0:1], 0
	s_waitcnt vmcnt(0)
	v_cmp_ne_u32_e64 s[38:39], 0, v3
	s_branch .LBB158_760
.LBB158_758:
	s_mov_b64 s[0:1], -1
                                        ; implicit-def: $sgpr38_sgpr39
	s_branch .LBB158_763
.LBB158_759:
	s_mov_b64 s[0:1], -1
                                        ; implicit-def: $sgpr38_sgpr39
.LBB158_760:
	s_andn2_b64 vcc, exec, s[0:1]
	s_cbranch_vccnz .LBB158_762
; %bb.761:
	global_load_ushort v3, v[0:1], off
	s_andn2_b64 s[0:1], s[38:39], exec
	s_waitcnt vmcnt(0)
	v_cmp_ne_u16_e32 vcc, 0, v3
	s_and_b64 s[38:39], vcc, exec
	s_or_b64 s[38:39], s[0:1], s[38:39]
.LBB158_762:
	s_mov_b64 s[0:1], 0
.LBB158_763:
	s_andn2_b64 vcc, exec, s[0:1]
	s_cbranch_vccnz .LBB158_765
; %bb.764:
	global_load_ubyte v3, v[0:1], off
	s_andn2_b64 s[0:1], s[38:39], exec
	s_waitcnt vmcnt(0)
	v_cmp_ne_u16_e32 vcc, 0, v3
	s_and_b64 s[38:39], vcc, exec
	s_or_b64 s[38:39], s[0:1], s[38:39]
.LBB158_765:
	s_mov_b64 s[0:1], -1
.LBB158_766:
	s_mov_b64 s[40:41], 0
.LBB158_767:
	s_and_b64 vcc, exec, s[40:41]
	s_cbranch_vccz .LBB158_792
; %bb.768:
	s_cmp_gt_i32 s43, 22
	s_cbranch_scc0 .LBB158_772
; %bb.769:
	s_cmp_lt_i32 s43, 24
	s_cbranch_scc1 .LBB158_773
; %bb.770:
	s_cmp_gt_i32 s43, 24
	s_cbranch_scc0 .LBB158_774
; %bb.771:
	global_load_ubyte v3, v[0:1], off
	s_mov_b64 s[0:1], 0
	s_waitcnt vmcnt(0)
	v_cmp_ne_u16_e64 s[38:39], 0, v3
	s_branch .LBB158_775
.LBB158_772:
	s_mov_b64 s[40:41], -1
                                        ; implicit-def: $sgpr38_sgpr39
	s_branch .LBB158_781
.LBB158_773:
	s_mov_b64 s[0:1], -1
                                        ; implicit-def: $sgpr38_sgpr39
	s_branch .LBB158_778
.LBB158_774:
	s_mov_b64 s[0:1], -1
                                        ; implicit-def: $sgpr38_sgpr39
.LBB158_775:
	s_andn2_b64 vcc, exec, s[0:1]
	s_cbranch_vccnz .LBB158_777
; %bb.776:
	global_load_ubyte v3, v[0:1], off
	s_andn2_b64 s[0:1], s[38:39], exec
	s_waitcnt vmcnt(0)
	v_and_b32_e32 v3, 0x7f, v3
	v_cmp_ne_u16_e32 vcc, 0, v3
	s_and_b64 s[38:39], vcc, exec
	s_or_b64 s[38:39], s[0:1], s[38:39]
.LBB158_777:
	s_mov_b64 s[0:1], 0
.LBB158_778:
	s_andn2_b64 vcc, exec, s[0:1]
	s_cbranch_vccnz .LBB158_780
; %bb.779:
	global_load_ubyte v3, v[0:1], off
	s_movk_i32 s0, 0x7f00
	s_brev_b32 s1, 16
	s_waitcnt vmcnt(0)
	v_lshlrev_b32_e32 v4, 8, v3
	v_lshlrev_b32_e32 v3, 25, v3
	v_lshrrev_b32_e32 v5, 4, v3
	v_and_or_b32 v4, v4, s0, 0.5
	v_or_b32_e32 v5, 0x70000000, v5
	v_add_f32_e32 v4, -0.5, v4
	v_mul_f32_e32 v5, 0x7800000, v5
	v_cmp_gt_u32_e32 vcc, s1, v3
	v_cndmask_b32_e32 v3, v5, v4, vcc
	v_cmp_neq_f32_e32 vcc, 0, v3
	s_andn2_b64 s[0:1], s[38:39], exec
	s_and_b64 s[38:39], vcc, exec
	s_or_b64 s[38:39], s[0:1], s[38:39]
.LBB158_780:
	s_mov_b64 s[40:41], 0
	s_mov_b64 s[0:1], -1
.LBB158_781:
	s_andn2_b64 vcc, exec, s[40:41]
	s_cbranch_vccnz .LBB158_792
; %bb.782:
	s_cmp_gt_i32 s43, 14
	s_cbranch_scc0 .LBB158_785
; %bb.783:
	s_cmp_eq_u32 s43, 15
	s_cbranch_scc0 .LBB158_786
; %bb.784:
	global_load_ushort v3, v[0:1], off
	s_mov_b64 s[0:1], -1
	s_mov_b64 s[36:37], 0
	s_waitcnt vmcnt(0)
	v_and_b32_e32 v3, 0x7fff, v3
	v_cmp_ne_u16_e64 s[38:39], 0, v3
	s_branch .LBB158_787
.LBB158_785:
	s_mov_b64 s[40:41], -1
                                        ; implicit-def: $sgpr38_sgpr39
	s_branch .LBB158_788
.LBB158_786:
	s_mov_b64 s[36:37], -1
                                        ; implicit-def: $sgpr38_sgpr39
.LBB158_787:
	s_mov_b64 s[40:41], 0
.LBB158_788:
	s_and_b64 vcc, exec, s[40:41]
	s_cbranch_vccz .LBB158_792
; %bb.789:
	s_cmp_eq_u32 s43, 11
	s_cbranch_scc0 .LBB158_791
; %bb.790:
	global_load_ubyte v3, v[0:1], off
	s_mov_b64 s[0:1], -1
	s_mov_b64 s[36:37], 0
	s_waitcnt vmcnt(0)
	v_cmp_ne_u16_e64 s[38:39], 0, v3
	s_branch .LBB158_792
.LBB158_791:
	s_mov_b64 s[36:37], -1
                                        ; implicit-def: $sgpr38_sgpr39
.LBB158_792:
	s_mov_b64 s[40:41], 0
.LBB158_793:
	s_and_b64 vcc, exec, s[40:41]
	s_cbranch_vccz .LBB158_842
; %bb.794:
	s_and_b32 s42, 0xffff, s42
	s_cmp_lt_i32 s42, 5
	s_cbranch_scc1 .LBB158_799
; %bb.795:
	s_cmp_lt_i32 s42, 8
	s_cbranch_scc1 .LBB158_800
; %bb.796:
	;; [unrolled: 3-line block ×3, first 2 shown]
	s_cmp_gt_i32 s42, 9
	s_cbranch_scc0 .LBB158_802
; %bb.798:
	global_load_dwordx4 v[3:6], v[0:1], off
	s_mov_b64 s[40:41], 0
	s_waitcnt vmcnt(0)
	v_cmp_neq_f64_e32 vcc, 0, v[3:4]
	v_cmp_neq_f64_e64 s[0:1], 0, v[5:6]
	s_or_b64 s[38:39], vcc, s[0:1]
	s_branch .LBB158_803
.LBB158_799:
	s_mov_b64 s[0:1], -1
                                        ; implicit-def: $sgpr38_sgpr39
	s_branch .LBB158_821
.LBB158_800:
	s_mov_b64 s[0:1], -1
                                        ; implicit-def: $sgpr38_sgpr39
	s_branch .LBB158_809
.LBB158_801:
	s_mov_b64 s[0:1], -1
                                        ; implicit-def: $sgpr38_sgpr39
	s_branch .LBB158_806
.LBB158_802:
	s_mov_b64 s[40:41], -1
                                        ; implicit-def: $sgpr38_sgpr39
.LBB158_803:
	s_andn2_b64 vcc, exec, s[40:41]
	s_cbranch_vccnz .LBB158_805
; %bb.804:
	global_load_dwordx2 v[3:4], v[0:1], off
	s_andn2_b64 s[0:1], s[38:39], exec
	s_waitcnt vmcnt(0)
	v_or_b32_e32 v3, v3, v4
	v_and_b32_e32 v3, 0x7fffffff, v3
	v_cmp_ne_u32_e32 vcc, 0, v3
	s_and_b64 s[38:39], vcc, exec
	s_or_b64 s[38:39], s[0:1], s[38:39]
.LBB158_805:
	s_mov_b64 s[0:1], 0
.LBB158_806:
	s_andn2_b64 vcc, exec, s[0:1]
	s_cbranch_vccnz .LBB158_808
; %bb.807:
	global_load_dword v3, v[0:1], off
	s_andn2_b64 s[0:1], s[38:39], exec
	s_waitcnt vmcnt(0)
	v_and_b32_e32 v3, 0x7fff7fff, v3
	v_cmp_ne_u32_e32 vcc, 0, v3
	s_and_b64 s[38:39], vcc, exec
	s_or_b64 s[38:39], s[0:1], s[38:39]
.LBB158_808:
	s_mov_b64 s[0:1], 0
.LBB158_809:
	s_andn2_b64 vcc, exec, s[0:1]
	s_cbranch_vccnz .LBB158_820
; %bb.810:
	s_cmp_lt_i32 s42, 6
	s_cbranch_scc1 .LBB158_813
; %bb.811:
	s_cmp_gt_i32 s42, 6
	s_cbranch_scc0 .LBB158_814
; %bb.812:
	global_load_dwordx2 v[3:4], v[0:1], off
	s_mov_b64 s[0:1], 0
	s_waitcnt vmcnt(0)
	v_cmp_neq_f64_e64 s[38:39], 0, v[3:4]
	s_branch .LBB158_815
.LBB158_813:
	s_mov_b64 s[0:1], -1
                                        ; implicit-def: $sgpr38_sgpr39
	s_branch .LBB158_818
.LBB158_814:
	s_mov_b64 s[0:1], -1
                                        ; implicit-def: $sgpr38_sgpr39
.LBB158_815:
	s_andn2_b64 vcc, exec, s[0:1]
	s_cbranch_vccnz .LBB158_817
; %bb.816:
	global_load_dword v3, v[0:1], off
	s_andn2_b64 s[0:1], s[38:39], exec
	s_waitcnt vmcnt(0)
	v_cmp_neq_f32_e32 vcc, 0, v3
	s_and_b64 s[38:39], vcc, exec
	s_or_b64 s[38:39], s[0:1], s[38:39]
.LBB158_817:
	s_mov_b64 s[0:1], 0
.LBB158_818:
	s_andn2_b64 vcc, exec, s[0:1]
	s_cbranch_vccnz .LBB158_820
; %bb.819:
	global_load_ushort v3, v[0:1], off
	s_andn2_b64 s[0:1], s[38:39], exec
	s_waitcnt vmcnt(0)
	v_and_b32_e32 v3, 0x7fff, v3
	v_cmp_ne_u16_e32 vcc, 0, v3
	s_and_b64 s[38:39], vcc, exec
	s_or_b64 s[38:39], s[0:1], s[38:39]
.LBB158_820:
	s_mov_b64 s[0:1], 0
.LBB158_821:
	s_andn2_b64 vcc, exec, s[0:1]
	s_cbranch_vccnz .LBB158_841
; %bb.822:
	s_cmp_lt_i32 s42, 2
	s_cbranch_scc1 .LBB158_826
; %bb.823:
	s_cmp_lt_i32 s42, 3
	s_cbranch_scc1 .LBB158_827
; %bb.824:
	s_cmp_gt_i32 s42, 3
	s_cbranch_scc0 .LBB158_828
; %bb.825:
	global_load_dwordx2 v[3:4], v[0:1], off
	s_mov_b64 s[0:1], 0
	s_waitcnt vmcnt(0)
	v_cmp_ne_u64_e64 s[38:39], 0, v[3:4]
	s_branch .LBB158_829
.LBB158_826:
	s_mov_b64 s[0:1], -1
                                        ; implicit-def: $sgpr38_sgpr39
	s_branch .LBB158_835
.LBB158_827:
	s_mov_b64 s[0:1], -1
                                        ; implicit-def: $sgpr38_sgpr39
	s_branch .LBB158_832
.LBB158_828:
	s_mov_b64 s[0:1], -1
                                        ; implicit-def: $sgpr38_sgpr39
.LBB158_829:
	s_andn2_b64 vcc, exec, s[0:1]
	s_cbranch_vccnz .LBB158_831
; %bb.830:
	global_load_dword v3, v[0:1], off
	s_andn2_b64 s[0:1], s[38:39], exec
	s_waitcnt vmcnt(0)
	v_cmp_ne_u32_e32 vcc, 0, v3
	s_and_b64 s[38:39], vcc, exec
	s_or_b64 s[38:39], s[0:1], s[38:39]
.LBB158_831:
	s_mov_b64 s[0:1], 0
.LBB158_832:
	s_andn2_b64 vcc, exec, s[0:1]
	s_cbranch_vccnz .LBB158_834
; %bb.833:
	global_load_ushort v3, v[0:1], off
	s_andn2_b64 s[0:1], s[38:39], exec
	s_waitcnt vmcnt(0)
	v_cmp_ne_u16_e32 vcc, 0, v3
	s_and_b64 s[38:39], vcc, exec
	s_or_b64 s[38:39], s[0:1], s[38:39]
.LBB158_834:
	s_mov_b64 s[0:1], 0
.LBB158_835:
	s_andn2_b64 vcc, exec, s[0:1]
	s_cbranch_vccnz .LBB158_841
; %bb.836:
	s_cmp_gt_i32 s42, 0
	s_cbranch_scc0 .LBB158_838
; %bb.837:
	global_load_ubyte v3, v[0:1], off
	s_mov_b64 s[0:1], 0
	s_waitcnt vmcnt(0)
	v_cmp_ne_u16_e64 s[38:39], 0, v3
	s_branch .LBB158_839
.LBB158_838:
	s_mov_b64 s[0:1], -1
                                        ; implicit-def: $sgpr38_sgpr39
.LBB158_839:
	s_andn2_b64 vcc, exec, s[0:1]
	s_cbranch_vccnz .LBB158_841
; %bb.840:
	global_load_ubyte v0, v[0:1], off
	s_andn2_b64 s[0:1], s[38:39], exec
	s_waitcnt vmcnt(0)
	v_cmp_ne_u16_e32 vcc, 0, v0
	s_and_b64 s[38:39], vcc, exec
	s_or_b64 s[38:39], s[0:1], s[38:39]
.LBB158_841:
	s_mov_b64 s[0:1], -1
.LBB158_842:
	s_andn2_b64 vcc, exec, s[0:1]
	s_cbranch_vccnz .LBB158_850
; %bb.843:
	v_mul_lo_u32 v0, v2, s14
	v_mov_b32_e32 v1, s3
	s_and_b32 s44, s56, 0xff
	s_cmp_lt_i32 s44, 11
	v_ashrrev_i32_e32 v3, 31, v0
	v_add_co_u32_e32 v0, vcc, s2, v0
	v_addc_co_u32_e32 v1, vcc, v1, v3, vcc
	s_cbranch_scc1 .LBB158_851
; %bb.844:
	s_and_b32 s45, 0xffff, s44
	s_cmp_gt_i32 s45, 25
	s_cbranch_scc0 .LBB158_852
; %bb.845:
	s_cmp_gt_i32 s45, 28
	s_cbranch_scc0 .LBB158_853
; %bb.846:
	;; [unrolled: 3-line block ×4, first 2 shown]
	s_cmp_eq_u32 s45, 46
	s_mov_b64 s[36:37], 0
	s_cbranch_scc0 .LBB158_858
; %bb.849:
	global_load_dword v3, v[0:1], off
	s_mov_b64 s[0:1], -1
	s_mov_b64 s[40:41], 0
	s_waitcnt vmcnt(0)
	v_and_b32_e32 v3, 0x7fff7fff, v3
	v_cmp_ne_u32_e64 s[42:43], 0, v3
	s_branch .LBB158_859
.LBB158_850:
	s_mov_b64 s[44:45], 0
	s_mov_b64 s[0:1], s[28:29]
	;; [unrolled: 1-line block ×3, first 2 shown]
                                        ; implicit-def: $vgpr2
	s_branch .LBB158_1095
.LBB158_851:
	s_mov_b64 s[36:37], -1
	s_mov_b64 s[0:1], 0
                                        ; implicit-def: $sgpr42_sgpr43
	s_mov_b64 s[40:41], s[26:27]
	s_branch .LBB158_906
.LBB158_852:
	s_mov_b64 s[36:37], -1
	s_mov_b64 s[0:1], 0
	s_mov_b64 s[40:41], s[26:27]
                                        ; implicit-def: $sgpr42_sgpr43
	s_branch .LBB158_880
.LBB158_853:
	s_mov_b64 s[36:37], -1
	s_mov_b64 s[0:1], 0
	s_mov_b64 s[40:41], s[26:27]
                                        ; implicit-def: $sgpr42_sgpr43
	s_branch .LBB158_867
.LBB158_854:
	s_mov_b64 s[36:37], -1
	s_mov_b64 s[0:1], 0
	s_mov_b64 s[40:41], s[26:27]
                                        ; implicit-def: $sgpr42_sgpr43
	s_branch .LBB158_862
.LBB158_855:
	s_mov_b64 s[36:37], -1
	s_mov_b64 s[0:1], 0
	s_mov_b64 s[40:41], s[26:27]
                                        ; implicit-def: $sgpr42_sgpr43
	s_branch .LBB158_859
.LBB158_856:
	s_andn2_saveexec_b64 s[36:37], s[36:37]
	s_cbranch_execz .LBB158_652
.LBB158_857:
	v_add_f32_e32 v3, 0x42800000, v4
	v_and_b32_e32 v3, 0xff, v3
	v_cmp_ne_u32_e32 vcc, 0, v3
	s_andn2_b64 s[34:35], s[34:35], exec
	s_and_b64 s[40:41], vcc, exec
	s_or_b64 s[34:35], s[34:35], s[40:41]
	s_or_b64 exec, exec, s[36:37]
	v_mov_b32_e32 v5, 0
	s_and_saveexec_b64 s[36:37], s[34:35]
	s_cbranch_execnz .LBB158_653
	s_branch .LBB158_654
.LBB158_858:
	s_mov_b64 s[40:41], -1
                                        ; implicit-def: $sgpr42_sgpr43
	s_mov_b64 s[0:1], 0
.LBB158_859:
	s_and_b64 vcc, exec, s[36:37]
	s_cbranch_vccz .LBB158_861
; %bb.860:
	s_cmp_eq_u32 s45, 44
	s_cselect_b64 s[0:1], -1, 0
	s_or_b64 s[42:43], s[42:43], exec
	s_or_b64 s[40:41], s[40:41], exec
.LBB158_861:
	s_mov_b64 s[36:37], 0
.LBB158_862:
	s_and_b64 vcc, exec, s[36:37]
	s_cbranch_vccz .LBB158_866
; %bb.863:
	s_cmp_eq_u32 s45, 29
	s_cbranch_scc0 .LBB158_865
; %bb.864:
	global_load_dwordx2 v[3:4], v[0:1], off
	s_mov_b64 s[40:41], 0
	s_mov_b64 s[0:1], -1
	s_mov_b64 s[36:37], 0
	s_waitcnt vmcnt(0)
	v_cmp_ne_u64_e64 s[42:43], 0, v[3:4]
	s_branch .LBB158_867
.LBB158_865:
	s_mov_b64 s[40:41], -1
                                        ; implicit-def: $sgpr42_sgpr43
.LBB158_866:
	s_mov_b64 s[36:37], 0
.LBB158_867:
	s_and_b64 vcc, exec, s[36:37]
	s_cbranch_vccz .LBB158_879
; %bb.868:
	s_cmp_lt_i32 s45, 27
	s_cbranch_scc1 .LBB158_871
; %bb.869:
	s_cmp_gt_i32 s45, 27
	s_cbranch_scc0 .LBB158_872
; %bb.870:
	global_load_dword v3, v[0:1], off
	s_mov_b64 s[0:1], 0
	s_waitcnt vmcnt(0)
	v_cmp_ne_u32_e64 s[42:43], 0, v3
	s_branch .LBB158_873
.LBB158_871:
	s_mov_b64 s[0:1], -1
                                        ; implicit-def: $sgpr42_sgpr43
	s_branch .LBB158_876
.LBB158_872:
	s_mov_b64 s[0:1], -1
                                        ; implicit-def: $sgpr42_sgpr43
.LBB158_873:
	s_andn2_b64 vcc, exec, s[0:1]
	s_cbranch_vccnz .LBB158_875
; %bb.874:
	global_load_ushort v3, v[0:1], off
	s_andn2_b64 s[0:1], s[42:43], exec
	s_waitcnt vmcnt(0)
	v_cmp_ne_u16_e32 vcc, 0, v3
	s_and_b64 s[36:37], vcc, exec
	s_or_b64 s[42:43], s[0:1], s[36:37]
.LBB158_875:
	s_mov_b64 s[0:1], 0
.LBB158_876:
	s_andn2_b64 vcc, exec, s[0:1]
	s_cbranch_vccnz .LBB158_878
; %bb.877:
	global_load_ubyte v3, v[0:1], off
	s_andn2_b64 s[0:1], s[42:43], exec
	s_waitcnt vmcnt(0)
	v_cmp_ne_u16_e32 vcc, 0, v3
	s_and_b64 s[36:37], vcc, exec
	s_or_b64 s[42:43], s[0:1], s[36:37]
.LBB158_878:
	s_mov_b64 s[0:1], -1
.LBB158_879:
	s_mov_b64 s[36:37], 0
.LBB158_880:
	s_and_b64 vcc, exec, s[36:37]
	s_cbranch_vccz .LBB158_905
; %bb.881:
	s_cmp_gt_i32 s45, 22
	s_cbranch_scc0 .LBB158_885
; %bb.882:
	s_cmp_lt_i32 s45, 24
	s_cbranch_scc1 .LBB158_886
; %bb.883:
	s_cmp_gt_i32 s45, 24
	s_cbranch_scc0 .LBB158_887
; %bb.884:
	global_load_ubyte v3, v[0:1], off
	s_mov_b64 s[0:1], 0
	s_waitcnt vmcnt(0)
	v_cmp_ne_u16_e64 s[42:43], 0, v3
	s_branch .LBB158_888
.LBB158_885:
	s_mov_b64 s[36:37], -1
                                        ; implicit-def: $sgpr42_sgpr43
	s_branch .LBB158_894
.LBB158_886:
	s_mov_b64 s[0:1], -1
                                        ; implicit-def: $sgpr42_sgpr43
	s_branch .LBB158_891
.LBB158_887:
	s_mov_b64 s[0:1], -1
                                        ; implicit-def: $sgpr42_sgpr43
.LBB158_888:
	s_andn2_b64 vcc, exec, s[0:1]
	s_cbranch_vccnz .LBB158_890
; %bb.889:
	global_load_ubyte v3, v[0:1], off
	s_andn2_b64 s[0:1], s[42:43], exec
	s_waitcnt vmcnt(0)
	v_and_b32_e32 v3, 0x7f, v3
	v_cmp_ne_u16_e32 vcc, 0, v3
	s_and_b64 s[36:37], vcc, exec
	s_or_b64 s[42:43], s[0:1], s[36:37]
.LBB158_890:
	s_mov_b64 s[0:1], 0
.LBB158_891:
	s_andn2_b64 vcc, exec, s[0:1]
	s_cbranch_vccnz .LBB158_893
; %bb.892:
	global_load_ubyte v3, v[0:1], off
	s_movk_i32 s0, 0x7f00
	s_brev_b32 s1, 16
	s_waitcnt vmcnt(0)
	v_lshlrev_b32_e32 v4, 8, v3
	v_lshlrev_b32_e32 v3, 25, v3
	v_lshrrev_b32_e32 v5, 4, v3
	v_and_or_b32 v4, v4, s0, 0.5
	v_or_b32_e32 v5, 0x70000000, v5
	v_add_f32_e32 v4, -0.5, v4
	v_mul_f32_e32 v5, 0x7800000, v5
	v_cmp_gt_u32_e32 vcc, s1, v3
	v_cndmask_b32_e32 v3, v5, v4, vcc
	v_cmp_neq_f32_e32 vcc, 0, v3
	s_andn2_b64 s[0:1], s[42:43], exec
	s_and_b64 s[36:37], vcc, exec
	s_or_b64 s[42:43], s[0:1], s[36:37]
.LBB158_893:
	s_mov_b64 s[36:37], 0
	s_mov_b64 s[0:1], -1
.LBB158_894:
	s_andn2_b64 vcc, exec, s[36:37]
	s_cbranch_vccnz .LBB158_905
; %bb.895:
	s_cmp_gt_i32 s45, 14
	s_cbranch_scc0 .LBB158_898
; %bb.896:
	s_cmp_eq_u32 s45, 15
	s_cbranch_scc0 .LBB158_899
; %bb.897:
	global_load_ushort v3, v[0:1], off
	s_mov_b64 s[0:1], -1
	s_mov_b64 s[40:41], 0
	s_waitcnt vmcnt(0)
	v_and_b32_e32 v3, 0x7fff, v3
	v_cmp_ne_u16_e64 s[42:43], 0, v3
	s_branch .LBB158_900
.LBB158_898:
	s_mov_b64 s[36:37], -1
                                        ; implicit-def: $sgpr42_sgpr43
	s_branch .LBB158_901
.LBB158_899:
	s_mov_b64 s[40:41], -1
                                        ; implicit-def: $sgpr42_sgpr43
.LBB158_900:
	s_mov_b64 s[36:37], 0
.LBB158_901:
	s_and_b64 vcc, exec, s[36:37]
	s_cbranch_vccz .LBB158_905
; %bb.902:
	s_cmp_eq_u32 s45, 11
	s_cbranch_scc0 .LBB158_904
; %bb.903:
	global_load_ubyte v3, v[0:1], off
	s_mov_b64 s[0:1], -1
	s_mov_b64 s[40:41], 0
	s_waitcnt vmcnt(0)
	v_cmp_ne_u16_e64 s[42:43], 0, v3
	s_branch .LBB158_905
.LBB158_904:
	s_mov_b64 s[40:41], -1
                                        ; implicit-def: $sgpr42_sgpr43
.LBB158_905:
	s_mov_b64 s[36:37], 0
.LBB158_906:
	s_and_b64 vcc, exec, s[36:37]
	s_cbranch_vccz .LBB158_955
; %bb.907:
	s_and_b32 s44, 0xffff, s44
	s_cmp_lt_i32 s44, 5
	s_cbranch_scc1 .LBB158_912
; %bb.908:
	s_cmp_lt_i32 s44, 8
	s_cbranch_scc1 .LBB158_913
; %bb.909:
	;; [unrolled: 3-line block ×3, first 2 shown]
	s_cmp_gt_i32 s44, 9
	s_cbranch_scc0 .LBB158_915
; %bb.911:
	global_load_dwordx4 v[3:6], v[0:1], off
	s_mov_b64 s[36:37], 0
	s_waitcnt vmcnt(0)
	v_cmp_neq_f64_e32 vcc, 0, v[3:4]
	v_cmp_neq_f64_e64 s[0:1], 0, v[5:6]
	s_or_b64 s[42:43], vcc, s[0:1]
	s_branch .LBB158_916
.LBB158_912:
	s_mov_b64 s[0:1], -1
                                        ; implicit-def: $sgpr42_sgpr43
	s_branch .LBB158_934
.LBB158_913:
	s_mov_b64 s[0:1], -1
                                        ; implicit-def: $sgpr42_sgpr43
	s_branch .LBB158_922
.LBB158_914:
	s_mov_b64 s[0:1], -1
                                        ; implicit-def: $sgpr42_sgpr43
	s_branch .LBB158_919
.LBB158_915:
	s_mov_b64 s[36:37], -1
                                        ; implicit-def: $sgpr42_sgpr43
.LBB158_916:
	s_andn2_b64 vcc, exec, s[36:37]
	s_cbranch_vccnz .LBB158_918
; %bb.917:
	global_load_dwordx2 v[3:4], v[0:1], off
	s_andn2_b64 s[0:1], s[42:43], exec
	s_waitcnt vmcnt(0)
	v_or_b32_e32 v3, v3, v4
	v_and_b32_e32 v3, 0x7fffffff, v3
	v_cmp_ne_u32_e32 vcc, 0, v3
	s_and_b64 s[36:37], vcc, exec
	s_or_b64 s[42:43], s[0:1], s[36:37]
.LBB158_918:
	s_mov_b64 s[0:1], 0
.LBB158_919:
	s_andn2_b64 vcc, exec, s[0:1]
	s_cbranch_vccnz .LBB158_921
; %bb.920:
	global_load_dword v3, v[0:1], off
	s_andn2_b64 s[0:1], s[42:43], exec
	s_waitcnt vmcnt(0)
	v_and_b32_e32 v3, 0x7fff7fff, v3
	v_cmp_ne_u32_e32 vcc, 0, v3
	s_and_b64 s[36:37], vcc, exec
	s_or_b64 s[42:43], s[0:1], s[36:37]
.LBB158_921:
	s_mov_b64 s[0:1], 0
.LBB158_922:
	s_andn2_b64 vcc, exec, s[0:1]
	s_cbranch_vccnz .LBB158_933
; %bb.923:
	s_cmp_lt_i32 s44, 6
	s_cbranch_scc1 .LBB158_926
; %bb.924:
	s_cmp_gt_i32 s44, 6
	s_cbranch_scc0 .LBB158_927
; %bb.925:
	global_load_dwordx2 v[3:4], v[0:1], off
	s_mov_b64 s[0:1], 0
	s_waitcnt vmcnt(0)
	v_cmp_neq_f64_e64 s[42:43], 0, v[3:4]
	s_branch .LBB158_928
.LBB158_926:
	s_mov_b64 s[0:1], -1
                                        ; implicit-def: $sgpr42_sgpr43
	s_branch .LBB158_931
.LBB158_927:
	s_mov_b64 s[0:1], -1
                                        ; implicit-def: $sgpr42_sgpr43
.LBB158_928:
	s_andn2_b64 vcc, exec, s[0:1]
	s_cbranch_vccnz .LBB158_930
; %bb.929:
	global_load_dword v3, v[0:1], off
	s_andn2_b64 s[0:1], s[42:43], exec
	s_waitcnt vmcnt(0)
	v_cmp_neq_f32_e32 vcc, 0, v3
	s_and_b64 s[36:37], vcc, exec
	s_or_b64 s[42:43], s[0:1], s[36:37]
.LBB158_930:
	s_mov_b64 s[0:1], 0
.LBB158_931:
	s_andn2_b64 vcc, exec, s[0:1]
	s_cbranch_vccnz .LBB158_933
; %bb.932:
	global_load_ushort v3, v[0:1], off
	s_andn2_b64 s[0:1], s[42:43], exec
	s_waitcnt vmcnt(0)
	v_and_b32_e32 v3, 0x7fff, v3
	v_cmp_ne_u16_e32 vcc, 0, v3
	s_and_b64 s[36:37], vcc, exec
	s_or_b64 s[42:43], s[0:1], s[36:37]
.LBB158_933:
	s_mov_b64 s[0:1], 0
.LBB158_934:
	s_andn2_b64 vcc, exec, s[0:1]
	s_cbranch_vccnz .LBB158_954
; %bb.935:
	s_cmp_lt_i32 s44, 2
	s_cbranch_scc1 .LBB158_939
; %bb.936:
	s_cmp_lt_i32 s44, 3
	s_cbranch_scc1 .LBB158_940
; %bb.937:
	s_cmp_gt_i32 s44, 3
	s_cbranch_scc0 .LBB158_941
; %bb.938:
	global_load_dwordx2 v[3:4], v[0:1], off
	s_mov_b64 s[0:1], 0
	s_waitcnt vmcnt(0)
	v_cmp_ne_u64_e64 s[42:43], 0, v[3:4]
	s_branch .LBB158_942
.LBB158_939:
	s_mov_b64 s[0:1], -1
                                        ; implicit-def: $sgpr42_sgpr43
	s_branch .LBB158_948
.LBB158_940:
	s_mov_b64 s[0:1], -1
                                        ; implicit-def: $sgpr42_sgpr43
	s_branch .LBB158_945
.LBB158_941:
	s_mov_b64 s[0:1], -1
                                        ; implicit-def: $sgpr42_sgpr43
.LBB158_942:
	s_andn2_b64 vcc, exec, s[0:1]
	s_cbranch_vccnz .LBB158_944
; %bb.943:
	global_load_dword v3, v[0:1], off
	s_andn2_b64 s[0:1], s[42:43], exec
	s_waitcnt vmcnt(0)
	v_cmp_ne_u32_e32 vcc, 0, v3
	s_and_b64 s[36:37], vcc, exec
	s_or_b64 s[42:43], s[0:1], s[36:37]
.LBB158_944:
	s_mov_b64 s[0:1], 0
.LBB158_945:
	s_andn2_b64 vcc, exec, s[0:1]
	s_cbranch_vccnz .LBB158_947
; %bb.946:
	global_load_ushort v3, v[0:1], off
	s_andn2_b64 s[0:1], s[42:43], exec
	s_waitcnt vmcnt(0)
	v_cmp_ne_u16_e32 vcc, 0, v3
	s_and_b64 s[36:37], vcc, exec
	s_or_b64 s[42:43], s[0:1], s[36:37]
.LBB158_947:
	s_mov_b64 s[0:1], 0
.LBB158_948:
	s_andn2_b64 vcc, exec, s[0:1]
	s_cbranch_vccnz .LBB158_954
; %bb.949:
	s_cmp_gt_i32 s44, 0
	s_cbranch_scc0 .LBB158_951
; %bb.950:
	global_load_ubyte v3, v[0:1], off
	s_mov_b64 s[0:1], 0
	s_waitcnt vmcnt(0)
	v_cmp_ne_u16_e64 s[42:43], 0, v3
	s_branch .LBB158_952
.LBB158_951:
	s_mov_b64 s[0:1], -1
                                        ; implicit-def: $sgpr42_sgpr43
.LBB158_952:
	s_andn2_b64 vcc, exec, s[0:1]
	s_cbranch_vccnz .LBB158_954
; %bb.953:
	global_load_ubyte v0, v[0:1], off
	s_andn2_b64 s[0:1], s[42:43], exec
	s_waitcnt vmcnt(0)
	v_cmp_ne_u16_e32 vcc, 0, v0
	s_and_b64 s[36:37], vcc, exec
	s_or_b64 s[42:43], s[0:1], s[36:37]
.LBB158_954:
	s_mov_b64 s[0:1], -1
.LBB158_955:
	s_mov_b64 s[36:37], 0
	s_andn2_b64 vcc, exec, s[0:1]
	s_mov_b64 s[0:1], s[28:29]
	s_mov_b64 s[44:45], 0
	s_cbranch_vccnz .LBB158_1095
; %bb.956:
	s_cmp_lt_i32 s15, 1
	s_mov_b64 s[0:1], 0
	s_cbranch_scc1 .LBB158_960
; %bb.957:
	s_cmp_gt_i32 s15, 1
	s_cbranch_scc0 .LBB158_961
; %bb.958:
	s_cmp_eq_u32 s15, 2
	s_cbranch_scc0 .LBB158_962
; %bb.959:
	s_xor_b64 s[40:41], s[38:39], -1
	s_or_b64 s[40:41], s[42:43], s[40:41]
	s_branch .LBB158_963
.LBB158_960:
	s_mov_b64 s[46:47], -1
                                        ; implicit-def: $sgpr40_sgpr41
	s_branch .LBB158_967
.LBB158_961:
	s_mov_b64 s[46:47], -1
                                        ; implicit-def: $sgpr40_sgpr41
	s_branch .LBB158_964
.LBB158_962:
	s_mov_b64 s[44:45], -1
                                        ; implicit-def: $sgpr40_sgpr41
.LBB158_963:
	s_mov_b64 s[46:47], 0
.LBB158_964:
	s_and_b64 vcc, exec, s[46:47]
	s_cbranch_vccz .LBB158_966
; %bb.965:
	s_xor_b64 s[46:47], s[42:43], -1
	s_and_b64 s[46:47], s[38:39], s[46:47]
	s_andn2_b64 s[40:41], s[40:41], exec
	s_and_b64 s[46:47], s[46:47], exec
	s_or_b64 s[40:41], s[40:41], s[46:47]
.LBB158_966:
	s_mov_b64 s[46:47], 0
.LBB158_967:
	s_and_b64 vcc, exec, s[46:47]
	s_cbranch_vccz .LBB158_978
; %bb.968:
	s_cmp_lg_u32 s15, 0
	s_mov_b64 s[0:1], -1
	s_cselect_b64 s[44:45], -1, 0
	s_andn2_b64 vcc, exec, s[44:45]
	s_cbranch_vccz .LBB158_979
.LBB158_969:
	s_andn2_b64 vcc, exec, s[0:1]
	s_cbranch_vccnz .LBB158_971
.LBB158_970:
	s_xor_b64 s[0:1], s[42:43], -1
	s_or_b64 s[0:1], s[38:39], s[0:1]
	s_andn2_b64 s[38:39], s[40:41], exec
	s_and_b64 s[0:1], s[0:1], exec
	s_or_b64 s[40:41], s[38:39], s[0:1]
.LBB158_971:
	v_mul_lo_u32 v0, v2, s12
	v_mov_b32_e32 v1, s9
	s_and_b32 s46, s33, 0xff
	s_cmp_lt_i32 s46, 11
	v_ashrrev_i32_e32 v3, 31, v0
	v_add_co_u32_e32 v0, vcc, s8, v0
	v_addc_co_u32_e32 v1, vcc, v1, v3, vcc
	s_cbranch_scc1 .LBB158_980
; %bb.972:
	s_and_b32 s47, 0xffff, s46
	s_cmp_gt_i32 s47, 25
	s_cbranch_scc0 .LBB158_981
; %bb.973:
	s_cmp_gt_i32 s47, 28
	s_cbranch_scc0 .LBB158_982
; %bb.974:
	;; [unrolled: 3-line block ×4, first 2 shown]
	s_mov_b64 s[42:43], 0
	s_mov_b64 s[0:1], -1
	s_cmp_eq_u32 s47, 46
	s_mov_b64 s[38:39], 0
	s_cbranch_scc0 .LBB158_985
; %bb.977:
	v_cndmask_b32_e64 v3, 0, 1.0, s[40:41]
	v_bfe_u32 v4, v3, 16, 1
	s_movk_i32 s0, 0x7fff
	v_add3_u32 v3, v3, v4, s0
	v_lshrrev_b32_e32 v3, 16, v3
	global_store_dword v[0:1], v3, off
	s_mov_b64 s[38:39], -1
	s_mov_b64 s[0:1], 0
	s_branch .LBB158_985
.LBB158_978:
	s_andn2_b64 vcc, exec, s[44:45]
	s_cbranch_vccnz .LBB158_969
.LBB158_979:
	s_xor_b64 s[0:1], s[38:39], -1
	s_and_b64 s[44:45], s[42:43], s[0:1]
	s_andn2_b64 s[40:41], s[40:41], exec
	s_and_b64 s[44:45], s[44:45], exec
	s_or_b64 s[40:41], s[40:41], s[44:45]
	s_cbranch_execz .LBB158_970
	s_branch .LBB158_971
.LBB158_980:
	s_mov_b64 s[42:43], -1
	s_mov_b64 s[38:39], 0
	s_mov_b64 s[0:1], s[28:29]
	s_branch .LBB158_1054
.LBB158_981:
	s_mov_b64 s[42:43], -1
	s_mov_b64 s[38:39], 0
	s_mov_b64 s[0:1], s[28:29]
	s_branch .LBB158_1012
.LBB158_982:
	s_mov_b64 s[42:43], -1
	s_mov_b64 s[38:39], 0
	s_mov_b64 s[0:1], s[28:29]
	s_branch .LBB158_995
.LBB158_983:
	s_mov_b64 s[42:43], -1
	s_mov_b64 s[38:39], 0
	s_mov_b64 s[0:1], s[28:29]
	s_branch .LBB158_991
.LBB158_984:
	s_mov_b64 s[42:43], -1
	s_mov_b64 s[38:39], 0
	s_mov_b64 s[0:1], s[28:29]
.LBB158_985:
	s_and_b64 vcc, exec, s[42:43]
	s_cbranch_vccz .LBB158_990
; %bb.986:
	s_cmp_eq_u32 s47, 44
	s_mov_b64 s[0:1], -1
	s_cbranch_scc0 .LBB158_990
; %bb.987:
	v_cndmask_b32_e64 v4, 0, 1.0, s[40:41]
	v_lshrrev_b32_e32 v3, 23, v4
	s_movk_i32 s0, 0xff
	v_cmp_ne_u32_e32 vcc, s0, v3
	v_mov_b32_e32 v5, 0xff
	s_and_saveexec_b64 s[38:39], vcc
; %bb.988:
	s_mov_b32 s0, 0x3fffff
	v_and_b32_e32 v5, 0x400000, v4
	v_and_or_b32 v4, v4, s0, v3
	v_cmp_ne_u32_e32 vcc, 0, v5
	v_cmp_ne_u32_e64 s[0:1], 0, v4
	s_and_b64 s[0:1], vcc, s[0:1]
	v_cndmask_b32_e64 v4, 0, 1, s[0:1]
	v_add_u32_e32 v5, v3, v4
; %bb.989:
	s_or_b64 exec, exec, s[38:39]
	s_mov_b64 s[38:39], -1
	s_mov_b64 s[0:1], 0
	global_store_byte v[0:1], v5, off
.LBB158_990:
	s_mov_b64 s[42:43], 0
.LBB158_991:
	s_and_b64 vcc, exec, s[42:43]
	s_cbranch_vccz .LBB158_994
; %bb.992:
	s_cmp_eq_u32 s47, 29
	s_mov_b64 s[0:1], -1
	s_cbranch_scc0 .LBB158_994
; %bb.993:
	s_mov_b32 s0, 0
	v_cndmask_b32_e64 v3, 0, 1, s[40:41]
	v_mov_b32_e32 v4, s0
	global_store_dwordx2 v[0:1], v[3:4], off
	s_mov_b64 s[38:39], -1
	s_mov_b64 s[0:1], 0
.LBB158_994:
	s_mov_b64 s[42:43], 0
.LBB158_995:
	s_and_b64 vcc, exec, s[42:43]
	s_cbranch_vccz .LBB158_1011
; %bb.996:
	s_cmp_lt_i32 s47, 27
	s_mov_b64 s[38:39], -1
	s_cbranch_scc1 .LBB158_1002
; %bb.997:
	s_cmp_gt_i32 s47, 27
	s_cbranch_scc0 .LBB158_999
; %bb.998:
	v_cndmask_b32_e64 v3, 0, 1, s[40:41]
	s_mov_b64 s[38:39], 0
	global_store_dword v[0:1], v3, off
.LBB158_999:
	s_andn2_b64 vcc, exec, s[38:39]
	s_cbranch_vccnz .LBB158_1001
; %bb.1000:
	v_cndmask_b32_e64 v3, 0, 1, s[40:41]
	global_store_short v[0:1], v3, off
.LBB158_1001:
	s_mov_b64 s[38:39], 0
.LBB158_1002:
	s_andn2_b64 vcc, exec, s[38:39]
	s_cbranch_vccnz .LBB158_1010
; %bb.1003:
	v_cndmask_b32_e64 v4, 0, 1.0, s[40:41]
	s_mov_b32 s38, 0x43800000
	v_cmp_gt_u32_e32 vcc, s38, v4
	v_mov_b32_e32 v5, 0x80
	s_and_saveexec_b64 s[38:39], vcc
	s_cbranch_execz .LBB158_1009
; %bb.1004:
	s_mov_b32 s42, 0x3bffffff
	v_cmp_lt_u32_e32 vcc, s42, v4
	s_mov_b64 s[42:43], 0
                                        ; implicit-def: $vgpr3
	s_and_saveexec_b64 s[44:45], vcc
	s_xor_b64 s[44:45], exec, s[44:45]
	s_cbranch_execz .LBB158_1110
; %bb.1005:
	v_bfe_u32 v3, v4, 20, 1
	s_mov_b32 s48, 0x487ffff
	v_add3_u32 v3, v4, v3, s48
	s_mov_b64 s[42:43], exec
	v_lshrrev_b32_e32 v3, 20, v3
                                        ; implicit-def: $vgpr4
	s_andn2_saveexec_b64 s[44:45], s[44:45]
	s_cbranch_execnz .LBB158_1111
.LBB158_1006:
	s_or_b64 exec, exec, s[44:45]
	v_mov_b32_e32 v5, 0
	s_and_saveexec_b64 s[44:45], s[42:43]
.LBB158_1007:
	v_mov_b32_e32 v5, v3
.LBB158_1008:
	s_or_b64 exec, exec, s[44:45]
.LBB158_1009:
	s_or_b64 exec, exec, s[38:39]
	global_store_byte v[0:1], v5, off
.LBB158_1010:
	s_mov_b64 s[38:39], -1
.LBB158_1011:
	s_mov_b64 s[42:43], 0
.LBB158_1012:
	s_and_b64 vcc, exec, s[42:43]
	s_cbranch_vccz .LBB158_1053
; %bb.1013:
	s_cmp_gt_i32 s47, 22
	s_mov_b64 s[42:43], -1
	s_cbranch_scc0 .LBB158_1045
; %bb.1014:
	s_cmp_lt_i32 s47, 24
	s_mov_b64 s[38:39], -1
	s_cbranch_scc1 .LBB158_1034
; %bb.1015:
	s_cmp_gt_i32 s47, 24
	s_cbranch_scc0 .LBB158_1023
; %bb.1016:
	v_cndmask_b32_e64 v4, 0, 1.0, s[40:41]
	s_mov_b32 s38, 0x47800000
	v_cmp_gt_u32_e32 vcc, s38, v4
	v_mov_b32_e32 v5, 0x80
	s_and_saveexec_b64 s[38:39], vcc
	s_cbranch_execz .LBB158_1022
; %bb.1017:
	s_mov_b32 s42, 0x37ffffff
	v_cmp_lt_u32_e32 vcc, s42, v4
	s_mov_b64 s[42:43], 0
                                        ; implicit-def: $vgpr3
	s_and_saveexec_b64 s[44:45], vcc
	s_xor_b64 s[44:45], exec, s[44:45]
	s_cbranch_execz .LBB158_2057
; %bb.1018:
	v_bfe_u32 v3, v4, 21, 1
	s_mov_b32 s48, 0x88fffff
	v_add3_u32 v3, v4, v3, s48
	s_mov_b64 s[42:43], exec
	v_lshrrev_b32_e32 v3, 21, v3
                                        ; implicit-def: $vgpr4
	s_andn2_saveexec_b64 s[44:45], s[44:45]
	s_cbranch_execnz .LBB158_2058
.LBB158_1019:
	s_or_b64 exec, exec, s[44:45]
	v_mov_b32_e32 v5, 0
	s_and_saveexec_b64 s[44:45], s[42:43]
.LBB158_1020:
	v_mov_b32_e32 v5, v3
.LBB158_1021:
	s_or_b64 exec, exec, s[44:45]
.LBB158_1022:
	s_or_b64 exec, exec, s[38:39]
	s_mov_b64 s[38:39], 0
	global_store_byte v[0:1], v5, off
.LBB158_1023:
	s_and_b64 vcc, exec, s[38:39]
	s_cbranch_vccz .LBB158_1033
; %bb.1024:
	v_cndmask_b32_e64 v3, 0, 1.0, s[40:41]
	s_mov_b32 s38, 0x43f00000
	v_cmp_gt_u32_e32 vcc, s38, v3
                                        ; implicit-def: $vgpr4
	s_and_saveexec_b64 s[38:39], vcc
	s_xor_b64 s[38:39], exec, s[38:39]
	s_cbranch_execz .LBB158_1030
; %bb.1025:
	s_mov_b32 s42, 0x3c7fffff
	v_cmp_lt_u32_e32 vcc, s42, v3
                                        ; implicit-def: $vgpr4
	s_and_saveexec_b64 s[42:43], vcc
	s_xor_b64 s[42:43], exec, s[42:43]
; %bb.1026:
	v_bfe_u32 v4, v3, 20, 1
	s_mov_b32 s44, 0x407ffff
	v_add3_u32 v3, v3, v4, s44
	v_lshrrev_b32_e32 v4, 20, v3
	v_and_b32_e32 v3, 0xff00000, v3
	s_mov_b32 s44, 0x7f00000
	v_mov_b32_e32 v5, 0x7e
	v_cmp_ne_u32_e32 vcc, s44, v3
	v_cndmask_b32_e32 v4, v5, v4, vcc
                                        ; implicit-def: $vgpr3
; %bb.1027:
	s_andn2_saveexec_b64 s[42:43], s[42:43]
; %bb.1028:
	v_add_f32_e32 v4, 0x46800000, v3
; %bb.1029:
	s_or_b64 exec, exec, s[42:43]
                                        ; implicit-def: $vgpr3
.LBB158_1030:
	s_andn2_saveexec_b64 s[38:39], s[38:39]
; %bb.1031:
	s_mov_b32 s42, 0x7f800000
	v_mov_b32_e32 v4, 0x7e
	v_mov_b32_e32 v5, 0x7f
	v_cmp_lt_u32_e32 vcc, s42, v3
	v_cndmask_b32_e32 v4, v4, v5, vcc
; %bb.1032:
	s_or_b64 exec, exec, s[38:39]
	global_store_byte v[0:1], v4, off
.LBB158_1033:
	s_mov_b64 s[38:39], 0
.LBB158_1034:
	s_andn2_b64 vcc, exec, s[38:39]
	s_cbranch_vccnz .LBB158_1044
; %bb.1035:
	v_cndmask_b32_e64 v3, 0, 1.0, s[40:41]
	s_mov_b32 s38, 0x47800000
	v_cmp_gt_u32_e32 vcc, s38, v3
                                        ; implicit-def: $vgpr4
	s_and_saveexec_b64 s[38:39], vcc
	s_xor_b64 s[38:39], exec, s[38:39]
	s_cbranch_execz .LBB158_1041
; %bb.1036:
	s_mov_b32 s42, 0x387fffff
	v_cmp_lt_u32_e32 vcc, s42, v3
                                        ; implicit-def: $vgpr4
	s_and_saveexec_b64 s[42:43], vcc
	s_xor_b64 s[42:43], exec, s[42:43]
; %bb.1037:
	v_bfe_u32 v4, v3, 21, 1
	s_mov_b32 s44, 0x80fffff
	v_add3_u32 v3, v3, v4, s44
	v_lshrrev_b32_e32 v4, 21, v3
                                        ; implicit-def: $vgpr3
; %bb.1038:
	s_andn2_saveexec_b64 s[42:43], s[42:43]
; %bb.1039:
	v_add_f32_e32 v4, 0x43000000, v3
; %bb.1040:
	s_or_b64 exec, exec, s[42:43]
                                        ; implicit-def: $vgpr3
.LBB158_1041:
	s_andn2_saveexec_b64 s[38:39], s[38:39]
; %bb.1042:
	s_mov_b32 s42, 0x7f800000
	v_mov_b32_e32 v4, 0x7c
	v_mov_b32_e32 v5, 0x7f
	v_cmp_lt_u32_e32 vcc, s42, v3
	v_cndmask_b32_e32 v4, v4, v5, vcc
; %bb.1043:
	s_or_b64 exec, exec, s[38:39]
	global_store_byte v[0:1], v4, off
.LBB158_1044:
	s_mov_b64 s[42:43], 0
	s_mov_b64 s[38:39], -1
.LBB158_1045:
	s_andn2_b64 vcc, exec, s[42:43]
	s_cbranch_vccnz .LBB158_1053
; %bb.1046:
	s_cmp_gt_i32 s47, 14
	s_mov_b64 s[42:43], -1
	s_cbranch_scc0 .LBB158_1050
; %bb.1047:
	s_cmp_eq_u32 s47, 15
	s_mov_b64 s[0:1], -1
	s_cbranch_scc0 .LBB158_1049
; %bb.1048:
	v_cndmask_b32_e64 v3, 0, 1.0, s[40:41]
	v_bfe_u32 v4, v3, 16, 1
	s_movk_i32 s0, 0x7fff
	v_add3_u32 v3, v3, v4, s0
	global_store_short_d16_hi v[0:1], v3, off
	s_mov_b64 s[38:39], -1
	s_mov_b64 s[0:1], 0
.LBB158_1049:
	s_mov_b64 s[42:43], 0
.LBB158_1050:
	s_and_b64 vcc, exec, s[42:43]
	s_cbranch_vccz .LBB158_1053
; %bb.1051:
	s_cmp_eq_u32 s47, 11
	s_mov_b64 s[0:1], -1
	s_cbranch_scc0 .LBB158_1053
; %bb.1052:
	v_cndmask_b32_e64 v3, 0, 1, s[40:41]
	s_mov_b64 s[38:39], -1
	s_mov_b64 s[0:1], 0
	global_store_byte v[0:1], v3, off
.LBB158_1053:
	s_mov_b64 s[42:43], 0
.LBB158_1054:
	s_and_b64 vcc, exec, s[42:43]
	s_cbranch_vccz .LBB158_1093
; %bb.1055:
	s_and_b32 s42, 0xffff, s46
	s_cmp_lt_i32 s42, 5
	s_mov_b64 s[38:39], -1
	s_cbranch_scc1 .LBB158_1076
; %bb.1056:
	s_cmp_lt_i32 s42, 8
	s_cbranch_scc1 .LBB158_1066
; %bb.1057:
	s_cmp_lt_i32 s42, 9
	s_cbranch_scc1 .LBB158_1063
; %bb.1058:
	s_cmp_gt_i32 s42, 9
	s_cbranch_scc0 .LBB158_1060
; %bb.1059:
	v_cndmask_b32_e64 v3, 0, 1, s[40:41]
	v_cvt_f64_u32_e32 v[3:4], v3
	v_mov_b32_e32 v5, 0
	v_mov_b32_e32 v6, v5
	s_mov_b64 s[38:39], 0
	global_store_dwordx4 v[0:1], v[3:6], off
.LBB158_1060:
	s_andn2_b64 vcc, exec, s[38:39]
	s_cbranch_vccnz .LBB158_1062
; %bb.1061:
	v_cndmask_b32_e64 v3, 0, 1.0, s[40:41]
	v_mov_b32_e32 v4, 0
	global_store_dwordx2 v[0:1], v[3:4], off
.LBB158_1062:
	s_mov_b64 s[38:39], 0
.LBB158_1063:
	s_andn2_b64 vcc, exec, s[38:39]
	s_cbranch_vccnz .LBB158_1065
; %bb.1064:
	v_cndmask_b32_e64 v3, 0, 1.0, s[40:41]
	v_cvt_f16_f32_e32 v3, v3
	global_store_dword v[0:1], v3, off
.LBB158_1065:
	s_mov_b64 s[38:39], 0
.LBB158_1066:
	s_andn2_b64 vcc, exec, s[38:39]
	s_cbranch_vccnz .LBB158_1075
; %bb.1067:
	s_cmp_lt_i32 s42, 6
	s_mov_b64 s[38:39], -1
	s_cbranch_scc1 .LBB158_1073
; %bb.1068:
	s_cmp_gt_i32 s42, 6
	s_cbranch_scc0 .LBB158_1070
; %bb.1069:
	v_cndmask_b32_e64 v3, 0, 1, s[40:41]
	v_cvt_f64_u32_e32 v[3:4], v3
	s_mov_b64 s[38:39], 0
	global_store_dwordx2 v[0:1], v[3:4], off
.LBB158_1070:
	s_andn2_b64 vcc, exec, s[38:39]
	s_cbranch_vccnz .LBB158_1072
; %bb.1071:
	v_cndmask_b32_e64 v3, 0, 1.0, s[40:41]
	global_store_dword v[0:1], v3, off
.LBB158_1072:
	s_mov_b64 s[38:39], 0
.LBB158_1073:
	s_andn2_b64 vcc, exec, s[38:39]
	s_cbranch_vccnz .LBB158_1075
; %bb.1074:
	v_cndmask_b32_e64 v3, 0, 1.0, s[40:41]
	v_cvt_f16_f32_e32 v3, v3
	global_store_short v[0:1], v3, off
.LBB158_1075:
	s_mov_b64 s[38:39], 0
.LBB158_1076:
	s_andn2_b64 vcc, exec, s[38:39]
	s_cbranch_vccnz .LBB158_1092
; %bb.1077:
	s_cmp_lt_i32 s42, 2
	s_mov_b64 s[38:39], -1
	s_cbranch_scc1 .LBB158_1087
; %bb.1078:
	s_cmp_lt_i32 s42, 3
	s_cbranch_scc1 .LBB158_1084
; %bb.1079:
	s_cmp_gt_i32 s42, 3
	s_cbranch_scc0 .LBB158_1081
; %bb.1080:
	s_mov_b32 s38, 0
	v_cndmask_b32_e64 v3, 0, 1, s[40:41]
	v_mov_b32_e32 v4, s38
	s_mov_b64 s[38:39], 0
	global_store_dwordx2 v[0:1], v[3:4], off
.LBB158_1081:
	s_andn2_b64 vcc, exec, s[38:39]
	s_cbranch_vccnz .LBB158_1083
; %bb.1082:
	v_cndmask_b32_e64 v3, 0, 1, s[40:41]
	global_store_dword v[0:1], v3, off
.LBB158_1083:
	s_mov_b64 s[38:39], 0
.LBB158_1084:
	s_andn2_b64 vcc, exec, s[38:39]
	s_cbranch_vccnz .LBB158_1086
; %bb.1085:
	v_cndmask_b32_e64 v3, 0, 1, s[40:41]
	global_store_short v[0:1], v3, off
.LBB158_1086:
	s_mov_b64 s[38:39], 0
.LBB158_1087:
	s_andn2_b64 vcc, exec, s[38:39]
	s_cbranch_vccnz .LBB158_1092
; %bb.1088:
	s_mov_b64 s[38:39], -1
	s_cmp_gt_i32 s42, 0
	v_cndmask_b32_e64 v3, 0, 1, s[40:41]
	s_cbranch_scc0 .LBB158_1090
; %bb.1089:
	s_mov_b64 s[38:39], 0
	global_store_byte v[0:1], v3, off
.LBB158_1090:
	s_andn2_b64 vcc, exec, s[38:39]
	s_cbranch_vccnz .LBB158_1092
; %bb.1091:
	global_store_byte v[0:1], v3, off
.LBB158_1092:
	s_mov_b64 s[38:39], -1
.LBB158_1093:
	s_mov_b64 s[40:41], 0
	s_andn2_b64 vcc, exec, s[38:39]
	s_mov_b64 s[44:45], 0
	s_cbranch_vccnz .LBB158_1095
; %bb.1094:
	v_add_u32_e32 v2, 0x80, v2
	s_mov_b64 s[44:45], -1
.LBB158_1095:
	s_andn2_b64 s[38:39], s[28:29], exec
	s_and_b64 s[0:1], s[0:1], exec
	s_or_b64 s[42:43], s[38:39], s[0:1]
	s_andn2_b64 s[0:1], s[26:27], exec
	s_and_b64 s[38:39], s[40:41], exec
	s_or_b64 s[38:39], s[0:1], s[38:39]
	;; [unrolled: 3-line block ×3, first 2 shown]
	s_orn2_b64 s[48:49], s[44:45], exec
.LBB158_1096:
	s_or_b64 exec, exec, s[34:35]
	s_mov_b64 s[44:45], 0
	s_mov_b64 s[46:47], 0
	;; [unrolled: 1-line block ×3, first 2 shown]
                                        ; implicit-def: $sgpr34_sgpr35
                                        ; implicit-def: $sgpr58
                                        ; implicit-def: $vgpr0_vgpr1
	s_and_saveexec_b64 s[36:37], s[48:49]
	s_cbranch_execz .LBB158_1161
; %bb.1097:
	v_cmp_gt_i32_e32 vcc, s50, v2
	s_mov_b64 s[48:49], 0
	s_mov_b64 s[50:51], s[0:1]
	;; [unrolled: 1-line block ×4, first 2 shown]
                                        ; implicit-def: $sgpr34_sgpr35
                                        ; implicit-def: $sgpr58
                                        ; implicit-def: $vgpr0_vgpr1
	s_and_saveexec_b64 s[40:41], vcc
	s_cbranch_execz .LBB158_1160
; %bb.1098:
	v_mul_lo_u32 v0, v2, s13
	v_mov_b32_e32 v1, s11
	s_and_b32 s58, s57, 0xff
	s_cmp_lt_i32 s58, 11
	v_ashrrev_i32_e32 v3, 31, v0
	v_add_co_u32_e32 v0, vcc, s10, v0
	v_addc_co_u32_e32 v1, vcc, v1, v3, vcc
	s_cbranch_scc1 .LBB158_1105
; %bb.1099:
	s_and_b32 s52, 0xffff, s58
	s_cmp_gt_i32 s52, 25
	s_cbranch_scc0 .LBB158_1106
; %bb.1100:
	s_cmp_gt_i32 s52, 28
	s_cbranch_scc0 .LBB158_1107
; %bb.1101:
	;; [unrolled: 3-line block ×4, first 2 shown]
	s_cmp_eq_u32 s52, 46
	s_mov_b64 s[50:51], 0
	s_cbranch_scc0 .LBB158_1112
; %bb.1104:
	global_load_dword v3, v[0:1], off
	s_mov_b64 s[48:49], -1
	s_waitcnt vmcnt(0)
	v_and_b32_e32 v3, 0x7fff7fff, v3
	v_cmp_ne_u32_e64 s[34:35], 0, v3
	s_branch .LBB158_1114
.LBB158_1105:
	s_mov_b64 s[50:51], -1
                                        ; implicit-def: $sgpr34_sgpr35
	s_mov_b64 s[44:45], s[0:1]
	s_branch .LBB158_1159
.LBB158_1106:
	s_mov_b64 s[50:51], -1
	s_mov_b64 s[44:45], s[0:1]
                                        ; implicit-def: $sgpr34_sgpr35
	s_branch .LBB158_1135
.LBB158_1107:
	s_mov_b64 s[50:51], -1
	s_mov_b64 s[44:45], s[0:1]
                                        ; implicit-def: $sgpr34_sgpr35
	s_branch .LBB158_1122
.LBB158_1108:
	s_mov_b64 s[50:51], -1
	s_mov_b64 s[44:45], s[0:1]
                                        ; implicit-def: $sgpr34_sgpr35
	s_branch .LBB158_1117
.LBB158_1109:
	s_mov_b64 s[50:51], -1
	s_mov_b64 s[44:45], s[0:1]
	s_branch .LBB158_1113
.LBB158_1110:
	s_andn2_saveexec_b64 s[44:45], s[44:45]
	s_cbranch_execz .LBB158_1006
.LBB158_1111:
	v_add_f32_e32 v3, 0x46000000, v4
	v_and_b32_e32 v3, 0xff, v3
	v_cmp_ne_u32_e32 vcc, 0, v3
	s_andn2_b64 s[42:43], s[42:43], exec
	s_and_b64 s[48:49], vcc, exec
	s_or_b64 s[42:43], s[42:43], s[48:49]
	s_or_b64 exec, exec, s[44:45]
	v_mov_b32_e32 v5, 0
	s_and_saveexec_b64 s[44:45], s[42:43]
	s_cbranch_execnz .LBB158_1007
	s_branch .LBB158_1008
.LBB158_1112:
	s_mov_b64 s[44:45], -1
.LBB158_1113:
                                        ; implicit-def: $sgpr34_sgpr35
.LBB158_1114:
	s_and_b64 vcc, exec, s[50:51]
	s_cbranch_vccz .LBB158_1116
; %bb.1115:
	s_cmp_lg_u32 s52, 44
	s_cselect_b64 s[50:51], -1, 0
	s_andn2_b64 s[44:45], s[44:45], exec
	s_and_b64 s[50:51], s[50:51], exec
	s_mov_b64 s[48:49], -1
	s_or_b64 s[34:35], s[34:35], exec
	s_or_b64 s[44:45], s[44:45], s[50:51]
.LBB158_1116:
	s_mov_b64 s[50:51], 0
.LBB158_1117:
	s_and_b64 vcc, exec, s[50:51]
	s_cbranch_vccz .LBB158_1121
; %bb.1118:
	s_cmp_eq_u32 s52, 29
	s_cbranch_scc0 .LBB158_1120
; %bb.1119:
	global_load_dwordx2 v[3:4], v[0:1], off
	s_mov_b64 s[44:45], 0
	s_mov_b64 s[48:49], -1
	s_mov_b64 s[50:51], 0
	s_waitcnt vmcnt(0)
	v_cmp_ne_u64_e64 s[34:35], 0, v[3:4]
	s_branch .LBB158_1122
.LBB158_1120:
	s_mov_b64 s[44:45], -1
                                        ; implicit-def: $sgpr34_sgpr35
.LBB158_1121:
	s_mov_b64 s[50:51], 0
.LBB158_1122:
	s_and_b64 vcc, exec, s[50:51]
	s_cbranch_vccz .LBB158_1134
; %bb.1123:
	s_cmp_lt_i32 s52, 27
	s_cbranch_scc1 .LBB158_1126
; %bb.1124:
	s_cmp_gt_i32 s52, 27
	s_cbranch_scc0 .LBB158_1127
; %bb.1125:
	global_load_dword v3, v[0:1], off
	s_mov_b64 s[48:49], 0
	s_waitcnt vmcnt(0)
	v_cmp_ne_u32_e64 s[34:35], 0, v3
	s_branch .LBB158_1128
.LBB158_1126:
	s_mov_b64 s[48:49], -1
                                        ; implicit-def: $sgpr34_sgpr35
	s_branch .LBB158_1131
.LBB158_1127:
	s_mov_b64 s[48:49], -1
                                        ; implicit-def: $sgpr34_sgpr35
.LBB158_1128:
	s_andn2_b64 vcc, exec, s[48:49]
	s_cbranch_vccnz .LBB158_1130
; %bb.1129:
	global_load_ushort v3, v[0:1], off
	s_andn2_b64 s[34:35], s[34:35], exec
	s_waitcnt vmcnt(0)
	v_cmp_ne_u16_e32 vcc, 0, v3
	s_and_b64 s[48:49], vcc, exec
	s_or_b64 s[34:35], s[34:35], s[48:49]
.LBB158_1130:
	s_mov_b64 s[48:49], 0
.LBB158_1131:
	s_andn2_b64 vcc, exec, s[48:49]
	s_cbranch_vccnz .LBB158_1133
; %bb.1132:
	global_load_ubyte v3, v[0:1], off
	s_andn2_b64 s[34:35], s[34:35], exec
	s_waitcnt vmcnt(0)
	v_cmp_ne_u16_e32 vcc, 0, v3
	s_and_b64 s[48:49], vcc, exec
	s_or_b64 s[34:35], s[34:35], s[48:49]
.LBB158_1133:
	s_mov_b64 s[48:49], -1
.LBB158_1134:
	s_mov_b64 s[50:51], 0
.LBB158_1135:
	s_and_b64 vcc, exec, s[50:51]
	s_cbranch_vccz .LBB158_1158
; %bb.1136:
	s_cmp_gt_i32 s52, 22
	s_cbranch_scc0 .LBB158_1140
; %bb.1137:
	s_cmp_lt_i32 s52, 24
	s_cbranch_scc1 .LBB158_1141
; %bb.1138:
	s_cmp_gt_i32 s52, 24
	s_cbranch_scc0 .LBB158_1142
; %bb.1139:
	global_load_ubyte v3, v[0:1], off
	s_waitcnt vmcnt(0)
	v_cmp_ne_u16_e64 s[34:35], 0, v3
	s_branch .LBB158_1143
.LBB158_1140:
	s_mov_b64 s[46:47], -1
                                        ; implicit-def: $sgpr34_sgpr35
	s_branch .LBB158_1149
.LBB158_1141:
	s_mov_b64 s[46:47], -1
                                        ; implicit-def: $sgpr34_sgpr35
	s_branch .LBB158_1146
.LBB158_1142:
	s_mov_b64 s[46:47], -1
                                        ; implicit-def: $sgpr34_sgpr35
.LBB158_1143:
	s_andn2_b64 vcc, exec, s[46:47]
	s_cbranch_vccnz .LBB158_1145
; %bb.1144:
	global_load_ubyte v3, v[0:1], off
	s_andn2_b64 s[34:35], s[34:35], exec
	s_waitcnt vmcnt(0)
	v_and_b32_e32 v3, 0x7f, v3
	v_cmp_ne_u16_e32 vcc, 0, v3
	s_and_b64 s[46:47], vcc, exec
	s_or_b64 s[34:35], s[34:35], s[46:47]
.LBB158_1145:
	s_mov_b64 s[46:47], 0
.LBB158_1146:
	s_andn2_b64 vcc, exec, s[46:47]
	s_cbranch_vccnz .LBB158_1148
; %bb.1147:
	global_load_ubyte v3, v[0:1], off
	s_movk_i32 s46, 0x7f00
	s_brev_b32 s47, 16
	s_andn2_b64 s[34:35], s[34:35], exec
	s_waitcnt vmcnt(0)
	v_lshlrev_b32_e32 v4, 8, v3
	v_lshlrev_b32_e32 v3, 25, v3
	v_lshrrev_b32_e32 v5, 4, v3
	v_and_or_b32 v4, v4, s46, 0.5
	v_or_b32_e32 v5, 0x70000000, v5
	v_add_f32_e32 v4, -0.5, v4
	v_mul_f32_e32 v5, 0x7800000, v5
	v_cmp_gt_u32_e32 vcc, s47, v3
	v_cndmask_b32_e32 v3, v5, v4, vcc
	v_cmp_neq_f32_e32 vcc, 0, v3
	s_and_b64 s[46:47], vcc, exec
	s_or_b64 s[34:35], s[34:35], s[46:47]
.LBB158_1148:
	s_mov_b64 s[46:47], 0
	s_mov_b64 s[48:49], -1
.LBB158_1149:
	s_andn2_b64 vcc, exec, s[46:47]
	s_mov_b64 s[46:47], 0
	s_cbranch_vccnz .LBB158_1158
; %bb.1150:
	s_cmp_gt_i32 s52, 14
	s_cbranch_scc0 .LBB158_1153
; %bb.1151:
	s_cmp_eq_u32 s52, 15
	s_cbranch_scc0 .LBB158_1154
; %bb.1152:
	global_load_ushort v3, v[0:1], off
	s_mov_b64 s[44:45], 0
	s_mov_b64 s[48:49], -1
	s_waitcnt vmcnt(0)
	v_and_b32_e32 v3, 0x7fff, v3
	v_cmp_ne_u16_e64 s[34:35], 0, v3
	s_branch .LBB158_1155
.LBB158_1153:
	s_mov_b64 s[50:51], -1
                                        ; implicit-def: $sgpr34_sgpr35
	s_branch .LBB158_1156
.LBB158_1154:
	s_mov_b64 s[44:45], -1
                                        ; implicit-def: $sgpr34_sgpr35
.LBB158_1155:
	s_mov_b64 s[50:51], 0
.LBB158_1156:
	s_and_b64 vcc, exec, s[50:51]
	s_cbranch_vccz .LBB158_1158
; %bb.1157:
	s_cmp_lg_u32 s52, 11
	s_cselect_b64 s[50:51], -1, 0
	s_andn2_b64 s[44:45], s[44:45], exec
	s_and_b64 s[50:51], s[50:51], exec
	s_mov_b64 s[46:47], -1
	s_or_b64 s[44:45], s[44:45], s[50:51]
.LBB158_1158:
	s_mov_b64 s[50:51], 0
.LBB158_1159:
	s_and_b64 s[54:55], s[48:49], exec
	s_and_b64 s[48:49], s[46:47], exec
	s_andn2_b64 s[46:47], s[0:1], exec
	s_and_b64 s[44:45], s[44:45], exec
	s_and_b64 s[52:53], s[50:51], exec
	s_or_b64 s[50:51], s[46:47], s[44:45]
.LBB158_1160:
	s_or_b64 exec, exec, s[40:41]
	s_and_b64 s[44:45], s[48:49], exec
	s_andn2_b64 s[0:1], s[0:1], exec
	s_and_b64 s[48:49], s[50:51], exec
	s_and_b64 s[40:41], s[54:55], exec
	;; [unrolled: 1-line block ×3, first 2 shown]
	s_or_b64 s[0:1], s[0:1], s[48:49]
.LBB158_1161:
	s_or_b64 exec, exec, s[36:37]
	s_andn2_b64 s[28:29], s[28:29], exec
	s_and_b64 s[36:37], s[42:43], exec
	s_or_b64 s[28:29], s[28:29], s[36:37]
	s_andn2_b64 s[26:27], s[26:27], exec
	s_and_b64 s[36:37], s[38:39], exec
	s_andn2_b64 s[24:25], s[24:25], exec
	s_and_b64 s[0:1], s[0:1], exec
	s_or_b64 s[26:27], s[26:27], s[36:37]
	s_and_b64 s[40:41], s[40:41], exec
	s_and_b64 s[38:39], s[46:47], exec
	;; [unrolled: 1-line block ×3, first 2 shown]
	s_or_b64 s[24:25], s[24:25], s[0:1]
.LBB158_1162:
	s_or_b64 exec, exec, s[30:31]
	s_andn2_b64 s[0:1], s[16:17], exec
	s_and_b64 s[16:17], s[28:29], exec
	s_or_b64 s[16:17], s[0:1], s[16:17]
	s_andn2_b64 s[0:1], s[18:19], exec
	s_and_b64 s[18:19], s[26:27], exec
	s_andn2_b64 s[20:21], s[20:21], exec
	s_and_b64 s[24:25], s[24:25], exec
	s_or_b64 s[18:19], s[0:1], s[18:19]
	s_and_b64 s[28:29], s[40:41], exec
	s_and_b64 s[0:1], s[38:39], exec
	s_and_b64 s[26:27], s[36:37], exec
	s_or_b64 s[20:21], s[20:21], s[24:25]
	s_or_b64 exec, exec, s[22:23]
	s_mov_b64 s[22:23], 0
	s_and_saveexec_b64 s[24:25], s[20:21]
	s_cbranch_execz .LBB158_370
.LBB158_1163:
	s_mov_b64 s[22:23], exec
	s_andn2_b64 s[28:29], s[28:29], exec
	s_andn2_b64 s[26:27], s[26:27], exec
	s_trap 2
	s_or_b64 exec, exec, s[24:25]
	s_and_saveexec_b64 s[20:21], s[26:27]
	s_xor_b64 s[20:21], exec, s[20:21]
	s_cbranch_execnz .LBB158_371
.LBB158_1164:
	s_or_b64 exec, exec, s[20:21]
	s_and_saveexec_b64 s[20:21], s[0:1]
	s_cbranch_execz .LBB158_1210
.LBB158_1165:
	s_sext_i32_i16 s0, s58
	s_cmp_lt_i32 s0, 5
	s_cbranch_scc1 .LBB158_1170
; %bb.1166:
	s_cmp_lt_i32 s0, 8
	s_cbranch_scc1 .LBB158_1171
; %bb.1167:
	;; [unrolled: 3-line block ×3, first 2 shown]
	s_cmp_gt_i32 s0, 9
	s_cbranch_scc0 .LBB158_1173
; %bb.1169:
	global_load_dwordx4 v[3:6], v[0:1], off
	s_mov_b64 s[24:25], 0
	s_waitcnt vmcnt(0)
	v_cmp_neq_f64_e32 vcc, 0, v[3:4]
	v_cmp_neq_f64_e64 s[0:1], 0, v[5:6]
	s_or_b64 s[0:1], vcc, s[0:1]
	s_branch .LBB158_1174
.LBB158_1170:
                                        ; implicit-def: $sgpr0_sgpr1
	s_branch .LBB158_1191
.LBB158_1171:
                                        ; implicit-def: $sgpr0_sgpr1
	s_branch .LBB158_1180
.LBB158_1172:
	s_mov_b64 s[24:25], -1
                                        ; implicit-def: $sgpr0_sgpr1
	s_branch .LBB158_1177
.LBB158_1173:
	s_mov_b64 s[24:25], -1
                                        ; implicit-def: $sgpr0_sgpr1
.LBB158_1174:
	s_andn2_b64 vcc, exec, s[24:25]
	s_cbranch_vccnz .LBB158_1176
; %bb.1175:
	global_load_dwordx2 v[3:4], v[0:1], off
	s_andn2_b64 s[0:1], s[0:1], exec
	s_waitcnt vmcnt(0)
	v_or_b32_e32 v3, v3, v4
	v_and_b32_e32 v3, 0x7fffffff, v3
	v_cmp_ne_u32_e32 vcc, 0, v3
	s_and_b64 s[24:25], vcc, exec
	s_or_b64 s[0:1], s[0:1], s[24:25]
.LBB158_1176:
	s_mov_b64 s[24:25], 0
.LBB158_1177:
	s_andn2_b64 vcc, exec, s[24:25]
	s_cbranch_vccnz .LBB158_1179
; %bb.1178:
	global_load_dword v3, v[0:1], off
	s_andn2_b64 s[0:1], s[0:1], exec
	s_waitcnt vmcnt(0)
	v_and_b32_e32 v3, 0x7fff7fff, v3
	v_cmp_ne_u32_e32 vcc, 0, v3
	s_and_b64 s[24:25], vcc, exec
	s_or_b64 s[0:1], s[0:1], s[24:25]
.LBB158_1179:
	s_cbranch_execnz .LBB158_1190
.LBB158_1180:
	s_sext_i32_i16 s0, s58
	s_cmp_lt_i32 s0, 6
	s_cbranch_scc1 .LBB158_1183
; %bb.1181:
	s_cmp_gt_i32 s0, 6
	s_cbranch_scc0 .LBB158_1184
; %bb.1182:
	global_load_dwordx2 v[3:4], v[0:1], off
	s_mov_b64 s[24:25], 0
	s_waitcnt vmcnt(0)
	v_cmp_neq_f64_e64 s[0:1], 0, v[3:4]
	s_branch .LBB158_1185
.LBB158_1183:
	s_mov_b64 s[24:25], -1
                                        ; implicit-def: $sgpr0_sgpr1
	s_branch .LBB158_1188
.LBB158_1184:
	s_mov_b64 s[24:25], -1
                                        ; implicit-def: $sgpr0_sgpr1
.LBB158_1185:
	s_andn2_b64 vcc, exec, s[24:25]
	s_cbranch_vccnz .LBB158_1187
; %bb.1186:
	global_load_dword v3, v[0:1], off
	s_andn2_b64 s[0:1], s[0:1], exec
	s_waitcnt vmcnt(0)
	v_cmp_neq_f32_e32 vcc, 0, v3
	s_and_b64 s[24:25], vcc, exec
	s_or_b64 s[0:1], s[0:1], s[24:25]
.LBB158_1187:
	s_mov_b64 s[24:25], 0
.LBB158_1188:
	s_andn2_b64 vcc, exec, s[24:25]
	s_cbranch_vccnz .LBB158_1190
; %bb.1189:
	global_load_ushort v3, v[0:1], off
	s_andn2_b64 s[0:1], s[0:1], exec
	s_waitcnt vmcnt(0)
	v_and_b32_e32 v3, 0x7fff, v3
	v_cmp_ne_u16_e32 vcc, 0, v3
	s_and_b64 s[24:25], vcc, exec
	s_or_b64 s[0:1], s[0:1], s[24:25]
.LBB158_1190:
	s_cbranch_execnz .LBB158_1209
.LBB158_1191:
	s_sext_i32_i16 s0, s58
	s_cmp_lt_i32 s0, 2
	s_cbranch_scc1 .LBB158_1195
; %bb.1192:
	s_cmp_lt_i32 s0, 3
	s_cbranch_scc1 .LBB158_1196
; %bb.1193:
	s_cmp_gt_i32 s0, 3
	s_cbranch_scc0 .LBB158_1197
; %bb.1194:
	global_load_dwordx2 v[3:4], v[0:1], off
	s_mov_b64 s[24:25], 0
	s_waitcnt vmcnt(0)
	v_cmp_ne_u64_e64 s[0:1], 0, v[3:4]
	s_branch .LBB158_1198
.LBB158_1195:
                                        ; implicit-def: $sgpr0_sgpr1
	s_branch .LBB158_1204
.LBB158_1196:
	s_mov_b64 s[24:25], -1
                                        ; implicit-def: $sgpr0_sgpr1
	s_branch .LBB158_1201
.LBB158_1197:
	s_mov_b64 s[24:25], -1
                                        ; implicit-def: $sgpr0_sgpr1
.LBB158_1198:
	s_andn2_b64 vcc, exec, s[24:25]
	s_cbranch_vccnz .LBB158_1200
; %bb.1199:
	global_load_dword v3, v[0:1], off
	s_andn2_b64 s[0:1], s[0:1], exec
	s_waitcnt vmcnt(0)
	v_cmp_ne_u32_e32 vcc, 0, v3
	s_and_b64 s[24:25], vcc, exec
	s_or_b64 s[0:1], s[0:1], s[24:25]
.LBB158_1200:
	s_mov_b64 s[24:25], 0
.LBB158_1201:
	s_andn2_b64 vcc, exec, s[24:25]
	s_cbranch_vccnz .LBB158_1203
; %bb.1202:
	global_load_ushort v3, v[0:1], off
	s_andn2_b64 s[0:1], s[0:1], exec
	s_waitcnt vmcnt(0)
	v_cmp_ne_u16_e32 vcc, 0, v3
	s_and_b64 s[24:25], vcc, exec
	s_or_b64 s[0:1], s[0:1], s[24:25]
.LBB158_1203:
	s_cbranch_execnz .LBB158_1209
.LBB158_1204:
	s_sext_i32_i16 s0, s58
	s_cmp_gt_i32 s0, 0
	s_cbranch_scc0 .LBB158_1206
; %bb.1205:
	global_load_ubyte v3, v[0:1], off
	s_mov_b64 s[24:25], 0
	s_waitcnt vmcnt(0)
	v_cmp_ne_u16_e64 s[0:1], 0, v3
	s_branch .LBB158_1207
.LBB158_1206:
	s_mov_b64 s[24:25], -1
                                        ; implicit-def: $sgpr0_sgpr1
.LBB158_1207:
	s_andn2_b64 vcc, exec, s[24:25]
	s_cbranch_vccnz .LBB158_1209
; %bb.1208:
	global_load_ubyte v0, v[0:1], off
	s_andn2_b64 s[0:1], s[0:1], exec
	s_waitcnt vmcnt(0)
	v_cmp_ne_u16_e32 vcc, 0, v0
	s_and_b64 s[24:25], vcc, exec
	s_or_b64 s[0:1], s[0:1], s[24:25]
.LBB158_1209:
	s_andn2_b64 s[24:25], s[34:35], exec
	s_and_b64 s[0:1], s[0:1], exec
	s_or_b64 s[34:35], s[24:25], s[0:1]
	s_or_b64 s[28:29], s[28:29], exec
.LBB158_1210:
	s_or_b64 exec, exec, s[20:21]
	s_mov_b64 s[36:37], 0
	s_mov_b64 s[30:31], 0
	s_mov_b64 s[26:27], 0
                                        ; implicit-def: $sgpr20_sgpr21
                                        ; implicit-def: $sgpr38
                                        ; implicit-def: $vgpr0_vgpr1
	s_and_saveexec_b64 s[0:1], s[28:29]
	s_cbranch_execz .LBB158_1218
; %bb.1211:
	v_mul_lo_u32 v0, v2, s14
	v_mov_b32_e32 v1, s3
	s_and_b32 s38, s56, 0xff
	s_cmp_lt_i32 s38, 11
	v_ashrrev_i32_e32 v3, 31, v0
	v_add_co_u32_e32 v0, vcc, s2, v0
	v_addc_co_u32_e32 v1, vcc, v1, v3, vcc
	s_cbranch_scc1 .LBB158_1221
; %bb.1212:
	s_and_b32 s36, 0xffff, s38
	s_cmp_gt_i32 s36, 25
	s_mov_b64 s[28:29], 0
	s_cbranch_scc0 .LBB158_1222
; %bb.1213:
	s_cmp_gt_i32 s36, 28
	s_cbranch_scc0 .LBB158_1223
; %bb.1214:
	s_cmp_gt_i32 s36, 43
	;; [unrolled: 3-line block ×3, first 2 shown]
	s_cbranch_scc0 .LBB158_1225
; %bb.1216:
	s_cmp_eq_u32 s36, 46
	s_cbranch_scc0 .LBB158_1226
; %bb.1217:
	global_load_dword v3, v[0:1], off
	s_mov_b64 s[24:25], 0
	s_mov_b64 s[26:27], -1
	s_waitcnt vmcnt(0)
	v_and_b32_e32 v3, 0x7fff7fff, v3
	v_cmp_ne_u32_e64 s[20:21], 0, v3
	s_branch .LBB158_1228
.LBB158_1218:
	s_or_b64 exec, exec, s[0:1]
	s_and_saveexec_b64 s[0:1], s[18:19]
	s_cbranch_execnz .LBB158_1273
.LBB158_1219:
	s_or_b64 exec, exec, s[0:1]
	s_and_saveexec_b64 s[0:1], s[36:37]
	s_xor_b64 s[0:1], exec, s[0:1]
	s_cbranch_execz .LBB158_1274
.LBB158_1220:
	global_load_ubyte v3, v[0:1], off
	s_andn2_b64 s[18:19], s[20:21], exec
	s_or_b64 s[26:27], s[26:27], exec
	s_waitcnt vmcnt(0)
	v_cmp_ne_u16_e32 vcc, 0, v3
	s_and_b64 s[20:21], vcc, exec
	s_or_b64 s[20:21], s[18:19], s[20:21]
	s_or_b64 exec, exec, s[0:1]
	s_and_saveexec_b64 s[18:19], s[30:31]
	s_cbranch_execz .LBB158_1320
	s_branch .LBB158_1275
.LBB158_1221:
	s_mov_b64 s[30:31], -1
                                        ; implicit-def: $sgpr20_sgpr21
	s_mov_b64 s[28:29], 0
	s_mov_b64 s[24:25], s[18:19]
	s_branch .LBB158_1272
.LBB158_1222:
	s_mov_b64 s[24:25], s[18:19]
                                        ; implicit-def: $sgpr20_sgpr21
	s_cbranch_execnz .LBB158_1249
	s_branch .LBB158_1271
.LBB158_1223:
	s_mov_b64 s[30:31], -1
	s_mov_b64 s[24:25], s[18:19]
                                        ; implicit-def: $sgpr20_sgpr21
	s_branch .LBB158_1236
.LBB158_1224:
	s_mov_b64 s[30:31], -1
	s_mov_b64 s[24:25], s[18:19]
                                        ; implicit-def: $sgpr20_sgpr21
	s_branch .LBB158_1231
.LBB158_1225:
	s_mov_b64 s[30:31], -1
	s_mov_b64 s[24:25], s[18:19]
	s_branch .LBB158_1227
.LBB158_1226:
	s_mov_b64 s[24:25], -1
.LBB158_1227:
                                        ; implicit-def: $sgpr20_sgpr21
.LBB158_1228:
	s_and_b64 vcc, exec, s[30:31]
	s_cbranch_vccz .LBB158_1230
; %bb.1229:
	s_cmp_lg_u32 s36, 44
	s_cselect_b64 s[30:31], -1, 0
	s_andn2_b64 s[24:25], s[24:25], exec
	s_and_b64 s[30:31], s[30:31], exec
	s_mov_b64 s[26:27], -1
	s_or_b64 s[20:21], s[20:21], exec
	s_or_b64 s[24:25], s[24:25], s[30:31]
.LBB158_1230:
	s_mov_b64 s[30:31], 0
.LBB158_1231:
	s_and_b64 vcc, exec, s[30:31]
	s_cbranch_vccz .LBB158_1235
; %bb.1232:
	s_cmp_eq_u32 s36, 29
	s_cbranch_scc0 .LBB158_1234
; %bb.1233:
	global_load_dwordx2 v[3:4], v[0:1], off
	s_mov_b64 s[24:25], 0
	s_mov_b64 s[26:27], -1
	s_mov_b64 s[30:31], 0
	s_waitcnt vmcnt(0)
	v_cmp_ne_u64_e64 s[20:21], 0, v[3:4]
	s_branch .LBB158_1236
.LBB158_1234:
	s_mov_b64 s[24:25], -1
                                        ; implicit-def: $sgpr20_sgpr21
.LBB158_1235:
	s_mov_b64 s[30:31], 0
.LBB158_1236:
	s_and_b64 vcc, exec, s[30:31]
	s_cbranch_vccz .LBB158_1248
; %bb.1237:
	s_cmp_lt_i32 s36, 27
	s_cbranch_scc1 .LBB158_1240
; %bb.1238:
	s_cmp_gt_i32 s36, 27
	s_cbranch_scc0 .LBB158_1241
; %bb.1239:
	global_load_dword v3, v[0:1], off
	s_mov_b64 s[26:27], 0
	s_waitcnt vmcnt(0)
	v_cmp_ne_u32_e64 s[20:21], 0, v3
	s_branch .LBB158_1242
.LBB158_1240:
	s_mov_b64 s[26:27], -1
                                        ; implicit-def: $sgpr20_sgpr21
	s_branch .LBB158_1245
.LBB158_1241:
	s_mov_b64 s[26:27], -1
                                        ; implicit-def: $sgpr20_sgpr21
.LBB158_1242:
	s_andn2_b64 vcc, exec, s[26:27]
	s_cbranch_vccnz .LBB158_1244
; %bb.1243:
	global_load_ushort v3, v[0:1], off
	s_andn2_b64 s[20:21], s[20:21], exec
	s_waitcnt vmcnt(0)
	v_cmp_ne_u16_e32 vcc, 0, v3
	s_and_b64 s[26:27], vcc, exec
	s_or_b64 s[20:21], s[20:21], s[26:27]
.LBB158_1244:
	s_mov_b64 s[26:27], 0
.LBB158_1245:
	s_andn2_b64 vcc, exec, s[26:27]
	s_cbranch_vccnz .LBB158_1247
; %bb.1246:
	global_load_ubyte v3, v[0:1], off
	s_andn2_b64 s[20:21], s[20:21], exec
	s_waitcnt vmcnt(0)
	v_cmp_ne_u16_e32 vcc, 0, v3
	s_and_b64 s[26:27], vcc, exec
	s_or_b64 s[20:21], s[20:21], s[26:27]
.LBB158_1247:
	s_mov_b64 s[26:27], -1
.LBB158_1248:
	s_branch .LBB158_1271
.LBB158_1249:
	s_cmp_gt_i32 s36, 22
	s_cbranch_scc0 .LBB158_1253
; %bb.1250:
	s_cmp_lt_i32 s36, 24
	s_cbranch_scc1 .LBB158_1254
; %bb.1251:
	s_cmp_gt_i32 s36, 24
	s_cbranch_scc0 .LBB158_1255
; %bb.1252:
	global_load_ubyte v3, v[0:1], off
	s_mov_b64 s[26:27], 0
	s_waitcnt vmcnt(0)
	v_cmp_ne_u16_e64 s[20:21], 0, v3
	s_branch .LBB158_1256
.LBB158_1253:
	s_mov_b64 s[28:29], -1
                                        ; implicit-def: $sgpr20_sgpr21
	s_branch .LBB158_1262
.LBB158_1254:
	s_mov_b64 s[26:27], -1
                                        ; implicit-def: $sgpr20_sgpr21
	s_branch .LBB158_1259
.LBB158_1255:
	s_mov_b64 s[26:27], -1
                                        ; implicit-def: $sgpr20_sgpr21
.LBB158_1256:
	s_andn2_b64 vcc, exec, s[26:27]
	s_cbranch_vccnz .LBB158_1258
; %bb.1257:
	global_load_ubyte v3, v[0:1], off
	s_andn2_b64 s[20:21], s[20:21], exec
	s_waitcnt vmcnt(0)
	v_and_b32_e32 v3, 0x7f, v3
	v_cmp_ne_u16_e32 vcc, 0, v3
	s_and_b64 s[26:27], vcc, exec
	s_or_b64 s[20:21], s[20:21], s[26:27]
.LBB158_1258:
	s_mov_b64 s[26:27], 0
.LBB158_1259:
	s_andn2_b64 vcc, exec, s[26:27]
	s_cbranch_vccnz .LBB158_1261
; %bb.1260:
	global_load_ubyte v3, v[0:1], off
	s_movk_i32 s26, 0x7f00
	s_brev_b32 s27, 16
	s_andn2_b64 s[20:21], s[20:21], exec
	s_waitcnt vmcnt(0)
	v_lshlrev_b32_e32 v4, 8, v3
	v_lshlrev_b32_e32 v3, 25, v3
	v_lshrrev_b32_e32 v5, 4, v3
	v_and_or_b32 v4, v4, s26, 0.5
	v_or_b32_e32 v5, 0x70000000, v5
	v_add_f32_e32 v4, -0.5, v4
	v_mul_f32_e32 v5, 0x7800000, v5
	v_cmp_gt_u32_e32 vcc, s27, v3
	v_cndmask_b32_e32 v3, v5, v4, vcc
	v_cmp_neq_f32_e32 vcc, 0, v3
	s_and_b64 s[26:27], vcc, exec
	s_or_b64 s[20:21], s[20:21], s[26:27]
.LBB158_1261:
	s_mov_b64 s[26:27], -1
.LBB158_1262:
	s_andn2_b64 vcc, exec, s[28:29]
	s_mov_b64 s[28:29], 0
	s_cbranch_vccnz .LBB158_1271
; %bb.1263:
	s_cmp_gt_i32 s36, 14
	s_cbranch_scc0 .LBB158_1266
; %bb.1264:
	s_cmp_eq_u32 s36, 15
	s_cbranch_scc0 .LBB158_1267
; %bb.1265:
	global_load_ushort v3, v[0:1], off
	s_mov_b64 s[24:25], 0
	s_mov_b64 s[26:27], -1
	s_waitcnt vmcnt(0)
	v_and_b32_e32 v3, 0x7fff, v3
	v_cmp_ne_u16_e64 s[20:21], 0, v3
	s_branch .LBB158_1268
.LBB158_1266:
	s_mov_b64 s[30:31], -1
                                        ; implicit-def: $sgpr20_sgpr21
	s_branch .LBB158_1269
.LBB158_1267:
	s_mov_b64 s[24:25], -1
                                        ; implicit-def: $sgpr20_sgpr21
.LBB158_1268:
	s_mov_b64 s[30:31], 0
.LBB158_1269:
	s_and_b64 vcc, exec, s[30:31]
	s_cbranch_vccz .LBB158_1271
; %bb.1270:
	s_cmp_lg_u32 s36, 11
	s_cselect_b64 s[30:31], -1, 0
	s_andn2_b64 s[24:25], s[24:25], exec
	s_and_b64 s[30:31], s[30:31], exec
	s_mov_b64 s[28:29], -1
	s_or_b64 s[24:25], s[24:25], s[30:31]
.LBB158_1271:
	s_mov_b64 s[30:31], 0
.LBB158_1272:
	s_andn2_b64 s[18:19], s[18:19], exec
	s_and_b64 s[24:25], s[24:25], exec
	s_and_b64 s[26:27], s[26:27], exec
	;; [unrolled: 1-line block ×4, first 2 shown]
	s_or_b64 s[18:19], s[18:19], s[24:25]
	s_or_b64 exec, exec, s[0:1]
	s_and_saveexec_b64 s[0:1], s[18:19]
	s_cbranch_execz .LBB158_1219
.LBB158_1273:
	s_or_b64 s[22:23], s[22:23], exec
	s_andn2_b64 s[26:27], s[26:27], exec
	s_andn2_b64 s[36:37], s[36:37], exec
	s_trap 2
	s_or_b64 exec, exec, s[0:1]
	s_and_saveexec_b64 s[0:1], s[36:37]
	s_xor_b64 s[0:1], exec, s[0:1]
	s_cbranch_execnz .LBB158_1220
.LBB158_1274:
	s_or_b64 exec, exec, s[0:1]
	s_and_saveexec_b64 s[18:19], s[30:31]
	s_cbranch_execz .LBB158_1320
.LBB158_1275:
	s_sext_i32_i16 s0, s38
	s_cmp_lt_i32 s0, 5
	s_cbranch_scc1 .LBB158_1280
; %bb.1276:
	s_cmp_lt_i32 s0, 8
	s_cbranch_scc1 .LBB158_1281
; %bb.1277:
	;; [unrolled: 3-line block ×3, first 2 shown]
	s_cmp_gt_i32 s0, 9
	s_cbranch_scc0 .LBB158_1283
; %bb.1279:
	global_load_dwordx4 v[3:6], v[0:1], off
	s_mov_b64 s[24:25], 0
	s_waitcnt vmcnt(0)
	v_cmp_neq_f64_e32 vcc, 0, v[3:4]
	v_cmp_neq_f64_e64 s[0:1], 0, v[5:6]
	s_or_b64 s[0:1], vcc, s[0:1]
	s_branch .LBB158_1284
.LBB158_1280:
                                        ; implicit-def: $sgpr0_sgpr1
	s_branch .LBB158_1301
.LBB158_1281:
                                        ; implicit-def: $sgpr0_sgpr1
	s_branch .LBB158_1290
.LBB158_1282:
	s_mov_b64 s[24:25], -1
                                        ; implicit-def: $sgpr0_sgpr1
	s_branch .LBB158_1287
.LBB158_1283:
	s_mov_b64 s[24:25], -1
                                        ; implicit-def: $sgpr0_sgpr1
.LBB158_1284:
	s_andn2_b64 vcc, exec, s[24:25]
	s_cbranch_vccnz .LBB158_1286
; %bb.1285:
	global_load_dwordx2 v[3:4], v[0:1], off
	s_andn2_b64 s[0:1], s[0:1], exec
	s_waitcnt vmcnt(0)
	v_or_b32_e32 v3, v3, v4
	v_and_b32_e32 v3, 0x7fffffff, v3
	v_cmp_ne_u32_e32 vcc, 0, v3
	s_and_b64 s[24:25], vcc, exec
	s_or_b64 s[0:1], s[0:1], s[24:25]
.LBB158_1286:
	s_mov_b64 s[24:25], 0
.LBB158_1287:
	s_andn2_b64 vcc, exec, s[24:25]
	s_cbranch_vccnz .LBB158_1289
; %bb.1288:
	global_load_dword v3, v[0:1], off
	s_andn2_b64 s[0:1], s[0:1], exec
	s_waitcnt vmcnt(0)
	v_and_b32_e32 v3, 0x7fff7fff, v3
	v_cmp_ne_u32_e32 vcc, 0, v3
	s_and_b64 s[24:25], vcc, exec
	s_or_b64 s[0:1], s[0:1], s[24:25]
.LBB158_1289:
	s_cbranch_execnz .LBB158_1300
.LBB158_1290:
	s_sext_i32_i16 s0, s38
	s_cmp_lt_i32 s0, 6
	s_cbranch_scc1 .LBB158_1293
; %bb.1291:
	s_cmp_gt_i32 s0, 6
	s_cbranch_scc0 .LBB158_1294
; %bb.1292:
	global_load_dwordx2 v[3:4], v[0:1], off
	s_mov_b64 s[24:25], 0
	s_waitcnt vmcnt(0)
	v_cmp_neq_f64_e64 s[0:1], 0, v[3:4]
	s_branch .LBB158_1295
.LBB158_1293:
	s_mov_b64 s[24:25], -1
                                        ; implicit-def: $sgpr0_sgpr1
	s_branch .LBB158_1298
.LBB158_1294:
	s_mov_b64 s[24:25], -1
                                        ; implicit-def: $sgpr0_sgpr1
.LBB158_1295:
	s_andn2_b64 vcc, exec, s[24:25]
	s_cbranch_vccnz .LBB158_1297
; %bb.1296:
	global_load_dword v3, v[0:1], off
	s_andn2_b64 s[0:1], s[0:1], exec
	s_waitcnt vmcnt(0)
	v_cmp_neq_f32_e32 vcc, 0, v3
	s_and_b64 s[24:25], vcc, exec
	s_or_b64 s[0:1], s[0:1], s[24:25]
.LBB158_1297:
	s_mov_b64 s[24:25], 0
.LBB158_1298:
	s_andn2_b64 vcc, exec, s[24:25]
	s_cbranch_vccnz .LBB158_1300
; %bb.1299:
	global_load_ushort v3, v[0:1], off
	s_andn2_b64 s[0:1], s[0:1], exec
	s_waitcnt vmcnt(0)
	v_and_b32_e32 v3, 0x7fff, v3
	v_cmp_ne_u16_e32 vcc, 0, v3
	s_and_b64 s[24:25], vcc, exec
	s_or_b64 s[0:1], s[0:1], s[24:25]
.LBB158_1300:
	s_cbranch_execnz .LBB158_1319
.LBB158_1301:
	s_sext_i32_i16 s0, s38
	s_cmp_lt_i32 s0, 2
	s_cbranch_scc1 .LBB158_1305
; %bb.1302:
	s_cmp_lt_i32 s0, 3
	s_cbranch_scc1 .LBB158_1306
; %bb.1303:
	s_cmp_gt_i32 s0, 3
	s_cbranch_scc0 .LBB158_1307
; %bb.1304:
	global_load_dwordx2 v[3:4], v[0:1], off
	s_mov_b64 s[24:25], 0
	s_waitcnt vmcnt(0)
	v_cmp_ne_u64_e64 s[0:1], 0, v[3:4]
	s_branch .LBB158_1308
.LBB158_1305:
                                        ; implicit-def: $sgpr0_sgpr1
	s_branch .LBB158_1314
.LBB158_1306:
	s_mov_b64 s[24:25], -1
                                        ; implicit-def: $sgpr0_sgpr1
	s_branch .LBB158_1311
.LBB158_1307:
	s_mov_b64 s[24:25], -1
                                        ; implicit-def: $sgpr0_sgpr1
.LBB158_1308:
	s_andn2_b64 vcc, exec, s[24:25]
	s_cbranch_vccnz .LBB158_1310
; %bb.1309:
	global_load_dword v3, v[0:1], off
	s_andn2_b64 s[0:1], s[0:1], exec
	s_waitcnt vmcnt(0)
	v_cmp_ne_u32_e32 vcc, 0, v3
	s_and_b64 s[24:25], vcc, exec
	s_or_b64 s[0:1], s[0:1], s[24:25]
.LBB158_1310:
	s_mov_b64 s[24:25], 0
.LBB158_1311:
	s_andn2_b64 vcc, exec, s[24:25]
	s_cbranch_vccnz .LBB158_1313
; %bb.1312:
	global_load_ushort v3, v[0:1], off
	s_andn2_b64 s[0:1], s[0:1], exec
	s_waitcnt vmcnt(0)
	v_cmp_ne_u16_e32 vcc, 0, v3
	s_and_b64 s[24:25], vcc, exec
	s_or_b64 s[0:1], s[0:1], s[24:25]
.LBB158_1313:
	s_cbranch_execnz .LBB158_1319
.LBB158_1314:
	s_sext_i32_i16 s0, s38
	s_cmp_gt_i32 s0, 0
	s_cbranch_scc0 .LBB158_1316
; %bb.1315:
	global_load_ubyte v3, v[0:1], off
	s_mov_b64 s[24:25], 0
	s_waitcnt vmcnt(0)
	v_cmp_ne_u16_e64 s[0:1], 0, v3
	s_branch .LBB158_1317
.LBB158_1316:
	s_mov_b64 s[24:25], -1
                                        ; implicit-def: $sgpr0_sgpr1
.LBB158_1317:
	s_andn2_b64 vcc, exec, s[24:25]
	s_cbranch_vccnz .LBB158_1319
; %bb.1318:
	global_load_ubyte v0, v[0:1], off
	s_andn2_b64 s[0:1], s[0:1], exec
	s_waitcnt vmcnt(0)
	v_cmp_ne_u16_e32 vcc, 0, v0
	s_and_b64 s[24:25], vcc, exec
	s_or_b64 s[0:1], s[0:1], s[24:25]
.LBB158_1319:
	s_andn2_b64 s[20:21], s[20:21], exec
	s_and_b64 s[0:1], s[0:1], exec
	s_or_b64 s[20:21], s[20:21], s[0:1]
	s_or_b64 s[26:27], s[26:27], exec
.LBB158_1320:
	s_or_b64 exec, exec, s[18:19]
	s_mov_b64 s[30:31], 0
	s_mov_b64 s[28:29], 0
                                        ; implicit-def: $sgpr18_sgpr19
                                        ; implicit-def: $sgpr36
                                        ; implicit-def: $vgpr0_vgpr1
	s_and_saveexec_b64 s[24:25], s[26:27]
	s_cbranch_execz .LBB158_1325
; %bb.1321:
	s_cmp_lt_i32 s15, 1
	s_mov_b64 s[0:1], 0
	s_cbranch_scc1 .LBB158_1328
; %bb.1322:
	s_cmp_gt_i32 s15, 1
	s_cbranch_scc0 .LBB158_1329
; %bb.1323:
	s_cmp_eq_u32 s15, 2
	s_cbranch_scc0 .LBB158_1330
; %bb.1324:
	s_xor_b64 s[18:19], s[34:35], -1
	s_or_b64 s[18:19], s[20:21], s[18:19]
	s_mov_b64 s[26:27], 0
	s_branch .LBB158_1332
.LBB158_1325:
	s_or_b64 exec, exec, s[24:25]
	s_and_saveexec_b64 s[0:1], s[16:17]
	s_cbranch_execnz .LBB158_1417
.LBB158_1326:
	s_or_b64 exec, exec, s[0:1]
	s_and_saveexec_b64 s[0:1], s[30:31]
	s_xor_b64 s[0:1], exec, s[0:1]
	s_cbranch_execz .LBB158_1418
.LBB158_1327:
	v_cndmask_b32_e64 v2, 0, 1, s[18:19]
	global_store_byte v[0:1], v2, off
	s_or_b64 exec, exec, s[0:1]
	s_and_saveexec_b64 s[0:1], s[28:29]
	s_xor_b64 s[0:1], exec, s[0:1]
	s_cbranch_execz .LBB158_1456
	s_branch .LBB158_1419
.LBB158_1328:
                                        ; implicit-def: $sgpr18_sgpr19
	s_mov_b64 s[26:27], 0
	s_cbranch_execnz .LBB158_1335
	s_branch .LBB158_1336
.LBB158_1329:
	s_mov_b64 s[28:29], -1
	s_mov_b64 s[26:27], 0
	s_branch .LBB158_1331
.LBB158_1330:
	s_mov_b64 s[26:27], -1
.LBB158_1331:
                                        ; implicit-def: $sgpr18_sgpr19
.LBB158_1332:
	s_and_b64 vcc, exec, s[28:29]
	s_cbranch_vccz .LBB158_1334
; %bb.1333:
	s_xor_b64 s[28:29], s[20:21], -1
	s_and_b64 s[28:29], s[34:35], s[28:29]
	s_andn2_b64 s[18:19], s[18:19], exec
	s_and_b64 s[28:29], s[28:29], exec
	s_or_b64 s[18:19], s[18:19], s[28:29]
.LBB158_1334:
	s_branch .LBB158_1336
.LBB158_1335:
	s_cmp_lg_u32 s15, 0
	s_mov_b64 s[0:1], -1
	s_cselect_b64 s[26:27], -1, 0
.LBB158_1336:
	s_andn2_b64 vcc, exec, s[26:27]
	s_cbranch_vccnz .LBB158_1338
; %bb.1337:
	s_xor_b64 s[0:1], s[34:35], -1
	s_and_b64 s[26:27], s[20:21], s[0:1]
	s_andn2_b64 s[18:19], s[18:19], exec
	s_and_b64 s[26:27], s[26:27], exec
	s_or_b64 s[18:19], s[18:19], s[26:27]
	s_cbranch_execz .LBB158_1339
	s_branch .LBB158_1340
.LBB158_1338:
	s_andn2_b64 vcc, exec, s[0:1]
	s_cbranch_vccnz .LBB158_1340
.LBB158_1339:
	s_xor_b64 s[0:1], s[20:21], -1
	s_or_b64 s[0:1], s[34:35], s[0:1]
	s_andn2_b64 s[18:19], s[18:19], exec
	s_and_b64 s[0:1], s[0:1], exec
	s_or_b64 s[18:19], s[18:19], s[0:1]
.LBB158_1340:
	v_mul_lo_u32 v0, v2, s12
	v_mov_b32_e32 v1, s9
	s_and_b32 s36, s33, 0xff
	s_cmp_lt_i32 s36, 11
	v_ashrrev_i32_e32 v2, 31, v0
	v_add_co_u32_e32 v0, vcc, s8, v0
	v_addc_co_u32_e32 v1, vcc, v1, v2, vcc
	s_cbranch_scc1 .LBB158_1414
; %bb.1341:
	s_and_b32 s34, 0xffff, s36
	s_mov_b64 s[26:27], -1
	s_cmp_gt_i32 s34, 25
	s_mov_b64 s[0:1], s[16:17]
	s_cbranch_scc0 .LBB158_1374
; %bb.1342:
	s_mov_b64 s[20:21], -1
	s_cmp_gt_i32 s34, 28
	s_mov_b64 s[0:1], s[16:17]
	s_cbranch_scc0 .LBB158_1358
; %bb.1343:
	s_cmp_gt_i32 s34, 43
	s_mov_b64 s[0:1], s[16:17]
	s_cbranch_scc0 .LBB158_1354
; %bb.1344:
	;; [unrolled: 4-line block ×3, first 2 shown]
	s_cmp_eq_u32 s34, 46
	s_mov_b64 s[0:1], -1
	s_cbranch_scc0 .LBB158_1347
; %bb.1346:
	v_cndmask_b32_e64 v2, 0, 1.0, s[18:19]
	v_bfe_u32 v3, v2, 16, 1
	s_movk_i32 s0, 0x7fff
	v_add3_u32 v2, v2, v3, s0
	v_lshrrev_b32_e32 v2, 16, v2
	global_store_dword v[0:1], v2, off
	s_mov_b64 s[0:1], 0
.LBB158_1347:
	s_mov_b64 s[20:21], 0
.LBB158_1348:
	s_and_b64 vcc, exec, s[20:21]
	s_cbranch_vccz .LBB158_1353
; %bb.1349:
	s_cmp_eq_u32 s34, 44
	s_mov_b64 s[0:1], -1
	s_cbranch_scc0 .LBB158_1353
; %bb.1350:
	v_cndmask_b32_e64 v3, 0, 1.0, s[18:19]
	v_lshrrev_b32_e32 v2, 23, v3
	s_movk_i32 s0, 0xff
	v_cmp_ne_u32_e32 vcc, s0, v2
	v_mov_b32_e32 v4, 0xff
	s_and_saveexec_b64 s[20:21], vcc
; %bb.1351:
	s_mov_b32 s0, 0x3fffff
	v_and_b32_e32 v4, 0x400000, v3
	v_and_or_b32 v3, v3, s0, v2
	v_cmp_ne_u32_e32 vcc, 0, v4
	v_cmp_ne_u32_e64 s[0:1], 0, v3
	s_and_b64 s[0:1], vcc, s[0:1]
	v_cndmask_b32_e64 v3, 0, 1, s[0:1]
	v_add_u32_e32 v4, v2, v3
; %bb.1352:
	s_or_b64 exec, exec, s[20:21]
	s_mov_b64 s[0:1], 0
	global_store_byte v[0:1], v4, off
.LBB158_1353:
	s_mov_b64 s[20:21], 0
.LBB158_1354:
	s_and_b64 vcc, exec, s[20:21]
	s_cbranch_vccz .LBB158_1357
; %bb.1355:
	s_cmp_eq_u32 s34, 29
	s_mov_b64 s[0:1], -1
	s_cbranch_scc0 .LBB158_1357
; %bb.1356:
	s_mov_b32 s0, 0
	v_cndmask_b32_e64 v2, 0, 1, s[18:19]
	v_mov_b32_e32 v3, s0
	global_store_dwordx2 v[0:1], v[2:3], off
	s_mov_b64 s[0:1], 0
.LBB158_1357:
	s_mov_b64 s[20:21], 0
.LBB158_1358:
	s_and_b64 vcc, exec, s[20:21]
	s_cbranch_vccz .LBB158_1373
; %bb.1359:
	s_cmp_lt_i32 s34, 27
	s_mov_b64 s[20:21], -1
	s_cbranch_scc1 .LBB158_1365
; %bb.1360:
	s_cmp_gt_i32 s34, 27
	v_cndmask_b32_e64 v2, 0, 1, s[18:19]
	s_cbranch_scc0 .LBB158_1362
; %bb.1361:
	s_mov_b64 s[20:21], 0
	global_store_dword v[0:1], v2, off
.LBB158_1362:
	s_andn2_b64 vcc, exec, s[20:21]
	s_cbranch_vccnz .LBB158_1364
; %bb.1363:
	global_store_short v[0:1], v2, off
.LBB158_1364:
	s_mov_b64 s[20:21], 0
.LBB158_1365:
	s_andn2_b64 vcc, exec, s[20:21]
	s_cbranch_vccnz .LBB158_1373
; %bb.1366:
	v_cndmask_b32_e64 v3, 0, 1.0, s[18:19]
	s_mov_b32 s20, 0x43800000
	v_cmp_gt_u32_e32 vcc, s20, v3
	v_mov_b32_e32 v4, 0x80
	s_and_saveexec_b64 s[20:21], vcc
	s_cbranch_execz .LBB158_1372
; %bb.1367:
	s_mov_b32 s26, 0x3bffffff
	v_cmp_lt_u32_e32 vcc, s26, v3
	s_mov_b64 s[26:27], 0
                                        ; implicit-def: $vgpr2
	s_and_saveexec_b64 s[28:29], vcc
	s_xor_b64 s[28:29], exec, s[28:29]
	s_cbranch_execz .LBB158_1471
; %bb.1368:
	v_bfe_u32 v2, v3, 20, 1
	s_mov_b32 s30, 0x487ffff
	v_add3_u32 v2, v3, v2, s30
	s_mov_b64 s[26:27], exec
	v_lshrrev_b32_e32 v2, 20, v2
                                        ; implicit-def: $vgpr3
	s_andn2_saveexec_b64 s[28:29], s[28:29]
	s_cbranch_execnz .LBB158_1472
.LBB158_1369:
	s_or_b64 exec, exec, s[28:29]
	v_mov_b32_e32 v4, 0
	s_and_saveexec_b64 s[28:29], s[26:27]
.LBB158_1370:
	v_mov_b32_e32 v4, v2
.LBB158_1371:
	s_or_b64 exec, exec, s[28:29]
.LBB158_1372:
	s_or_b64 exec, exec, s[20:21]
	global_store_byte v[0:1], v4, off
.LBB158_1373:
	s_mov_b64 s[26:27], 0
.LBB158_1374:
	s_mov_b64 s[20:21], 0
	s_and_b64 vcc, exec, s[26:27]
	s_cbranch_vccz .LBB158_1415
; %bb.1375:
	s_cmp_gt_i32 s34, 22
	s_mov_b64 s[26:27], -1
	s_cbranch_scc0 .LBB158_1407
; %bb.1376:
	s_cmp_lt_i32 s34, 24
	s_cbranch_scc1 .LBB158_1396
; %bb.1377:
	s_cmp_gt_i32 s34, 24
	s_cbranch_scc0 .LBB158_1385
; %bb.1378:
	v_cndmask_b32_e64 v3, 0, 1.0, s[18:19]
	s_mov_b32 s26, 0x47800000
	v_cmp_gt_u32_e32 vcc, s26, v3
	v_mov_b32_e32 v4, 0x80
	s_and_saveexec_b64 s[26:27], vcc
	s_cbranch_execz .LBB158_1384
; %bb.1379:
	s_mov_b32 s28, 0x37ffffff
	v_cmp_lt_u32_e32 vcc, s28, v3
	s_mov_b64 s[28:29], 0
                                        ; implicit-def: $vgpr2
	s_and_saveexec_b64 s[30:31], vcc
	s_xor_b64 s[30:31], exec, s[30:31]
	s_cbranch_execz .LBB158_1579
; %bb.1380:
	v_bfe_u32 v2, v3, 21, 1
	s_mov_b32 s35, 0x88fffff
	v_add3_u32 v2, v3, v2, s35
	s_mov_b64 s[28:29], exec
	v_lshrrev_b32_e32 v2, 21, v2
                                        ; implicit-def: $vgpr3
	s_andn2_saveexec_b64 s[30:31], s[30:31]
	s_cbranch_execnz .LBB158_1580
.LBB158_1381:
	s_or_b64 exec, exec, s[30:31]
	v_mov_b32_e32 v4, 0
	s_and_saveexec_b64 s[30:31], s[28:29]
.LBB158_1382:
	v_mov_b32_e32 v4, v2
.LBB158_1383:
	s_or_b64 exec, exec, s[30:31]
.LBB158_1384:
	s_or_b64 exec, exec, s[26:27]
	s_mov_b64 s[26:27], 0
	global_store_byte v[0:1], v4, off
.LBB158_1385:
	s_and_b64 vcc, exec, s[26:27]
	s_cbranch_vccz .LBB158_1395
; %bb.1386:
	v_cndmask_b32_e64 v2, 0, 1.0, s[18:19]
	s_mov_b32 s26, 0x43f00000
	v_cmp_gt_u32_e32 vcc, s26, v2
                                        ; implicit-def: $vgpr3
	s_and_saveexec_b64 s[26:27], vcc
	s_xor_b64 s[26:27], exec, s[26:27]
	s_cbranch_execz .LBB158_1392
; %bb.1387:
	s_mov_b32 s28, 0x3c7fffff
	v_cmp_lt_u32_e32 vcc, s28, v2
                                        ; implicit-def: $vgpr3
	s_and_saveexec_b64 s[28:29], vcc
	s_xor_b64 s[28:29], exec, s[28:29]
; %bb.1388:
	v_bfe_u32 v3, v2, 20, 1
	s_mov_b32 s30, 0x407ffff
	v_add3_u32 v2, v2, v3, s30
	v_lshrrev_b32_e32 v3, 20, v2
	v_and_b32_e32 v2, 0xff00000, v2
	s_mov_b32 s30, 0x7f00000
	v_mov_b32_e32 v4, 0x7e
	v_cmp_ne_u32_e32 vcc, s30, v2
	v_cndmask_b32_e32 v3, v4, v3, vcc
                                        ; implicit-def: $vgpr2
; %bb.1389:
	s_andn2_saveexec_b64 s[28:29], s[28:29]
; %bb.1390:
	v_add_f32_e32 v3, 0x46800000, v2
; %bb.1391:
	s_or_b64 exec, exec, s[28:29]
                                        ; implicit-def: $vgpr2
.LBB158_1392:
	s_andn2_saveexec_b64 s[26:27], s[26:27]
; %bb.1393:
	s_mov_b32 s28, 0x7f800000
	v_mov_b32_e32 v3, 0x7e
	v_mov_b32_e32 v4, 0x7f
	v_cmp_lt_u32_e32 vcc, s28, v2
	v_cndmask_b32_e32 v3, v3, v4, vcc
; %bb.1394:
	s_or_b64 exec, exec, s[26:27]
	global_store_byte v[0:1], v3, off
.LBB158_1395:
	s_mov_b64 s[26:27], 0
.LBB158_1396:
	s_andn2_b64 vcc, exec, s[26:27]
	s_cbranch_vccnz .LBB158_1406
; %bb.1397:
	v_cndmask_b32_e64 v2, 0, 1.0, s[18:19]
	s_mov_b32 s26, 0x47800000
	v_cmp_gt_u32_e32 vcc, s26, v2
                                        ; implicit-def: $vgpr3
	s_and_saveexec_b64 s[26:27], vcc
	s_xor_b64 s[26:27], exec, s[26:27]
	s_cbranch_execz .LBB158_1403
; %bb.1398:
	s_mov_b32 s28, 0x387fffff
	v_cmp_lt_u32_e32 vcc, s28, v2
                                        ; implicit-def: $vgpr3
	s_and_saveexec_b64 s[28:29], vcc
	s_xor_b64 s[28:29], exec, s[28:29]
; %bb.1399:
	v_bfe_u32 v3, v2, 21, 1
	s_mov_b32 s30, 0x80fffff
	v_add3_u32 v2, v2, v3, s30
	v_lshrrev_b32_e32 v3, 21, v2
                                        ; implicit-def: $vgpr2
; %bb.1400:
	s_andn2_saveexec_b64 s[28:29], s[28:29]
; %bb.1401:
	v_add_f32_e32 v3, 0x43000000, v2
; %bb.1402:
	s_or_b64 exec, exec, s[28:29]
                                        ; implicit-def: $vgpr2
.LBB158_1403:
	s_andn2_saveexec_b64 s[26:27], s[26:27]
; %bb.1404:
	s_mov_b32 s28, 0x7f800000
	v_mov_b32_e32 v3, 0x7c
	v_mov_b32_e32 v4, 0x7f
	v_cmp_lt_u32_e32 vcc, s28, v2
	v_cndmask_b32_e32 v3, v3, v4, vcc
; %bb.1405:
	s_or_b64 exec, exec, s[26:27]
	global_store_byte v[0:1], v3, off
.LBB158_1406:
	s_mov_b64 s[26:27], 0
.LBB158_1407:
	s_andn2_b64 vcc, exec, s[26:27]
	s_mov_b64 s[26:27], 0
	s_cbranch_vccnz .LBB158_1416
; %bb.1408:
	s_cmp_gt_i32 s34, 14
	s_mov_b64 s[28:29], -1
	s_cbranch_scc0 .LBB158_1412
; %bb.1409:
	s_cmp_eq_u32 s34, 15
	s_mov_b64 s[0:1], -1
	s_cbranch_scc0 .LBB158_1411
; %bb.1410:
	v_cndmask_b32_e64 v2, 0, 1.0, s[18:19]
	v_bfe_u32 v3, v2, 16, 1
	s_movk_i32 s0, 0x7fff
	v_add3_u32 v2, v2, v3, s0
	global_store_short_d16_hi v[0:1], v2, off
	s_mov_b64 s[0:1], 0
.LBB158_1411:
	s_mov_b64 s[28:29], 0
.LBB158_1412:
	s_and_b64 vcc, exec, s[28:29]
	s_cbranch_vccz .LBB158_1416
; %bb.1413:
	s_cmp_lg_u32 s34, 11
	s_cselect_b64 s[28:29], -1, 0
	s_andn2_b64 s[0:1], s[0:1], exec
	s_and_b64 s[28:29], s[28:29], exec
	s_mov_b64 s[26:27], -1
	s_or_b64 s[0:1], s[0:1], s[28:29]
	s_branch .LBB158_1416
.LBB158_1414:
	s_mov_b64 s[26:27], 0
	s_mov_b64 s[20:21], -1
	s_mov_b64 s[0:1], s[16:17]
	s_branch .LBB158_1416
.LBB158_1415:
	s_mov_b64 s[26:27], 0
.LBB158_1416:
	s_andn2_b64 s[16:17], s[16:17], exec
	s_and_b64 s[0:1], s[0:1], exec
	s_and_b64 s[28:29], s[20:21], exec
	;; [unrolled: 1-line block ×3, first 2 shown]
	s_or_b64 s[16:17], s[16:17], s[0:1]
	s_or_b64 exec, exec, s[24:25]
	s_and_saveexec_b64 s[0:1], s[16:17]
	s_cbranch_execz .LBB158_1326
.LBB158_1417:
	s_or_b64 s[22:23], s[22:23], exec
	s_andn2_b64 s[30:31], s[30:31], exec
	s_trap 2
	s_or_b64 exec, exec, s[0:1]
	s_and_saveexec_b64 s[0:1], s[30:31]
	s_xor_b64 s[0:1], exec, s[0:1]
	s_cbranch_execnz .LBB158_1327
.LBB158_1418:
	s_or_b64 exec, exec, s[0:1]
	s_and_saveexec_b64 s[0:1], s[28:29]
	s_xor_b64 s[0:1], exec, s[0:1]
	s_cbranch_execz .LBB158_1456
.LBB158_1419:
	s_sext_i32_i16 s20, s36
	s_cmp_lt_i32 s20, 5
	s_mov_b64 s[16:17], -1
	s_cbranch_scc1 .LBB158_1440
; %bb.1420:
	s_cmp_lt_i32 s20, 8
	s_cbranch_scc1 .LBB158_1430
; %bb.1421:
	s_cmp_lt_i32 s20, 9
	s_cbranch_scc1 .LBB158_1427
; %bb.1422:
	s_cmp_gt_i32 s20, 9
	s_cbranch_scc0 .LBB158_1424
; %bb.1423:
	v_cndmask_b32_e64 v2, 0, 1, s[18:19]
	v_cvt_f64_u32_e32 v[2:3], v2
	v_mov_b32_e32 v4, 0
	v_mov_b32_e32 v5, v4
	s_mov_b64 s[16:17], 0
	global_store_dwordx4 v[0:1], v[2:5], off
.LBB158_1424:
	s_andn2_b64 vcc, exec, s[16:17]
	s_cbranch_vccnz .LBB158_1426
; %bb.1425:
	v_cndmask_b32_e64 v2, 0, 1.0, s[18:19]
	v_mov_b32_e32 v3, 0
	global_store_dwordx2 v[0:1], v[2:3], off
.LBB158_1426:
	s_mov_b64 s[16:17], 0
.LBB158_1427:
	s_andn2_b64 vcc, exec, s[16:17]
	s_cbranch_vccnz .LBB158_1429
; %bb.1428:
	v_cndmask_b32_e64 v2, 0, 1.0, s[18:19]
	v_cvt_f16_f32_e32 v2, v2
	global_store_dword v[0:1], v2, off
.LBB158_1429:
	s_mov_b64 s[16:17], 0
.LBB158_1430:
	s_andn2_b64 vcc, exec, s[16:17]
	s_cbranch_vccnz .LBB158_1439
; %bb.1431:
	s_sext_i32_i16 s20, s36
	s_cmp_lt_i32 s20, 6
	s_mov_b64 s[16:17], -1
	s_cbranch_scc1 .LBB158_1437
; %bb.1432:
	s_cmp_gt_i32 s20, 6
	s_cbranch_scc0 .LBB158_1434
; %bb.1433:
	v_cndmask_b32_e64 v2, 0, 1, s[18:19]
	v_cvt_f64_u32_e32 v[2:3], v2
	s_mov_b64 s[16:17], 0
	global_store_dwordx2 v[0:1], v[2:3], off
.LBB158_1434:
	s_andn2_b64 vcc, exec, s[16:17]
	s_cbranch_vccnz .LBB158_1436
; %bb.1435:
	v_cndmask_b32_e64 v2, 0, 1.0, s[18:19]
	global_store_dword v[0:1], v2, off
.LBB158_1436:
	s_mov_b64 s[16:17], 0
.LBB158_1437:
	s_andn2_b64 vcc, exec, s[16:17]
	s_cbranch_vccnz .LBB158_1439
; %bb.1438:
	v_cndmask_b32_e64 v2, 0, 1.0, s[18:19]
	v_cvt_f16_f32_e32 v2, v2
	global_store_short v[0:1], v2, off
.LBB158_1439:
	s_mov_b64 s[16:17], 0
.LBB158_1440:
	s_andn2_b64 vcc, exec, s[16:17]
	s_cbranch_vccnz .LBB158_1456
; %bb.1441:
	s_sext_i32_i16 s20, s36
	s_cmp_lt_i32 s20, 2
	s_mov_b64 s[16:17], -1
	s_cbranch_scc1 .LBB158_1451
; %bb.1442:
	s_cmp_lt_i32 s20, 3
	s_cbranch_scc1 .LBB158_1448
; %bb.1443:
	s_cmp_gt_i32 s20, 3
	s_cbranch_scc0 .LBB158_1445
; %bb.1444:
	s_mov_b32 s16, 0
	v_cndmask_b32_e64 v2, 0, 1, s[18:19]
	v_mov_b32_e32 v3, s16
	s_mov_b64 s[16:17], 0
	global_store_dwordx2 v[0:1], v[2:3], off
.LBB158_1445:
	s_andn2_b64 vcc, exec, s[16:17]
	s_cbranch_vccnz .LBB158_1447
; %bb.1446:
	v_cndmask_b32_e64 v2, 0, 1, s[18:19]
	global_store_dword v[0:1], v2, off
.LBB158_1447:
	s_mov_b64 s[16:17], 0
.LBB158_1448:
	s_andn2_b64 vcc, exec, s[16:17]
	s_cbranch_vccnz .LBB158_1450
; %bb.1449:
	v_cndmask_b32_e64 v2, 0, 1, s[18:19]
	global_store_short v[0:1], v2, off
.LBB158_1450:
	s_mov_b64 s[16:17], 0
.LBB158_1451:
	s_andn2_b64 vcc, exec, s[16:17]
	s_cbranch_vccnz .LBB158_1456
; %bb.1452:
	s_sext_i32_i16 s20, s36
	s_mov_b64 s[16:17], -1
	s_cmp_gt_i32 s20, 0
	v_cndmask_b32_e64 v2, 0, 1, s[18:19]
	s_cbranch_scc0 .LBB158_1454
; %bb.1453:
	s_mov_b64 s[16:17], 0
	global_store_byte v[0:1], v2, off
.LBB158_1454:
	s_andn2_b64 vcc, exec, s[16:17]
	s_cbranch_vccnz .LBB158_1456
; %bb.1455:
	global_store_byte v[0:1], v2, off
.LBB158_1456:
	s_or_b64 exec, exec, s[0:1]
	s_and_b64 s[16:17], s[22:23], exec
                                        ; implicit-def: $vgpr2
.LBB158_1457:
	s_or_saveexec_b64 s[6:7], s[6:7]
	s_mov_b64 s[0:1], 0
                                        ; implicit-def: $sgpr24_sgpr25
                                        ; implicit-def: $sgpr28
                                        ; implicit-def: $vgpr0_vgpr1
	s_xor_b64 exec, exec, s[6:7]
	s_cbranch_execz .LBB158_2406
; %bb.1458:
	v_mul_lo_u32 v3, s13, v2
	v_mov_b32_e32 v1, s11
	s_and_b32 s34, s57, 0xff
	s_cmp_lt_i32 s34, 11
	v_ashrrev_i32_e32 v4, 31, v3
	v_add_co_u32_e32 v0, vcc, s10, v3
	v_addc_co_u32_e32 v1, vcc, v1, v4, vcc
	s_cbranch_scc1 .LBB158_1465
; %bb.1459:
	s_and_b32 s24, 0xffff, s34
	s_cmp_gt_i32 s24, 25
	s_mov_b64 s[22:23], 0
	s_cbranch_scc0 .LBB158_1467
; %bb.1460:
	s_cmp_gt_i32 s24, 28
	s_cbranch_scc0 .LBB158_1468
; %bb.1461:
	s_cmp_gt_i32 s24, 43
	;; [unrolled: 3-line block ×3, first 2 shown]
	s_cbranch_scc0 .LBB158_1470
; %bb.1463:
	s_cmp_eq_u32 s24, 46
	s_mov_b64 s[18:19], 0
	s_cbranch_scc0 .LBB158_1473
; %bb.1464:
	global_load_dword v4, v[0:1], off
	s_mov_b64 s[4:5], -1
	s_waitcnt vmcnt(0)
	v_and_b32_e32 v4, 0x7fff7fff, v4
	v_cmp_ne_u32_e64 s[20:21], 0, v4
	s_branch .LBB158_1475
.LBB158_1465:
                                        ; implicit-def: $sgpr20_sgpr21
	s_mov_b64 s[18:19], s[16:17]
	s_cbranch_execnz .LBB158_1520
.LBB158_1466:
	s_andn2_b64 vcc, exec, s[4:5]
	s_cbranch_vccz .LBB158_1565
	s_branch .LBB158_2403
.LBB158_1467:
                                        ; implicit-def: $sgpr20_sgpr21
	s_cbranch_execnz .LBB158_1495
	s_branch .LBB158_1516
.LBB158_1468:
	s_mov_b64 s[18:19], -1
                                        ; implicit-def: $sgpr20_sgpr21
	s_branch .LBB158_1482
.LBB158_1469:
                                        ; implicit-def: $sgpr20_sgpr21
	s_cbranch_execnz .LBB158_1478
	s_branch .LBB158_1481
.LBB158_1470:
	s_mov_b64 s[18:19], -1
	s_branch .LBB158_1474
.LBB158_1471:
	s_andn2_saveexec_b64 s[28:29], s[28:29]
	s_cbranch_execz .LBB158_1369
.LBB158_1472:
	v_add_f32_e32 v2, 0x46000000, v3
	v_and_b32_e32 v2, 0xff, v2
	v_cmp_ne_u32_e32 vcc, 0, v2
	s_andn2_b64 s[26:27], s[26:27], exec
	s_and_b64 s[30:31], vcc, exec
	s_or_b64 s[26:27], s[26:27], s[30:31]
	s_or_b64 exec, exec, s[28:29]
	v_mov_b32_e32 v4, 0
	s_and_saveexec_b64 s[28:29], s[26:27]
	s_cbranch_execnz .LBB158_1370
	s_branch .LBB158_1371
.LBB158_1473:
	s_mov_b64 s[0:1], -1
.LBB158_1474:
                                        ; implicit-def: $sgpr20_sgpr21
.LBB158_1475:
	s_and_b64 vcc, exec, s[18:19]
	s_cbranch_vccz .LBB158_1477
; %bb.1476:
	s_cmp_lg_u32 s24, 44
	s_mov_b64 s[4:5], -1
	s_cselect_b64 s[0:1], -1, 0
	s_or_b64 s[20:21], s[20:21], exec
.LBB158_1477:
	s_branch .LBB158_1481
.LBB158_1478:
	s_cmp_eq_u32 s24, 29
	s_cbranch_scc0 .LBB158_1480
; %bb.1479:
	global_load_dwordx2 v[4:5], v[0:1], off
	s_mov_b64 s[0:1], 0
	s_mov_b64 s[4:5], -1
	s_mov_b64 s[18:19], 0
	s_waitcnt vmcnt(0)
	v_cmp_ne_u64_e64 s[20:21], 0, v[4:5]
	s_branch .LBB158_1482
.LBB158_1480:
	s_mov_b64 s[0:1], -1
                                        ; implicit-def: $sgpr20_sgpr21
.LBB158_1481:
	s_mov_b64 s[18:19], 0
.LBB158_1482:
	s_and_b64 vcc, exec, s[18:19]
	s_cbranch_vccz .LBB158_1494
; %bb.1483:
	s_cmp_lt_i32 s24, 27
	s_cbranch_scc1 .LBB158_1486
; %bb.1484:
	s_cmp_gt_i32 s24, 27
	s_cbranch_scc0 .LBB158_1487
; %bb.1485:
	global_load_dword v4, v[0:1], off
	s_mov_b64 s[4:5], 0
	s_waitcnt vmcnt(0)
	v_cmp_ne_u32_e64 s[20:21], 0, v4
	s_branch .LBB158_1488
.LBB158_1486:
	s_mov_b64 s[4:5], -1
                                        ; implicit-def: $sgpr20_sgpr21
	s_branch .LBB158_1491
.LBB158_1487:
	s_mov_b64 s[4:5], -1
                                        ; implicit-def: $sgpr20_sgpr21
.LBB158_1488:
	s_andn2_b64 vcc, exec, s[4:5]
	s_cbranch_vccnz .LBB158_1490
; %bb.1489:
	global_load_ushort v4, v[0:1], off
	s_andn2_b64 s[4:5], s[20:21], exec
	s_waitcnt vmcnt(0)
	v_cmp_ne_u16_e32 vcc, 0, v4
	s_and_b64 s[18:19], vcc, exec
	s_or_b64 s[20:21], s[4:5], s[18:19]
.LBB158_1490:
	s_mov_b64 s[4:5], 0
.LBB158_1491:
	s_andn2_b64 vcc, exec, s[4:5]
	s_cbranch_vccnz .LBB158_1493
; %bb.1492:
	global_load_ubyte v4, v[0:1], off
	s_andn2_b64 s[4:5], s[20:21], exec
	s_waitcnt vmcnt(0)
	v_cmp_ne_u16_e32 vcc, 0, v4
	s_and_b64 s[18:19], vcc, exec
	s_or_b64 s[20:21], s[4:5], s[18:19]
.LBB158_1493:
	s_mov_b64 s[4:5], -1
.LBB158_1494:
	s_branch .LBB158_1516
.LBB158_1495:
	s_cmp_gt_i32 s24, 22
	s_cbranch_scc0 .LBB158_1499
; %bb.1496:
	s_cmp_lt_i32 s24, 24
	s_cbranch_scc1 .LBB158_1500
; %bb.1497:
	s_cmp_gt_i32 s24, 24
	s_cbranch_scc0 .LBB158_1501
; %bb.1498:
	global_load_ubyte v4, v[0:1], off
	s_mov_b64 s[4:5], 0
	s_waitcnt vmcnt(0)
	v_cmp_ne_u16_e64 s[20:21], 0, v4
	s_branch .LBB158_1502
.LBB158_1499:
                                        ; implicit-def: $sgpr20_sgpr21
	s_branch .LBB158_1508
.LBB158_1500:
	s_mov_b64 s[4:5], -1
                                        ; implicit-def: $sgpr20_sgpr21
	s_branch .LBB158_1505
.LBB158_1501:
	s_mov_b64 s[4:5], -1
                                        ; implicit-def: $sgpr20_sgpr21
.LBB158_1502:
	s_andn2_b64 vcc, exec, s[4:5]
	s_cbranch_vccnz .LBB158_1504
; %bb.1503:
	global_load_ubyte v4, v[0:1], off
	s_andn2_b64 s[4:5], s[20:21], exec
	s_waitcnt vmcnt(0)
	v_and_b32_e32 v4, 0x7f, v4
	v_cmp_ne_u16_e32 vcc, 0, v4
	s_and_b64 s[18:19], vcc, exec
	s_or_b64 s[20:21], s[4:5], s[18:19]
.LBB158_1504:
	s_mov_b64 s[4:5], 0
.LBB158_1505:
	s_andn2_b64 vcc, exec, s[4:5]
	s_cbranch_vccnz .LBB158_1507
; %bb.1506:
	global_load_ubyte v4, v[0:1], off
	s_movk_i32 s4, 0x7f00
	s_brev_b32 s5, 16
	s_waitcnt vmcnt(0)
	v_lshlrev_b32_e32 v5, 8, v4
	v_lshlrev_b32_e32 v4, 25, v4
	v_lshrrev_b32_e32 v6, 4, v4
	v_and_or_b32 v5, v5, s4, 0.5
	v_or_b32_e32 v6, 0x70000000, v6
	v_add_f32_e32 v5, -0.5, v5
	v_mul_f32_e32 v6, 0x7800000, v6
	v_cmp_gt_u32_e32 vcc, s5, v4
	v_cndmask_b32_e32 v4, v6, v5, vcc
	v_cmp_neq_f32_e32 vcc, 0, v4
	s_andn2_b64 s[4:5], s[20:21], exec
	s_and_b64 s[18:19], vcc, exec
	s_or_b64 s[20:21], s[4:5], s[18:19]
.LBB158_1507:
	s_mov_b64 s[4:5], -1
	s_cbranch_execnz .LBB158_1516
.LBB158_1508:
	s_cmp_gt_i32 s24, 14
	s_cbranch_scc0 .LBB158_1511
; %bb.1509:
	s_cmp_eq_u32 s24, 15
	s_cbranch_scc0 .LBB158_1512
; %bb.1510:
	global_load_ushort v4, v[0:1], off
	s_mov_b64 s[0:1], 0
	s_mov_b64 s[4:5], -1
	s_waitcnt vmcnt(0)
	v_and_b32_e32 v4, 0x7fff, v4
	v_cmp_ne_u16_e64 s[20:21], 0, v4
	s_branch .LBB158_1513
.LBB158_1511:
	s_mov_b64 s[18:19], -1
                                        ; implicit-def: $sgpr20_sgpr21
	s_branch .LBB158_1514
.LBB158_1512:
	s_mov_b64 s[0:1], -1
                                        ; implicit-def: $sgpr20_sgpr21
.LBB158_1513:
	s_mov_b64 s[18:19], 0
.LBB158_1514:
	s_and_b64 vcc, exec, s[18:19]
	s_cbranch_vccz .LBB158_1516
; %bb.1515:
	s_cmp_lg_u32 s24, 11
	s_mov_b64 s[22:23], -1
	s_cselect_b64 s[0:1], -1, 0
.LBB158_1516:
	s_and_b64 vcc, exec, s[0:1]
	s_mov_b64 s[18:19], s[16:17]
	s_cbranch_vccnz .LBB158_1577
; %bb.1517:
	s_andn2_b64 vcc, exec, s[22:23]
	s_cbranch_vccnz .LBB158_1519
.LBB158_1518:
	global_load_ubyte v4, v[0:1], off
	s_andn2_b64 s[0:1], s[20:21], exec
	s_mov_b64 s[4:5], -1
	s_waitcnt vmcnt(0)
	v_cmp_ne_u16_e32 vcc, 0, v4
	s_and_b64 s[20:21], vcc, exec
	s_or_b64 s[20:21], s[0:1], s[20:21]
.LBB158_1519:
	s_branch .LBB158_1466
.LBB158_1520:
	s_and_b32 s22, 0xffff, s34
	s_cmp_lt_i32 s22, 5
	s_cbranch_scc1 .LBB158_1525
; %bb.1521:
	s_cmp_lt_i32 s22, 8
	s_cbranch_scc1 .LBB158_1526
; %bb.1522:
	;; [unrolled: 3-line block ×3, first 2 shown]
	s_cmp_gt_i32 s22, 9
	s_cbranch_scc0 .LBB158_1528
; %bb.1524:
	global_load_dwordx4 v[4:7], v[0:1], off
	s_mov_b64 s[4:5], 0
	s_waitcnt vmcnt(0)
	v_cmp_neq_f64_e32 vcc, 0, v[4:5]
	v_cmp_neq_f64_e64 s[0:1], 0, v[6:7]
	s_or_b64 s[20:21], vcc, s[0:1]
	s_branch .LBB158_1529
.LBB158_1525:
                                        ; implicit-def: $sgpr20_sgpr21
	s_branch .LBB158_1546
.LBB158_1526:
                                        ; implicit-def: $sgpr20_sgpr21
	s_branch .LBB158_1535
.LBB158_1527:
	s_mov_b64 s[0:1], -1
                                        ; implicit-def: $sgpr20_sgpr21
	s_branch .LBB158_1532
.LBB158_1528:
	s_mov_b64 s[4:5], -1
                                        ; implicit-def: $sgpr20_sgpr21
.LBB158_1529:
	s_andn2_b64 vcc, exec, s[4:5]
	s_cbranch_vccnz .LBB158_1531
; %bb.1530:
	global_load_dwordx2 v[4:5], v[0:1], off
	s_andn2_b64 s[0:1], s[20:21], exec
	s_waitcnt vmcnt(0)
	v_or_b32_e32 v4, v4, v5
	v_and_b32_e32 v4, 0x7fffffff, v4
	v_cmp_ne_u32_e32 vcc, 0, v4
	s_and_b64 s[4:5], vcc, exec
	s_or_b64 s[20:21], s[0:1], s[4:5]
.LBB158_1531:
	s_mov_b64 s[0:1], 0
.LBB158_1532:
	s_andn2_b64 vcc, exec, s[0:1]
	s_cbranch_vccnz .LBB158_1534
; %bb.1533:
	global_load_dword v4, v[0:1], off
	s_andn2_b64 s[0:1], s[20:21], exec
	s_waitcnt vmcnt(0)
	v_and_b32_e32 v4, 0x7fff7fff, v4
	v_cmp_ne_u32_e32 vcc, 0, v4
	s_and_b64 s[4:5], vcc, exec
	s_or_b64 s[20:21], s[0:1], s[4:5]
.LBB158_1534:
	s_cbranch_execnz .LBB158_1545
.LBB158_1535:
	s_cmp_lt_i32 s22, 6
	s_cbranch_scc1 .LBB158_1538
; %bb.1536:
	s_cmp_gt_i32 s22, 6
	s_cbranch_scc0 .LBB158_1539
; %bb.1537:
	global_load_dwordx2 v[4:5], v[0:1], off
	s_mov_b64 s[0:1], 0
	s_waitcnt vmcnt(0)
	v_cmp_neq_f64_e64 s[20:21], 0, v[4:5]
	s_branch .LBB158_1540
.LBB158_1538:
	s_mov_b64 s[0:1], -1
                                        ; implicit-def: $sgpr20_sgpr21
	s_branch .LBB158_1543
.LBB158_1539:
	s_mov_b64 s[0:1], -1
                                        ; implicit-def: $sgpr20_sgpr21
.LBB158_1540:
	s_andn2_b64 vcc, exec, s[0:1]
	s_cbranch_vccnz .LBB158_1542
; %bb.1541:
	global_load_dword v4, v[0:1], off
	s_andn2_b64 s[0:1], s[20:21], exec
	s_waitcnt vmcnt(0)
	v_cmp_neq_f32_e32 vcc, 0, v4
	s_and_b64 s[4:5], vcc, exec
	s_or_b64 s[20:21], s[0:1], s[4:5]
.LBB158_1542:
	s_mov_b64 s[0:1], 0
.LBB158_1543:
	s_andn2_b64 vcc, exec, s[0:1]
	s_cbranch_vccnz .LBB158_1545
; %bb.1544:
	global_load_ushort v4, v[0:1], off
	s_andn2_b64 s[0:1], s[20:21], exec
	s_waitcnt vmcnt(0)
	v_and_b32_e32 v4, 0x7fff, v4
	v_cmp_ne_u16_e32 vcc, 0, v4
	s_and_b64 s[4:5], vcc, exec
	s_or_b64 s[20:21], s[0:1], s[4:5]
.LBB158_1545:
	s_cbranch_execnz .LBB158_1564
.LBB158_1546:
	s_cmp_lt_i32 s22, 2
	s_cbranch_scc1 .LBB158_1550
; %bb.1547:
	s_cmp_lt_i32 s22, 3
	s_cbranch_scc1 .LBB158_1551
; %bb.1548:
	s_cmp_gt_i32 s22, 3
	s_cbranch_scc0 .LBB158_1552
; %bb.1549:
	global_load_dwordx2 v[4:5], v[0:1], off
	s_mov_b64 s[0:1], 0
	s_waitcnt vmcnt(0)
	v_cmp_ne_u64_e64 s[20:21], 0, v[4:5]
	s_branch .LBB158_1553
.LBB158_1550:
                                        ; implicit-def: $sgpr20_sgpr21
	s_branch .LBB158_1559
.LBB158_1551:
	s_mov_b64 s[0:1], -1
                                        ; implicit-def: $sgpr20_sgpr21
	s_branch .LBB158_1556
.LBB158_1552:
	s_mov_b64 s[0:1], -1
                                        ; implicit-def: $sgpr20_sgpr21
.LBB158_1553:
	s_andn2_b64 vcc, exec, s[0:1]
	s_cbranch_vccnz .LBB158_1555
; %bb.1554:
	global_load_dword v4, v[0:1], off
	s_andn2_b64 s[0:1], s[20:21], exec
	s_waitcnt vmcnt(0)
	v_cmp_ne_u32_e32 vcc, 0, v4
	s_and_b64 s[4:5], vcc, exec
	s_or_b64 s[20:21], s[0:1], s[4:5]
.LBB158_1555:
	s_mov_b64 s[0:1], 0
.LBB158_1556:
	s_andn2_b64 vcc, exec, s[0:1]
	s_cbranch_vccnz .LBB158_1558
; %bb.1557:
	global_load_ushort v4, v[0:1], off
	s_andn2_b64 s[0:1], s[20:21], exec
	s_waitcnt vmcnt(0)
	v_cmp_ne_u16_e32 vcc, 0, v4
	s_and_b64 s[4:5], vcc, exec
	s_or_b64 s[20:21], s[0:1], s[4:5]
.LBB158_1558:
	s_cbranch_execnz .LBB158_1564
.LBB158_1559:
	s_cmp_gt_i32 s22, 0
	s_cbranch_scc0 .LBB158_1561
; %bb.1560:
	global_load_ubyte v4, v[0:1], off
	s_mov_b64 s[0:1], 0
	s_waitcnt vmcnt(0)
	v_cmp_ne_u16_e64 s[20:21], 0, v4
	s_branch .LBB158_1562
.LBB158_1561:
	s_mov_b64 s[0:1], -1
                                        ; implicit-def: $sgpr20_sgpr21
.LBB158_1562:
	s_andn2_b64 vcc, exec, s[0:1]
	s_cbranch_vccnz .LBB158_1564
; %bb.1563:
	global_load_ubyte v0, v[0:1], off
	s_andn2_b64 s[0:1], s[20:21], exec
	s_waitcnt vmcnt(0)
	v_cmp_ne_u16_e32 vcc, 0, v0
	s_and_b64 s[4:5], vcc, exec
	s_or_b64 s[20:21], s[0:1], s[4:5]
.LBB158_1564:
.LBB158_1565:
	v_mul_lo_u32 v4, s14, v2
	v_mov_b32_e32 v1, s3
	s_and_b32 s35, s56, 0xff
	s_cmp_lt_i32 s35, 11
	v_ashrrev_i32_e32 v5, 31, v4
	v_add_co_u32_e32 v0, vcc, s2, v4
	v_addc_co_u32_e32 v1, vcc, v1, v5, vcc
	s_cbranch_scc1 .LBB158_1572
; %bb.1566:
	s_and_b32 s28, 0xffff, s35
	s_cmp_gt_i32 s28, 25
	s_mov_b64 s[24:25], 0
	s_cbranch_scc0 .LBB158_1574
; %bb.1567:
	s_cmp_gt_i32 s28, 28
	s_cbranch_scc0 .LBB158_1575
; %bb.1568:
	s_cmp_gt_i32 s28, 43
	;; [unrolled: 3-line block ×3, first 2 shown]
	s_cbranch_scc0 .LBB158_1578
; %bb.1570:
	s_cmp_eq_u32 s28, 46
	s_mov_b64 s[26:27], 0
	s_cbranch_scc0 .LBB158_1581
; %bb.1571:
	global_load_dword v5, v[0:1], off
	s_mov_b64 s[4:5], 0
	s_mov_b64 s[22:23], -1
	s_waitcnt vmcnt(0)
	v_and_b32_e32 v5, 0x7fff7fff, v5
	v_cmp_ne_u32_e64 s[0:1], 0, v5
	s_branch .LBB158_1582
.LBB158_1572:
	s_mov_b64 s[22:23], 0
                                        ; implicit-def: $sgpr0_sgpr1
	s_cbranch_execnz .LBB158_1629
.LBB158_1573:
	s_andn2_b64 vcc, exec, s[22:23]
	s_cbranch_vccnz .LBB158_2403
	s_branch .LBB158_1676
.LBB158_1574:
	s_mov_b64 s[22:23], 0
	s_mov_b64 s[4:5], 0
                                        ; implicit-def: $sgpr0_sgpr1
	s_cbranch_execnz .LBB158_1603
	s_branch .LBB158_1625
.LBB158_1575:
	s_mov_b64 s[26:27], -1
	s_mov_b64 s[22:23], 0
	s_mov_b64 s[4:5], 0
                                        ; implicit-def: $sgpr0_sgpr1
	s_branch .LBB158_1590
.LBB158_1576:
	s_mov_b64 s[26:27], -1
	s_mov_b64 s[22:23], 0
	s_mov_b64 s[4:5], 0
                                        ; implicit-def: $sgpr0_sgpr1
	s_branch .LBB158_1585
.LBB158_1577:
	s_mov_b64 s[4:5], 0
	s_or_b64 s[18:19], s[16:17], exec
	s_trap 2
	s_cbranch_execz .LBB158_1518
	s_branch .LBB158_1519
.LBB158_1578:
	s_mov_b64 s[26:27], -1
	s_mov_b64 s[22:23], 0
	s_mov_b64 s[4:5], 0
                                        ; implicit-def: $sgpr0_sgpr1
	s_branch .LBB158_1582
.LBB158_1579:
	s_andn2_saveexec_b64 s[30:31], s[30:31]
	s_cbranch_execz .LBB158_1381
.LBB158_1580:
	v_add_f32_e32 v2, 0x42800000, v3
	v_and_b32_e32 v2, 0xff, v2
	v_cmp_ne_u32_e32 vcc, 0, v2
	s_andn2_b64 s[28:29], s[28:29], exec
	s_and_b64 s[38:39], vcc, exec
	s_or_b64 s[28:29], s[28:29], s[38:39]
	s_or_b64 exec, exec, s[30:31]
	v_mov_b32_e32 v4, 0
	s_and_saveexec_b64 s[30:31], s[28:29]
	s_cbranch_execnz .LBB158_1382
	s_branch .LBB158_1383
.LBB158_1581:
	s_mov_b64 s[4:5], -1
                                        ; implicit-def: $sgpr0_sgpr1
	s_mov_b64 s[22:23], 0
.LBB158_1582:
	s_and_b64 vcc, exec, s[26:27]
	s_cbranch_vccz .LBB158_1584
; %bb.1583:
	s_cmp_lg_u32 s28, 44
	s_mov_b64 s[22:23], -1
	s_cselect_b64 s[4:5], -1, 0
	s_or_b64 s[0:1], s[0:1], exec
.LBB158_1584:
	s_mov_b64 s[26:27], 0
.LBB158_1585:
	s_and_b64 vcc, exec, s[26:27]
	s_cbranch_vccz .LBB158_1589
; %bb.1586:
	s_cmp_eq_u32 s28, 29
	s_cbranch_scc0 .LBB158_1588
; %bb.1587:
	global_load_dwordx2 v[5:6], v[0:1], off
	s_mov_b64 s[4:5], 0
	s_mov_b64 s[22:23], -1
	s_mov_b64 s[26:27], 0
	s_waitcnt vmcnt(0)
	v_cmp_ne_u64_e64 s[0:1], 0, v[5:6]
	s_branch .LBB158_1590
.LBB158_1588:
	s_mov_b64 s[4:5], -1
                                        ; implicit-def: $sgpr0_sgpr1
.LBB158_1589:
	s_mov_b64 s[26:27], 0
.LBB158_1590:
	s_and_b64 vcc, exec, s[26:27]
	s_cbranch_vccz .LBB158_1602
; %bb.1591:
	s_cmp_lt_i32 s28, 27
	s_cbranch_scc1 .LBB158_1594
; %bb.1592:
	s_cmp_gt_i32 s28, 27
	s_cbranch_scc0 .LBB158_1595
; %bb.1593:
	global_load_dword v5, v[0:1], off
	s_mov_b64 s[22:23], 0
	s_waitcnt vmcnt(0)
	v_cmp_ne_u32_e64 s[0:1], 0, v5
	s_branch .LBB158_1596
.LBB158_1594:
	s_mov_b64 s[22:23], -1
                                        ; implicit-def: $sgpr0_sgpr1
	s_branch .LBB158_1599
.LBB158_1595:
	s_mov_b64 s[22:23], -1
                                        ; implicit-def: $sgpr0_sgpr1
.LBB158_1596:
	s_andn2_b64 vcc, exec, s[22:23]
	s_cbranch_vccnz .LBB158_1598
; %bb.1597:
	global_load_ushort v5, v[0:1], off
	s_andn2_b64 s[0:1], s[0:1], exec
	s_waitcnt vmcnt(0)
	v_cmp_ne_u16_e32 vcc, 0, v5
	s_and_b64 s[22:23], vcc, exec
	s_or_b64 s[0:1], s[0:1], s[22:23]
.LBB158_1598:
	s_mov_b64 s[22:23], 0
.LBB158_1599:
	s_andn2_b64 vcc, exec, s[22:23]
	s_cbranch_vccnz .LBB158_1601
; %bb.1600:
	global_load_ubyte v5, v[0:1], off
	s_andn2_b64 s[0:1], s[0:1], exec
	s_waitcnt vmcnt(0)
	v_cmp_ne_u16_e32 vcc, 0, v5
	s_and_b64 s[22:23], vcc, exec
	s_or_b64 s[0:1], s[0:1], s[22:23]
.LBB158_1601:
	s_mov_b64 s[22:23], -1
.LBB158_1602:
	s_branch .LBB158_1625
.LBB158_1603:
	s_cmp_gt_i32 s28, 22
	s_cbranch_scc0 .LBB158_1607
; %bb.1604:
	s_cmp_lt_i32 s28, 24
	s_cbranch_scc1 .LBB158_1608
; %bb.1605:
	s_cmp_gt_i32 s28, 24
	s_cbranch_scc0 .LBB158_1609
; %bb.1606:
	global_load_ubyte v5, v[0:1], off
	s_mov_b64 s[22:23], 0
	s_waitcnt vmcnt(0)
	v_cmp_ne_u16_e64 s[0:1], 0, v5
	s_branch .LBB158_1610
.LBB158_1607:
	s_mov_b64 s[24:25], -1
                                        ; implicit-def: $sgpr0_sgpr1
	s_branch .LBB158_1616
.LBB158_1608:
	s_mov_b64 s[22:23], -1
                                        ; implicit-def: $sgpr0_sgpr1
	s_branch .LBB158_1613
.LBB158_1609:
	s_mov_b64 s[22:23], -1
                                        ; implicit-def: $sgpr0_sgpr1
.LBB158_1610:
	s_andn2_b64 vcc, exec, s[22:23]
	s_cbranch_vccnz .LBB158_1612
; %bb.1611:
	global_load_ubyte v5, v[0:1], off
	s_andn2_b64 s[0:1], s[0:1], exec
	s_waitcnt vmcnt(0)
	v_and_b32_e32 v5, 0x7f, v5
	v_cmp_ne_u16_e32 vcc, 0, v5
	s_and_b64 s[22:23], vcc, exec
	s_or_b64 s[0:1], s[0:1], s[22:23]
.LBB158_1612:
	s_mov_b64 s[22:23], 0
.LBB158_1613:
	s_andn2_b64 vcc, exec, s[22:23]
	s_cbranch_vccnz .LBB158_1615
; %bb.1614:
	global_load_ubyte v5, v[0:1], off
	s_movk_i32 s22, 0x7f00
	s_brev_b32 s23, 16
	s_andn2_b64 s[0:1], s[0:1], exec
	s_waitcnt vmcnt(0)
	v_lshlrev_b32_e32 v6, 8, v5
	v_lshlrev_b32_e32 v5, 25, v5
	v_lshrrev_b32_e32 v7, 4, v5
	v_and_or_b32 v6, v6, s22, 0.5
	v_or_b32_e32 v7, 0x70000000, v7
	v_add_f32_e32 v6, -0.5, v6
	v_mul_f32_e32 v7, 0x7800000, v7
	v_cmp_gt_u32_e32 vcc, s23, v5
	v_cndmask_b32_e32 v5, v7, v6, vcc
	v_cmp_neq_f32_e32 vcc, 0, v5
	s_and_b64 s[22:23], vcc, exec
	s_or_b64 s[0:1], s[0:1], s[22:23]
.LBB158_1615:
	s_mov_b64 s[22:23], -1
.LBB158_1616:
	s_andn2_b64 vcc, exec, s[24:25]
	s_mov_b64 s[24:25], 0
	s_cbranch_vccnz .LBB158_1625
; %bb.1617:
	s_cmp_gt_i32 s28, 14
	s_cbranch_scc0 .LBB158_1620
; %bb.1618:
	s_cmp_eq_u32 s28, 15
	s_cbranch_scc0 .LBB158_1621
; %bb.1619:
	global_load_ushort v5, v[0:1], off
	s_mov_b64 s[4:5], 0
	s_mov_b64 s[22:23], -1
	s_waitcnt vmcnt(0)
	v_and_b32_e32 v5, 0x7fff, v5
	v_cmp_ne_u16_e64 s[0:1], 0, v5
	s_branch .LBB158_1622
.LBB158_1620:
	s_mov_b64 s[26:27], -1
                                        ; implicit-def: $sgpr0_sgpr1
	s_branch .LBB158_1623
.LBB158_1621:
	s_mov_b64 s[4:5], -1
                                        ; implicit-def: $sgpr0_sgpr1
.LBB158_1622:
	s_mov_b64 s[26:27], 0
.LBB158_1623:
	s_and_b64 vcc, exec, s[26:27]
	s_cbranch_vccz .LBB158_1625
; %bb.1624:
	s_cmp_lg_u32 s28, 11
	s_mov_b64 s[24:25], -1
	s_cselect_b64 s[4:5], -1, 0
.LBB158_1625:
	s_and_b64 vcc, exec, s[4:5]
	s_cbranch_vccnz .LBB158_1704
; %bb.1626:
	s_andn2_b64 vcc, exec, s[24:25]
	s_cbranch_vccnz .LBB158_1628
.LBB158_1627:
	global_load_ubyte v5, v[0:1], off
	s_andn2_b64 s[0:1], s[0:1], exec
	s_mov_b64 s[22:23], -1
	s_waitcnt vmcnt(0)
	v_cmp_ne_u16_e32 vcc, 0, v5
	s_and_b64 s[4:5], vcc, exec
	s_or_b64 s[0:1], s[0:1], s[4:5]
.LBB158_1628:
	s_branch .LBB158_1573
.LBB158_1629:
	s_and_b32 s22, 0xffff, s35
	s_cmp_lt_i32 s22, 5
	s_cbranch_scc1 .LBB158_1634
; %bb.1630:
	s_cmp_lt_i32 s22, 8
	s_cbranch_scc1 .LBB158_1635
; %bb.1631:
	s_cmp_lt_i32 s22, 9
	s_cbranch_scc1 .LBB158_1636
; %bb.1632:
	s_cmp_gt_i32 s22, 9
	s_cbranch_scc0 .LBB158_1637
; %bb.1633:
	global_load_dwordx4 v[5:8], v[0:1], off
	s_mov_b64 s[4:5], 0
	s_waitcnt vmcnt(0)
	v_cmp_neq_f64_e32 vcc, 0, v[5:6]
	v_cmp_neq_f64_e64 s[0:1], 0, v[7:8]
	s_or_b64 s[0:1], vcc, s[0:1]
	s_branch .LBB158_1638
.LBB158_1634:
                                        ; implicit-def: $sgpr0_sgpr1
	s_branch .LBB158_1656
.LBB158_1635:
	s_mov_b64 s[4:5], -1
                                        ; implicit-def: $sgpr0_sgpr1
	s_branch .LBB158_1644
.LBB158_1636:
	s_mov_b64 s[4:5], -1
                                        ; implicit-def: $sgpr0_sgpr1
	s_branch .LBB158_1641
.LBB158_1637:
	s_mov_b64 s[4:5], -1
                                        ; implicit-def: $sgpr0_sgpr1
.LBB158_1638:
	s_andn2_b64 vcc, exec, s[4:5]
	s_cbranch_vccnz .LBB158_1640
; %bb.1639:
	global_load_dwordx2 v[5:6], v[0:1], off
	s_andn2_b64 s[0:1], s[0:1], exec
	s_waitcnt vmcnt(0)
	v_or_b32_e32 v5, v5, v6
	v_and_b32_e32 v5, 0x7fffffff, v5
	v_cmp_ne_u32_e32 vcc, 0, v5
	s_and_b64 s[4:5], vcc, exec
	s_or_b64 s[0:1], s[0:1], s[4:5]
.LBB158_1640:
	s_mov_b64 s[4:5], 0
.LBB158_1641:
	s_andn2_b64 vcc, exec, s[4:5]
	s_cbranch_vccnz .LBB158_1643
; %bb.1642:
	global_load_dword v5, v[0:1], off
	s_andn2_b64 s[0:1], s[0:1], exec
	s_waitcnt vmcnt(0)
	v_and_b32_e32 v5, 0x7fff7fff, v5
	v_cmp_ne_u32_e32 vcc, 0, v5
	s_and_b64 s[4:5], vcc, exec
	s_or_b64 s[0:1], s[0:1], s[4:5]
.LBB158_1643:
	s_mov_b64 s[4:5], 0
.LBB158_1644:
	s_andn2_b64 vcc, exec, s[4:5]
	s_cbranch_vccnz .LBB158_1655
; %bb.1645:
	s_cmp_lt_i32 s22, 6
	s_cbranch_scc1 .LBB158_1648
; %bb.1646:
	s_cmp_gt_i32 s22, 6
	s_cbranch_scc0 .LBB158_1649
; %bb.1647:
	global_load_dwordx2 v[5:6], v[0:1], off
	s_mov_b64 s[4:5], 0
	s_waitcnt vmcnt(0)
	v_cmp_neq_f64_e64 s[0:1], 0, v[5:6]
	s_branch .LBB158_1650
.LBB158_1648:
	s_mov_b64 s[4:5], -1
                                        ; implicit-def: $sgpr0_sgpr1
	s_branch .LBB158_1653
.LBB158_1649:
	s_mov_b64 s[4:5], -1
                                        ; implicit-def: $sgpr0_sgpr1
.LBB158_1650:
	s_andn2_b64 vcc, exec, s[4:5]
	s_cbranch_vccnz .LBB158_1652
; %bb.1651:
	global_load_dword v5, v[0:1], off
	s_andn2_b64 s[0:1], s[0:1], exec
	s_waitcnt vmcnt(0)
	v_cmp_neq_f32_e32 vcc, 0, v5
	s_and_b64 s[4:5], vcc, exec
	s_or_b64 s[0:1], s[0:1], s[4:5]
.LBB158_1652:
	s_mov_b64 s[4:5], 0
.LBB158_1653:
	s_andn2_b64 vcc, exec, s[4:5]
	s_cbranch_vccnz .LBB158_1655
; %bb.1654:
	global_load_ushort v5, v[0:1], off
	s_andn2_b64 s[0:1], s[0:1], exec
	s_waitcnt vmcnt(0)
	v_and_b32_e32 v5, 0x7fff, v5
	v_cmp_ne_u16_e32 vcc, 0, v5
	s_and_b64 s[4:5], vcc, exec
	s_or_b64 s[0:1], s[0:1], s[4:5]
.LBB158_1655:
	s_cbranch_execnz .LBB158_1675
.LBB158_1656:
	s_cmp_lt_i32 s22, 2
	s_cbranch_scc1 .LBB158_1660
; %bb.1657:
	s_cmp_lt_i32 s22, 3
	s_cbranch_scc1 .LBB158_1661
; %bb.1658:
	s_cmp_gt_i32 s22, 3
	s_cbranch_scc0 .LBB158_1662
; %bb.1659:
	global_load_dwordx2 v[5:6], v[0:1], off
	s_mov_b64 s[4:5], 0
	s_waitcnt vmcnt(0)
	v_cmp_ne_u64_e64 s[0:1], 0, v[5:6]
	s_branch .LBB158_1663
.LBB158_1660:
	s_mov_b64 s[4:5], -1
                                        ; implicit-def: $sgpr0_sgpr1
	s_branch .LBB158_1669
.LBB158_1661:
	s_mov_b64 s[4:5], -1
                                        ; implicit-def: $sgpr0_sgpr1
	s_branch .LBB158_1666
.LBB158_1662:
	s_mov_b64 s[4:5], -1
                                        ; implicit-def: $sgpr0_sgpr1
.LBB158_1663:
	s_andn2_b64 vcc, exec, s[4:5]
	s_cbranch_vccnz .LBB158_1665
; %bb.1664:
	global_load_dword v5, v[0:1], off
	s_andn2_b64 s[0:1], s[0:1], exec
	s_waitcnt vmcnt(0)
	v_cmp_ne_u32_e32 vcc, 0, v5
	s_and_b64 s[4:5], vcc, exec
	s_or_b64 s[0:1], s[0:1], s[4:5]
.LBB158_1665:
	s_mov_b64 s[4:5], 0
.LBB158_1666:
	s_andn2_b64 vcc, exec, s[4:5]
	s_cbranch_vccnz .LBB158_1668
; %bb.1667:
	global_load_ushort v5, v[0:1], off
	s_andn2_b64 s[0:1], s[0:1], exec
	s_waitcnt vmcnt(0)
	v_cmp_ne_u16_e32 vcc, 0, v5
	s_and_b64 s[4:5], vcc, exec
	s_or_b64 s[0:1], s[0:1], s[4:5]
.LBB158_1668:
	s_mov_b64 s[4:5], 0
.LBB158_1669:
	s_andn2_b64 vcc, exec, s[4:5]
	s_cbranch_vccnz .LBB158_1675
; %bb.1670:
	s_cmp_gt_i32 s22, 0
	s_cbranch_scc0 .LBB158_1672
; %bb.1671:
	global_load_ubyte v5, v[0:1], off
	s_mov_b64 s[4:5], 0
	s_waitcnt vmcnt(0)
	v_cmp_ne_u16_e64 s[0:1], 0, v5
	s_branch .LBB158_1673
.LBB158_1672:
	s_mov_b64 s[4:5], -1
                                        ; implicit-def: $sgpr0_sgpr1
.LBB158_1673:
	s_andn2_b64 vcc, exec, s[4:5]
	s_cbranch_vccnz .LBB158_1675
; %bb.1674:
	global_load_ubyte v0, v[0:1], off
	s_andn2_b64 s[0:1], s[0:1], exec
	s_waitcnt vmcnt(0)
	v_cmp_ne_u16_e32 vcc, 0, v0
	s_and_b64 s[4:5], vcc, exec
	s_or_b64 s[0:1], s[0:1], s[4:5]
.LBB158_1675:
.LBB158_1676:
	s_cmp_lt_i32 s15, 1
	s_mov_b64 s[22:23], 0
	s_cbranch_scc1 .LBB158_1680
; %bb.1677:
	s_cmp_gt_i32 s15, 1
	s_cbranch_scc0 .LBB158_1681
; %bb.1678:
	s_cmp_eq_u32 s15, 2
	s_cbranch_scc0 .LBB158_1682
; %bb.1679:
	s_xor_b64 s[4:5], s[20:21], -1
	s_or_b64 s[4:5], s[0:1], s[4:5]
	s_mov_b64 s[24:25], 0
	s_branch .LBB158_1683
.LBB158_1680:
                                        ; implicit-def: $sgpr4_sgpr5
	s_mov_b64 s[24:25], 0
	s_cbranch_execnz .LBB158_1687
	s_branch .LBB158_1688
.LBB158_1681:
	s_mov_b64 s[26:27], -1
	s_mov_b64 s[24:25], 0
                                        ; implicit-def: $sgpr4_sgpr5
	s_branch .LBB158_1684
.LBB158_1682:
	s_mov_b64 s[24:25], -1
                                        ; implicit-def: $sgpr4_sgpr5
.LBB158_1683:
	s_mov_b64 s[26:27], 0
.LBB158_1684:
	s_and_b64 vcc, exec, s[26:27]
	s_cbranch_vccz .LBB158_1686
; %bb.1685:
	s_xor_b64 s[26:27], s[0:1], -1
	s_and_b64 s[26:27], s[20:21], s[26:27]
	s_andn2_b64 s[4:5], s[4:5], exec
	s_and_b64 s[26:27], s[26:27], exec
	s_or_b64 s[4:5], s[4:5], s[26:27]
.LBB158_1686:
	s_branch .LBB158_1688
.LBB158_1687:
	s_cmp_lg_u32 s15, 0
	s_mov_b64 s[22:23], -1
	s_cselect_b64 s[24:25], -1, 0
.LBB158_1688:
	s_andn2_b64 vcc, exec, s[24:25]
	s_cbranch_vccnz .LBB158_1690
; %bb.1689:
	s_xor_b64 s[22:23], s[20:21], -1
	s_and_b64 s[24:25], s[0:1], s[22:23]
	s_andn2_b64 s[4:5], s[4:5], exec
	s_and_b64 s[24:25], s[24:25], exec
	s_or_b64 s[4:5], s[4:5], s[24:25]
	s_cbranch_execz .LBB158_1691
	s_branch .LBB158_1692
.LBB158_1690:
	s_andn2_b64 vcc, exec, s[22:23]
	s_cbranch_vccnz .LBB158_1692
.LBB158_1691:
	s_xor_b64 s[0:1], s[0:1], -1
	s_or_b64 s[0:1], s[20:21], s[0:1]
	s_andn2_b64 s[4:5], s[4:5], exec
	s_and_b64 s[0:1], s[0:1], exec
	s_or_b64 s[4:5], s[4:5], s[0:1]
.LBB158_1692:
	s_lshl_b32 s13, s13, 7
	v_add_u32_e32 v3, s13, v3
	v_ashrrev_i32_e32 v1, 31, v3
	v_mov_b32_e32 v5, s11
	v_add_co_u32_e32 v0, vcc, s10, v3
	s_cmp_lt_i32 s34, 11
	v_addc_co_u32_e32 v1, vcc, v5, v1, vcc
	s_cbranch_scc1 .LBB158_1699
; %bb.1693:
	s_and_b32 s28, 0xffff, s34
	s_cmp_gt_i32 s28, 25
	s_mov_b64 s[24:25], 0
	s_cbranch_scc0 .LBB158_1701
; %bb.1694:
	s_cmp_gt_i32 s28, 28
	s_cbranch_scc0 .LBB158_1702
; %bb.1695:
	s_cmp_gt_i32 s28, 43
	;; [unrolled: 3-line block ×3, first 2 shown]
	s_cbranch_scc0 .LBB158_1705
; %bb.1697:
	s_cmp_eq_u32 s28, 46
	s_mov_b64 s[26:27], 0
	s_cbranch_scc0 .LBB158_1706
; %bb.1698:
	global_load_dword v5, v[0:1], off
	s_mov_b64 s[0:1], 0
	s_mov_b64 s[20:21], -1
	s_waitcnt vmcnt(0)
	v_and_b32_e32 v5, 0x7fff7fff, v5
	v_cmp_ne_u32_e64 s[22:23], 0, v5
	s_branch .LBB158_1707
.LBB158_1699:
	s_mov_b64 s[20:21], 0
                                        ; implicit-def: $sgpr22_sgpr23
	s_cbranch_execnz .LBB158_1755
.LBB158_1700:
	s_andn2_b64 vcc, exec, s[20:21]
	s_cbranch_vccnz .LBB158_2403
	s_branch .LBB158_1803
.LBB158_1701:
	s_mov_b64 s[26:27], -1
	s_mov_b64 s[20:21], 0
	s_mov_b64 s[0:1], 0
                                        ; implicit-def: $sgpr22_sgpr23
	s_branch .LBB158_1728
.LBB158_1702:
	s_mov_b64 s[26:27], -1
	s_mov_b64 s[20:21], 0
	s_mov_b64 s[0:1], 0
                                        ; implicit-def: $sgpr22_sgpr23
	s_branch .LBB158_1715
.LBB158_1703:
	s_mov_b64 s[26:27], -1
	s_mov_b64 s[20:21], 0
	s_mov_b64 s[0:1], 0
                                        ; implicit-def: $sgpr22_sgpr23
	s_branch .LBB158_1710
.LBB158_1704:
	s_trap 2
	s_mov_b64 s[22:23], 0
	s_or_b64 s[18:19], s[18:19], exec
	s_cbranch_execz .LBB158_1627
	s_branch .LBB158_1628
.LBB158_1705:
	s_mov_b64 s[26:27], -1
	s_mov_b64 s[20:21], 0
	s_mov_b64 s[0:1], 0
                                        ; implicit-def: $sgpr22_sgpr23
	s_branch .LBB158_1707
.LBB158_1706:
	s_mov_b64 s[0:1], -1
                                        ; implicit-def: $sgpr22_sgpr23
	s_mov_b64 s[20:21], 0
.LBB158_1707:
	s_and_b64 vcc, exec, s[26:27]
	s_cbranch_vccz .LBB158_1709
; %bb.1708:
	s_cmp_lg_u32 s28, 44
	s_mov_b64 s[20:21], -1
	s_cselect_b64 s[0:1], -1, 0
	s_or_b64 s[22:23], s[22:23], exec
.LBB158_1709:
	s_mov_b64 s[26:27], 0
.LBB158_1710:
	s_and_b64 vcc, exec, s[26:27]
	s_cbranch_vccz .LBB158_1714
; %bb.1711:
	s_cmp_eq_u32 s28, 29
	s_cbranch_scc0 .LBB158_1713
; %bb.1712:
	global_load_dwordx2 v[5:6], v[0:1], off
	s_mov_b64 s[0:1], 0
	s_mov_b64 s[20:21], -1
	s_mov_b64 s[26:27], 0
	s_waitcnt vmcnt(0)
	v_cmp_ne_u64_e64 s[22:23], 0, v[5:6]
	s_branch .LBB158_1715
.LBB158_1713:
	s_mov_b64 s[0:1], -1
                                        ; implicit-def: $sgpr22_sgpr23
.LBB158_1714:
	s_mov_b64 s[26:27], 0
.LBB158_1715:
	s_and_b64 vcc, exec, s[26:27]
	s_cbranch_vccz .LBB158_1727
; %bb.1716:
	s_cmp_lt_i32 s28, 27
	s_cbranch_scc1 .LBB158_1719
; %bb.1717:
	s_cmp_gt_i32 s28, 27
	s_cbranch_scc0 .LBB158_1720
; %bb.1718:
	global_load_dword v5, v[0:1], off
	s_mov_b64 s[20:21], 0
	s_waitcnt vmcnt(0)
	v_cmp_ne_u32_e64 s[22:23], 0, v5
	s_branch .LBB158_1721
.LBB158_1719:
	s_mov_b64 s[20:21], -1
                                        ; implicit-def: $sgpr22_sgpr23
	s_branch .LBB158_1724
.LBB158_1720:
	s_mov_b64 s[20:21], -1
                                        ; implicit-def: $sgpr22_sgpr23
.LBB158_1721:
	s_andn2_b64 vcc, exec, s[20:21]
	s_cbranch_vccnz .LBB158_1723
; %bb.1722:
	global_load_ushort v5, v[0:1], off
	s_andn2_b64 s[20:21], s[22:23], exec
	s_waitcnt vmcnt(0)
	v_cmp_ne_u16_e32 vcc, 0, v5
	s_and_b64 s[22:23], vcc, exec
	s_or_b64 s[22:23], s[20:21], s[22:23]
.LBB158_1723:
	s_mov_b64 s[20:21], 0
.LBB158_1724:
	s_andn2_b64 vcc, exec, s[20:21]
	s_cbranch_vccnz .LBB158_1726
; %bb.1725:
	global_load_ubyte v5, v[0:1], off
	s_andn2_b64 s[20:21], s[22:23], exec
	s_waitcnt vmcnt(0)
	v_cmp_ne_u16_e32 vcc, 0, v5
	s_and_b64 s[22:23], vcc, exec
	s_or_b64 s[22:23], s[20:21], s[22:23]
.LBB158_1726:
	s_mov_b64 s[20:21], -1
.LBB158_1727:
	s_mov_b64 s[26:27], 0
.LBB158_1728:
	s_and_b64 vcc, exec, s[26:27]
	s_cbranch_vccz .LBB158_1751
; %bb.1729:
	s_cmp_gt_i32 s28, 22
	s_cbranch_scc0 .LBB158_1733
; %bb.1730:
	s_cmp_lt_i32 s28, 24
	s_cbranch_scc1 .LBB158_1734
; %bb.1731:
	s_cmp_gt_i32 s28, 24
	s_cbranch_scc0 .LBB158_1735
; %bb.1732:
	global_load_ubyte v5, v[0:1], off
	s_mov_b64 s[20:21], 0
	s_waitcnt vmcnt(0)
	v_cmp_ne_u16_e64 s[22:23], 0, v5
	s_branch .LBB158_1736
.LBB158_1733:
	s_mov_b64 s[24:25], -1
                                        ; implicit-def: $sgpr22_sgpr23
	s_branch .LBB158_1742
.LBB158_1734:
	s_mov_b64 s[20:21], -1
                                        ; implicit-def: $sgpr22_sgpr23
	s_branch .LBB158_1739
.LBB158_1735:
	s_mov_b64 s[20:21], -1
                                        ; implicit-def: $sgpr22_sgpr23
.LBB158_1736:
	s_andn2_b64 vcc, exec, s[20:21]
	s_cbranch_vccnz .LBB158_1738
; %bb.1737:
	global_load_ubyte v5, v[0:1], off
	s_andn2_b64 s[20:21], s[22:23], exec
	s_waitcnt vmcnt(0)
	v_and_b32_e32 v5, 0x7f, v5
	v_cmp_ne_u16_e32 vcc, 0, v5
	s_and_b64 s[22:23], vcc, exec
	s_or_b64 s[22:23], s[20:21], s[22:23]
.LBB158_1738:
	s_mov_b64 s[20:21], 0
.LBB158_1739:
	s_andn2_b64 vcc, exec, s[20:21]
	s_cbranch_vccnz .LBB158_1741
; %bb.1740:
	global_load_ubyte v5, v[0:1], off
	s_movk_i32 s20, 0x7f00
	s_brev_b32 s21, 16
	s_waitcnt vmcnt(0)
	v_lshlrev_b32_e32 v6, 8, v5
	v_lshlrev_b32_e32 v5, 25, v5
	v_lshrrev_b32_e32 v7, 4, v5
	v_and_or_b32 v6, v6, s20, 0.5
	v_or_b32_e32 v7, 0x70000000, v7
	v_add_f32_e32 v6, -0.5, v6
	v_mul_f32_e32 v7, 0x7800000, v7
	v_cmp_gt_u32_e32 vcc, s21, v5
	v_cndmask_b32_e32 v5, v7, v6, vcc
	v_cmp_neq_f32_e32 vcc, 0, v5
	s_andn2_b64 s[20:21], s[22:23], exec
	s_and_b64 s[22:23], vcc, exec
	s_or_b64 s[22:23], s[20:21], s[22:23]
.LBB158_1741:
	s_mov_b64 s[20:21], -1
.LBB158_1742:
	s_andn2_b64 vcc, exec, s[24:25]
	s_mov_b64 s[24:25], 0
	s_cbranch_vccnz .LBB158_1751
; %bb.1743:
	s_cmp_gt_i32 s28, 14
	s_cbranch_scc0 .LBB158_1746
; %bb.1744:
	s_cmp_eq_u32 s28, 15
	s_cbranch_scc0 .LBB158_1747
; %bb.1745:
	global_load_ushort v5, v[0:1], off
	s_mov_b64 s[0:1], 0
	s_mov_b64 s[20:21], -1
	s_waitcnt vmcnt(0)
	v_and_b32_e32 v5, 0x7fff, v5
	v_cmp_ne_u16_e64 s[22:23], 0, v5
	s_branch .LBB158_1748
.LBB158_1746:
	s_mov_b64 s[26:27], -1
                                        ; implicit-def: $sgpr22_sgpr23
	s_branch .LBB158_1749
.LBB158_1747:
	s_mov_b64 s[0:1], -1
                                        ; implicit-def: $sgpr22_sgpr23
.LBB158_1748:
	s_mov_b64 s[26:27], 0
.LBB158_1749:
	s_and_b64 vcc, exec, s[26:27]
	s_cbranch_vccz .LBB158_1751
; %bb.1750:
	s_cmp_lg_u32 s28, 11
	s_mov_b64 s[24:25], -1
	s_cselect_b64 s[0:1], -1, 0
.LBB158_1751:
	s_and_b64 vcc, exec, s[0:1]
	s_cbranch_vccnz .LBB158_1814
; %bb.1752:
	s_andn2_b64 vcc, exec, s[24:25]
	s_cbranch_vccnz .LBB158_1754
.LBB158_1753:
	global_load_ubyte v5, v[0:1], off
	s_andn2_b64 s[0:1], s[22:23], exec
	s_mov_b64 s[20:21], -1
	s_waitcnt vmcnt(0)
	v_cmp_ne_u16_e32 vcc, 0, v5
	s_and_b64 s[22:23], vcc, exec
	s_or_b64 s[22:23], s[0:1], s[22:23]
.LBB158_1754:
	s_branch .LBB158_1700
.LBB158_1755:
	s_and_b32 s24, 0xffff, s34
	s_cmp_lt_i32 s24, 5
	s_cbranch_scc1 .LBB158_1760
; %bb.1756:
	s_cmp_lt_i32 s24, 8
	s_cbranch_scc1 .LBB158_1761
; %bb.1757:
	;; [unrolled: 3-line block ×3, first 2 shown]
	s_cmp_gt_i32 s24, 9
	s_cbranch_scc0 .LBB158_1763
; %bb.1759:
	global_load_dwordx4 v[5:8], v[0:1], off
	s_mov_b64 s[20:21], 0
	s_waitcnt vmcnt(0)
	v_cmp_neq_f64_e32 vcc, 0, v[5:6]
	v_cmp_neq_f64_e64 s[0:1], 0, v[7:8]
	s_or_b64 s[22:23], vcc, s[0:1]
	s_branch .LBB158_1764
.LBB158_1760:
	s_mov_b64 s[0:1], -1
                                        ; implicit-def: $sgpr22_sgpr23
	s_branch .LBB158_1782
.LBB158_1761:
	s_mov_b64 s[0:1], -1
                                        ; implicit-def: $sgpr22_sgpr23
	s_branch .LBB158_1770
.LBB158_1762:
	s_mov_b64 s[0:1], -1
                                        ; implicit-def: $sgpr22_sgpr23
	s_branch .LBB158_1767
.LBB158_1763:
	s_mov_b64 s[20:21], -1
                                        ; implicit-def: $sgpr22_sgpr23
.LBB158_1764:
	s_andn2_b64 vcc, exec, s[20:21]
	s_cbranch_vccnz .LBB158_1766
; %bb.1765:
	global_load_dwordx2 v[5:6], v[0:1], off
	s_andn2_b64 s[0:1], s[22:23], exec
	s_waitcnt vmcnt(0)
	v_or_b32_e32 v5, v5, v6
	v_and_b32_e32 v5, 0x7fffffff, v5
	v_cmp_ne_u32_e32 vcc, 0, v5
	s_and_b64 s[20:21], vcc, exec
	s_or_b64 s[22:23], s[0:1], s[20:21]
.LBB158_1766:
	s_mov_b64 s[0:1], 0
.LBB158_1767:
	s_andn2_b64 vcc, exec, s[0:1]
	s_cbranch_vccnz .LBB158_1769
; %bb.1768:
	global_load_dword v5, v[0:1], off
	s_andn2_b64 s[0:1], s[22:23], exec
	s_waitcnt vmcnt(0)
	v_and_b32_e32 v5, 0x7fff7fff, v5
	v_cmp_ne_u32_e32 vcc, 0, v5
	s_and_b64 s[20:21], vcc, exec
	s_or_b64 s[22:23], s[0:1], s[20:21]
.LBB158_1769:
	s_mov_b64 s[0:1], 0
.LBB158_1770:
	s_andn2_b64 vcc, exec, s[0:1]
	s_cbranch_vccnz .LBB158_1781
; %bb.1771:
	s_cmp_lt_i32 s24, 6
	s_cbranch_scc1 .LBB158_1774
; %bb.1772:
	s_cmp_gt_i32 s24, 6
	s_cbranch_scc0 .LBB158_1775
; %bb.1773:
	global_load_dwordx2 v[5:6], v[0:1], off
	s_mov_b64 s[0:1], 0
	s_waitcnt vmcnt(0)
	v_cmp_neq_f64_e64 s[22:23], 0, v[5:6]
	s_branch .LBB158_1776
.LBB158_1774:
	s_mov_b64 s[0:1], -1
                                        ; implicit-def: $sgpr22_sgpr23
	s_branch .LBB158_1779
.LBB158_1775:
	s_mov_b64 s[0:1], -1
                                        ; implicit-def: $sgpr22_sgpr23
.LBB158_1776:
	s_andn2_b64 vcc, exec, s[0:1]
	s_cbranch_vccnz .LBB158_1778
; %bb.1777:
	global_load_dword v5, v[0:1], off
	s_andn2_b64 s[0:1], s[22:23], exec
	s_waitcnt vmcnt(0)
	v_cmp_neq_f32_e32 vcc, 0, v5
	s_and_b64 s[20:21], vcc, exec
	s_or_b64 s[22:23], s[0:1], s[20:21]
.LBB158_1778:
	s_mov_b64 s[0:1], 0
.LBB158_1779:
	s_andn2_b64 vcc, exec, s[0:1]
	s_cbranch_vccnz .LBB158_1781
; %bb.1780:
	global_load_ushort v5, v[0:1], off
	s_andn2_b64 s[0:1], s[22:23], exec
	s_waitcnt vmcnt(0)
	v_and_b32_e32 v5, 0x7fff, v5
	v_cmp_ne_u16_e32 vcc, 0, v5
	s_and_b64 s[20:21], vcc, exec
	s_or_b64 s[22:23], s[0:1], s[20:21]
.LBB158_1781:
	s_mov_b64 s[0:1], 0
.LBB158_1782:
	s_andn2_b64 vcc, exec, s[0:1]
	s_cbranch_vccnz .LBB158_1802
; %bb.1783:
	s_cmp_lt_i32 s24, 2
	s_cbranch_scc1 .LBB158_1787
; %bb.1784:
	s_cmp_lt_i32 s24, 3
	s_cbranch_scc1 .LBB158_1788
; %bb.1785:
	s_cmp_gt_i32 s24, 3
	s_cbranch_scc0 .LBB158_1789
; %bb.1786:
	global_load_dwordx2 v[5:6], v[0:1], off
	s_mov_b64 s[0:1], 0
	s_waitcnt vmcnt(0)
	v_cmp_ne_u64_e64 s[22:23], 0, v[5:6]
	s_branch .LBB158_1790
.LBB158_1787:
	s_mov_b64 s[0:1], -1
                                        ; implicit-def: $sgpr22_sgpr23
	s_branch .LBB158_1796
.LBB158_1788:
	s_mov_b64 s[0:1], -1
                                        ; implicit-def: $sgpr22_sgpr23
	s_branch .LBB158_1793
.LBB158_1789:
	s_mov_b64 s[0:1], -1
                                        ; implicit-def: $sgpr22_sgpr23
.LBB158_1790:
	s_andn2_b64 vcc, exec, s[0:1]
	s_cbranch_vccnz .LBB158_1792
; %bb.1791:
	global_load_dword v5, v[0:1], off
	s_andn2_b64 s[0:1], s[22:23], exec
	s_waitcnt vmcnt(0)
	v_cmp_ne_u32_e32 vcc, 0, v5
	s_and_b64 s[20:21], vcc, exec
	s_or_b64 s[22:23], s[0:1], s[20:21]
.LBB158_1792:
	s_mov_b64 s[0:1], 0
.LBB158_1793:
	s_andn2_b64 vcc, exec, s[0:1]
	s_cbranch_vccnz .LBB158_1795
; %bb.1794:
	global_load_ushort v5, v[0:1], off
	s_andn2_b64 s[0:1], s[22:23], exec
	s_waitcnt vmcnt(0)
	v_cmp_ne_u16_e32 vcc, 0, v5
	s_and_b64 s[20:21], vcc, exec
	s_or_b64 s[22:23], s[0:1], s[20:21]
.LBB158_1795:
	s_mov_b64 s[0:1], 0
.LBB158_1796:
	s_andn2_b64 vcc, exec, s[0:1]
	s_cbranch_vccnz .LBB158_1802
; %bb.1797:
	s_cmp_gt_i32 s24, 0
	s_cbranch_scc0 .LBB158_1799
; %bb.1798:
	global_load_ubyte v5, v[0:1], off
	s_mov_b64 s[0:1], 0
	s_waitcnt vmcnt(0)
	v_cmp_ne_u16_e64 s[22:23], 0, v5
	s_branch .LBB158_1800
.LBB158_1799:
	s_mov_b64 s[0:1], -1
                                        ; implicit-def: $sgpr22_sgpr23
.LBB158_1800:
	s_andn2_b64 vcc, exec, s[0:1]
	s_cbranch_vccnz .LBB158_1802
; %bb.1801:
	global_load_ubyte v0, v[0:1], off
	s_andn2_b64 s[0:1], s[22:23], exec
	s_waitcnt vmcnt(0)
	v_cmp_ne_u16_e32 vcc, 0, v0
	s_and_b64 s[20:21], vcc, exec
	s_or_b64 s[22:23], s[0:1], s[20:21]
.LBB158_1802:
.LBB158_1803:
	s_lshl_b32 s14, s14, 7
	v_add_u32_e32 v4, s14, v4
	v_ashrrev_i32_e32 v1, 31, v4
	v_mov_b32_e32 v5, s3
	v_add_co_u32_e32 v0, vcc, s2, v4
	s_cmp_lt_i32 s35, 11
	v_addc_co_u32_e32 v1, vcc, v5, v1, vcc
	s_cbranch_scc1 .LBB158_1810
; %bb.1804:
	s_and_b32 s30, 0xffff, s35
	s_cmp_gt_i32 s30, 25
	s_mov_b64 s[26:27], 0
	s_cbranch_scc0 .LBB158_1811
; %bb.1805:
	s_cmp_gt_i32 s30, 28
	s_cbranch_scc0 .LBB158_1812
; %bb.1806:
	s_cmp_gt_i32 s30, 43
	;; [unrolled: 3-line block ×3, first 2 shown]
	s_cbranch_scc0 .LBB158_1815
; %bb.1808:
	s_cmp_eq_u32 s30, 46
	s_mov_b64 s[28:29], 0
	s_cbranch_scc0 .LBB158_1816
; %bb.1809:
	global_load_dword v5, v[0:1], off
	s_mov_b64 s[20:21], 0
	s_mov_b64 s[24:25], -1
	s_waitcnt vmcnt(0)
	v_and_b32_e32 v5, 0x7fff7fff, v5
	v_cmp_ne_u32_e64 s[0:1], 0, v5
	s_branch .LBB158_1817
.LBB158_1810:
	s_mov_b64 s[20:21], -1
	s_mov_b64 s[24:25], 0
                                        ; implicit-def: $sgpr0_sgpr1
	s_branch .LBB158_1865
.LBB158_1811:
	s_mov_b64 s[28:29], -1
	s_mov_b64 s[24:25], 0
	s_mov_b64 s[20:21], 0
                                        ; implicit-def: $sgpr0_sgpr1
	s_branch .LBB158_1838
.LBB158_1812:
	s_mov_b64 s[28:29], -1
	s_mov_b64 s[24:25], 0
	s_mov_b64 s[20:21], 0
                                        ; implicit-def: $sgpr0_sgpr1
	s_branch .LBB158_1825
.LBB158_1813:
	s_mov_b64 s[28:29], -1
	s_mov_b64 s[24:25], 0
	s_mov_b64 s[20:21], 0
                                        ; implicit-def: $sgpr0_sgpr1
	s_branch .LBB158_1820
.LBB158_1814:
	s_trap 2
	s_mov_b64 s[20:21], 0
	s_or_b64 s[18:19], s[18:19], exec
	s_cbranch_execz .LBB158_1753
	s_branch .LBB158_1754
.LBB158_1815:
	s_mov_b64 s[28:29], -1
	s_mov_b64 s[24:25], 0
	s_mov_b64 s[20:21], 0
                                        ; implicit-def: $sgpr0_sgpr1
	s_branch .LBB158_1817
.LBB158_1816:
	s_mov_b64 s[20:21], -1
                                        ; implicit-def: $sgpr0_sgpr1
	s_mov_b64 s[24:25], 0
.LBB158_1817:
	s_and_b64 vcc, exec, s[28:29]
	s_cbranch_vccz .LBB158_1819
; %bb.1818:
	s_cmp_lg_u32 s30, 44
	s_mov_b64 s[24:25], -1
	s_cselect_b64 s[20:21], -1, 0
	s_or_b64 s[0:1], s[0:1], exec
.LBB158_1819:
	s_mov_b64 s[28:29], 0
.LBB158_1820:
	s_and_b64 vcc, exec, s[28:29]
	s_cbranch_vccz .LBB158_1824
; %bb.1821:
	s_cmp_eq_u32 s30, 29
	s_cbranch_scc0 .LBB158_1823
; %bb.1822:
	global_load_dwordx2 v[5:6], v[0:1], off
	s_mov_b64 s[20:21], 0
	s_mov_b64 s[24:25], -1
	s_mov_b64 s[28:29], 0
	s_waitcnt vmcnt(0)
	v_cmp_ne_u64_e64 s[0:1], 0, v[5:6]
	s_branch .LBB158_1825
.LBB158_1823:
	s_mov_b64 s[20:21], -1
                                        ; implicit-def: $sgpr0_sgpr1
.LBB158_1824:
	s_mov_b64 s[28:29], 0
.LBB158_1825:
	s_and_b64 vcc, exec, s[28:29]
	s_cbranch_vccz .LBB158_1837
; %bb.1826:
	s_cmp_lt_i32 s30, 27
	s_cbranch_scc1 .LBB158_1829
; %bb.1827:
	s_cmp_gt_i32 s30, 27
	s_cbranch_scc0 .LBB158_1830
; %bb.1828:
	global_load_dword v5, v[0:1], off
	s_mov_b64 s[24:25], 0
	s_waitcnt vmcnt(0)
	v_cmp_ne_u32_e64 s[0:1], 0, v5
	s_branch .LBB158_1831
.LBB158_1829:
	s_mov_b64 s[24:25], -1
                                        ; implicit-def: $sgpr0_sgpr1
	s_branch .LBB158_1834
.LBB158_1830:
	s_mov_b64 s[24:25], -1
                                        ; implicit-def: $sgpr0_sgpr1
.LBB158_1831:
	s_andn2_b64 vcc, exec, s[24:25]
	s_cbranch_vccnz .LBB158_1833
; %bb.1832:
	global_load_ushort v5, v[0:1], off
	s_andn2_b64 s[0:1], s[0:1], exec
	s_waitcnt vmcnt(0)
	v_cmp_ne_u16_e32 vcc, 0, v5
	s_and_b64 s[24:25], vcc, exec
	s_or_b64 s[0:1], s[0:1], s[24:25]
.LBB158_1833:
	s_mov_b64 s[24:25], 0
.LBB158_1834:
	s_andn2_b64 vcc, exec, s[24:25]
	s_cbranch_vccnz .LBB158_1836
; %bb.1835:
	global_load_ubyte v5, v[0:1], off
	s_andn2_b64 s[0:1], s[0:1], exec
	s_waitcnt vmcnt(0)
	v_cmp_ne_u16_e32 vcc, 0, v5
	s_and_b64 s[24:25], vcc, exec
	s_or_b64 s[0:1], s[0:1], s[24:25]
.LBB158_1836:
	s_mov_b64 s[24:25], -1
.LBB158_1837:
	s_mov_b64 s[28:29], 0
.LBB158_1838:
	s_and_b64 vcc, exec, s[28:29]
	s_cbranch_vccz .LBB158_1861
; %bb.1839:
	s_cmp_gt_i32 s30, 22
	s_cbranch_scc0 .LBB158_1843
; %bb.1840:
	s_cmp_lt_i32 s30, 24
	s_cbranch_scc1 .LBB158_1844
; %bb.1841:
	s_cmp_gt_i32 s30, 24
	s_cbranch_scc0 .LBB158_1845
; %bb.1842:
	global_load_ubyte v5, v[0:1], off
	s_mov_b64 s[24:25], 0
	s_waitcnt vmcnt(0)
	v_cmp_ne_u16_e64 s[0:1], 0, v5
	s_branch .LBB158_1846
.LBB158_1843:
	s_mov_b64 s[26:27], -1
                                        ; implicit-def: $sgpr0_sgpr1
	s_branch .LBB158_1852
.LBB158_1844:
	s_mov_b64 s[24:25], -1
                                        ; implicit-def: $sgpr0_sgpr1
	s_branch .LBB158_1849
.LBB158_1845:
	s_mov_b64 s[24:25], -1
                                        ; implicit-def: $sgpr0_sgpr1
.LBB158_1846:
	s_andn2_b64 vcc, exec, s[24:25]
	s_cbranch_vccnz .LBB158_1848
; %bb.1847:
	global_load_ubyte v5, v[0:1], off
	s_andn2_b64 s[0:1], s[0:1], exec
	s_waitcnt vmcnt(0)
	v_and_b32_e32 v5, 0x7f, v5
	v_cmp_ne_u16_e32 vcc, 0, v5
	s_and_b64 s[24:25], vcc, exec
	s_or_b64 s[0:1], s[0:1], s[24:25]
.LBB158_1848:
	s_mov_b64 s[24:25], 0
.LBB158_1849:
	s_andn2_b64 vcc, exec, s[24:25]
	s_cbranch_vccnz .LBB158_1851
; %bb.1850:
	global_load_ubyte v5, v[0:1], off
	s_movk_i32 s24, 0x7f00
	s_brev_b32 s25, 16
	s_andn2_b64 s[0:1], s[0:1], exec
	s_waitcnt vmcnt(0)
	v_lshlrev_b32_e32 v6, 8, v5
	v_lshlrev_b32_e32 v5, 25, v5
	v_lshrrev_b32_e32 v7, 4, v5
	v_and_or_b32 v6, v6, s24, 0.5
	v_or_b32_e32 v7, 0x70000000, v7
	v_add_f32_e32 v6, -0.5, v6
	v_mul_f32_e32 v7, 0x7800000, v7
	v_cmp_gt_u32_e32 vcc, s25, v5
	v_cndmask_b32_e32 v5, v7, v6, vcc
	v_cmp_neq_f32_e32 vcc, 0, v5
	s_and_b64 s[24:25], vcc, exec
	s_or_b64 s[0:1], s[0:1], s[24:25]
.LBB158_1851:
	s_mov_b64 s[24:25], -1
.LBB158_1852:
	s_andn2_b64 vcc, exec, s[26:27]
	s_mov_b64 s[26:27], 0
	s_cbranch_vccnz .LBB158_1861
; %bb.1853:
	s_cmp_gt_i32 s30, 14
	s_cbranch_scc0 .LBB158_1856
; %bb.1854:
	s_cmp_eq_u32 s30, 15
	s_cbranch_scc0 .LBB158_1857
; %bb.1855:
	global_load_ushort v5, v[0:1], off
	s_mov_b64 s[20:21], 0
	s_mov_b64 s[24:25], -1
	s_waitcnt vmcnt(0)
	v_and_b32_e32 v5, 0x7fff, v5
	v_cmp_ne_u16_e64 s[0:1], 0, v5
	s_branch .LBB158_1858
.LBB158_1856:
	s_mov_b64 s[28:29], -1
                                        ; implicit-def: $sgpr0_sgpr1
	s_branch .LBB158_1859
.LBB158_1857:
	s_mov_b64 s[20:21], -1
                                        ; implicit-def: $sgpr0_sgpr1
.LBB158_1858:
	s_mov_b64 s[28:29], 0
.LBB158_1859:
	s_and_b64 vcc, exec, s[28:29]
	s_cbranch_vccz .LBB158_1861
; %bb.1860:
	s_cmp_lg_u32 s30, 11
	s_mov_b64 s[26:27], -1
	s_cselect_b64 s[20:21], -1, 0
.LBB158_1861:
	s_and_b64 vcc, exec, s[20:21]
	s_cbranch_vccnz .LBB158_1943
; %bb.1862:
	s_andn2_b64 vcc, exec, s[26:27]
	s_cbranch_vccnz .LBB158_1864
.LBB158_1863:
	global_load_ubyte v5, v[0:1], off
	s_andn2_b64 s[0:1], s[0:1], exec
	s_mov_b64 s[24:25], -1
	s_waitcnt vmcnt(0)
	v_cmp_ne_u16_e32 vcc, 0, v5
	s_and_b64 s[20:21], vcc, exec
	s_or_b64 s[0:1], s[0:1], s[20:21]
.LBB158_1864:
	s_mov_b64 s[20:21], 0
.LBB158_1865:
	s_and_b64 vcc, exec, s[20:21]
	s_cbranch_vccz .LBB158_1914
; %bb.1866:
	s_and_b32 s24, 0xffff, s35
	s_cmp_lt_i32 s24, 5
	s_cbranch_scc1 .LBB158_1871
; %bb.1867:
	s_cmp_lt_i32 s24, 8
	s_cbranch_scc1 .LBB158_1872
; %bb.1868:
	;; [unrolled: 3-line block ×3, first 2 shown]
	s_cmp_gt_i32 s24, 9
	s_cbranch_scc0 .LBB158_1874
; %bb.1870:
	global_load_dwordx4 v[5:8], v[0:1], off
	s_mov_b64 s[20:21], 0
	s_waitcnt vmcnt(0)
	v_cmp_neq_f64_e32 vcc, 0, v[5:6]
	v_cmp_neq_f64_e64 s[0:1], 0, v[7:8]
	s_or_b64 s[0:1], vcc, s[0:1]
	s_branch .LBB158_1875
.LBB158_1871:
	s_mov_b64 s[20:21], -1
                                        ; implicit-def: $sgpr0_sgpr1
	s_branch .LBB158_1893
.LBB158_1872:
	s_mov_b64 s[20:21], -1
                                        ; implicit-def: $sgpr0_sgpr1
	s_branch .LBB158_1881
.LBB158_1873:
	s_mov_b64 s[20:21], -1
                                        ; implicit-def: $sgpr0_sgpr1
	s_branch .LBB158_1878
.LBB158_1874:
	s_mov_b64 s[20:21], -1
                                        ; implicit-def: $sgpr0_sgpr1
.LBB158_1875:
	s_andn2_b64 vcc, exec, s[20:21]
	s_cbranch_vccnz .LBB158_1877
; %bb.1876:
	global_load_dwordx2 v[5:6], v[0:1], off
	s_andn2_b64 s[0:1], s[0:1], exec
	s_waitcnt vmcnt(0)
	v_or_b32_e32 v5, v5, v6
	v_and_b32_e32 v5, 0x7fffffff, v5
	v_cmp_ne_u32_e32 vcc, 0, v5
	s_and_b64 s[20:21], vcc, exec
	s_or_b64 s[0:1], s[0:1], s[20:21]
.LBB158_1877:
	s_mov_b64 s[20:21], 0
.LBB158_1878:
	s_andn2_b64 vcc, exec, s[20:21]
	s_cbranch_vccnz .LBB158_1880
; %bb.1879:
	global_load_dword v5, v[0:1], off
	s_andn2_b64 s[0:1], s[0:1], exec
	s_waitcnt vmcnt(0)
	v_and_b32_e32 v5, 0x7fff7fff, v5
	v_cmp_ne_u32_e32 vcc, 0, v5
	s_and_b64 s[20:21], vcc, exec
	s_or_b64 s[0:1], s[0:1], s[20:21]
.LBB158_1880:
	s_mov_b64 s[20:21], 0
.LBB158_1881:
	s_andn2_b64 vcc, exec, s[20:21]
	s_cbranch_vccnz .LBB158_1892
; %bb.1882:
	s_cmp_lt_i32 s24, 6
	s_cbranch_scc1 .LBB158_1885
; %bb.1883:
	s_cmp_gt_i32 s24, 6
	s_cbranch_scc0 .LBB158_1886
; %bb.1884:
	global_load_dwordx2 v[5:6], v[0:1], off
	s_mov_b64 s[20:21], 0
	s_waitcnt vmcnt(0)
	v_cmp_neq_f64_e64 s[0:1], 0, v[5:6]
	s_branch .LBB158_1887
.LBB158_1885:
	s_mov_b64 s[20:21], -1
                                        ; implicit-def: $sgpr0_sgpr1
	s_branch .LBB158_1890
.LBB158_1886:
	s_mov_b64 s[20:21], -1
                                        ; implicit-def: $sgpr0_sgpr1
.LBB158_1887:
	s_andn2_b64 vcc, exec, s[20:21]
	s_cbranch_vccnz .LBB158_1889
; %bb.1888:
	global_load_dword v5, v[0:1], off
	s_andn2_b64 s[0:1], s[0:1], exec
	s_waitcnt vmcnt(0)
	v_cmp_neq_f32_e32 vcc, 0, v5
	s_and_b64 s[20:21], vcc, exec
	s_or_b64 s[0:1], s[0:1], s[20:21]
.LBB158_1889:
	s_mov_b64 s[20:21], 0
.LBB158_1890:
	s_andn2_b64 vcc, exec, s[20:21]
	s_cbranch_vccnz .LBB158_1892
; %bb.1891:
	global_load_ushort v5, v[0:1], off
	s_andn2_b64 s[0:1], s[0:1], exec
	s_waitcnt vmcnt(0)
	v_and_b32_e32 v5, 0x7fff, v5
	v_cmp_ne_u16_e32 vcc, 0, v5
	s_and_b64 s[20:21], vcc, exec
	s_or_b64 s[0:1], s[0:1], s[20:21]
.LBB158_1892:
	s_mov_b64 s[20:21], 0
.LBB158_1893:
	s_andn2_b64 vcc, exec, s[20:21]
	s_cbranch_vccnz .LBB158_1913
; %bb.1894:
	s_cmp_lt_i32 s24, 2
	s_cbranch_scc1 .LBB158_1898
; %bb.1895:
	s_cmp_lt_i32 s24, 3
	s_cbranch_scc1 .LBB158_1899
; %bb.1896:
	s_cmp_gt_i32 s24, 3
	s_cbranch_scc0 .LBB158_1900
; %bb.1897:
	global_load_dwordx2 v[5:6], v[0:1], off
	s_mov_b64 s[20:21], 0
	s_waitcnt vmcnt(0)
	v_cmp_ne_u64_e64 s[0:1], 0, v[5:6]
	s_branch .LBB158_1901
.LBB158_1898:
	s_mov_b64 s[20:21], -1
                                        ; implicit-def: $sgpr0_sgpr1
	s_branch .LBB158_1907
.LBB158_1899:
	s_mov_b64 s[20:21], -1
                                        ; implicit-def: $sgpr0_sgpr1
	s_branch .LBB158_1904
.LBB158_1900:
	s_mov_b64 s[20:21], -1
                                        ; implicit-def: $sgpr0_sgpr1
.LBB158_1901:
	s_andn2_b64 vcc, exec, s[20:21]
	s_cbranch_vccnz .LBB158_1903
; %bb.1902:
	global_load_dword v5, v[0:1], off
	s_andn2_b64 s[0:1], s[0:1], exec
	s_waitcnt vmcnt(0)
	v_cmp_ne_u32_e32 vcc, 0, v5
	s_and_b64 s[20:21], vcc, exec
	s_or_b64 s[0:1], s[0:1], s[20:21]
.LBB158_1903:
	s_mov_b64 s[20:21], 0
.LBB158_1904:
	s_andn2_b64 vcc, exec, s[20:21]
	s_cbranch_vccnz .LBB158_1906
; %bb.1905:
	global_load_ushort v5, v[0:1], off
	s_andn2_b64 s[0:1], s[0:1], exec
	s_waitcnt vmcnt(0)
	v_cmp_ne_u16_e32 vcc, 0, v5
	s_and_b64 s[20:21], vcc, exec
	s_or_b64 s[0:1], s[0:1], s[20:21]
.LBB158_1906:
	s_mov_b64 s[20:21], 0
.LBB158_1907:
	s_andn2_b64 vcc, exec, s[20:21]
	s_cbranch_vccnz .LBB158_1913
; %bb.1908:
	s_cmp_gt_i32 s24, 0
	s_cbranch_scc0 .LBB158_1910
; %bb.1909:
	global_load_ubyte v5, v[0:1], off
	s_mov_b64 s[20:21], 0
	s_waitcnt vmcnt(0)
	v_cmp_ne_u16_e64 s[0:1], 0, v5
	s_branch .LBB158_1911
.LBB158_1910:
	s_mov_b64 s[20:21], -1
                                        ; implicit-def: $sgpr0_sgpr1
.LBB158_1911:
	s_andn2_b64 vcc, exec, s[20:21]
	s_cbranch_vccnz .LBB158_1913
; %bb.1912:
	global_load_ubyte v0, v[0:1], off
	s_andn2_b64 s[0:1], s[0:1], exec
	s_waitcnt vmcnt(0)
	v_cmp_ne_u16_e32 vcc, 0, v0
	s_and_b64 s[20:21], vcc, exec
	s_or_b64 s[0:1], s[0:1], s[20:21]
.LBB158_1913:
	s_mov_b64 s[24:25], -1
.LBB158_1914:
	s_andn2_b64 vcc, exec, s[24:25]
	s_cbranch_vccnz .LBB158_2403
; %bb.1915:
	s_cmp_lt_i32 s15, 1
	s_mov_b64 s[24:25], 0
	s_cbranch_scc1 .LBB158_1919
; %bb.1916:
	s_cmp_gt_i32 s15, 1
	s_cbranch_scc0 .LBB158_1920
; %bb.1917:
	s_cmp_eq_u32 s15, 2
	s_cbranch_scc0 .LBB158_1921
; %bb.1918:
	s_xor_b64 s[20:21], s[22:23], -1
	s_or_b64 s[20:21], s[0:1], s[20:21]
	s_mov_b64 s[26:27], 0
	s_branch .LBB158_1922
.LBB158_1919:
	s_mov_b64 s[28:29], -1
                                        ; implicit-def: $sgpr20_sgpr21
	s_mov_b64 s[26:27], 0
	s_branch .LBB158_1926
.LBB158_1920:
	s_mov_b64 s[28:29], -1
	s_mov_b64 s[26:27], 0
                                        ; implicit-def: $sgpr20_sgpr21
	s_branch .LBB158_1923
.LBB158_1921:
	s_mov_b64 s[26:27], -1
                                        ; implicit-def: $sgpr20_sgpr21
.LBB158_1922:
	s_mov_b64 s[28:29], 0
.LBB158_1923:
	s_and_b64 vcc, exec, s[28:29]
	s_cbranch_vccz .LBB158_1925
; %bb.1924:
	s_xor_b64 s[28:29], s[0:1], -1
	s_and_b64 s[28:29], s[22:23], s[28:29]
	s_andn2_b64 s[20:21], s[20:21], exec
	s_and_b64 s[28:29], s[28:29], exec
	s_or_b64 s[20:21], s[20:21], s[28:29]
.LBB158_1925:
	s_mov_b64 s[28:29], 0
.LBB158_1926:
	s_and_b64 vcc, exec, s[28:29]
	s_cbranch_vccz .LBB158_1937
; %bb.1927:
	s_cmp_lg_u32 s15, 0
	s_mov_b64 s[24:25], -1
	s_cselect_b64 s[26:27], -1, 0
	s_andn2_b64 vcc, exec, s[26:27]
	s_cbranch_vccz .LBB158_1938
.LBB158_1928:
	s_andn2_b64 vcc, exec, s[24:25]
	s_cbranch_vccnz .LBB158_1930
.LBB158_1929:
	s_xor_b64 s[0:1], s[0:1], -1
	s_or_b64 s[0:1], s[22:23], s[0:1]
	s_andn2_b64 s[20:21], s[20:21], exec
	s_and_b64 s[0:1], s[0:1], exec
	s_or_b64 s[20:21], s[20:21], s[0:1]
.LBB158_1930:
	v_add_u32_e32 v3, s13, v3
	v_ashrrev_i32_e32 v1, 31, v3
	v_mov_b32_e32 v5, s11
	v_add_co_u32_e32 v0, vcc, s10, v3
	s_cmp_lt_i32 s34, 11
	v_addc_co_u32_e32 v1, vcc, v5, v1, vcc
	s_cbranch_scc1 .LBB158_1939
; %bb.1931:
	s_and_b32 s30, 0xffff, s34
	s_cmp_gt_i32 s30, 25
	s_mov_b64 s[26:27], 0
	s_cbranch_scc0 .LBB158_1940
; %bb.1932:
	s_cmp_gt_i32 s30, 28
	s_cbranch_scc0 .LBB158_1941
; %bb.1933:
	s_cmp_gt_i32 s30, 43
	;; [unrolled: 3-line block ×3, first 2 shown]
	s_cbranch_scc0 .LBB158_1944
; %bb.1935:
	s_cmp_eq_u32 s30, 46
	s_mov_b64 s[28:29], 0
	s_cbranch_scc0 .LBB158_1945
; %bb.1936:
	global_load_dword v5, v[0:1], off
	s_mov_b64 s[0:1], 0
	s_mov_b64 s[22:23], -1
	s_waitcnt vmcnt(0)
	v_and_b32_e32 v5, 0x7fff7fff, v5
	v_cmp_ne_u32_e64 s[24:25], 0, v5
	s_branch .LBB158_1946
.LBB158_1937:
	s_andn2_b64 vcc, exec, s[26:27]
	s_cbranch_vccnz .LBB158_1928
.LBB158_1938:
	s_xor_b64 s[24:25], s[22:23], -1
	s_and_b64 s[26:27], s[0:1], s[24:25]
	s_andn2_b64 s[20:21], s[20:21], exec
	s_and_b64 s[26:27], s[26:27], exec
	s_or_b64 s[20:21], s[20:21], s[26:27]
	s_cbranch_execz .LBB158_1929
	s_branch .LBB158_1930
.LBB158_1939:
	s_mov_b64 s[0:1], -1
	s_mov_b64 s[22:23], 0
                                        ; implicit-def: $sgpr24_sgpr25
	s_branch .LBB158_1994
.LBB158_1940:
	s_mov_b64 s[28:29], -1
	s_mov_b64 s[22:23], 0
	s_mov_b64 s[0:1], 0
                                        ; implicit-def: $sgpr24_sgpr25
	s_branch .LBB158_1967
.LBB158_1941:
	s_mov_b64 s[28:29], -1
	s_mov_b64 s[22:23], 0
	s_mov_b64 s[0:1], 0
                                        ; implicit-def: $sgpr24_sgpr25
	s_branch .LBB158_1954
.LBB158_1942:
	s_mov_b64 s[28:29], -1
	s_mov_b64 s[22:23], 0
	s_mov_b64 s[0:1], 0
                                        ; implicit-def: $sgpr24_sgpr25
	s_branch .LBB158_1949
.LBB158_1943:
	s_trap 2
	s_mov_b64 s[24:25], 0
	s_or_b64 s[18:19], s[18:19], exec
	s_cbranch_execz .LBB158_1863
	s_branch .LBB158_1864
.LBB158_1944:
	s_mov_b64 s[28:29], -1
	s_mov_b64 s[22:23], 0
	s_mov_b64 s[0:1], 0
                                        ; implicit-def: $sgpr24_sgpr25
	s_branch .LBB158_1946
.LBB158_1945:
	s_mov_b64 s[0:1], -1
                                        ; implicit-def: $sgpr24_sgpr25
	s_mov_b64 s[22:23], 0
.LBB158_1946:
	s_and_b64 vcc, exec, s[28:29]
	s_cbranch_vccz .LBB158_1948
; %bb.1947:
	s_cmp_lg_u32 s30, 44
	s_mov_b64 s[22:23], -1
	s_cselect_b64 s[0:1], -1, 0
	s_or_b64 s[24:25], s[24:25], exec
.LBB158_1948:
	s_mov_b64 s[28:29], 0
.LBB158_1949:
	s_and_b64 vcc, exec, s[28:29]
	s_cbranch_vccz .LBB158_1953
; %bb.1950:
	s_cmp_eq_u32 s30, 29
	s_cbranch_scc0 .LBB158_1952
; %bb.1951:
	global_load_dwordx2 v[5:6], v[0:1], off
	s_mov_b64 s[0:1], 0
	s_mov_b64 s[22:23], -1
	s_mov_b64 s[28:29], 0
	s_waitcnt vmcnt(0)
	v_cmp_ne_u64_e64 s[24:25], 0, v[5:6]
	s_branch .LBB158_1954
.LBB158_1952:
	s_mov_b64 s[0:1], -1
                                        ; implicit-def: $sgpr24_sgpr25
.LBB158_1953:
	s_mov_b64 s[28:29], 0
.LBB158_1954:
	s_and_b64 vcc, exec, s[28:29]
	s_cbranch_vccz .LBB158_1966
; %bb.1955:
	s_cmp_lt_i32 s30, 27
	s_cbranch_scc1 .LBB158_1958
; %bb.1956:
	s_cmp_gt_i32 s30, 27
	s_cbranch_scc0 .LBB158_1959
; %bb.1957:
	global_load_dword v5, v[0:1], off
	s_mov_b64 s[22:23], 0
	s_waitcnt vmcnt(0)
	v_cmp_ne_u32_e64 s[24:25], 0, v5
	s_branch .LBB158_1960
.LBB158_1958:
	s_mov_b64 s[22:23], -1
                                        ; implicit-def: $sgpr24_sgpr25
	s_branch .LBB158_1963
.LBB158_1959:
	s_mov_b64 s[22:23], -1
                                        ; implicit-def: $sgpr24_sgpr25
.LBB158_1960:
	s_andn2_b64 vcc, exec, s[22:23]
	s_cbranch_vccnz .LBB158_1962
; %bb.1961:
	global_load_ushort v5, v[0:1], off
	s_andn2_b64 s[22:23], s[24:25], exec
	s_waitcnt vmcnt(0)
	v_cmp_ne_u16_e32 vcc, 0, v5
	s_and_b64 s[24:25], vcc, exec
	s_or_b64 s[24:25], s[22:23], s[24:25]
.LBB158_1962:
	s_mov_b64 s[22:23], 0
.LBB158_1963:
	s_andn2_b64 vcc, exec, s[22:23]
	s_cbranch_vccnz .LBB158_1965
; %bb.1964:
	global_load_ubyte v5, v[0:1], off
	s_andn2_b64 s[22:23], s[24:25], exec
	s_waitcnt vmcnt(0)
	v_cmp_ne_u16_e32 vcc, 0, v5
	s_and_b64 s[24:25], vcc, exec
	s_or_b64 s[24:25], s[22:23], s[24:25]
.LBB158_1965:
	s_mov_b64 s[22:23], -1
.LBB158_1966:
	s_mov_b64 s[28:29], 0
.LBB158_1967:
	s_and_b64 vcc, exec, s[28:29]
	s_cbranch_vccz .LBB158_1990
; %bb.1968:
	s_cmp_gt_i32 s30, 22
	s_cbranch_scc0 .LBB158_1972
; %bb.1969:
	s_cmp_lt_i32 s30, 24
	s_cbranch_scc1 .LBB158_1973
; %bb.1970:
	s_cmp_gt_i32 s30, 24
	s_cbranch_scc0 .LBB158_1974
; %bb.1971:
	global_load_ubyte v5, v[0:1], off
	s_mov_b64 s[22:23], 0
	s_waitcnt vmcnt(0)
	v_cmp_ne_u16_e64 s[24:25], 0, v5
	s_branch .LBB158_1975
.LBB158_1972:
	s_mov_b64 s[26:27], -1
                                        ; implicit-def: $sgpr24_sgpr25
	s_branch .LBB158_1981
.LBB158_1973:
	s_mov_b64 s[22:23], -1
                                        ; implicit-def: $sgpr24_sgpr25
	s_branch .LBB158_1978
.LBB158_1974:
	s_mov_b64 s[22:23], -1
                                        ; implicit-def: $sgpr24_sgpr25
.LBB158_1975:
	s_andn2_b64 vcc, exec, s[22:23]
	s_cbranch_vccnz .LBB158_1977
; %bb.1976:
	global_load_ubyte v5, v[0:1], off
	s_andn2_b64 s[22:23], s[24:25], exec
	s_waitcnt vmcnt(0)
	v_and_b32_e32 v5, 0x7f, v5
	v_cmp_ne_u16_e32 vcc, 0, v5
	s_and_b64 s[24:25], vcc, exec
	s_or_b64 s[24:25], s[22:23], s[24:25]
.LBB158_1977:
	s_mov_b64 s[22:23], 0
.LBB158_1978:
	s_andn2_b64 vcc, exec, s[22:23]
	s_cbranch_vccnz .LBB158_1980
; %bb.1979:
	global_load_ubyte v5, v[0:1], off
	s_movk_i32 s22, 0x7f00
	s_brev_b32 s23, 16
	s_waitcnt vmcnt(0)
	v_lshlrev_b32_e32 v6, 8, v5
	v_lshlrev_b32_e32 v5, 25, v5
	v_lshrrev_b32_e32 v7, 4, v5
	v_and_or_b32 v6, v6, s22, 0.5
	v_or_b32_e32 v7, 0x70000000, v7
	v_add_f32_e32 v6, -0.5, v6
	v_mul_f32_e32 v7, 0x7800000, v7
	v_cmp_gt_u32_e32 vcc, s23, v5
	v_cndmask_b32_e32 v5, v7, v6, vcc
	v_cmp_neq_f32_e32 vcc, 0, v5
	s_andn2_b64 s[22:23], s[24:25], exec
	s_and_b64 s[24:25], vcc, exec
	s_or_b64 s[24:25], s[22:23], s[24:25]
.LBB158_1980:
	s_mov_b64 s[22:23], -1
.LBB158_1981:
	s_andn2_b64 vcc, exec, s[26:27]
	s_mov_b64 s[26:27], 0
	s_cbranch_vccnz .LBB158_1990
; %bb.1982:
	s_cmp_gt_i32 s30, 14
	s_cbranch_scc0 .LBB158_1985
; %bb.1983:
	s_cmp_eq_u32 s30, 15
	s_cbranch_scc0 .LBB158_1986
; %bb.1984:
	global_load_ushort v5, v[0:1], off
	s_mov_b64 s[0:1], 0
	s_mov_b64 s[22:23], -1
	s_waitcnt vmcnt(0)
	v_and_b32_e32 v5, 0x7fff, v5
	v_cmp_ne_u16_e64 s[24:25], 0, v5
	s_branch .LBB158_1987
.LBB158_1985:
	s_mov_b64 s[28:29], -1
                                        ; implicit-def: $sgpr24_sgpr25
	s_branch .LBB158_1988
.LBB158_1986:
	s_mov_b64 s[0:1], -1
                                        ; implicit-def: $sgpr24_sgpr25
.LBB158_1987:
	s_mov_b64 s[28:29], 0
.LBB158_1988:
	s_and_b64 vcc, exec, s[28:29]
	s_cbranch_vccz .LBB158_1990
; %bb.1989:
	s_cmp_lg_u32 s30, 11
	s_mov_b64 s[26:27], -1
	s_cselect_b64 s[0:1], -1, 0
.LBB158_1990:
	s_and_b64 vcc, exec, s[0:1]
	s_cbranch_vccnz .LBB158_2055
; %bb.1991:
	s_andn2_b64 vcc, exec, s[26:27]
	s_cbranch_vccnz .LBB158_1993
.LBB158_1992:
	global_load_ubyte v5, v[0:1], off
	s_andn2_b64 s[0:1], s[24:25], exec
	s_mov_b64 s[22:23], -1
	s_waitcnt vmcnt(0)
	v_cmp_ne_u16_e32 vcc, 0, v5
	s_and_b64 s[24:25], vcc, exec
	s_or_b64 s[24:25], s[0:1], s[24:25]
.LBB158_1993:
	s_mov_b64 s[0:1], 0
.LBB158_1994:
	s_and_b64 vcc, exec, s[0:1]
	s_cbranch_vccz .LBB158_2043
; %bb.1995:
	s_and_b32 s26, 0xffff, s34
	s_cmp_lt_i32 s26, 5
	s_cbranch_scc1 .LBB158_2000
; %bb.1996:
	s_cmp_lt_i32 s26, 8
	s_cbranch_scc1 .LBB158_2001
; %bb.1997:
	;; [unrolled: 3-line block ×3, first 2 shown]
	s_cmp_gt_i32 s26, 9
	s_cbranch_scc0 .LBB158_2003
; %bb.1999:
	global_load_dwordx4 v[5:8], v[0:1], off
	s_mov_b64 s[22:23], 0
	s_waitcnt vmcnt(0)
	v_cmp_neq_f64_e32 vcc, 0, v[5:6]
	v_cmp_neq_f64_e64 s[0:1], 0, v[7:8]
	s_or_b64 s[24:25], vcc, s[0:1]
	s_branch .LBB158_2004
.LBB158_2000:
	s_mov_b64 s[0:1], -1
                                        ; implicit-def: $sgpr24_sgpr25
	s_branch .LBB158_2022
.LBB158_2001:
	s_mov_b64 s[0:1], -1
                                        ; implicit-def: $sgpr24_sgpr25
	s_branch .LBB158_2010
.LBB158_2002:
	s_mov_b64 s[0:1], -1
                                        ; implicit-def: $sgpr24_sgpr25
	s_branch .LBB158_2007
.LBB158_2003:
	s_mov_b64 s[22:23], -1
                                        ; implicit-def: $sgpr24_sgpr25
.LBB158_2004:
	s_andn2_b64 vcc, exec, s[22:23]
	s_cbranch_vccnz .LBB158_2006
; %bb.2005:
	global_load_dwordx2 v[5:6], v[0:1], off
	s_andn2_b64 s[0:1], s[24:25], exec
	s_waitcnt vmcnt(0)
	v_or_b32_e32 v5, v5, v6
	v_and_b32_e32 v5, 0x7fffffff, v5
	v_cmp_ne_u32_e32 vcc, 0, v5
	s_and_b64 s[22:23], vcc, exec
	s_or_b64 s[24:25], s[0:1], s[22:23]
.LBB158_2006:
	s_mov_b64 s[0:1], 0
.LBB158_2007:
	s_andn2_b64 vcc, exec, s[0:1]
	s_cbranch_vccnz .LBB158_2009
; %bb.2008:
	global_load_dword v5, v[0:1], off
	s_andn2_b64 s[0:1], s[24:25], exec
	s_waitcnt vmcnt(0)
	v_and_b32_e32 v5, 0x7fff7fff, v5
	v_cmp_ne_u32_e32 vcc, 0, v5
	s_and_b64 s[22:23], vcc, exec
	s_or_b64 s[24:25], s[0:1], s[22:23]
.LBB158_2009:
	s_mov_b64 s[0:1], 0
.LBB158_2010:
	s_andn2_b64 vcc, exec, s[0:1]
	s_cbranch_vccnz .LBB158_2021
; %bb.2011:
	s_cmp_lt_i32 s26, 6
	s_cbranch_scc1 .LBB158_2014
; %bb.2012:
	s_cmp_gt_i32 s26, 6
	s_cbranch_scc0 .LBB158_2015
; %bb.2013:
	global_load_dwordx2 v[5:6], v[0:1], off
	s_mov_b64 s[0:1], 0
	s_waitcnt vmcnt(0)
	v_cmp_neq_f64_e64 s[24:25], 0, v[5:6]
	s_branch .LBB158_2016
.LBB158_2014:
	s_mov_b64 s[0:1], -1
                                        ; implicit-def: $sgpr24_sgpr25
	s_branch .LBB158_2019
.LBB158_2015:
	s_mov_b64 s[0:1], -1
                                        ; implicit-def: $sgpr24_sgpr25
.LBB158_2016:
	s_andn2_b64 vcc, exec, s[0:1]
	s_cbranch_vccnz .LBB158_2018
; %bb.2017:
	global_load_dword v5, v[0:1], off
	s_andn2_b64 s[0:1], s[24:25], exec
	s_waitcnt vmcnt(0)
	v_cmp_neq_f32_e32 vcc, 0, v5
	s_and_b64 s[22:23], vcc, exec
	s_or_b64 s[24:25], s[0:1], s[22:23]
.LBB158_2018:
	s_mov_b64 s[0:1], 0
.LBB158_2019:
	s_andn2_b64 vcc, exec, s[0:1]
	s_cbranch_vccnz .LBB158_2021
; %bb.2020:
	global_load_ushort v5, v[0:1], off
	s_andn2_b64 s[0:1], s[24:25], exec
	s_waitcnt vmcnt(0)
	v_and_b32_e32 v5, 0x7fff, v5
	v_cmp_ne_u16_e32 vcc, 0, v5
	s_and_b64 s[22:23], vcc, exec
	s_or_b64 s[24:25], s[0:1], s[22:23]
.LBB158_2021:
	s_mov_b64 s[0:1], 0
.LBB158_2022:
	s_andn2_b64 vcc, exec, s[0:1]
	s_cbranch_vccnz .LBB158_2042
; %bb.2023:
	s_cmp_lt_i32 s26, 2
	s_cbranch_scc1 .LBB158_2027
; %bb.2024:
	s_cmp_lt_i32 s26, 3
	s_cbranch_scc1 .LBB158_2028
; %bb.2025:
	s_cmp_gt_i32 s26, 3
	s_cbranch_scc0 .LBB158_2029
; %bb.2026:
	global_load_dwordx2 v[5:6], v[0:1], off
	s_mov_b64 s[0:1], 0
	s_waitcnt vmcnt(0)
	v_cmp_ne_u64_e64 s[24:25], 0, v[5:6]
	s_branch .LBB158_2030
.LBB158_2027:
	s_mov_b64 s[0:1], -1
                                        ; implicit-def: $sgpr24_sgpr25
	s_branch .LBB158_2036
.LBB158_2028:
	s_mov_b64 s[0:1], -1
                                        ; implicit-def: $sgpr24_sgpr25
	s_branch .LBB158_2033
.LBB158_2029:
	s_mov_b64 s[0:1], -1
                                        ; implicit-def: $sgpr24_sgpr25
.LBB158_2030:
	s_andn2_b64 vcc, exec, s[0:1]
	s_cbranch_vccnz .LBB158_2032
; %bb.2031:
	global_load_dword v5, v[0:1], off
	s_andn2_b64 s[0:1], s[24:25], exec
	s_waitcnt vmcnt(0)
	v_cmp_ne_u32_e32 vcc, 0, v5
	s_and_b64 s[22:23], vcc, exec
	s_or_b64 s[24:25], s[0:1], s[22:23]
.LBB158_2032:
	s_mov_b64 s[0:1], 0
.LBB158_2033:
	s_andn2_b64 vcc, exec, s[0:1]
	s_cbranch_vccnz .LBB158_2035
; %bb.2034:
	global_load_ushort v5, v[0:1], off
	s_andn2_b64 s[0:1], s[24:25], exec
	s_waitcnt vmcnt(0)
	v_cmp_ne_u16_e32 vcc, 0, v5
	s_and_b64 s[22:23], vcc, exec
	s_or_b64 s[24:25], s[0:1], s[22:23]
.LBB158_2035:
	s_mov_b64 s[0:1], 0
.LBB158_2036:
	s_andn2_b64 vcc, exec, s[0:1]
	s_cbranch_vccnz .LBB158_2042
; %bb.2037:
	s_cmp_gt_i32 s26, 0
	s_cbranch_scc0 .LBB158_2039
; %bb.2038:
	global_load_ubyte v5, v[0:1], off
	s_mov_b64 s[0:1], 0
	s_waitcnt vmcnt(0)
	v_cmp_ne_u16_e64 s[24:25], 0, v5
	s_branch .LBB158_2040
.LBB158_2039:
	s_mov_b64 s[0:1], -1
                                        ; implicit-def: $sgpr24_sgpr25
.LBB158_2040:
	s_andn2_b64 vcc, exec, s[0:1]
	s_cbranch_vccnz .LBB158_2042
; %bb.2041:
	global_load_ubyte v0, v[0:1], off
	s_andn2_b64 s[0:1], s[24:25], exec
	s_waitcnt vmcnt(0)
	v_cmp_ne_u16_e32 vcc, 0, v0
	s_and_b64 s[22:23], vcc, exec
	s_or_b64 s[24:25], s[0:1], s[22:23]
.LBB158_2042:
	s_mov_b64 s[22:23], -1
.LBB158_2043:
	s_andn2_b64 vcc, exec, s[22:23]
	s_cbranch_vccnz .LBB158_2403
; %bb.2044:
	v_add_u32_e32 v4, s14, v4
	v_ashrrev_i32_e32 v1, 31, v4
	v_mov_b32_e32 v5, s3
	v_add_co_u32_e32 v0, vcc, s2, v4
	s_cmp_lt_i32 s35, 11
	v_addc_co_u32_e32 v1, vcc, v5, v1, vcc
	s_cbranch_scc1 .LBB158_2051
; %bb.2045:
	s_and_b32 s36, 0xffff, s35
	s_cmp_gt_i32 s36, 25
	s_mov_b64 s[28:29], 0
	s_cbranch_scc0 .LBB158_2052
; %bb.2046:
	s_cmp_gt_i32 s36, 28
	s_cbranch_scc0 .LBB158_2053
; %bb.2047:
	s_cmp_gt_i32 s36, 43
	;; [unrolled: 3-line block ×3, first 2 shown]
	s_cbranch_scc0 .LBB158_2056
; %bb.2049:
	s_cmp_eq_u32 s36, 46
	s_mov_b64 s[30:31], 0
	s_cbranch_scc0 .LBB158_2059
; %bb.2050:
	global_load_dword v5, v[0:1], off
	s_mov_b64 s[22:23], 0
	s_mov_b64 s[26:27], -1
	s_waitcnt vmcnt(0)
	v_and_b32_e32 v5, 0x7fff7fff, v5
	v_cmp_ne_u32_e64 s[0:1], 0, v5
	s_branch .LBB158_2060
.LBB158_2051:
	s_mov_b64 s[22:23], -1
	s_mov_b64 s[26:27], 0
                                        ; implicit-def: $sgpr0_sgpr1
	s_branch .LBB158_2108
.LBB158_2052:
	s_mov_b64 s[30:31], -1
	s_mov_b64 s[26:27], 0
	s_mov_b64 s[22:23], 0
                                        ; implicit-def: $sgpr0_sgpr1
	s_branch .LBB158_2081
.LBB158_2053:
	s_mov_b64 s[30:31], -1
	s_mov_b64 s[26:27], 0
	s_mov_b64 s[22:23], 0
                                        ; implicit-def: $sgpr0_sgpr1
	s_branch .LBB158_2068
.LBB158_2054:
	s_mov_b64 s[30:31], -1
	s_mov_b64 s[26:27], 0
	s_mov_b64 s[22:23], 0
                                        ; implicit-def: $sgpr0_sgpr1
	s_branch .LBB158_2063
.LBB158_2055:
	s_trap 2
	s_mov_b64 s[22:23], 0
	s_or_b64 s[18:19], s[18:19], exec
	s_cbranch_execz .LBB158_1992
	s_branch .LBB158_1993
.LBB158_2056:
	s_mov_b64 s[30:31], -1
	s_mov_b64 s[26:27], 0
	s_mov_b64 s[22:23], 0
                                        ; implicit-def: $sgpr0_sgpr1
	s_branch .LBB158_2060
.LBB158_2057:
	s_andn2_saveexec_b64 s[44:45], s[44:45]
	s_cbranch_execz .LBB158_1019
.LBB158_2058:
	v_add_f32_e32 v3, 0x42800000, v4
	v_and_b32_e32 v3, 0xff, v3
	v_cmp_ne_u32_e32 vcc, 0, v3
	s_andn2_b64 s[42:43], s[42:43], exec
	s_and_b64 s[48:49], vcc, exec
	s_or_b64 s[42:43], s[42:43], s[48:49]
	s_or_b64 exec, exec, s[44:45]
	v_mov_b32_e32 v5, 0
	s_and_saveexec_b64 s[44:45], s[42:43]
	s_cbranch_execnz .LBB158_1020
	s_branch .LBB158_1021
.LBB158_2059:
	s_mov_b64 s[22:23], -1
                                        ; implicit-def: $sgpr0_sgpr1
	s_mov_b64 s[26:27], 0
.LBB158_2060:
	s_and_b64 vcc, exec, s[30:31]
	s_cbranch_vccz .LBB158_2062
; %bb.2061:
	s_cmp_lg_u32 s36, 44
	s_mov_b64 s[26:27], -1
	s_cselect_b64 s[22:23], -1, 0
	s_or_b64 s[0:1], s[0:1], exec
.LBB158_2062:
	s_mov_b64 s[30:31], 0
.LBB158_2063:
	s_and_b64 vcc, exec, s[30:31]
	s_cbranch_vccz .LBB158_2067
; %bb.2064:
	s_cmp_eq_u32 s36, 29
	s_cbranch_scc0 .LBB158_2066
; %bb.2065:
	global_load_dwordx2 v[5:6], v[0:1], off
	s_mov_b64 s[22:23], 0
	s_mov_b64 s[26:27], -1
	s_mov_b64 s[30:31], 0
	s_waitcnt vmcnt(0)
	v_cmp_ne_u64_e64 s[0:1], 0, v[5:6]
	s_branch .LBB158_2068
.LBB158_2066:
	s_mov_b64 s[22:23], -1
                                        ; implicit-def: $sgpr0_sgpr1
.LBB158_2067:
	s_mov_b64 s[30:31], 0
.LBB158_2068:
	s_and_b64 vcc, exec, s[30:31]
	s_cbranch_vccz .LBB158_2080
; %bb.2069:
	s_cmp_lt_i32 s36, 27
	s_cbranch_scc1 .LBB158_2072
; %bb.2070:
	s_cmp_gt_i32 s36, 27
	s_cbranch_scc0 .LBB158_2073
; %bb.2071:
	global_load_dword v5, v[0:1], off
	s_mov_b64 s[26:27], 0
	s_waitcnt vmcnt(0)
	v_cmp_ne_u32_e64 s[0:1], 0, v5
	s_branch .LBB158_2074
.LBB158_2072:
	s_mov_b64 s[26:27], -1
                                        ; implicit-def: $sgpr0_sgpr1
	s_branch .LBB158_2077
.LBB158_2073:
	s_mov_b64 s[26:27], -1
                                        ; implicit-def: $sgpr0_sgpr1
.LBB158_2074:
	s_andn2_b64 vcc, exec, s[26:27]
	s_cbranch_vccnz .LBB158_2076
; %bb.2075:
	global_load_ushort v5, v[0:1], off
	s_andn2_b64 s[0:1], s[0:1], exec
	s_waitcnt vmcnt(0)
	v_cmp_ne_u16_e32 vcc, 0, v5
	s_and_b64 s[26:27], vcc, exec
	s_or_b64 s[0:1], s[0:1], s[26:27]
.LBB158_2076:
	s_mov_b64 s[26:27], 0
.LBB158_2077:
	s_andn2_b64 vcc, exec, s[26:27]
	s_cbranch_vccnz .LBB158_2079
; %bb.2078:
	global_load_ubyte v5, v[0:1], off
	s_andn2_b64 s[0:1], s[0:1], exec
	s_waitcnt vmcnt(0)
	v_cmp_ne_u16_e32 vcc, 0, v5
	s_and_b64 s[26:27], vcc, exec
	s_or_b64 s[0:1], s[0:1], s[26:27]
.LBB158_2079:
	s_mov_b64 s[26:27], -1
.LBB158_2080:
	s_mov_b64 s[30:31], 0
.LBB158_2081:
	s_and_b64 vcc, exec, s[30:31]
	s_cbranch_vccz .LBB158_2104
; %bb.2082:
	s_cmp_gt_i32 s36, 22
	s_cbranch_scc0 .LBB158_2086
; %bb.2083:
	s_cmp_lt_i32 s36, 24
	s_cbranch_scc1 .LBB158_2087
; %bb.2084:
	s_cmp_gt_i32 s36, 24
	s_cbranch_scc0 .LBB158_2088
; %bb.2085:
	global_load_ubyte v5, v[0:1], off
	s_mov_b64 s[26:27], 0
	s_waitcnt vmcnt(0)
	v_cmp_ne_u16_e64 s[0:1], 0, v5
	s_branch .LBB158_2089
.LBB158_2086:
	s_mov_b64 s[28:29], -1
                                        ; implicit-def: $sgpr0_sgpr1
	s_branch .LBB158_2095
.LBB158_2087:
	s_mov_b64 s[26:27], -1
                                        ; implicit-def: $sgpr0_sgpr1
	s_branch .LBB158_2092
.LBB158_2088:
	s_mov_b64 s[26:27], -1
                                        ; implicit-def: $sgpr0_sgpr1
.LBB158_2089:
	s_andn2_b64 vcc, exec, s[26:27]
	s_cbranch_vccnz .LBB158_2091
; %bb.2090:
	global_load_ubyte v5, v[0:1], off
	s_andn2_b64 s[0:1], s[0:1], exec
	s_waitcnt vmcnt(0)
	v_and_b32_e32 v5, 0x7f, v5
	v_cmp_ne_u16_e32 vcc, 0, v5
	s_and_b64 s[26:27], vcc, exec
	s_or_b64 s[0:1], s[0:1], s[26:27]
.LBB158_2091:
	s_mov_b64 s[26:27], 0
.LBB158_2092:
	s_andn2_b64 vcc, exec, s[26:27]
	s_cbranch_vccnz .LBB158_2094
; %bb.2093:
	global_load_ubyte v5, v[0:1], off
	s_movk_i32 s26, 0x7f00
	s_brev_b32 s27, 16
	s_andn2_b64 s[0:1], s[0:1], exec
	s_waitcnt vmcnt(0)
	v_lshlrev_b32_e32 v6, 8, v5
	v_lshlrev_b32_e32 v5, 25, v5
	v_lshrrev_b32_e32 v7, 4, v5
	v_and_or_b32 v6, v6, s26, 0.5
	v_or_b32_e32 v7, 0x70000000, v7
	v_add_f32_e32 v6, -0.5, v6
	v_mul_f32_e32 v7, 0x7800000, v7
	v_cmp_gt_u32_e32 vcc, s27, v5
	v_cndmask_b32_e32 v5, v7, v6, vcc
	v_cmp_neq_f32_e32 vcc, 0, v5
	s_and_b64 s[26:27], vcc, exec
	s_or_b64 s[0:1], s[0:1], s[26:27]
.LBB158_2094:
	s_mov_b64 s[26:27], -1
.LBB158_2095:
	s_andn2_b64 vcc, exec, s[28:29]
	s_mov_b64 s[28:29], 0
	s_cbranch_vccnz .LBB158_2104
; %bb.2096:
	s_cmp_gt_i32 s36, 14
	s_cbranch_scc0 .LBB158_2099
; %bb.2097:
	s_cmp_eq_u32 s36, 15
	s_cbranch_scc0 .LBB158_2100
; %bb.2098:
	global_load_ushort v5, v[0:1], off
	s_mov_b64 s[22:23], 0
	s_mov_b64 s[26:27], -1
	s_waitcnt vmcnt(0)
	v_and_b32_e32 v5, 0x7fff, v5
	v_cmp_ne_u16_e64 s[0:1], 0, v5
	s_branch .LBB158_2101
.LBB158_2099:
	s_mov_b64 s[30:31], -1
                                        ; implicit-def: $sgpr0_sgpr1
	s_branch .LBB158_2102
.LBB158_2100:
	s_mov_b64 s[22:23], -1
                                        ; implicit-def: $sgpr0_sgpr1
.LBB158_2101:
	s_mov_b64 s[30:31], 0
.LBB158_2102:
	s_and_b64 vcc, exec, s[30:31]
	s_cbranch_vccz .LBB158_2104
; %bb.2103:
	s_cmp_lg_u32 s36, 11
	s_mov_b64 s[28:29], -1
	s_cselect_b64 s[22:23], -1, 0
.LBB158_2104:
	s_and_b64 vcc, exec, s[22:23]
	s_cbranch_vccnz .LBB158_2186
; %bb.2105:
	s_andn2_b64 vcc, exec, s[28:29]
	s_cbranch_vccnz .LBB158_2107
.LBB158_2106:
	global_load_ubyte v5, v[0:1], off
	s_andn2_b64 s[0:1], s[0:1], exec
	s_mov_b64 s[26:27], -1
	s_waitcnt vmcnt(0)
	v_cmp_ne_u16_e32 vcc, 0, v5
	s_and_b64 s[22:23], vcc, exec
	s_or_b64 s[0:1], s[0:1], s[22:23]
.LBB158_2107:
	s_mov_b64 s[22:23], 0
.LBB158_2108:
	s_and_b64 vcc, exec, s[22:23]
	s_cbranch_vccz .LBB158_2157
; %bb.2109:
	s_and_b32 s26, 0xffff, s35
	s_cmp_lt_i32 s26, 5
	s_cbranch_scc1 .LBB158_2114
; %bb.2110:
	s_cmp_lt_i32 s26, 8
	s_cbranch_scc1 .LBB158_2115
; %bb.2111:
	;; [unrolled: 3-line block ×3, first 2 shown]
	s_cmp_gt_i32 s26, 9
	s_cbranch_scc0 .LBB158_2117
; %bb.2113:
	global_load_dwordx4 v[5:8], v[0:1], off
	s_mov_b64 s[22:23], 0
	s_waitcnt vmcnt(0)
	v_cmp_neq_f64_e32 vcc, 0, v[5:6]
	v_cmp_neq_f64_e64 s[0:1], 0, v[7:8]
	s_or_b64 s[0:1], vcc, s[0:1]
	s_branch .LBB158_2118
.LBB158_2114:
	s_mov_b64 s[22:23], -1
                                        ; implicit-def: $sgpr0_sgpr1
	s_branch .LBB158_2136
.LBB158_2115:
	s_mov_b64 s[22:23], -1
                                        ; implicit-def: $sgpr0_sgpr1
	s_branch .LBB158_2124
.LBB158_2116:
	s_mov_b64 s[22:23], -1
                                        ; implicit-def: $sgpr0_sgpr1
	s_branch .LBB158_2121
.LBB158_2117:
	s_mov_b64 s[22:23], -1
                                        ; implicit-def: $sgpr0_sgpr1
.LBB158_2118:
	s_andn2_b64 vcc, exec, s[22:23]
	s_cbranch_vccnz .LBB158_2120
; %bb.2119:
	global_load_dwordx2 v[5:6], v[0:1], off
	s_andn2_b64 s[0:1], s[0:1], exec
	s_waitcnt vmcnt(0)
	v_or_b32_e32 v5, v5, v6
	v_and_b32_e32 v5, 0x7fffffff, v5
	v_cmp_ne_u32_e32 vcc, 0, v5
	s_and_b64 s[22:23], vcc, exec
	s_or_b64 s[0:1], s[0:1], s[22:23]
.LBB158_2120:
	s_mov_b64 s[22:23], 0
.LBB158_2121:
	s_andn2_b64 vcc, exec, s[22:23]
	s_cbranch_vccnz .LBB158_2123
; %bb.2122:
	global_load_dword v5, v[0:1], off
	s_andn2_b64 s[0:1], s[0:1], exec
	s_waitcnt vmcnt(0)
	v_and_b32_e32 v5, 0x7fff7fff, v5
	v_cmp_ne_u32_e32 vcc, 0, v5
	s_and_b64 s[22:23], vcc, exec
	s_or_b64 s[0:1], s[0:1], s[22:23]
.LBB158_2123:
	s_mov_b64 s[22:23], 0
.LBB158_2124:
	s_andn2_b64 vcc, exec, s[22:23]
	s_cbranch_vccnz .LBB158_2135
; %bb.2125:
	s_cmp_lt_i32 s26, 6
	s_cbranch_scc1 .LBB158_2128
; %bb.2126:
	s_cmp_gt_i32 s26, 6
	s_cbranch_scc0 .LBB158_2129
; %bb.2127:
	global_load_dwordx2 v[5:6], v[0:1], off
	s_mov_b64 s[22:23], 0
	s_waitcnt vmcnt(0)
	v_cmp_neq_f64_e64 s[0:1], 0, v[5:6]
	s_branch .LBB158_2130
.LBB158_2128:
	s_mov_b64 s[22:23], -1
                                        ; implicit-def: $sgpr0_sgpr1
	s_branch .LBB158_2133
.LBB158_2129:
	s_mov_b64 s[22:23], -1
                                        ; implicit-def: $sgpr0_sgpr1
.LBB158_2130:
	s_andn2_b64 vcc, exec, s[22:23]
	s_cbranch_vccnz .LBB158_2132
; %bb.2131:
	global_load_dword v5, v[0:1], off
	s_andn2_b64 s[0:1], s[0:1], exec
	s_waitcnt vmcnt(0)
	v_cmp_neq_f32_e32 vcc, 0, v5
	s_and_b64 s[22:23], vcc, exec
	s_or_b64 s[0:1], s[0:1], s[22:23]
.LBB158_2132:
	s_mov_b64 s[22:23], 0
.LBB158_2133:
	s_andn2_b64 vcc, exec, s[22:23]
	s_cbranch_vccnz .LBB158_2135
; %bb.2134:
	global_load_ushort v5, v[0:1], off
	s_andn2_b64 s[0:1], s[0:1], exec
	s_waitcnt vmcnt(0)
	v_and_b32_e32 v5, 0x7fff, v5
	v_cmp_ne_u16_e32 vcc, 0, v5
	s_and_b64 s[22:23], vcc, exec
	s_or_b64 s[0:1], s[0:1], s[22:23]
.LBB158_2135:
	s_mov_b64 s[22:23], 0
.LBB158_2136:
	s_andn2_b64 vcc, exec, s[22:23]
	s_cbranch_vccnz .LBB158_2156
; %bb.2137:
	s_cmp_lt_i32 s26, 2
	s_cbranch_scc1 .LBB158_2141
; %bb.2138:
	s_cmp_lt_i32 s26, 3
	s_cbranch_scc1 .LBB158_2142
; %bb.2139:
	s_cmp_gt_i32 s26, 3
	s_cbranch_scc0 .LBB158_2143
; %bb.2140:
	global_load_dwordx2 v[5:6], v[0:1], off
	s_mov_b64 s[22:23], 0
	s_waitcnt vmcnt(0)
	v_cmp_ne_u64_e64 s[0:1], 0, v[5:6]
	s_branch .LBB158_2144
.LBB158_2141:
	s_mov_b64 s[22:23], -1
                                        ; implicit-def: $sgpr0_sgpr1
	s_branch .LBB158_2150
.LBB158_2142:
	s_mov_b64 s[22:23], -1
                                        ; implicit-def: $sgpr0_sgpr1
	s_branch .LBB158_2147
.LBB158_2143:
	s_mov_b64 s[22:23], -1
                                        ; implicit-def: $sgpr0_sgpr1
.LBB158_2144:
	s_andn2_b64 vcc, exec, s[22:23]
	s_cbranch_vccnz .LBB158_2146
; %bb.2145:
	global_load_dword v5, v[0:1], off
	s_andn2_b64 s[0:1], s[0:1], exec
	s_waitcnt vmcnt(0)
	v_cmp_ne_u32_e32 vcc, 0, v5
	s_and_b64 s[22:23], vcc, exec
	s_or_b64 s[0:1], s[0:1], s[22:23]
.LBB158_2146:
	s_mov_b64 s[22:23], 0
.LBB158_2147:
	s_andn2_b64 vcc, exec, s[22:23]
	s_cbranch_vccnz .LBB158_2149
; %bb.2148:
	global_load_ushort v5, v[0:1], off
	s_andn2_b64 s[0:1], s[0:1], exec
	s_waitcnt vmcnt(0)
	v_cmp_ne_u16_e32 vcc, 0, v5
	s_and_b64 s[22:23], vcc, exec
	s_or_b64 s[0:1], s[0:1], s[22:23]
.LBB158_2149:
	s_mov_b64 s[22:23], 0
.LBB158_2150:
	s_andn2_b64 vcc, exec, s[22:23]
	s_cbranch_vccnz .LBB158_2156
; %bb.2151:
	s_cmp_gt_i32 s26, 0
	s_cbranch_scc0 .LBB158_2153
; %bb.2152:
	global_load_ubyte v5, v[0:1], off
	s_mov_b64 s[22:23], 0
	s_waitcnt vmcnt(0)
	v_cmp_ne_u16_e64 s[0:1], 0, v5
	s_branch .LBB158_2154
.LBB158_2153:
	s_mov_b64 s[22:23], -1
                                        ; implicit-def: $sgpr0_sgpr1
.LBB158_2154:
	s_andn2_b64 vcc, exec, s[22:23]
	s_cbranch_vccnz .LBB158_2156
; %bb.2155:
	global_load_ubyte v0, v[0:1], off
	s_andn2_b64 s[0:1], s[0:1], exec
	s_waitcnt vmcnt(0)
	v_cmp_ne_u16_e32 vcc, 0, v0
	s_and_b64 s[22:23], vcc, exec
	s_or_b64 s[0:1], s[0:1], s[22:23]
.LBB158_2156:
	s_mov_b64 s[26:27], -1
.LBB158_2157:
	s_andn2_b64 vcc, exec, s[26:27]
	s_cbranch_vccnz .LBB158_2403
; %bb.2158:
	s_cmp_lt_i32 s15, 1
	s_mov_b64 s[26:27], 0
	s_cbranch_scc1 .LBB158_2162
; %bb.2159:
	s_cmp_gt_i32 s15, 1
	s_cbranch_scc0 .LBB158_2163
; %bb.2160:
	s_cmp_eq_u32 s15, 2
	s_cbranch_scc0 .LBB158_2164
; %bb.2161:
	s_xor_b64 s[22:23], s[24:25], -1
	s_or_b64 s[22:23], s[0:1], s[22:23]
	s_mov_b64 s[28:29], 0
	s_branch .LBB158_2165
.LBB158_2162:
	s_mov_b64 s[30:31], -1
                                        ; implicit-def: $sgpr22_sgpr23
	s_mov_b64 s[28:29], 0
	s_branch .LBB158_2169
.LBB158_2163:
	s_mov_b64 s[30:31], -1
	s_mov_b64 s[28:29], 0
                                        ; implicit-def: $sgpr22_sgpr23
	s_branch .LBB158_2166
.LBB158_2164:
	s_mov_b64 s[28:29], -1
                                        ; implicit-def: $sgpr22_sgpr23
.LBB158_2165:
	s_mov_b64 s[30:31], 0
.LBB158_2166:
	s_and_b64 vcc, exec, s[30:31]
	s_cbranch_vccz .LBB158_2168
; %bb.2167:
	s_xor_b64 s[30:31], s[0:1], -1
	s_and_b64 s[30:31], s[24:25], s[30:31]
	s_andn2_b64 s[22:23], s[22:23], exec
	s_and_b64 s[30:31], s[30:31], exec
	s_or_b64 s[22:23], s[22:23], s[30:31]
.LBB158_2168:
	s_mov_b64 s[30:31], 0
.LBB158_2169:
	s_and_b64 vcc, exec, s[30:31]
	s_cbranch_vccz .LBB158_2180
; %bb.2170:
	s_cmp_lg_u32 s15, 0
	s_mov_b64 s[26:27], -1
	s_cselect_b64 s[28:29], -1, 0
	s_andn2_b64 vcc, exec, s[28:29]
	s_cbranch_vccz .LBB158_2181
.LBB158_2171:
	s_andn2_b64 vcc, exec, s[26:27]
	s_cbranch_vccnz .LBB158_2173
.LBB158_2172:
	s_xor_b64 s[0:1], s[0:1], -1
	s_or_b64 s[0:1], s[24:25], s[0:1]
	s_andn2_b64 s[22:23], s[22:23], exec
	s_and_b64 s[0:1], s[0:1], exec
	s_or_b64 s[22:23], s[22:23], s[0:1]
.LBB158_2173:
	v_add_u32_e32 v0, s13, v3
	v_ashrrev_i32_e32 v1, 31, v0
	v_mov_b32_e32 v3, s11
	v_add_co_u32_e32 v0, vcc, s10, v0
	s_cmp_lt_i32 s34, 11
	v_addc_co_u32_e32 v1, vcc, v3, v1, vcc
	s_cbranch_scc1 .LBB158_2182
; %bb.2174:
	s_and_b32 s13, 0xffff, s34
	s_cmp_gt_i32 s13, 25
	s_mov_b64 s[26:27], 0
	s_cbranch_scc0 .LBB158_2183
; %bb.2175:
	s_cmp_gt_i32 s13, 28
	s_cbranch_scc0 .LBB158_2184
; %bb.2176:
	s_cmp_gt_i32 s13, 43
	s_cbranch_scc0 .LBB158_2185
; %bb.2177:
	s_cmp_gt_i32 s13, 45
	s_cbranch_scc0 .LBB158_2187
; %bb.2178:
	s_cmp_eq_u32 s13, 46
	s_mov_b64 s[28:29], 0
	s_cbranch_scc0 .LBB158_2188
; %bb.2179:
	global_load_dword v3, v[0:1], off
	s_mov_b64 s[0:1], 0
	s_mov_b64 s[24:25], -1
	s_waitcnt vmcnt(0)
	v_and_b32_e32 v3, 0x7fff7fff, v3
	v_cmp_ne_u32_e64 s[10:11], 0, v3
	s_branch .LBB158_2189
.LBB158_2180:
	s_andn2_b64 vcc, exec, s[28:29]
	s_cbranch_vccnz .LBB158_2171
.LBB158_2181:
	s_xor_b64 s[26:27], s[24:25], -1
	s_and_b64 s[28:29], s[0:1], s[26:27]
	s_andn2_b64 s[22:23], s[22:23], exec
	s_and_b64 s[28:29], s[28:29], exec
	s_or_b64 s[22:23], s[22:23], s[28:29]
	s_cbranch_execz .LBB158_2172
	s_branch .LBB158_2173
.LBB158_2182:
	s_mov_b64 s[0:1], -1
	s_mov_b64 s[24:25], 0
                                        ; implicit-def: $sgpr10_sgpr11
	s_branch .LBB158_2237
.LBB158_2183:
	s_mov_b64 s[28:29], -1
	s_mov_b64 s[24:25], 0
	s_mov_b64 s[0:1], 0
                                        ; implicit-def: $sgpr10_sgpr11
	s_branch .LBB158_2210
.LBB158_2184:
	s_mov_b64 s[28:29], -1
	s_mov_b64 s[24:25], 0
	s_mov_b64 s[0:1], 0
                                        ; implicit-def: $sgpr10_sgpr11
	s_branch .LBB158_2197
.LBB158_2185:
	s_mov_b64 s[28:29], -1
	s_mov_b64 s[24:25], 0
	s_mov_b64 s[0:1], 0
                                        ; implicit-def: $sgpr10_sgpr11
	s_branch .LBB158_2192
.LBB158_2186:
	s_trap 2
	s_mov_b64 s[26:27], 0
	s_or_b64 s[18:19], s[18:19], exec
	s_cbranch_execz .LBB158_2106
	s_branch .LBB158_2107
.LBB158_2187:
	s_mov_b64 s[28:29], -1
	s_mov_b64 s[24:25], 0
	s_mov_b64 s[0:1], 0
                                        ; implicit-def: $sgpr10_sgpr11
	s_branch .LBB158_2189
.LBB158_2188:
	s_mov_b64 s[0:1], -1
                                        ; implicit-def: $sgpr10_sgpr11
	s_mov_b64 s[24:25], 0
.LBB158_2189:
	s_and_b64 vcc, exec, s[28:29]
	s_cbranch_vccz .LBB158_2191
; %bb.2190:
	s_cmp_lg_u32 s13, 44
	s_mov_b64 s[24:25], -1
	s_cselect_b64 s[0:1], -1, 0
	s_or_b64 s[10:11], s[10:11], exec
.LBB158_2191:
	s_mov_b64 s[28:29], 0
.LBB158_2192:
	s_and_b64 vcc, exec, s[28:29]
	s_cbranch_vccz .LBB158_2196
; %bb.2193:
	s_cmp_eq_u32 s13, 29
	s_cbranch_scc0 .LBB158_2195
; %bb.2194:
	global_load_dwordx2 v[5:6], v[0:1], off
	s_mov_b64 s[0:1], 0
	s_mov_b64 s[24:25], -1
	s_mov_b64 s[28:29], 0
	s_waitcnt vmcnt(0)
	v_cmp_ne_u64_e64 s[10:11], 0, v[5:6]
	s_branch .LBB158_2197
.LBB158_2195:
	s_mov_b64 s[0:1], -1
                                        ; implicit-def: $sgpr10_sgpr11
.LBB158_2196:
	s_mov_b64 s[28:29], 0
.LBB158_2197:
	s_and_b64 vcc, exec, s[28:29]
	s_cbranch_vccz .LBB158_2209
; %bb.2198:
	s_cmp_lt_i32 s13, 27
	s_cbranch_scc1 .LBB158_2201
; %bb.2199:
	s_cmp_gt_i32 s13, 27
	s_cbranch_scc0 .LBB158_2202
; %bb.2200:
	global_load_dword v3, v[0:1], off
	s_mov_b64 s[24:25], 0
	s_waitcnt vmcnt(0)
	v_cmp_ne_u32_e64 s[10:11], 0, v3
	s_branch .LBB158_2203
.LBB158_2201:
	s_mov_b64 s[24:25], -1
                                        ; implicit-def: $sgpr10_sgpr11
	s_branch .LBB158_2206
.LBB158_2202:
	s_mov_b64 s[24:25], -1
                                        ; implicit-def: $sgpr10_sgpr11
.LBB158_2203:
	s_andn2_b64 vcc, exec, s[24:25]
	s_cbranch_vccnz .LBB158_2205
; %bb.2204:
	global_load_ushort v3, v[0:1], off
	s_andn2_b64 s[10:11], s[10:11], exec
	s_waitcnt vmcnt(0)
	v_cmp_ne_u16_e32 vcc, 0, v3
	s_and_b64 s[24:25], vcc, exec
	s_or_b64 s[10:11], s[10:11], s[24:25]
.LBB158_2205:
	s_mov_b64 s[24:25], 0
.LBB158_2206:
	s_andn2_b64 vcc, exec, s[24:25]
	s_cbranch_vccnz .LBB158_2208
; %bb.2207:
	global_load_ubyte v3, v[0:1], off
	s_andn2_b64 s[10:11], s[10:11], exec
	s_waitcnt vmcnt(0)
	v_cmp_ne_u16_e32 vcc, 0, v3
	s_and_b64 s[24:25], vcc, exec
	s_or_b64 s[10:11], s[10:11], s[24:25]
.LBB158_2208:
	s_mov_b64 s[24:25], -1
.LBB158_2209:
	s_mov_b64 s[28:29], 0
.LBB158_2210:
	s_and_b64 vcc, exec, s[28:29]
	s_cbranch_vccz .LBB158_2233
; %bb.2211:
	s_cmp_gt_i32 s13, 22
	s_cbranch_scc0 .LBB158_2215
; %bb.2212:
	s_cmp_lt_i32 s13, 24
	s_cbranch_scc1 .LBB158_2216
; %bb.2213:
	s_cmp_gt_i32 s13, 24
	s_cbranch_scc0 .LBB158_2217
; %bb.2214:
	global_load_ubyte v3, v[0:1], off
	s_mov_b64 s[24:25], 0
	s_waitcnt vmcnt(0)
	v_cmp_ne_u16_e64 s[10:11], 0, v3
	s_branch .LBB158_2218
.LBB158_2215:
	s_mov_b64 s[26:27], -1
                                        ; implicit-def: $sgpr10_sgpr11
	s_branch .LBB158_2224
.LBB158_2216:
	s_mov_b64 s[24:25], -1
                                        ; implicit-def: $sgpr10_sgpr11
	s_branch .LBB158_2221
.LBB158_2217:
	s_mov_b64 s[24:25], -1
                                        ; implicit-def: $sgpr10_sgpr11
.LBB158_2218:
	s_andn2_b64 vcc, exec, s[24:25]
	s_cbranch_vccnz .LBB158_2220
; %bb.2219:
	global_load_ubyte v3, v[0:1], off
	s_andn2_b64 s[10:11], s[10:11], exec
	s_waitcnt vmcnt(0)
	v_and_b32_e32 v3, 0x7f, v3
	v_cmp_ne_u16_e32 vcc, 0, v3
	s_and_b64 s[24:25], vcc, exec
	s_or_b64 s[10:11], s[10:11], s[24:25]
.LBB158_2220:
	s_mov_b64 s[24:25], 0
.LBB158_2221:
	s_andn2_b64 vcc, exec, s[24:25]
	s_cbranch_vccnz .LBB158_2223
; %bb.2222:
	global_load_ubyte v3, v[0:1], off
	s_movk_i32 s24, 0x7f00
	s_brev_b32 s25, 16
	s_andn2_b64 s[10:11], s[10:11], exec
	s_waitcnt vmcnt(0)
	v_lshlrev_b32_e32 v5, 8, v3
	v_lshlrev_b32_e32 v3, 25, v3
	v_lshrrev_b32_e32 v6, 4, v3
	v_and_or_b32 v5, v5, s24, 0.5
	v_or_b32_e32 v6, 0x70000000, v6
	v_add_f32_e32 v5, -0.5, v5
	v_mul_f32_e32 v6, 0x7800000, v6
	v_cmp_gt_u32_e32 vcc, s25, v3
	v_cndmask_b32_e32 v3, v6, v5, vcc
	v_cmp_neq_f32_e32 vcc, 0, v3
	s_and_b64 s[24:25], vcc, exec
	s_or_b64 s[10:11], s[10:11], s[24:25]
.LBB158_2223:
	s_mov_b64 s[24:25], -1
.LBB158_2224:
	s_andn2_b64 vcc, exec, s[26:27]
	s_mov_b64 s[26:27], 0
	s_cbranch_vccnz .LBB158_2233
; %bb.2225:
	s_cmp_gt_i32 s13, 14
	s_cbranch_scc0 .LBB158_2228
; %bb.2226:
	s_cmp_eq_u32 s13, 15
	s_cbranch_scc0 .LBB158_2229
; %bb.2227:
	global_load_ushort v3, v[0:1], off
	s_mov_b64 s[0:1], 0
	s_mov_b64 s[24:25], -1
	s_waitcnt vmcnt(0)
	v_and_b32_e32 v3, 0x7fff, v3
	v_cmp_ne_u16_e64 s[10:11], 0, v3
	s_branch .LBB158_2230
.LBB158_2228:
	s_mov_b64 s[28:29], -1
                                        ; implicit-def: $sgpr10_sgpr11
	s_branch .LBB158_2231
.LBB158_2229:
	s_mov_b64 s[0:1], -1
                                        ; implicit-def: $sgpr10_sgpr11
.LBB158_2230:
	s_mov_b64 s[28:29], 0
.LBB158_2231:
	s_and_b64 vcc, exec, s[28:29]
	s_cbranch_vccz .LBB158_2233
; %bb.2232:
	s_cmp_lg_u32 s13, 11
	s_mov_b64 s[26:27], -1
	s_cselect_b64 s[0:1], -1, 0
.LBB158_2233:
	s_and_b64 vcc, exec, s[0:1]
	s_cbranch_vccnz .LBB158_2298
; %bb.2234:
	s_andn2_b64 vcc, exec, s[26:27]
	s_cbranch_vccnz .LBB158_2236
.LBB158_2235:
	global_load_ubyte v3, v[0:1], off
	s_andn2_b64 s[0:1], s[10:11], exec
	s_mov_b64 s[24:25], -1
	s_waitcnt vmcnt(0)
	v_cmp_ne_u16_e32 vcc, 0, v3
	s_and_b64 s[10:11], vcc, exec
	s_or_b64 s[10:11], s[0:1], s[10:11]
.LBB158_2236:
	s_mov_b64 s[0:1], 0
.LBB158_2237:
	s_and_b64 vcc, exec, s[0:1]
	s_cbranch_vccz .LBB158_2286
; %bb.2238:
	s_and_b32 s13, 0xffff, s34
	s_cmp_lt_i32 s13, 5
	s_cbranch_scc1 .LBB158_2243
; %bb.2239:
	s_cmp_lt_i32 s13, 8
	s_cbranch_scc1 .LBB158_2244
; %bb.2240:
	;; [unrolled: 3-line block ×3, first 2 shown]
	s_cmp_gt_i32 s13, 9
	s_cbranch_scc0 .LBB158_2246
; %bb.2242:
	global_load_dwordx4 v[5:8], v[0:1], off
	s_mov_b64 s[24:25], 0
	s_waitcnt vmcnt(0)
	v_cmp_neq_f64_e32 vcc, 0, v[5:6]
	v_cmp_neq_f64_e64 s[0:1], 0, v[7:8]
	s_or_b64 s[10:11], vcc, s[0:1]
	s_branch .LBB158_2247
.LBB158_2243:
	s_mov_b64 s[0:1], -1
                                        ; implicit-def: $sgpr10_sgpr11
	s_branch .LBB158_2265
.LBB158_2244:
	s_mov_b64 s[0:1], -1
                                        ; implicit-def: $sgpr10_sgpr11
	s_branch .LBB158_2253
.LBB158_2245:
	s_mov_b64 s[0:1], -1
                                        ; implicit-def: $sgpr10_sgpr11
	s_branch .LBB158_2250
.LBB158_2246:
	s_mov_b64 s[24:25], -1
                                        ; implicit-def: $sgpr10_sgpr11
.LBB158_2247:
	s_andn2_b64 vcc, exec, s[24:25]
	s_cbranch_vccnz .LBB158_2249
; %bb.2248:
	global_load_dwordx2 v[5:6], v[0:1], off
	s_andn2_b64 s[0:1], s[10:11], exec
	s_waitcnt vmcnt(0)
	v_or_b32_e32 v3, v5, v6
	v_and_b32_e32 v3, 0x7fffffff, v3
	v_cmp_ne_u32_e32 vcc, 0, v3
	s_and_b64 s[10:11], vcc, exec
	s_or_b64 s[10:11], s[0:1], s[10:11]
.LBB158_2249:
	s_mov_b64 s[0:1], 0
.LBB158_2250:
	s_andn2_b64 vcc, exec, s[0:1]
	s_cbranch_vccnz .LBB158_2252
; %bb.2251:
	global_load_dword v3, v[0:1], off
	s_andn2_b64 s[0:1], s[10:11], exec
	s_waitcnt vmcnt(0)
	v_and_b32_e32 v3, 0x7fff7fff, v3
	v_cmp_ne_u32_e32 vcc, 0, v3
	s_and_b64 s[10:11], vcc, exec
	s_or_b64 s[10:11], s[0:1], s[10:11]
.LBB158_2252:
	s_mov_b64 s[0:1], 0
.LBB158_2253:
	s_andn2_b64 vcc, exec, s[0:1]
	s_cbranch_vccnz .LBB158_2264
; %bb.2254:
	s_cmp_lt_i32 s13, 6
	s_cbranch_scc1 .LBB158_2257
; %bb.2255:
	s_cmp_gt_i32 s13, 6
	s_cbranch_scc0 .LBB158_2258
; %bb.2256:
	global_load_dwordx2 v[5:6], v[0:1], off
	s_mov_b64 s[0:1], 0
	s_waitcnt vmcnt(0)
	v_cmp_neq_f64_e64 s[10:11], 0, v[5:6]
	s_branch .LBB158_2259
.LBB158_2257:
	s_mov_b64 s[0:1], -1
                                        ; implicit-def: $sgpr10_sgpr11
	s_branch .LBB158_2262
.LBB158_2258:
	s_mov_b64 s[0:1], -1
                                        ; implicit-def: $sgpr10_sgpr11
.LBB158_2259:
	s_andn2_b64 vcc, exec, s[0:1]
	s_cbranch_vccnz .LBB158_2261
; %bb.2260:
	global_load_dword v3, v[0:1], off
	s_andn2_b64 s[0:1], s[10:11], exec
	s_waitcnt vmcnt(0)
	v_cmp_neq_f32_e32 vcc, 0, v3
	s_and_b64 s[10:11], vcc, exec
	s_or_b64 s[10:11], s[0:1], s[10:11]
.LBB158_2261:
	s_mov_b64 s[0:1], 0
.LBB158_2262:
	s_andn2_b64 vcc, exec, s[0:1]
	s_cbranch_vccnz .LBB158_2264
; %bb.2263:
	global_load_ushort v3, v[0:1], off
	s_andn2_b64 s[0:1], s[10:11], exec
	s_waitcnt vmcnt(0)
	v_and_b32_e32 v3, 0x7fff, v3
	v_cmp_ne_u16_e32 vcc, 0, v3
	s_and_b64 s[10:11], vcc, exec
	s_or_b64 s[10:11], s[0:1], s[10:11]
.LBB158_2264:
	s_mov_b64 s[0:1], 0
.LBB158_2265:
	s_andn2_b64 vcc, exec, s[0:1]
	s_cbranch_vccnz .LBB158_2285
; %bb.2266:
	s_cmp_lt_i32 s13, 2
	s_cbranch_scc1 .LBB158_2270
; %bb.2267:
	s_cmp_lt_i32 s13, 3
	s_cbranch_scc1 .LBB158_2271
; %bb.2268:
	s_cmp_gt_i32 s13, 3
	s_cbranch_scc0 .LBB158_2272
; %bb.2269:
	global_load_dwordx2 v[5:6], v[0:1], off
	s_mov_b64 s[0:1], 0
	s_waitcnt vmcnt(0)
	v_cmp_ne_u64_e64 s[10:11], 0, v[5:6]
	s_branch .LBB158_2273
.LBB158_2270:
	s_mov_b64 s[0:1], -1
                                        ; implicit-def: $sgpr10_sgpr11
	s_branch .LBB158_2279
.LBB158_2271:
	s_mov_b64 s[0:1], -1
                                        ; implicit-def: $sgpr10_sgpr11
	s_branch .LBB158_2276
.LBB158_2272:
	s_mov_b64 s[0:1], -1
                                        ; implicit-def: $sgpr10_sgpr11
.LBB158_2273:
	s_andn2_b64 vcc, exec, s[0:1]
	s_cbranch_vccnz .LBB158_2275
; %bb.2274:
	global_load_dword v3, v[0:1], off
	s_andn2_b64 s[0:1], s[10:11], exec
	s_waitcnt vmcnt(0)
	v_cmp_ne_u32_e32 vcc, 0, v3
	s_and_b64 s[10:11], vcc, exec
	s_or_b64 s[10:11], s[0:1], s[10:11]
.LBB158_2275:
	s_mov_b64 s[0:1], 0
.LBB158_2276:
	s_andn2_b64 vcc, exec, s[0:1]
	s_cbranch_vccnz .LBB158_2278
; %bb.2277:
	global_load_ushort v3, v[0:1], off
	s_andn2_b64 s[0:1], s[10:11], exec
	s_waitcnt vmcnt(0)
	v_cmp_ne_u16_e32 vcc, 0, v3
	s_and_b64 s[10:11], vcc, exec
	s_or_b64 s[10:11], s[0:1], s[10:11]
.LBB158_2278:
	s_mov_b64 s[0:1], 0
.LBB158_2279:
	s_andn2_b64 vcc, exec, s[0:1]
	s_cbranch_vccnz .LBB158_2285
; %bb.2280:
	s_cmp_gt_i32 s13, 0
	s_cbranch_scc0 .LBB158_2282
; %bb.2281:
	global_load_ubyte v3, v[0:1], off
	s_mov_b64 s[0:1], 0
	s_waitcnt vmcnt(0)
	v_cmp_ne_u16_e64 s[10:11], 0, v3
	s_branch .LBB158_2283
.LBB158_2282:
	s_mov_b64 s[0:1], -1
                                        ; implicit-def: $sgpr10_sgpr11
.LBB158_2283:
	s_andn2_b64 vcc, exec, s[0:1]
	s_cbranch_vccnz .LBB158_2285
; %bb.2284:
	global_load_ubyte v0, v[0:1], off
	s_andn2_b64 s[0:1], s[10:11], exec
	s_waitcnt vmcnt(0)
	v_cmp_ne_u16_e32 vcc, 0, v0
	s_and_b64 s[10:11], vcc, exec
	s_or_b64 s[10:11], s[0:1], s[10:11]
.LBB158_2285:
	s_mov_b64 s[24:25], -1
.LBB158_2286:
	s_andn2_b64 vcc, exec, s[24:25]
	s_cbranch_vccnz .LBB158_2403
; %bb.2287:
	v_add_u32_e32 v0, s14, v4
	v_ashrrev_i32_e32 v1, 31, v0
	v_mov_b32_e32 v3, s3
	v_add_co_u32_e32 v0, vcc, s2, v0
	s_cmp_lt_i32 s35, 11
	v_addc_co_u32_e32 v1, vcc, v3, v1, vcc
	s_cbranch_scc1 .LBB158_2294
; %bb.2288:
	s_and_b32 s13, 0xffff, s35
	s_cmp_gt_i32 s13, 25
	s_mov_b64 s[26:27], 0
	s_cbranch_scc0 .LBB158_2295
; %bb.2289:
	s_cmp_gt_i32 s13, 28
	s_cbranch_scc0 .LBB158_2296
; %bb.2290:
	s_cmp_gt_i32 s13, 43
	;; [unrolled: 3-line block ×3, first 2 shown]
	s_cbranch_scc0 .LBB158_2299
; %bb.2292:
	s_cmp_eq_u32 s13, 46
	s_mov_b64 s[28:29], 0
	s_cbranch_scc0 .LBB158_2300
; %bb.2293:
	global_load_dword v3, v[0:1], off
	s_mov_b64 s[2:3], 0
	s_mov_b64 s[24:25], -1
	s_waitcnt vmcnt(0)
	v_and_b32_e32 v3, 0x7fff7fff, v3
	v_cmp_ne_u32_e64 s[0:1], 0, v3
	s_branch .LBB158_2301
.LBB158_2294:
	s_mov_b64 s[2:3], -1
	s_mov_b64 s[24:25], 0
                                        ; implicit-def: $sgpr0_sgpr1
	s_branch .LBB158_2349
.LBB158_2295:
	s_mov_b64 s[28:29], -1
	s_mov_b64 s[24:25], 0
	s_mov_b64 s[2:3], 0
                                        ; implicit-def: $sgpr0_sgpr1
	s_branch .LBB158_2322
.LBB158_2296:
	s_mov_b64 s[28:29], -1
	s_mov_b64 s[24:25], 0
	s_mov_b64 s[2:3], 0
                                        ; implicit-def: $sgpr0_sgpr1
	s_branch .LBB158_2309
.LBB158_2297:
	s_mov_b64 s[28:29], -1
	s_mov_b64 s[24:25], 0
	s_mov_b64 s[2:3], 0
                                        ; implicit-def: $sgpr0_sgpr1
	s_branch .LBB158_2304
.LBB158_2298:
	s_trap 2
	s_mov_b64 s[24:25], 0
	s_or_b64 s[18:19], s[18:19], exec
	s_cbranch_execz .LBB158_2235
	s_branch .LBB158_2236
.LBB158_2299:
	s_mov_b64 s[28:29], -1
	s_mov_b64 s[24:25], 0
	s_mov_b64 s[2:3], 0
                                        ; implicit-def: $sgpr0_sgpr1
	s_branch .LBB158_2301
.LBB158_2300:
	s_mov_b64 s[2:3], -1
                                        ; implicit-def: $sgpr0_sgpr1
	s_mov_b64 s[24:25], 0
.LBB158_2301:
	s_and_b64 vcc, exec, s[28:29]
	s_cbranch_vccz .LBB158_2303
; %bb.2302:
	s_cmp_lg_u32 s13, 44
	s_mov_b64 s[24:25], -1
	s_cselect_b64 s[2:3], -1, 0
	s_or_b64 s[0:1], s[0:1], exec
.LBB158_2303:
	s_mov_b64 s[28:29], 0
.LBB158_2304:
	s_and_b64 vcc, exec, s[28:29]
	s_cbranch_vccz .LBB158_2308
; %bb.2305:
	s_cmp_eq_u32 s13, 29
	s_cbranch_scc0 .LBB158_2307
; %bb.2306:
	global_load_dwordx2 v[3:4], v[0:1], off
	s_mov_b64 s[2:3], 0
	s_mov_b64 s[24:25], -1
	s_mov_b64 s[28:29], 0
	s_waitcnt vmcnt(0)
	v_cmp_ne_u64_e64 s[0:1], 0, v[3:4]
	s_branch .LBB158_2309
.LBB158_2307:
	s_mov_b64 s[2:3], -1
                                        ; implicit-def: $sgpr0_sgpr1
.LBB158_2308:
	s_mov_b64 s[28:29], 0
.LBB158_2309:
	s_and_b64 vcc, exec, s[28:29]
	s_cbranch_vccz .LBB158_2321
; %bb.2310:
	s_cmp_lt_i32 s13, 27
	s_cbranch_scc1 .LBB158_2313
; %bb.2311:
	s_cmp_gt_i32 s13, 27
	s_cbranch_scc0 .LBB158_2314
; %bb.2312:
	global_load_dword v3, v[0:1], off
	s_mov_b64 s[24:25], 0
	s_waitcnt vmcnt(0)
	v_cmp_ne_u32_e64 s[0:1], 0, v3
	s_branch .LBB158_2315
.LBB158_2313:
	s_mov_b64 s[24:25], -1
                                        ; implicit-def: $sgpr0_sgpr1
	s_branch .LBB158_2318
.LBB158_2314:
	s_mov_b64 s[24:25], -1
                                        ; implicit-def: $sgpr0_sgpr1
.LBB158_2315:
	s_andn2_b64 vcc, exec, s[24:25]
	s_cbranch_vccnz .LBB158_2317
; %bb.2316:
	global_load_ushort v3, v[0:1], off
	s_andn2_b64 s[0:1], s[0:1], exec
	s_waitcnt vmcnt(0)
	v_cmp_ne_u16_e32 vcc, 0, v3
	s_and_b64 s[24:25], vcc, exec
	s_or_b64 s[0:1], s[0:1], s[24:25]
.LBB158_2317:
	s_mov_b64 s[24:25], 0
.LBB158_2318:
	s_andn2_b64 vcc, exec, s[24:25]
	s_cbranch_vccnz .LBB158_2320
; %bb.2319:
	global_load_ubyte v3, v[0:1], off
	s_andn2_b64 s[0:1], s[0:1], exec
	s_waitcnt vmcnt(0)
	v_cmp_ne_u16_e32 vcc, 0, v3
	s_and_b64 s[24:25], vcc, exec
	s_or_b64 s[0:1], s[0:1], s[24:25]
.LBB158_2320:
	s_mov_b64 s[24:25], -1
.LBB158_2321:
	s_mov_b64 s[28:29], 0
.LBB158_2322:
	s_and_b64 vcc, exec, s[28:29]
	s_cbranch_vccz .LBB158_2345
; %bb.2323:
	s_cmp_gt_i32 s13, 22
	s_cbranch_scc0 .LBB158_2327
; %bb.2324:
	s_cmp_lt_i32 s13, 24
	s_cbranch_scc1 .LBB158_2328
; %bb.2325:
	s_cmp_gt_i32 s13, 24
	s_cbranch_scc0 .LBB158_2329
; %bb.2326:
	global_load_ubyte v3, v[0:1], off
	s_mov_b64 s[24:25], 0
	s_waitcnt vmcnt(0)
	v_cmp_ne_u16_e64 s[0:1], 0, v3
	s_branch .LBB158_2330
.LBB158_2327:
	s_mov_b64 s[26:27], -1
                                        ; implicit-def: $sgpr0_sgpr1
	s_branch .LBB158_2336
.LBB158_2328:
	s_mov_b64 s[24:25], -1
                                        ; implicit-def: $sgpr0_sgpr1
	s_branch .LBB158_2333
.LBB158_2329:
	s_mov_b64 s[24:25], -1
                                        ; implicit-def: $sgpr0_sgpr1
.LBB158_2330:
	s_andn2_b64 vcc, exec, s[24:25]
	s_cbranch_vccnz .LBB158_2332
; %bb.2331:
	global_load_ubyte v3, v[0:1], off
	s_andn2_b64 s[0:1], s[0:1], exec
	s_waitcnt vmcnt(0)
	v_and_b32_e32 v3, 0x7f, v3
	v_cmp_ne_u16_e32 vcc, 0, v3
	s_and_b64 s[24:25], vcc, exec
	s_or_b64 s[0:1], s[0:1], s[24:25]
.LBB158_2332:
	s_mov_b64 s[24:25], 0
.LBB158_2333:
	s_andn2_b64 vcc, exec, s[24:25]
	s_cbranch_vccnz .LBB158_2335
; %bb.2334:
	global_load_ubyte v3, v[0:1], off
	s_movk_i32 s14, 0x7f00
	s_brev_b32 s24, 16
	s_andn2_b64 s[0:1], s[0:1], exec
	s_waitcnt vmcnt(0)
	v_lshlrev_b32_e32 v4, 8, v3
	v_lshlrev_b32_e32 v3, 25, v3
	v_lshrrev_b32_e32 v5, 4, v3
	v_and_or_b32 v4, v4, s14, 0.5
	v_or_b32_e32 v5, 0x70000000, v5
	v_add_f32_e32 v4, -0.5, v4
	v_mul_f32_e32 v5, 0x7800000, v5
	v_cmp_gt_u32_e32 vcc, s24, v3
	v_cndmask_b32_e32 v3, v5, v4, vcc
	v_cmp_neq_f32_e32 vcc, 0, v3
	s_and_b64 s[24:25], vcc, exec
	s_or_b64 s[0:1], s[0:1], s[24:25]
.LBB158_2335:
	s_mov_b64 s[24:25], -1
.LBB158_2336:
	s_andn2_b64 vcc, exec, s[26:27]
	s_mov_b64 s[26:27], 0
	s_cbranch_vccnz .LBB158_2345
; %bb.2337:
	s_cmp_gt_i32 s13, 14
	s_cbranch_scc0 .LBB158_2340
; %bb.2338:
	s_cmp_eq_u32 s13, 15
	s_cbranch_scc0 .LBB158_2341
; %bb.2339:
	global_load_ushort v3, v[0:1], off
	s_mov_b64 s[2:3], 0
	s_mov_b64 s[24:25], -1
	s_waitcnt vmcnt(0)
	v_and_b32_e32 v3, 0x7fff, v3
	v_cmp_ne_u16_e64 s[0:1], 0, v3
	s_branch .LBB158_2342
.LBB158_2340:
	s_mov_b64 s[28:29], -1
                                        ; implicit-def: $sgpr0_sgpr1
	s_branch .LBB158_2343
.LBB158_2341:
	s_mov_b64 s[2:3], -1
                                        ; implicit-def: $sgpr0_sgpr1
.LBB158_2342:
	s_mov_b64 s[28:29], 0
.LBB158_2343:
	s_and_b64 vcc, exec, s[28:29]
	s_cbranch_vccz .LBB158_2345
; %bb.2344:
	s_cmp_lg_u32 s13, 11
	s_mov_b64 s[26:27], -1
	s_cselect_b64 s[2:3], -1, 0
.LBB158_2345:
	s_and_b64 vcc, exec, s[2:3]
	s_cbranch_vccnz .LBB158_2897
; %bb.2346:
	s_andn2_b64 vcc, exec, s[26:27]
	s_cbranch_vccnz .LBB158_2348
.LBB158_2347:
	global_load_ubyte v3, v[0:1], off
	s_andn2_b64 s[0:1], s[0:1], exec
	s_mov_b64 s[24:25], -1
	s_waitcnt vmcnt(0)
	v_cmp_ne_u16_e32 vcc, 0, v3
	s_and_b64 s[2:3], vcc, exec
	s_or_b64 s[0:1], s[0:1], s[2:3]
.LBB158_2348:
	s_mov_b64 s[2:3], 0
.LBB158_2349:
	s_and_b64 vcc, exec, s[2:3]
	s_cbranch_vccz .LBB158_2398
; %bb.2350:
	s_and_b32 s13, 0xffff, s35
	s_cmp_lt_i32 s13, 5
	s_cbranch_scc1 .LBB158_2355
; %bb.2351:
	s_cmp_lt_i32 s13, 8
	s_cbranch_scc1 .LBB158_2356
; %bb.2352:
	;; [unrolled: 3-line block ×3, first 2 shown]
	s_cmp_gt_i32 s13, 9
	s_cbranch_scc0 .LBB158_2358
; %bb.2354:
	global_load_dwordx4 v[3:6], v[0:1], off
	s_mov_b64 s[2:3], 0
	s_waitcnt vmcnt(0)
	v_cmp_neq_f64_e32 vcc, 0, v[3:4]
	v_cmp_neq_f64_e64 s[0:1], 0, v[5:6]
	s_or_b64 s[0:1], vcc, s[0:1]
	s_branch .LBB158_2359
.LBB158_2355:
	s_mov_b64 s[2:3], -1
                                        ; implicit-def: $sgpr0_sgpr1
	s_branch .LBB158_2377
.LBB158_2356:
	s_mov_b64 s[2:3], -1
                                        ; implicit-def: $sgpr0_sgpr1
	s_branch .LBB158_2365
.LBB158_2357:
	s_mov_b64 s[2:3], -1
                                        ; implicit-def: $sgpr0_sgpr1
	s_branch .LBB158_2362
.LBB158_2358:
	s_mov_b64 s[2:3], -1
                                        ; implicit-def: $sgpr0_sgpr1
.LBB158_2359:
	s_andn2_b64 vcc, exec, s[2:3]
	s_cbranch_vccnz .LBB158_2361
; %bb.2360:
	global_load_dwordx2 v[3:4], v[0:1], off
	s_andn2_b64 s[0:1], s[0:1], exec
	s_waitcnt vmcnt(0)
	v_or_b32_e32 v3, v3, v4
	v_and_b32_e32 v3, 0x7fffffff, v3
	v_cmp_ne_u32_e32 vcc, 0, v3
	s_and_b64 s[2:3], vcc, exec
	s_or_b64 s[0:1], s[0:1], s[2:3]
.LBB158_2361:
	s_mov_b64 s[2:3], 0
.LBB158_2362:
	s_andn2_b64 vcc, exec, s[2:3]
	s_cbranch_vccnz .LBB158_2364
; %bb.2363:
	global_load_dword v3, v[0:1], off
	s_andn2_b64 s[0:1], s[0:1], exec
	s_waitcnt vmcnt(0)
	v_and_b32_e32 v3, 0x7fff7fff, v3
	v_cmp_ne_u32_e32 vcc, 0, v3
	s_and_b64 s[2:3], vcc, exec
	s_or_b64 s[0:1], s[0:1], s[2:3]
.LBB158_2364:
	s_mov_b64 s[2:3], 0
.LBB158_2365:
	s_andn2_b64 vcc, exec, s[2:3]
	s_cbranch_vccnz .LBB158_2376
; %bb.2366:
	s_cmp_lt_i32 s13, 6
	s_cbranch_scc1 .LBB158_2369
; %bb.2367:
	s_cmp_gt_i32 s13, 6
	s_cbranch_scc0 .LBB158_2370
; %bb.2368:
	global_load_dwordx2 v[3:4], v[0:1], off
	s_mov_b64 s[2:3], 0
	s_waitcnt vmcnt(0)
	v_cmp_neq_f64_e64 s[0:1], 0, v[3:4]
	s_branch .LBB158_2371
.LBB158_2369:
	s_mov_b64 s[2:3], -1
                                        ; implicit-def: $sgpr0_sgpr1
	s_branch .LBB158_2374
.LBB158_2370:
	s_mov_b64 s[2:3], -1
                                        ; implicit-def: $sgpr0_sgpr1
.LBB158_2371:
	s_andn2_b64 vcc, exec, s[2:3]
	s_cbranch_vccnz .LBB158_2373
; %bb.2372:
	global_load_dword v3, v[0:1], off
	s_andn2_b64 s[0:1], s[0:1], exec
	s_waitcnt vmcnt(0)
	v_cmp_neq_f32_e32 vcc, 0, v3
	s_and_b64 s[2:3], vcc, exec
	s_or_b64 s[0:1], s[0:1], s[2:3]
.LBB158_2373:
	s_mov_b64 s[2:3], 0
.LBB158_2374:
	s_andn2_b64 vcc, exec, s[2:3]
	s_cbranch_vccnz .LBB158_2376
; %bb.2375:
	global_load_ushort v3, v[0:1], off
	s_andn2_b64 s[0:1], s[0:1], exec
	s_waitcnt vmcnt(0)
	v_and_b32_e32 v3, 0x7fff, v3
	v_cmp_ne_u16_e32 vcc, 0, v3
	s_and_b64 s[2:3], vcc, exec
	s_or_b64 s[0:1], s[0:1], s[2:3]
.LBB158_2376:
	s_mov_b64 s[2:3], 0
.LBB158_2377:
	s_andn2_b64 vcc, exec, s[2:3]
	s_cbranch_vccnz .LBB158_2397
; %bb.2378:
	s_cmp_lt_i32 s13, 2
	s_cbranch_scc1 .LBB158_2382
; %bb.2379:
	s_cmp_lt_i32 s13, 3
	s_cbranch_scc1 .LBB158_2383
; %bb.2380:
	s_cmp_gt_i32 s13, 3
	s_cbranch_scc0 .LBB158_2384
; %bb.2381:
	global_load_dwordx2 v[3:4], v[0:1], off
	s_mov_b64 s[2:3], 0
	s_waitcnt vmcnt(0)
	v_cmp_ne_u64_e64 s[0:1], 0, v[3:4]
	s_branch .LBB158_2385
.LBB158_2382:
	s_mov_b64 s[2:3], -1
                                        ; implicit-def: $sgpr0_sgpr1
	s_branch .LBB158_2391
.LBB158_2383:
	s_mov_b64 s[2:3], -1
                                        ; implicit-def: $sgpr0_sgpr1
	s_branch .LBB158_2388
.LBB158_2384:
	s_mov_b64 s[2:3], -1
                                        ; implicit-def: $sgpr0_sgpr1
.LBB158_2385:
	s_andn2_b64 vcc, exec, s[2:3]
	s_cbranch_vccnz .LBB158_2387
; %bb.2386:
	global_load_dword v3, v[0:1], off
	s_andn2_b64 s[0:1], s[0:1], exec
	s_waitcnt vmcnt(0)
	v_cmp_ne_u32_e32 vcc, 0, v3
	s_and_b64 s[2:3], vcc, exec
	s_or_b64 s[0:1], s[0:1], s[2:3]
.LBB158_2387:
	s_mov_b64 s[2:3], 0
.LBB158_2388:
	s_andn2_b64 vcc, exec, s[2:3]
	s_cbranch_vccnz .LBB158_2390
; %bb.2389:
	global_load_ushort v3, v[0:1], off
	s_andn2_b64 s[0:1], s[0:1], exec
	s_waitcnt vmcnt(0)
	v_cmp_ne_u16_e32 vcc, 0, v3
	s_and_b64 s[2:3], vcc, exec
	s_or_b64 s[0:1], s[0:1], s[2:3]
.LBB158_2390:
	s_mov_b64 s[2:3], 0
.LBB158_2391:
	s_andn2_b64 vcc, exec, s[2:3]
	s_cbranch_vccnz .LBB158_2397
; %bb.2392:
	s_cmp_gt_i32 s13, 0
	s_cbranch_scc0 .LBB158_2394
; %bb.2393:
	global_load_ubyte v3, v[0:1], off
	s_mov_b64 s[2:3], 0
	s_waitcnt vmcnt(0)
	v_cmp_ne_u16_e64 s[0:1], 0, v3
	s_branch .LBB158_2395
.LBB158_2394:
	s_mov_b64 s[2:3], -1
                                        ; implicit-def: $sgpr0_sgpr1
.LBB158_2395:
	s_andn2_b64 vcc, exec, s[2:3]
	s_cbranch_vccnz .LBB158_2397
; %bb.2396:
	global_load_ubyte v0, v[0:1], off
	s_andn2_b64 s[0:1], s[0:1], exec
	s_waitcnt vmcnt(0)
	v_cmp_ne_u16_e32 vcc, 0, v0
	s_and_b64 s[2:3], vcc, exec
	s_or_b64 s[0:1], s[0:1], s[2:3]
.LBB158_2397:
	s_mov_b64 s[24:25], -1
.LBB158_2398:
	s_andn2_b64 vcc, exec, s[24:25]
	s_cbranch_vccnz .LBB158_2403
; %bb.2399:
	s_cmp_lt_i32 s15, 1
	s_mov_b64 s[2:3], 0
	s_cbranch_scc1 .LBB158_2449
; %bb.2400:
	s_cmp_gt_i32 s15, 1
	s_cbranch_scc0 .LBB158_2450
; %bb.2401:
	s_cmp_eq_u32 s15, 2
	s_cbranch_scc0 .LBB158_2451
; %bb.2402:
	s_xor_b64 s[24:25], s[10:11], -1
	s_or_b64 s[24:25], s[0:1], s[24:25]
	s_mov_b64 s[26:27], 0
	s_branch .LBB158_2452
.LBB158_2403:
	s_mov_b64 s[0:1], 0
                                        ; implicit-def: $sgpr24_sgpr25
.LBB158_2404:
	s_mov_b64 s[2:3], 0
                                        ; implicit-def: $sgpr28
                                        ; implicit-def: $vgpr0_vgpr1
.LBB158_2405:
	s_and_b64 s[4:5], s[2:3], exec
	s_andn2_b64 s[2:3], s[16:17], exec
	s_and_b64 s[8:9], s[18:19], exec
	s_and_b64 s[0:1], s[0:1], exec
	s_or_b64 s[16:17], s[2:3], s[8:9]
.LBB158_2406:
	s_or_b64 exec, exec, s[6:7]
	s_and_saveexec_b64 s[2:3], s[16:17]
	s_cbranch_execz .LBB158_2409
; %bb.2407:
	; divergent unreachable
	s_or_b64 exec, exec, s[2:3]
	s_and_saveexec_b64 s[2:3], s[4:5]
	s_xor_b64 s[2:3], exec, s[2:3]
	s_cbranch_execnz .LBB158_2410
.LBB158_2408:
	s_or_b64 exec, exec, s[2:3]
	s_and_saveexec_b64 s[2:3], s[0:1]
	s_cbranch_execnz .LBB158_2411
	s_branch .LBB158_2448
.LBB158_2409:
	s_or_b64 exec, exec, s[2:3]
	s_and_saveexec_b64 s[2:3], s[4:5]
	s_xor_b64 s[2:3], exec, s[2:3]
	s_cbranch_execz .LBB158_2408
.LBB158_2410:
	v_cndmask_b32_e64 v2, 0, 1, s[24:25]
	global_store_byte v[0:1], v2, off
	s_or_b64 exec, exec, s[2:3]
	s_and_saveexec_b64 s[2:3], s[0:1]
	s_cbranch_execz .LBB158_2448
.LBB158_2411:
	s_sext_i32_i16 s2, s28
	s_cmp_lt_i32 s2, 5
	s_mov_b64 s[0:1], -1
	s_cbranch_scc1 .LBB158_2432
; %bb.2412:
	s_cmp_lt_i32 s2, 8
	s_cbranch_scc1 .LBB158_2422
; %bb.2413:
	s_cmp_lt_i32 s2, 9
	s_cbranch_scc1 .LBB158_2419
; %bb.2414:
	s_cmp_gt_i32 s2, 9
	s_cbranch_scc0 .LBB158_2416
; %bb.2415:
	v_cndmask_b32_e64 v2, 0, 1, s[24:25]
	v_cvt_f64_u32_e32 v[2:3], v2
	v_mov_b32_e32 v4, 0
	v_mov_b32_e32 v5, v4
	s_mov_b64 s[0:1], 0
	global_store_dwordx4 v[0:1], v[2:5], off
.LBB158_2416:
	s_andn2_b64 vcc, exec, s[0:1]
	s_cbranch_vccnz .LBB158_2418
; %bb.2417:
	v_cndmask_b32_e64 v2, 0, 1.0, s[24:25]
	v_mov_b32_e32 v3, 0
	global_store_dwordx2 v[0:1], v[2:3], off
.LBB158_2418:
	s_mov_b64 s[0:1], 0
.LBB158_2419:
	s_andn2_b64 vcc, exec, s[0:1]
	s_cbranch_vccnz .LBB158_2421
; %bb.2420:
	v_cndmask_b32_e64 v2, 0, 1.0, s[24:25]
	v_cvt_f16_f32_e32 v2, v2
	global_store_dword v[0:1], v2, off
.LBB158_2421:
	s_mov_b64 s[0:1], 0
.LBB158_2422:
	s_andn2_b64 vcc, exec, s[0:1]
	s_cbranch_vccnz .LBB158_2431
; %bb.2423:
	s_sext_i32_i16 s2, s28
	s_cmp_lt_i32 s2, 6
	s_mov_b64 s[0:1], -1
	s_cbranch_scc1 .LBB158_2429
; %bb.2424:
	s_cmp_gt_i32 s2, 6
	s_cbranch_scc0 .LBB158_2426
; %bb.2425:
	v_cndmask_b32_e64 v2, 0, 1, s[24:25]
	v_cvt_f64_u32_e32 v[2:3], v2
	s_mov_b64 s[0:1], 0
	global_store_dwordx2 v[0:1], v[2:3], off
.LBB158_2426:
	s_andn2_b64 vcc, exec, s[0:1]
	s_cbranch_vccnz .LBB158_2428
; %bb.2427:
	v_cndmask_b32_e64 v2, 0, 1.0, s[24:25]
	global_store_dword v[0:1], v2, off
.LBB158_2428:
	s_mov_b64 s[0:1], 0
.LBB158_2429:
	s_andn2_b64 vcc, exec, s[0:1]
	s_cbranch_vccnz .LBB158_2431
; %bb.2430:
	v_cndmask_b32_e64 v2, 0, 1.0, s[24:25]
	v_cvt_f16_f32_e32 v2, v2
	global_store_short v[0:1], v2, off
.LBB158_2431:
	s_mov_b64 s[0:1], 0
.LBB158_2432:
	s_andn2_b64 vcc, exec, s[0:1]
	s_cbranch_vccnz .LBB158_2448
; %bb.2433:
	s_sext_i32_i16 s2, s28
	s_cmp_lt_i32 s2, 2
	s_mov_b64 s[0:1], -1
	s_cbranch_scc1 .LBB158_2443
; %bb.2434:
	s_cmp_lt_i32 s2, 3
	s_cbranch_scc1 .LBB158_2440
; %bb.2435:
	s_cmp_gt_i32 s2, 3
	s_cbranch_scc0 .LBB158_2437
; %bb.2436:
	s_mov_b32 s0, 0
	v_cndmask_b32_e64 v2, 0, 1, s[24:25]
	v_mov_b32_e32 v3, s0
	global_store_dwordx2 v[0:1], v[2:3], off
	s_mov_b64 s[0:1], 0
.LBB158_2437:
	s_andn2_b64 vcc, exec, s[0:1]
	s_cbranch_vccnz .LBB158_2439
; %bb.2438:
	v_cndmask_b32_e64 v2, 0, 1, s[24:25]
	global_store_dword v[0:1], v2, off
.LBB158_2439:
	s_mov_b64 s[0:1], 0
.LBB158_2440:
	s_andn2_b64 vcc, exec, s[0:1]
	s_cbranch_vccnz .LBB158_2442
; %bb.2441:
	v_cndmask_b32_e64 v2, 0, 1, s[24:25]
	global_store_short v[0:1], v2, off
.LBB158_2442:
	s_mov_b64 s[0:1], 0
.LBB158_2443:
	s_andn2_b64 vcc, exec, s[0:1]
	s_cbranch_vccnz .LBB158_2448
; %bb.2444:
	s_sext_i32_i16 s2, s28
	s_mov_b64 s[0:1], -1
	s_cmp_gt_i32 s2, 0
	v_cndmask_b32_e64 v2, 0, 1, s[24:25]
	s_cbranch_scc0 .LBB158_2446
; %bb.2445:
	global_store_byte v[0:1], v2, off
	s_mov_b64 s[0:1], 0
.LBB158_2446:
	s_andn2_b64 vcc, exec, s[0:1]
	s_cbranch_vccnz .LBB158_2448
; %bb.2447:
	global_store_byte v[0:1], v2, off
	s_endpgm
.LBB158_2448:
	s_endpgm
.LBB158_2449:
	s_mov_b64 s[28:29], -1
                                        ; implicit-def: $sgpr24_sgpr25
	s_mov_b64 s[26:27], 0
	s_branch .LBB158_2456
.LBB158_2450:
	s_mov_b64 s[28:29], -1
	s_mov_b64 s[26:27], 0
                                        ; implicit-def: $sgpr24_sgpr25
	s_branch .LBB158_2453
.LBB158_2451:
	s_mov_b64 s[26:27], -1
                                        ; implicit-def: $sgpr24_sgpr25
.LBB158_2452:
	s_mov_b64 s[28:29], 0
.LBB158_2453:
	s_and_b64 vcc, exec, s[28:29]
	s_cbranch_vccz .LBB158_2455
; %bb.2454:
	s_xor_b64 s[28:29], s[0:1], -1
	s_and_b64 s[28:29], s[10:11], s[28:29]
	s_andn2_b64 s[24:25], s[24:25], exec
	s_and_b64 s[28:29], s[28:29], exec
	s_or_b64 s[24:25], s[24:25], s[28:29]
.LBB158_2455:
	s_mov_b64 s[28:29], 0
.LBB158_2456:
	s_and_b64 vcc, exec, s[28:29]
	s_cbranch_vccz .LBB158_2538
; %bb.2457:
	s_cmp_lg_u32 s15, 0
	s_mov_b64 s[2:3], -1
	s_cselect_b64 s[26:27], -1, 0
	s_andn2_b64 vcc, exec, s[26:27]
	s_cbranch_vccz .LBB158_2539
.LBB158_2458:
	s_andn2_b64 vcc, exec, s[2:3]
	s_cbranch_vccnz .LBB158_2460
.LBB158_2459:
	s_xor_b64 s[0:1], s[0:1], -1
	s_or_b64 s[0:1], s[10:11], s[0:1]
	s_andn2_b64 s[2:3], s[24:25], exec
	s_and_b64 s[0:1], s[0:1], exec
	s_or_b64 s[24:25], s[2:3], s[0:1]
.LBB158_2460:
	v_mul_lo_u32 v2, s12, v2
	v_mov_b32_e32 v1, s9
	s_and_b32 s28, s33, 0xff
	s_cmp_lt_i32 s28, 11
	v_ashrrev_i32_e32 v3, 31, v2
	v_add_co_u32_e32 v0, vcc, s8, v2
	v_addc_co_u32_e32 v1, vcc, v1, v3, vcc
	s_cbranch_scc1 .LBB158_2540
; %bb.2461:
	s_and_b32 s13, 0xffff, s28
	s_mov_b64 s[14:15], -1
	s_mov_b64 s[2:3], 0
	s_cmp_gt_i32 s13, 25
	s_mov_b64 s[10:11], 0
	s_mov_b64 s[0:1], 0
	s_cbranch_scc0 .LBB158_2494
; %bb.2462:
	s_cmp_gt_i32 s13, 28
	s_cbranch_scc0 .LBB158_2477
; %bb.2463:
	s_cmp_gt_i32 s13, 43
	;; [unrolled: 3-line block ×3, first 2 shown]
	s_cbranch_scc0 .LBB158_2467
; %bb.2465:
	s_mov_b64 s[0:1], -1
	s_mov_b64 s[14:15], 0
	s_cmp_eq_u32 s13, 46
	s_cbranch_scc0 .LBB158_2467
; %bb.2466:
	v_cndmask_b32_e64 v3, 0, 1.0, s[4:5]
	v_bfe_u32 v4, v3, 16, 1
	s_movk_i32 s0, 0x7fff
	v_add3_u32 v3, v3, v4, s0
	v_lshrrev_b32_e32 v3, 16, v3
	global_store_dword v[0:1], v3, off
	s_mov_b64 s[0:1], 0
	s_mov_b64 s[10:11], -1
.LBB158_2467:
	s_and_b64 vcc, exec, s[14:15]
	s_cbranch_vccz .LBB158_2472
; %bb.2468:
	s_cmp_eq_u32 s13, 44
	s_mov_b64 s[0:1], -1
	s_cbranch_scc0 .LBB158_2472
; %bb.2469:
	v_cndmask_b32_e64 v4, 0, 1.0, s[4:5]
	v_lshrrev_b32_e32 v3, 23, v4
	s_movk_i32 s0, 0xff
	v_cmp_ne_u32_e32 vcc, s0, v3
	v_mov_b32_e32 v5, 0xff
	s_and_saveexec_b64 s[10:11], vcc
; %bb.2470:
	s_mov_b32 s0, 0x3fffff
	v_and_b32_e32 v5, 0x400000, v4
	v_and_or_b32 v4, v4, s0, v3
	v_cmp_ne_u32_e32 vcc, 0, v5
	v_cmp_ne_u32_e64 s[0:1], 0, v4
	s_and_b64 s[0:1], vcc, s[0:1]
	v_cndmask_b32_e64 v4, 0, 1, s[0:1]
	v_add_u32_e32 v5, v3, v4
; %bb.2471:
	s_or_b64 exec, exec, s[10:11]
	s_mov_b64 s[0:1], 0
	s_mov_b64 s[10:11], -1
	global_store_byte v[0:1], v5, off
.LBB158_2472:
	s_mov_b64 s[14:15], 0
.LBB158_2473:
	s_and_b64 vcc, exec, s[14:15]
	s_cbranch_vccz .LBB158_2476
; %bb.2474:
	s_cmp_eq_u32 s13, 29
	s_mov_b64 s[0:1], -1
	s_cbranch_scc0 .LBB158_2476
; %bb.2475:
	s_mov_b32 s0, 0
	v_cndmask_b32_e64 v3, 0, 1, s[4:5]
	v_mov_b32_e32 v4, s0
	global_store_dwordx2 v[0:1], v[3:4], off
	s_mov_b64 s[0:1], 0
	s_mov_b64 s[10:11], -1
.LBB158_2476:
	s_mov_b64 s[14:15], 0
.LBB158_2477:
	s_and_b64 vcc, exec, s[14:15]
	s_cbranch_vccz .LBB158_2493
; %bb.2478:
	s_cmp_lt_i32 s13, 27
	s_mov_b64 s[10:11], -1
	s_cbranch_scc1 .LBB158_2484
; %bb.2479:
	s_cmp_gt_i32 s13, 27
	s_cbranch_scc0 .LBB158_2481
; %bb.2480:
	v_cndmask_b32_e64 v3, 0, 1, s[4:5]
	s_mov_b64 s[10:11], 0
	global_store_dword v[0:1], v3, off
.LBB158_2481:
	s_andn2_b64 vcc, exec, s[10:11]
	s_cbranch_vccnz .LBB158_2483
; %bb.2482:
	v_cndmask_b32_e64 v3, 0, 1, s[4:5]
	global_store_short v[0:1], v3, off
.LBB158_2483:
	s_mov_b64 s[10:11], 0
.LBB158_2484:
	s_andn2_b64 vcc, exec, s[10:11]
	s_cbranch_vccnz .LBB158_2492
; %bb.2485:
	v_cndmask_b32_e64 v4, 0, 1.0, s[4:5]
	s_mov_b32 s10, 0x43800000
	v_cmp_gt_u32_e32 vcc, s10, v4
	v_mov_b32_e32 v5, 0x80
	s_and_saveexec_b64 s[10:11], vcc
	s_cbranch_execz .LBB158_2491
; %bb.2486:
	s_mov_b32 s14, 0x3bffffff
	v_cmp_lt_u32_e32 vcc, s14, v4
	s_mov_b64 s[14:15], 0
                                        ; implicit-def: $vgpr3
	s_and_saveexec_b64 s[26:27], vcc
	s_xor_b64 s[26:27], exec, s[26:27]
	s_cbranch_execz .LBB158_2898
; %bb.2487:
	v_bfe_u32 v3, v4, 20, 1
	s_mov_b32 s29, 0x487ffff
	v_add3_u32 v3, v4, v3, s29
	s_mov_b64 s[14:15], exec
	v_lshrrev_b32_e32 v3, 20, v3
                                        ; implicit-def: $vgpr4
	s_andn2_saveexec_b64 s[26:27], s[26:27]
	s_cbranch_execnz .LBB158_2899
.LBB158_2488:
	s_or_b64 exec, exec, s[26:27]
	v_mov_b32_e32 v5, 0
	s_and_saveexec_b64 s[26:27], s[14:15]
.LBB158_2489:
	v_mov_b32_e32 v5, v3
.LBB158_2490:
	s_or_b64 exec, exec, s[26:27]
.LBB158_2491:
	s_or_b64 exec, exec, s[10:11]
	global_store_byte v[0:1], v5, off
.LBB158_2492:
	s_mov_b64 s[10:11], -1
.LBB158_2493:
	s_mov_b64 s[14:15], 0
.LBB158_2494:
	s_and_b64 vcc, exec, s[14:15]
	s_cbranch_vccz .LBB158_2534
; %bb.2495:
	s_cmp_gt_i32 s13, 22
	s_mov_b64 s[2:3], -1
	s_cbranch_scc0 .LBB158_2527
; %bb.2496:
	s_cmp_lt_i32 s13, 24
	s_cbranch_scc1 .LBB158_2516
; %bb.2497:
	s_cmp_gt_i32 s13, 24
	s_cbranch_scc0 .LBB158_2505
; %bb.2498:
	v_cndmask_b32_e64 v4, 0, 1.0, s[4:5]
	s_mov_b32 s2, 0x47800000
	v_cmp_gt_u32_e32 vcc, s2, v4
	v_mov_b32_e32 v5, 0x80
	s_and_saveexec_b64 s[2:3], vcc
	s_cbranch_execz .LBB158_2504
; %bb.2499:
	s_mov_b32 s10, 0x37ffffff
	v_cmp_lt_u32_e32 vcc, s10, v4
	s_mov_b64 s[10:11], 0
                                        ; implicit-def: $vgpr3
	s_and_saveexec_b64 s[14:15], vcc
	s_xor_b64 s[14:15], exec, s[14:15]
	s_cbranch_execz .LBB158_2901
; %bb.2500:
	v_bfe_u32 v3, v4, 21, 1
	s_mov_b32 s26, 0x88fffff
	v_add3_u32 v3, v4, v3, s26
	s_mov_b64 s[10:11], exec
	v_lshrrev_b32_e32 v3, 21, v3
                                        ; implicit-def: $vgpr4
	s_andn2_saveexec_b64 s[14:15], s[14:15]
	s_cbranch_execnz .LBB158_2902
.LBB158_2501:
	s_or_b64 exec, exec, s[14:15]
	v_mov_b32_e32 v5, 0
	s_and_saveexec_b64 s[14:15], s[10:11]
.LBB158_2502:
	v_mov_b32_e32 v5, v3
.LBB158_2503:
	s_or_b64 exec, exec, s[14:15]
.LBB158_2504:
	s_or_b64 exec, exec, s[2:3]
	s_mov_b64 s[2:3], 0
	global_store_byte v[0:1], v5, off
.LBB158_2505:
	s_and_b64 vcc, exec, s[2:3]
	s_cbranch_vccz .LBB158_2515
; %bb.2506:
	v_cndmask_b32_e64 v3, 0, 1.0, s[4:5]
	s_mov_b32 s2, 0x43f00000
	v_cmp_gt_u32_e32 vcc, s2, v3
                                        ; implicit-def: $vgpr4
	s_and_saveexec_b64 s[2:3], vcc
	s_xor_b64 s[2:3], exec, s[2:3]
	s_cbranch_execz .LBB158_2512
; %bb.2507:
	s_mov_b32 s10, 0x3c7fffff
	v_cmp_lt_u32_e32 vcc, s10, v3
                                        ; implicit-def: $vgpr4
	s_and_saveexec_b64 s[10:11], vcc
	s_xor_b64 s[10:11], exec, s[10:11]
; %bb.2508:
	v_bfe_u32 v4, v3, 20, 1
	s_mov_b32 s14, 0x407ffff
	v_add3_u32 v3, v3, v4, s14
	v_lshrrev_b32_e32 v4, 20, v3
	v_and_b32_e32 v3, 0xff00000, v3
	s_mov_b32 s14, 0x7f00000
	v_mov_b32_e32 v5, 0x7e
	v_cmp_ne_u32_e32 vcc, s14, v3
	v_cndmask_b32_e32 v4, v5, v4, vcc
                                        ; implicit-def: $vgpr3
; %bb.2509:
	s_andn2_saveexec_b64 s[10:11], s[10:11]
; %bb.2510:
	v_add_f32_e32 v4, 0x46800000, v3
; %bb.2511:
	s_or_b64 exec, exec, s[10:11]
                                        ; implicit-def: $vgpr3
.LBB158_2512:
	s_andn2_saveexec_b64 s[2:3], s[2:3]
; %bb.2513:
	s_mov_b32 s10, 0x7f800000
	v_mov_b32_e32 v4, 0x7e
	v_mov_b32_e32 v5, 0x7f
	v_cmp_lt_u32_e32 vcc, s10, v3
	v_cndmask_b32_e32 v4, v4, v5, vcc
; %bb.2514:
	s_or_b64 exec, exec, s[2:3]
	global_store_byte v[0:1], v4, off
.LBB158_2515:
	s_mov_b64 s[2:3], 0
.LBB158_2516:
	s_andn2_b64 vcc, exec, s[2:3]
	s_cbranch_vccnz .LBB158_2526
; %bb.2517:
	v_cndmask_b32_e64 v3, 0, 1.0, s[4:5]
	s_mov_b32 s2, 0x47800000
	v_cmp_gt_u32_e32 vcc, s2, v3
                                        ; implicit-def: $vgpr4
	s_and_saveexec_b64 s[2:3], vcc
	s_xor_b64 s[2:3], exec, s[2:3]
	s_cbranch_execz .LBB158_2523
; %bb.2518:
	s_mov_b32 s10, 0x387fffff
	v_cmp_lt_u32_e32 vcc, s10, v3
                                        ; implicit-def: $vgpr4
	s_and_saveexec_b64 s[10:11], vcc
	s_xor_b64 s[10:11], exec, s[10:11]
; %bb.2519:
	v_bfe_u32 v4, v3, 21, 1
	s_mov_b32 s14, 0x80fffff
	v_add3_u32 v3, v3, v4, s14
	v_lshrrev_b32_e32 v4, 21, v3
                                        ; implicit-def: $vgpr3
; %bb.2520:
	s_andn2_saveexec_b64 s[10:11], s[10:11]
; %bb.2521:
	v_add_f32_e32 v4, 0x43000000, v3
; %bb.2522:
	s_or_b64 exec, exec, s[10:11]
                                        ; implicit-def: $vgpr3
.LBB158_2523:
	s_andn2_saveexec_b64 s[2:3], s[2:3]
; %bb.2524:
	s_mov_b32 s10, 0x7f800000
	v_mov_b32_e32 v4, 0x7c
	v_mov_b32_e32 v5, 0x7f
	v_cmp_lt_u32_e32 vcc, s10, v3
	v_cndmask_b32_e32 v4, v4, v5, vcc
; %bb.2525:
	s_or_b64 exec, exec, s[2:3]
	global_store_byte v[0:1], v4, off
.LBB158_2526:
	s_mov_b64 s[2:3], 0
	s_mov_b64 s[10:11], -1
.LBB158_2527:
	s_andn2_b64 vcc, exec, s[2:3]
	s_mov_b64 s[2:3], 0
	s_cbranch_vccnz .LBB158_2534
; %bb.2528:
	s_cmp_gt_i32 s13, 14
	s_mov_b64 s[14:15], -1
	s_cbranch_scc0 .LBB158_2532
; %bb.2529:
	s_cmp_eq_u32 s13, 15
	s_mov_b64 s[0:1], -1
	s_cbranch_scc0 .LBB158_2531
; %bb.2530:
	v_cndmask_b32_e64 v3, 0, 1.0, s[4:5]
	v_bfe_u32 v4, v3, 16, 1
	s_movk_i32 s0, 0x7fff
	v_add3_u32 v3, v3, v4, s0
	global_store_short_d16_hi v[0:1], v3, off
	s_mov_b64 s[0:1], 0
	s_mov_b64 s[10:11], -1
.LBB158_2531:
	s_mov_b64 s[14:15], 0
.LBB158_2532:
	s_and_b64 vcc, exec, s[14:15]
	s_cbranch_vccz .LBB158_2534
; %bb.2533:
	s_cmp_lg_u32 s13, 11
	s_mov_b64 s[2:3], -1
	s_cselect_b64 s[0:1], -1, 0
.LBB158_2534:
	s_and_b64 vcc, exec, s[0:1]
	s_cbranch_vccnz .LBB158_2900
; %bb.2535:
	s_andn2_b64 vcc, exec, s[2:3]
	s_cbranch_vccnz .LBB158_2537
.LBB158_2536:
	v_cndmask_b32_e64 v3, 0, 1, s[4:5]
	s_mov_b64 s[10:11], -1
	global_store_byte v[0:1], v3, off
.LBB158_2537:
	s_mov_b64 s[0:1], 0
	s_branch .LBB158_2541
.LBB158_2538:
	s_andn2_b64 vcc, exec, s[26:27]
	s_cbranch_vccnz .LBB158_2458
.LBB158_2539:
	s_xor_b64 s[2:3], s[10:11], -1
	s_and_b64 s[14:15], s[0:1], s[2:3]
	s_andn2_b64 s[24:25], s[24:25], exec
	s_and_b64 s[14:15], s[14:15], exec
	s_or_b64 s[24:25], s[24:25], s[14:15]
	s_cbranch_execz .LBB158_2459
	s_branch .LBB158_2460
.LBB158_2540:
	s_mov_b64 s[0:1], -1
	s_mov_b64 s[10:11], 0
.LBB158_2541:
	s_and_b64 vcc, exec, s[0:1]
	s_cbranch_vccz .LBB158_2580
; %bb.2542:
	s_and_b32 s2, 0xffff, s28
	s_cmp_lt_i32 s2, 5
	s_mov_b64 s[0:1], -1
	s_cbranch_scc1 .LBB158_2563
; %bb.2543:
	s_cmp_lt_i32 s2, 8
	s_cbranch_scc1 .LBB158_2553
; %bb.2544:
	s_cmp_lt_i32 s2, 9
	s_cbranch_scc1 .LBB158_2550
; %bb.2545:
	s_cmp_gt_i32 s2, 9
	s_cbranch_scc0 .LBB158_2547
; %bb.2546:
	v_cndmask_b32_e64 v3, 0, 1, s[4:5]
	v_cvt_f64_u32_e32 v[3:4], v3
	v_mov_b32_e32 v5, 0
	v_mov_b32_e32 v6, v5
	s_mov_b64 s[0:1], 0
	global_store_dwordx4 v[0:1], v[3:6], off
.LBB158_2547:
	s_andn2_b64 vcc, exec, s[0:1]
	s_cbranch_vccnz .LBB158_2549
; %bb.2548:
	v_cndmask_b32_e64 v3, 0, 1.0, s[4:5]
	v_mov_b32_e32 v4, 0
	global_store_dwordx2 v[0:1], v[3:4], off
.LBB158_2549:
	s_mov_b64 s[0:1], 0
.LBB158_2550:
	s_andn2_b64 vcc, exec, s[0:1]
	s_cbranch_vccnz .LBB158_2552
; %bb.2551:
	v_cndmask_b32_e64 v3, 0, 1.0, s[4:5]
	v_cvt_f16_f32_e32 v3, v3
	global_store_dword v[0:1], v3, off
.LBB158_2552:
	s_mov_b64 s[0:1], 0
.LBB158_2553:
	s_andn2_b64 vcc, exec, s[0:1]
	s_cbranch_vccnz .LBB158_2562
; %bb.2554:
	s_cmp_lt_i32 s2, 6
	s_mov_b64 s[0:1], -1
	s_cbranch_scc1 .LBB158_2560
; %bb.2555:
	s_cmp_gt_i32 s2, 6
	s_cbranch_scc0 .LBB158_2557
; %bb.2556:
	v_cndmask_b32_e64 v3, 0, 1, s[4:5]
	v_cvt_f64_u32_e32 v[3:4], v3
	s_mov_b64 s[0:1], 0
	global_store_dwordx2 v[0:1], v[3:4], off
.LBB158_2557:
	s_andn2_b64 vcc, exec, s[0:1]
	s_cbranch_vccnz .LBB158_2559
; %bb.2558:
	v_cndmask_b32_e64 v3, 0, 1.0, s[4:5]
	global_store_dword v[0:1], v3, off
.LBB158_2559:
	s_mov_b64 s[0:1], 0
.LBB158_2560:
	s_andn2_b64 vcc, exec, s[0:1]
	s_cbranch_vccnz .LBB158_2562
; %bb.2561:
	v_cndmask_b32_e64 v3, 0, 1.0, s[4:5]
	v_cvt_f16_f32_e32 v3, v3
	global_store_short v[0:1], v3, off
.LBB158_2562:
	s_mov_b64 s[0:1], 0
.LBB158_2563:
	s_andn2_b64 vcc, exec, s[0:1]
	s_cbranch_vccnz .LBB158_2579
; %bb.2564:
	s_cmp_lt_i32 s2, 2
	s_mov_b64 s[0:1], -1
	s_cbranch_scc1 .LBB158_2574
; %bb.2565:
	s_cmp_lt_i32 s2, 3
	s_cbranch_scc1 .LBB158_2571
; %bb.2566:
	s_cmp_gt_i32 s2, 3
	s_cbranch_scc0 .LBB158_2568
; %bb.2567:
	s_mov_b32 s0, 0
	v_cndmask_b32_e64 v3, 0, 1, s[4:5]
	v_mov_b32_e32 v4, s0
	global_store_dwordx2 v[0:1], v[3:4], off
	s_mov_b64 s[0:1], 0
.LBB158_2568:
	s_andn2_b64 vcc, exec, s[0:1]
	s_cbranch_vccnz .LBB158_2570
; %bb.2569:
	v_cndmask_b32_e64 v3, 0, 1, s[4:5]
	global_store_dword v[0:1], v3, off
.LBB158_2570:
	s_mov_b64 s[0:1], 0
.LBB158_2571:
	s_andn2_b64 vcc, exec, s[0:1]
	s_cbranch_vccnz .LBB158_2573
; %bb.2572:
	v_cndmask_b32_e64 v3, 0, 1, s[4:5]
	global_store_short v[0:1], v3, off
.LBB158_2573:
	s_mov_b64 s[0:1], 0
.LBB158_2574:
	s_andn2_b64 vcc, exec, s[0:1]
	s_cbranch_vccnz .LBB158_2579
; %bb.2575:
	s_mov_b64 s[0:1], -1
	s_cmp_gt_i32 s2, 0
	v_cndmask_b32_e64 v3, 0, 1, s[4:5]
	s_cbranch_scc0 .LBB158_2577
; %bb.2576:
	global_store_byte v[0:1], v3, off
	s_mov_b64 s[0:1], 0
.LBB158_2577:
	s_andn2_b64 vcc, exec, s[0:1]
	s_cbranch_vccnz .LBB158_2579
; %bb.2578:
	global_store_byte v[0:1], v3, off
.LBB158_2579:
	s_mov_b64 s[10:11], -1
.LBB158_2580:
	s_andn2_b64 vcc, exec, s[10:11]
	s_cbranch_vccnz .LBB158_2895
; %bb.2581:
	s_lshl_b32 s14, s12, 7
	v_add_u32_e32 v2, s14, v2
	v_ashrrev_i32_e32 v1, 31, v2
	v_mov_b32_e32 v3, s9
	v_add_co_u32_e32 v0, vcc, s8, v2
	s_cmp_lt_i32 s28, 11
	v_addc_co_u32_e32 v1, vcc, v3, v1, vcc
	s_cbranch_scc1 .LBB158_2659
; %bb.2582:
	s_and_b32 s15, 0xffff, s28
	s_mov_b64 s[10:11], -1
	s_mov_b64 s[2:3], 0
	s_cmp_gt_i32 s15, 25
	s_mov_b64 s[4:5], 0
	s_mov_b64 s[0:1], 0
	s_cbranch_scc0 .LBB158_2615
; %bb.2583:
	s_cmp_gt_i32 s15, 28
	s_cbranch_scc0 .LBB158_2598
; %bb.2584:
	s_cmp_gt_i32 s15, 43
	;; [unrolled: 3-line block ×3, first 2 shown]
	s_cbranch_scc0 .LBB158_2588
; %bb.2586:
	s_mov_b64 s[0:1], -1
	s_mov_b64 s[10:11], 0
	s_cmp_eq_u32 s15, 46
	s_cbranch_scc0 .LBB158_2588
; %bb.2587:
	v_cndmask_b32_e64 v3, 0, 1.0, s[20:21]
	v_bfe_u32 v4, v3, 16, 1
	s_movk_i32 s0, 0x7fff
	v_add3_u32 v3, v3, v4, s0
	v_lshrrev_b32_e32 v3, 16, v3
	global_store_dword v[0:1], v3, off
	s_mov_b64 s[0:1], 0
	s_mov_b64 s[4:5], -1
.LBB158_2588:
	s_and_b64 vcc, exec, s[10:11]
	s_cbranch_vccz .LBB158_2593
; %bb.2589:
	s_cmp_eq_u32 s15, 44
	s_mov_b64 s[0:1], -1
	s_cbranch_scc0 .LBB158_2593
; %bb.2590:
	v_cndmask_b32_e64 v4, 0, 1.0, s[20:21]
	v_lshrrev_b32_e32 v3, 23, v4
	s_movk_i32 s0, 0xff
	v_cmp_ne_u32_e32 vcc, s0, v3
	v_mov_b32_e32 v5, 0xff
	s_and_saveexec_b64 s[4:5], vcc
; %bb.2591:
	s_mov_b32 s0, 0x3fffff
	v_and_b32_e32 v5, 0x400000, v4
	v_and_or_b32 v4, v4, s0, v3
	v_cmp_ne_u32_e32 vcc, 0, v5
	v_cmp_ne_u32_e64 s[0:1], 0, v4
	s_and_b64 s[0:1], vcc, s[0:1]
	v_cndmask_b32_e64 v4, 0, 1, s[0:1]
	v_add_u32_e32 v5, v3, v4
; %bb.2592:
	s_or_b64 exec, exec, s[4:5]
	s_mov_b64 s[0:1], 0
	s_mov_b64 s[4:5], -1
	global_store_byte v[0:1], v5, off
.LBB158_2593:
	s_mov_b64 s[10:11], 0
.LBB158_2594:
	s_and_b64 vcc, exec, s[10:11]
	s_cbranch_vccz .LBB158_2597
; %bb.2595:
	s_cmp_eq_u32 s15, 29
	s_mov_b64 s[0:1], -1
	s_cbranch_scc0 .LBB158_2597
; %bb.2596:
	s_mov_b32 s0, 0
	v_cndmask_b32_e64 v3, 0, 1, s[20:21]
	v_mov_b32_e32 v4, s0
	global_store_dwordx2 v[0:1], v[3:4], off
	s_mov_b64 s[0:1], 0
	s_mov_b64 s[4:5], -1
.LBB158_2597:
	s_mov_b64 s[10:11], 0
.LBB158_2598:
	s_and_b64 vcc, exec, s[10:11]
	s_cbranch_vccz .LBB158_2614
; %bb.2599:
	s_cmp_lt_i32 s15, 27
	s_mov_b64 s[4:5], -1
	s_cbranch_scc1 .LBB158_2605
; %bb.2600:
	s_cmp_gt_i32 s15, 27
	s_cbranch_scc0 .LBB158_2602
; %bb.2601:
	v_cndmask_b32_e64 v3, 0, 1, s[20:21]
	s_mov_b64 s[4:5], 0
	global_store_dword v[0:1], v3, off
.LBB158_2602:
	s_andn2_b64 vcc, exec, s[4:5]
	s_cbranch_vccnz .LBB158_2604
; %bb.2603:
	v_cndmask_b32_e64 v3, 0, 1, s[20:21]
	global_store_short v[0:1], v3, off
.LBB158_2604:
	s_mov_b64 s[4:5], 0
.LBB158_2605:
	s_andn2_b64 vcc, exec, s[4:5]
	s_cbranch_vccnz .LBB158_2613
; %bb.2606:
	v_cndmask_b32_e64 v4, 0, 1.0, s[20:21]
	s_mov_b32 s4, 0x43800000
	v_cmp_gt_u32_e32 vcc, s4, v4
	v_mov_b32_e32 v5, 0x80
	s_and_saveexec_b64 s[4:5], vcc
	s_cbranch_execz .LBB158_2612
; %bb.2607:
	s_mov_b32 s10, 0x3bffffff
	v_cmp_lt_u32_e32 vcc, s10, v4
	s_mov_b64 s[10:11], 0
                                        ; implicit-def: $vgpr3
	s_and_saveexec_b64 s[12:13], vcc
	s_xor_b64 s[12:13], exec, s[12:13]
	s_cbranch_execz .LBB158_2903
; %bb.2608:
	v_bfe_u32 v3, v4, 20, 1
	s_mov_b32 s26, 0x487ffff
	v_add3_u32 v3, v4, v3, s26
	s_mov_b64 s[10:11], exec
	v_lshrrev_b32_e32 v3, 20, v3
                                        ; implicit-def: $vgpr4
	s_andn2_saveexec_b64 s[12:13], s[12:13]
	s_cbranch_execnz .LBB158_2904
.LBB158_2609:
	s_or_b64 exec, exec, s[12:13]
	v_mov_b32_e32 v5, 0
	s_and_saveexec_b64 s[12:13], s[10:11]
.LBB158_2610:
	v_mov_b32_e32 v5, v3
.LBB158_2611:
	s_or_b64 exec, exec, s[12:13]
.LBB158_2612:
	s_or_b64 exec, exec, s[4:5]
	global_store_byte v[0:1], v5, off
.LBB158_2613:
	s_mov_b64 s[4:5], -1
.LBB158_2614:
	s_mov_b64 s[10:11], 0
.LBB158_2615:
	s_and_b64 vcc, exec, s[10:11]
	s_cbranch_vccz .LBB158_2655
; %bb.2616:
	s_cmp_gt_i32 s15, 22
	s_mov_b64 s[2:3], -1
	s_cbranch_scc0 .LBB158_2648
; %bb.2617:
	s_cmp_lt_i32 s15, 24
	s_cbranch_scc1 .LBB158_2637
; %bb.2618:
	s_cmp_gt_i32 s15, 24
	s_cbranch_scc0 .LBB158_2626
; %bb.2619:
	v_cndmask_b32_e64 v4, 0, 1.0, s[20:21]
	s_mov_b32 s2, 0x47800000
	v_cmp_gt_u32_e32 vcc, s2, v4
	v_mov_b32_e32 v5, 0x80
	s_and_saveexec_b64 s[2:3], vcc
	s_cbranch_execz .LBB158_2625
; %bb.2620:
	s_mov_b32 s4, 0x37ffffff
	v_cmp_lt_u32_e32 vcc, s4, v4
	s_mov_b64 s[4:5], 0
                                        ; implicit-def: $vgpr3
	s_and_saveexec_b64 s[10:11], vcc
	s_xor_b64 s[10:11], exec, s[10:11]
	s_cbranch_execz .LBB158_2906
; %bb.2621:
	v_bfe_u32 v3, v4, 21, 1
	s_mov_b32 s12, 0x88fffff
	v_add3_u32 v3, v4, v3, s12
	s_mov_b64 s[4:5], exec
	v_lshrrev_b32_e32 v3, 21, v3
                                        ; implicit-def: $vgpr4
	s_andn2_saveexec_b64 s[10:11], s[10:11]
	s_cbranch_execnz .LBB158_2907
.LBB158_2622:
	s_or_b64 exec, exec, s[10:11]
	v_mov_b32_e32 v5, 0
	s_and_saveexec_b64 s[10:11], s[4:5]
.LBB158_2623:
	v_mov_b32_e32 v5, v3
.LBB158_2624:
	s_or_b64 exec, exec, s[10:11]
.LBB158_2625:
	s_or_b64 exec, exec, s[2:3]
	s_mov_b64 s[2:3], 0
	global_store_byte v[0:1], v5, off
.LBB158_2626:
	s_and_b64 vcc, exec, s[2:3]
	s_cbranch_vccz .LBB158_2636
; %bb.2627:
	v_cndmask_b32_e64 v3, 0, 1.0, s[20:21]
	s_mov_b32 s2, 0x43f00000
	v_cmp_gt_u32_e32 vcc, s2, v3
                                        ; implicit-def: $vgpr4
	s_and_saveexec_b64 s[2:3], vcc
	s_xor_b64 s[2:3], exec, s[2:3]
	s_cbranch_execz .LBB158_2633
; %bb.2628:
	s_mov_b32 s4, 0x3c7fffff
	v_cmp_lt_u32_e32 vcc, s4, v3
                                        ; implicit-def: $vgpr4
	s_and_saveexec_b64 s[4:5], vcc
	s_xor_b64 s[4:5], exec, s[4:5]
; %bb.2629:
	v_bfe_u32 v4, v3, 20, 1
	s_mov_b32 s10, 0x407ffff
	v_add3_u32 v3, v3, v4, s10
	v_lshrrev_b32_e32 v4, 20, v3
	v_and_b32_e32 v3, 0xff00000, v3
	s_mov_b32 s10, 0x7f00000
	v_mov_b32_e32 v5, 0x7e
	v_cmp_ne_u32_e32 vcc, s10, v3
	v_cndmask_b32_e32 v4, v5, v4, vcc
                                        ; implicit-def: $vgpr3
; %bb.2630:
	s_andn2_saveexec_b64 s[4:5], s[4:5]
; %bb.2631:
	v_add_f32_e32 v4, 0x46800000, v3
; %bb.2632:
	s_or_b64 exec, exec, s[4:5]
                                        ; implicit-def: $vgpr3
.LBB158_2633:
	s_andn2_saveexec_b64 s[2:3], s[2:3]
; %bb.2634:
	s_mov_b32 s4, 0x7f800000
	v_mov_b32_e32 v4, 0x7e
	v_mov_b32_e32 v5, 0x7f
	v_cmp_lt_u32_e32 vcc, s4, v3
	v_cndmask_b32_e32 v4, v4, v5, vcc
; %bb.2635:
	s_or_b64 exec, exec, s[2:3]
	global_store_byte v[0:1], v4, off
.LBB158_2636:
	s_mov_b64 s[2:3], 0
.LBB158_2637:
	s_andn2_b64 vcc, exec, s[2:3]
	s_cbranch_vccnz .LBB158_2647
; %bb.2638:
	v_cndmask_b32_e64 v3, 0, 1.0, s[20:21]
	s_mov_b32 s2, 0x47800000
	v_cmp_gt_u32_e32 vcc, s2, v3
                                        ; implicit-def: $vgpr4
	s_and_saveexec_b64 s[2:3], vcc
	s_xor_b64 s[2:3], exec, s[2:3]
	s_cbranch_execz .LBB158_2644
; %bb.2639:
	s_mov_b32 s4, 0x387fffff
	v_cmp_lt_u32_e32 vcc, s4, v3
                                        ; implicit-def: $vgpr4
	s_and_saveexec_b64 s[4:5], vcc
	s_xor_b64 s[4:5], exec, s[4:5]
; %bb.2640:
	v_bfe_u32 v4, v3, 21, 1
	s_mov_b32 s10, 0x80fffff
	v_add3_u32 v3, v3, v4, s10
	v_lshrrev_b32_e32 v4, 21, v3
                                        ; implicit-def: $vgpr3
; %bb.2641:
	s_andn2_saveexec_b64 s[4:5], s[4:5]
; %bb.2642:
	v_add_f32_e32 v4, 0x43000000, v3
; %bb.2643:
	s_or_b64 exec, exec, s[4:5]
                                        ; implicit-def: $vgpr3
.LBB158_2644:
	s_andn2_saveexec_b64 s[2:3], s[2:3]
; %bb.2645:
	s_mov_b32 s4, 0x7f800000
	v_mov_b32_e32 v4, 0x7c
	v_mov_b32_e32 v5, 0x7f
	v_cmp_lt_u32_e32 vcc, s4, v3
	v_cndmask_b32_e32 v4, v4, v5, vcc
; %bb.2646:
	s_or_b64 exec, exec, s[2:3]
	global_store_byte v[0:1], v4, off
.LBB158_2647:
	s_mov_b64 s[2:3], 0
	s_mov_b64 s[4:5], -1
.LBB158_2648:
	s_andn2_b64 vcc, exec, s[2:3]
	s_mov_b64 s[2:3], 0
	s_cbranch_vccnz .LBB158_2655
; %bb.2649:
	s_cmp_gt_i32 s15, 14
	s_mov_b64 s[10:11], -1
	s_cbranch_scc0 .LBB158_2653
; %bb.2650:
	s_cmp_eq_u32 s15, 15
	s_mov_b64 s[0:1], -1
	s_cbranch_scc0 .LBB158_2652
; %bb.2651:
	v_cndmask_b32_e64 v3, 0, 1.0, s[20:21]
	v_bfe_u32 v4, v3, 16, 1
	s_movk_i32 s0, 0x7fff
	v_add3_u32 v3, v3, v4, s0
	global_store_short_d16_hi v[0:1], v3, off
	s_mov_b64 s[0:1], 0
	s_mov_b64 s[4:5], -1
.LBB158_2652:
	s_mov_b64 s[10:11], 0
.LBB158_2653:
	s_and_b64 vcc, exec, s[10:11]
	s_cbranch_vccz .LBB158_2655
; %bb.2654:
	s_cmp_lg_u32 s15, 11
	s_mov_b64 s[2:3], -1
	s_cselect_b64 s[0:1], -1, 0
.LBB158_2655:
	s_and_b64 vcc, exec, s[0:1]
	s_cbranch_vccnz .LBB158_2905
; %bb.2656:
	s_andn2_b64 vcc, exec, s[2:3]
	s_cbranch_vccnz .LBB158_2658
.LBB158_2657:
	v_cndmask_b32_e64 v3, 0, 1, s[20:21]
	s_mov_b64 s[4:5], -1
	global_store_byte v[0:1], v3, off
.LBB158_2658:
	s_mov_b64 s[0:1], 0
	s_branch .LBB158_2660
.LBB158_2659:
	s_mov_b64 s[0:1], -1
	s_mov_b64 s[4:5], 0
.LBB158_2660:
	s_and_b64 vcc, exec, s[0:1]
	s_cbranch_vccz .LBB158_2699
; %bb.2661:
	s_and_b32 s2, 0xffff, s28
	s_cmp_lt_i32 s2, 5
	s_mov_b64 s[0:1], -1
	s_cbranch_scc1 .LBB158_2682
; %bb.2662:
	s_cmp_lt_i32 s2, 8
	s_cbranch_scc1 .LBB158_2672
; %bb.2663:
	s_cmp_lt_i32 s2, 9
	s_cbranch_scc1 .LBB158_2669
; %bb.2664:
	s_cmp_gt_i32 s2, 9
	s_cbranch_scc0 .LBB158_2666
; %bb.2665:
	v_cndmask_b32_e64 v3, 0, 1, s[20:21]
	v_cvt_f64_u32_e32 v[3:4], v3
	v_mov_b32_e32 v5, 0
	v_mov_b32_e32 v6, v5
	s_mov_b64 s[0:1], 0
	global_store_dwordx4 v[0:1], v[3:6], off
.LBB158_2666:
	s_andn2_b64 vcc, exec, s[0:1]
	s_cbranch_vccnz .LBB158_2668
; %bb.2667:
	v_cndmask_b32_e64 v3, 0, 1.0, s[20:21]
	v_mov_b32_e32 v4, 0
	global_store_dwordx2 v[0:1], v[3:4], off
.LBB158_2668:
	s_mov_b64 s[0:1], 0
.LBB158_2669:
	s_andn2_b64 vcc, exec, s[0:1]
	s_cbranch_vccnz .LBB158_2671
; %bb.2670:
	v_cndmask_b32_e64 v3, 0, 1.0, s[20:21]
	v_cvt_f16_f32_e32 v3, v3
	global_store_dword v[0:1], v3, off
.LBB158_2671:
	s_mov_b64 s[0:1], 0
.LBB158_2672:
	s_andn2_b64 vcc, exec, s[0:1]
	s_cbranch_vccnz .LBB158_2681
; %bb.2673:
	s_cmp_lt_i32 s2, 6
	s_mov_b64 s[0:1], -1
	s_cbranch_scc1 .LBB158_2679
; %bb.2674:
	s_cmp_gt_i32 s2, 6
	s_cbranch_scc0 .LBB158_2676
; %bb.2675:
	v_cndmask_b32_e64 v3, 0, 1, s[20:21]
	v_cvt_f64_u32_e32 v[3:4], v3
	s_mov_b64 s[0:1], 0
	global_store_dwordx2 v[0:1], v[3:4], off
.LBB158_2676:
	s_andn2_b64 vcc, exec, s[0:1]
	s_cbranch_vccnz .LBB158_2678
; %bb.2677:
	v_cndmask_b32_e64 v3, 0, 1.0, s[20:21]
	global_store_dword v[0:1], v3, off
.LBB158_2678:
	s_mov_b64 s[0:1], 0
.LBB158_2679:
	s_andn2_b64 vcc, exec, s[0:1]
	s_cbranch_vccnz .LBB158_2681
; %bb.2680:
	v_cndmask_b32_e64 v3, 0, 1.0, s[20:21]
	v_cvt_f16_f32_e32 v3, v3
	global_store_short v[0:1], v3, off
.LBB158_2681:
	s_mov_b64 s[0:1], 0
.LBB158_2682:
	s_andn2_b64 vcc, exec, s[0:1]
	s_cbranch_vccnz .LBB158_2698
; %bb.2683:
	s_cmp_lt_i32 s2, 2
	s_mov_b64 s[0:1], -1
	s_cbranch_scc1 .LBB158_2693
; %bb.2684:
	s_cmp_lt_i32 s2, 3
	s_cbranch_scc1 .LBB158_2690
; %bb.2685:
	s_cmp_gt_i32 s2, 3
	s_cbranch_scc0 .LBB158_2687
; %bb.2686:
	s_mov_b32 s0, 0
	v_cndmask_b32_e64 v3, 0, 1, s[20:21]
	v_mov_b32_e32 v4, s0
	global_store_dwordx2 v[0:1], v[3:4], off
	s_mov_b64 s[0:1], 0
.LBB158_2687:
	s_andn2_b64 vcc, exec, s[0:1]
	s_cbranch_vccnz .LBB158_2689
; %bb.2688:
	v_cndmask_b32_e64 v3, 0, 1, s[20:21]
	global_store_dword v[0:1], v3, off
.LBB158_2689:
	s_mov_b64 s[0:1], 0
.LBB158_2690:
	s_andn2_b64 vcc, exec, s[0:1]
	s_cbranch_vccnz .LBB158_2692
; %bb.2691:
	v_cndmask_b32_e64 v3, 0, 1, s[20:21]
	global_store_short v[0:1], v3, off
.LBB158_2692:
	s_mov_b64 s[0:1], 0
.LBB158_2693:
	s_andn2_b64 vcc, exec, s[0:1]
	s_cbranch_vccnz .LBB158_2698
; %bb.2694:
	s_mov_b64 s[0:1], -1
	s_cmp_gt_i32 s2, 0
	v_cndmask_b32_e64 v3, 0, 1, s[20:21]
	s_cbranch_scc0 .LBB158_2696
; %bb.2695:
	global_store_byte v[0:1], v3, off
	s_mov_b64 s[0:1], 0
.LBB158_2696:
	s_andn2_b64 vcc, exec, s[0:1]
	s_cbranch_vccnz .LBB158_2698
; %bb.2697:
	global_store_byte v[0:1], v3, off
.LBB158_2698:
	s_mov_b64 s[4:5], -1
.LBB158_2699:
	s_andn2_b64 vcc, exec, s[4:5]
	s_cbranch_vccnz .LBB158_2895
; %bb.2700:
	v_add_u32_e32 v2, s14, v2
	v_ashrrev_i32_e32 v1, 31, v2
	v_mov_b32_e32 v3, s9
	v_add_co_u32_e32 v0, vcc, s8, v2
	s_cmp_lt_i32 s28, 11
	v_addc_co_u32_e32 v1, vcc, v3, v1, vcc
	s_cbranch_scc1 .LBB158_2778
; %bb.2701:
	s_and_b32 s15, 0xffff, s28
	s_mov_b64 s[10:11], -1
	s_mov_b64 s[2:3], 0
	s_cmp_gt_i32 s15, 25
	s_mov_b64 s[4:5], 0
	s_mov_b64 s[0:1], 0
	s_cbranch_scc0 .LBB158_2734
; %bb.2702:
	s_cmp_gt_i32 s15, 28
	s_cbranch_scc0 .LBB158_2717
; %bb.2703:
	s_cmp_gt_i32 s15, 43
	;; [unrolled: 3-line block ×3, first 2 shown]
	s_cbranch_scc0 .LBB158_2707
; %bb.2705:
	s_mov_b64 s[0:1], -1
	s_mov_b64 s[10:11], 0
	s_cmp_eq_u32 s15, 46
	s_cbranch_scc0 .LBB158_2707
; %bb.2706:
	v_cndmask_b32_e64 v3, 0, 1.0, s[22:23]
	v_bfe_u32 v4, v3, 16, 1
	s_movk_i32 s0, 0x7fff
	v_add3_u32 v3, v3, v4, s0
	v_lshrrev_b32_e32 v3, 16, v3
	global_store_dword v[0:1], v3, off
	s_mov_b64 s[0:1], 0
	s_mov_b64 s[4:5], -1
.LBB158_2707:
	s_and_b64 vcc, exec, s[10:11]
	s_cbranch_vccz .LBB158_2712
; %bb.2708:
	s_cmp_eq_u32 s15, 44
	s_mov_b64 s[0:1], -1
	s_cbranch_scc0 .LBB158_2712
; %bb.2709:
	v_cndmask_b32_e64 v4, 0, 1.0, s[22:23]
	v_lshrrev_b32_e32 v3, 23, v4
	s_movk_i32 s0, 0xff
	v_cmp_ne_u32_e32 vcc, s0, v3
	v_mov_b32_e32 v5, 0xff
	s_and_saveexec_b64 s[4:5], vcc
; %bb.2710:
	s_mov_b32 s0, 0x3fffff
	v_and_b32_e32 v5, 0x400000, v4
	v_and_or_b32 v4, v4, s0, v3
	v_cmp_ne_u32_e32 vcc, 0, v5
	v_cmp_ne_u32_e64 s[0:1], 0, v4
	s_and_b64 s[0:1], vcc, s[0:1]
	v_cndmask_b32_e64 v4, 0, 1, s[0:1]
	v_add_u32_e32 v5, v3, v4
; %bb.2711:
	s_or_b64 exec, exec, s[4:5]
	s_mov_b64 s[0:1], 0
	s_mov_b64 s[4:5], -1
	global_store_byte v[0:1], v5, off
.LBB158_2712:
	s_mov_b64 s[10:11], 0
.LBB158_2713:
	s_and_b64 vcc, exec, s[10:11]
	s_cbranch_vccz .LBB158_2716
; %bb.2714:
	s_cmp_eq_u32 s15, 29
	s_mov_b64 s[0:1], -1
	s_cbranch_scc0 .LBB158_2716
; %bb.2715:
	s_mov_b32 s0, 0
	v_cndmask_b32_e64 v3, 0, 1, s[22:23]
	v_mov_b32_e32 v4, s0
	global_store_dwordx2 v[0:1], v[3:4], off
	s_mov_b64 s[0:1], 0
	s_mov_b64 s[4:5], -1
.LBB158_2716:
	s_mov_b64 s[10:11], 0
.LBB158_2717:
	s_and_b64 vcc, exec, s[10:11]
	s_cbranch_vccz .LBB158_2733
; %bb.2718:
	s_cmp_lt_i32 s15, 27
	s_mov_b64 s[4:5], -1
	s_cbranch_scc1 .LBB158_2724
; %bb.2719:
	s_cmp_gt_i32 s15, 27
	s_cbranch_scc0 .LBB158_2721
; %bb.2720:
	v_cndmask_b32_e64 v3, 0, 1, s[22:23]
	s_mov_b64 s[4:5], 0
	global_store_dword v[0:1], v3, off
.LBB158_2721:
	s_andn2_b64 vcc, exec, s[4:5]
	s_cbranch_vccnz .LBB158_2723
; %bb.2722:
	v_cndmask_b32_e64 v3, 0, 1, s[22:23]
	global_store_short v[0:1], v3, off
.LBB158_2723:
	s_mov_b64 s[4:5], 0
.LBB158_2724:
	s_andn2_b64 vcc, exec, s[4:5]
	s_cbranch_vccnz .LBB158_2732
; %bb.2725:
	v_cndmask_b32_e64 v4, 0, 1.0, s[22:23]
	s_mov_b32 s4, 0x43800000
	v_cmp_gt_u32_e32 vcc, s4, v4
	v_mov_b32_e32 v5, 0x80
	s_and_saveexec_b64 s[4:5], vcc
	s_cbranch_execz .LBB158_2731
; %bb.2726:
	s_mov_b32 s10, 0x3bffffff
	v_cmp_lt_u32_e32 vcc, s10, v4
	s_mov_b64 s[10:11], 0
                                        ; implicit-def: $vgpr3
	s_and_saveexec_b64 s[12:13], vcc
	s_xor_b64 s[12:13], exec, s[12:13]
	s_cbranch_execz .LBB158_2908
; %bb.2727:
	v_bfe_u32 v3, v4, 20, 1
	s_mov_b32 s20, 0x487ffff
	v_add3_u32 v3, v4, v3, s20
	s_mov_b64 s[10:11], exec
	v_lshrrev_b32_e32 v3, 20, v3
                                        ; implicit-def: $vgpr4
	s_andn2_saveexec_b64 s[12:13], s[12:13]
	s_cbranch_execnz .LBB158_2909
.LBB158_2728:
	s_or_b64 exec, exec, s[12:13]
	v_mov_b32_e32 v5, 0
	s_and_saveexec_b64 s[12:13], s[10:11]
.LBB158_2729:
	v_mov_b32_e32 v5, v3
.LBB158_2730:
	s_or_b64 exec, exec, s[12:13]
.LBB158_2731:
	s_or_b64 exec, exec, s[4:5]
	global_store_byte v[0:1], v5, off
.LBB158_2732:
	s_mov_b64 s[4:5], -1
.LBB158_2733:
	s_mov_b64 s[10:11], 0
.LBB158_2734:
	s_and_b64 vcc, exec, s[10:11]
	s_cbranch_vccz .LBB158_2774
; %bb.2735:
	s_cmp_gt_i32 s15, 22
	s_mov_b64 s[2:3], -1
	s_cbranch_scc0 .LBB158_2767
; %bb.2736:
	s_cmp_lt_i32 s15, 24
	s_cbranch_scc1 .LBB158_2756
; %bb.2737:
	s_cmp_gt_i32 s15, 24
	s_cbranch_scc0 .LBB158_2745
; %bb.2738:
	v_cndmask_b32_e64 v4, 0, 1.0, s[22:23]
	s_mov_b32 s2, 0x47800000
	v_cmp_gt_u32_e32 vcc, s2, v4
	v_mov_b32_e32 v5, 0x80
	s_and_saveexec_b64 s[2:3], vcc
	s_cbranch_execz .LBB158_2744
; %bb.2739:
	s_mov_b32 s4, 0x37ffffff
	v_cmp_lt_u32_e32 vcc, s4, v4
	s_mov_b64 s[4:5], 0
                                        ; implicit-def: $vgpr3
	s_and_saveexec_b64 s[10:11], vcc
	s_xor_b64 s[10:11], exec, s[10:11]
	s_cbranch_execz .LBB158_2911
; %bb.2740:
	v_bfe_u32 v3, v4, 21, 1
	s_mov_b32 s12, 0x88fffff
	v_add3_u32 v3, v4, v3, s12
	s_mov_b64 s[4:5], exec
	v_lshrrev_b32_e32 v3, 21, v3
                                        ; implicit-def: $vgpr4
	s_andn2_saveexec_b64 s[10:11], s[10:11]
	s_cbranch_execnz .LBB158_2912
.LBB158_2741:
	s_or_b64 exec, exec, s[10:11]
	v_mov_b32_e32 v5, 0
	s_and_saveexec_b64 s[10:11], s[4:5]
.LBB158_2742:
	v_mov_b32_e32 v5, v3
.LBB158_2743:
	s_or_b64 exec, exec, s[10:11]
.LBB158_2744:
	s_or_b64 exec, exec, s[2:3]
	s_mov_b64 s[2:3], 0
	global_store_byte v[0:1], v5, off
.LBB158_2745:
	s_and_b64 vcc, exec, s[2:3]
	s_cbranch_vccz .LBB158_2755
; %bb.2746:
	v_cndmask_b32_e64 v3, 0, 1.0, s[22:23]
	s_mov_b32 s2, 0x43f00000
	v_cmp_gt_u32_e32 vcc, s2, v3
                                        ; implicit-def: $vgpr4
	s_and_saveexec_b64 s[2:3], vcc
	s_xor_b64 s[2:3], exec, s[2:3]
	s_cbranch_execz .LBB158_2752
; %bb.2747:
	s_mov_b32 s4, 0x3c7fffff
	v_cmp_lt_u32_e32 vcc, s4, v3
                                        ; implicit-def: $vgpr4
	s_and_saveexec_b64 s[4:5], vcc
	s_xor_b64 s[4:5], exec, s[4:5]
; %bb.2748:
	v_bfe_u32 v4, v3, 20, 1
	s_mov_b32 s10, 0x407ffff
	v_add3_u32 v3, v3, v4, s10
	v_lshrrev_b32_e32 v4, 20, v3
	v_and_b32_e32 v3, 0xff00000, v3
	s_mov_b32 s10, 0x7f00000
	v_mov_b32_e32 v5, 0x7e
	v_cmp_ne_u32_e32 vcc, s10, v3
	v_cndmask_b32_e32 v4, v5, v4, vcc
                                        ; implicit-def: $vgpr3
; %bb.2749:
	s_andn2_saveexec_b64 s[4:5], s[4:5]
; %bb.2750:
	v_add_f32_e32 v4, 0x46800000, v3
; %bb.2751:
	s_or_b64 exec, exec, s[4:5]
                                        ; implicit-def: $vgpr3
.LBB158_2752:
	s_andn2_saveexec_b64 s[2:3], s[2:3]
; %bb.2753:
	s_mov_b32 s4, 0x7f800000
	v_mov_b32_e32 v4, 0x7e
	v_mov_b32_e32 v5, 0x7f
	v_cmp_lt_u32_e32 vcc, s4, v3
	v_cndmask_b32_e32 v4, v4, v5, vcc
; %bb.2754:
	s_or_b64 exec, exec, s[2:3]
	global_store_byte v[0:1], v4, off
.LBB158_2755:
	s_mov_b64 s[2:3], 0
.LBB158_2756:
	s_andn2_b64 vcc, exec, s[2:3]
	s_cbranch_vccnz .LBB158_2766
; %bb.2757:
	v_cndmask_b32_e64 v3, 0, 1.0, s[22:23]
	s_mov_b32 s2, 0x47800000
	v_cmp_gt_u32_e32 vcc, s2, v3
                                        ; implicit-def: $vgpr4
	s_and_saveexec_b64 s[2:3], vcc
	s_xor_b64 s[2:3], exec, s[2:3]
	s_cbranch_execz .LBB158_2763
; %bb.2758:
	s_mov_b32 s4, 0x387fffff
	v_cmp_lt_u32_e32 vcc, s4, v3
                                        ; implicit-def: $vgpr4
	s_and_saveexec_b64 s[4:5], vcc
	s_xor_b64 s[4:5], exec, s[4:5]
; %bb.2759:
	v_bfe_u32 v4, v3, 21, 1
	s_mov_b32 s10, 0x80fffff
	v_add3_u32 v3, v3, v4, s10
	v_lshrrev_b32_e32 v4, 21, v3
                                        ; implicit-def: $vgpr3
; %bb.2760:
	s_andn2_saveexec_b64 s[4:5], s[4:5]
; %bb.2761:
	v_add_f32_e32 v4, 0x43000000, v3
; %bb.2762:
	s_or_b64 exec, exec, s[4:5]
                                        ; implicit-def: $vgpr3
.LBB158_2763:
	s_andn2_saveexec_b64 s[2:3], s[2:3]
; %bb.2764:
	s_mov_b32 s4, 0x7f800000
	v_mov_b32_e32 v4, 0x7c
	v_mov_b32_e32 v5, 0x7f
	v_cmp_lt_u32_e32 vcc, s4, v3
	v_cndmask_b32_e32 v4, v4, v5, vcc
; %bb.2765:
	s_or_b64 exec, exec, s[2:3]
	global_store_byte v[0:1], v4, off
.LBB158_2766:
	s_mov_b64 s[2:3], 0
	s_mov_b64 s[4:5], -1
.LBB158_2767:
	s_andn2_b64 vcc, exec, s[2:3]
	s_mov_b64 s[2:3], 0
	s_cbranch_vccnz .LBB158_2774
; %bb.2768:
	s_cmp_gt_i32 s15, 14
	s_mov_b64 s[10:11], -1
	s_cbranch_scc0 .LBB158_2772
; %bb.2769:
	s_cmp_eq_u32 s15, 15
	s_mov_b64 s[0:1], -1
	s_cbranch_scc0 .LBB158_2771
; %bb.2770:
	v_cndmask_b32_e64 v3, 0, 1.0, s[22:23]
	v_bfe_u32 v4, v3, 16, 1
	s_movk_i32 s0, 0x7fff
	v_add3_u32 v3, v3, v4, s0
	global_store_short_d16_hi v[0:1], v3, off
	s_mov_b64 s[0:1], 0
	s_mov_b64 s[4:5], -1
.LBB158_2771:
	s_mov_b64 s[10:11], 0
.LBB158_2772:
	s_and_b64 vcc, exec, s[10:11]
	s_cbranch_vccz .LBB158_2774
; %bb.2773:
	s_cmp_lg_u32 s15, 11
	s_mov_b64 s[2:3], -1
	s_cselect_b64 s[0:1], -1, 0
.LBB158_2774:
	s_and_b64 vcc, exec, s[0:1]
	s_cbranch_vccnz .LBB158_2910
; %bb.2775:
	s_andn2_b64 vcc, exec, s[2:3]
	s_cbranch_vccnz .LBB158_2777
.LBB158_2776:
	v_cndmask_b32_e64 v3, 0, 1, s[22:23]
	s_mov_b64 s[4:5], -1
	global_store_byte v[0:1], v3, off
.LBB158_2777:
	s_mov_b64 s[0:1], 0
	s_branch .LBB158_2779
.LBB158_2778:
	s_mov_b64 s[0:1], -1
	s_mov_b64 s[4:5], 0
.LBB158_2779:
	s_and_b64 vcc, exec, s[0:1]
	s_cbranch_vccz .LBB158_2818
; %bb.2780:
	s_and_b32 s2, 0xffff, s28
	s_cmp_lt_i32 s2, 5
	s_mov_b64 s[0:1], -1
	s_cbranch_scc1 .LBB158_2801
; %bb.2781:
	s_cmp_lt_i32 s2, 8
	s_cbranch_scc1 .LBB158_2791
; %bb.2782:
	s_cmp_lt_i32 s2, 9
	s_cbranch_scc1 .LBB158_2788
; %bb.2783:
	s_cmp_gt_i32 s2, 9
	s_cbranch_scc0 .LBB158_2785
; %bb.2784:
	v_cndmask_b32_e64 v3, 0, 1, s[22:23]
	v_cvt_f64_u32_e32 v[3:4], v3
	v_mov_b32_e32 v5, 0
	v_mov_b32_e32 v6, v5
	s_mov_b64 s[0:1], 0
	global_store_dwordx4 v[0:1], v[3:6], off
.LBB158_2785:
	s_andn2_b64 vcc, exec, s[0:1]
	s_cbranch_vccnz .LBB158_2787
; %bb.2786:
	v_cndmask_b32_e64 v3, 0, 1.0, s[22:23]
	v_mov_b32_e32 v4, 0
	global_store_dwordx2 v[0:1], v[3:4], off
.LBB158_2787:
	s_mov_b64 s[0:1], 0
.LBB158_2788:
	s_andn2_b64 vcc, exec, s[0:1]
	s_cbranch_vccnz .LBB158_2790
; %bb.2789:
	v_cndmask_b32_e64 v3, 0, 1.0, s[22:23]
	v_cvt_f16_f32_e32 v3, v3
	global_store_dword v[0:1], v3, off
.LBB158_2790:
	s_mov_b64 s[0:1], 0
.LBB158_2791:
	s_andn2_b64 vcc, exec, s[0:1]
	s_cbranch_vccnz .LBB158_2800
; %bb.2792:
	s_cmp_lt_i32 s2, 6
	s_mov_b64 s[0:1], -1
	s_cbranch_scc1 .LBB158_2798
; %bb.2793:
	s_cmp_gt_i32 s2, 6
	s_cbranch_scc0 .LBB158_2795
; %bb.2794:
	v_cndmask_b32_e64 v3, 0, 1, s[22:23]
	v_cvt_f64_u32_e32 v[3:4], v3
	s_mov_b64 s[0:1], 0
	global_store_dwordx2 v[0:1], v[3:4], off
.LBB158_2795:
	s_andn2_b64 vcc, exec, s[0:1]
	s_cbranch_vccnz .LBB158_2797
; %bb.2796:
	v_cndmask_b32_e64 v3, 0, 1.0, s[22:23]
	global_store_dword v[0:1], v3, off
.LBB158_2797:
	s_mov_b64 s[0:1], 0
.LBB158_2798:
	s_andn2_b64 vcc, exec, s[0:1]
	s_cbranch_vccnz .LBB158_2800
; %bb.2799:
	v_cndmask_b32_e64 v3, 0, 1.0, s[22:23]
	v_cvt_f16_f32_e32 v3, v3
	global_store_short v[0:1], v3, off
.LBB158_2800:
	s_mov_b64 s[0:1], 0
.LBB158_2801:
	s_andn2_b64 vcc, exec, s[0:1]
	s_cbranch_vccnz .LBB158_2817
; %bb.2802:
	s_cmp_lt_i32 s2, 2
	s_mov_b64 s[0:1], -1
	s_cbranch_scc1 .LBB158_2812
; %bb.2803:
	s_cmp_lt_i32 s2, 3
	s_cbranch_scc1 .LBB158_2809
; %bb.2804:
	s_cmp_gt_i32 s2, 3
	s_cbranch_scc0 .LBB158_2806
; %bb.2805:
	s_mov_b32 s0, 0
	v_cndmask_b32_e64 v3, 0, 1, s[22:23]
	v_mov_b32_e32 v4, s0
	global_store_dwordx2 v[0:1], v[3:4], off
	s_mov_b64 s[0:1], 0
.LBB158_2806:
	s_andn2_b64 vcc, exec, s[0:1]
	s_cbranch_vccnz .LBB158_2808
; %bb.2807:
	v_cndmask_b32_e64 v3, 0, 1, s[22:23]
	global_store_dword v[0:1], v3, off
.LBB158_2808:
	s_mov_b64 s[0:1], 0
.LBB158_2809:
	s_andn2_b64 vcc, exec, s[0:1]
	s_cbranch_vccnz .LBB158_2811
; %bb.2810:
	v_cndmask_b32_e64 v3, 0, 1, s[22:23]
	global_store_short v[0:1], v3, off
.LBB158_2811:
	s_mov_b64 s[0:1], 0
.LBB158_2812:
	s_andn2_b64 vcc, exec, s[0:1]
	s_cbranch_vccnz .LBB158_2817
; %bb.2813:
	s_mov_b64 s[0:1], -1
	s_cmp_gt_i32 s2, 0
	v_cndmask_b32_e64 v3, 0, 1, s[22:23]
	s_cbranch_scc0 .LBB158_2815
; %bb.2814:
	global_store_byte v[0:1], v3, off
	s_mov_b64 s[0:1], 0
.LBB158_2815:
	s_andn2_b64 vcc, exec, s[0:1]
	s_cbranch_vccnz .LBB158_2817
; %bb.2816:
	global_store_byte v[0:1], v3, off
.LBB158_2817:
	s_mov_b64 s[4:5], -1
.LBB158_2818:
	s_andn2_b64 vcc, exec, s[4:5]
	s_cbranch_vccnz .LBB158_2895
; %bb.2819:
	v_add_u32_e32 v0, s14, v2
	v_ashrrev_i32_e32 v1, 31, v0
	v_mov_b32_e32 v2, s9
	v_add_co_u32_e32 v0, vcc, s8, v0
	s_cmp_lt_i32 s28, 11
	v_addc_co_u32_e32 v1, vcc, v2, v1, vcc
	s_cbranch_scc1 .LBB158_2896
; %bb.2820:
	s_and_b32 s12, 0xffff, s28
	s_mov_b64 s[4:5], -1
	s_mov_b64 s[2:3], 0
	s_cmp_gt_i32 s12, 25
	s_mov_b64 s[0:1], 0
	s_cbranch_scc0 .LBB158_2853
; %bb.2821:
	s_cmp_gt_i32 s12, 28
	s_cbranch_scc0 .LBB158_2837
; %bb.2822:
	s_cmp_gt_i32 s12, 43
	;; [unrolled: 3-line block ×3, first 2 shown]
	s_cbranch_scc0 .LBB158_2827
; %bb.2824:
	s_cmp_eq_u32 s12, 46
	s_mov_b64 s[0:1], -1
	s_cbranch_scc0 .LBB158_2826
; %bb.2825:
	v_cndmask_b32_e64 v2, 0, 1.0, s[24:25]
	v_bfe_u32 v3, v2, 16, 1
	s_movk_i32 s0, 0x7fff
	v_add3_u32 v2, v2, v3, s0
	v_lshrrev_b32_e32 v2, 16, v2
	global_store_dword v[0:1], v2, off
	s_mov_b64 s[0:1], 0
.LBB158_2826:
	s_mov_b64 s[4:5], 0
.LBB158_2827:
	s_and_b64 vcc, exec, s[4:5]
	s_cbranch_vccz .LBB158_2832
; %bb.2828:
	s_cmp_eq_u32 s12, 44
	s_mov_b64 s[0:1], -1
	s_cbranch_scc0 .LBB158_2832
; %bb.2829:
	v_cndmask_b32_e64 v3, 0, 1.0, s[24:25]
	v_lshrrev_b32_e32 v2, 23, v3
	s_movk_i32 s0, 0xff
	v_cmp_ne_u32_e32 vcc, s0, v2
	v_mov_b32_e32 v4, 0xff
	s_and_saveexec_b64 s[4:5], vcc
; %bb.2830:
	s_mov_b32 s0, 0x3fffff
	v_and_b32_e32 v4, 0x400000, v3
	v_and_or_b32 v3, v3, s0, v2
	v_cmp_ne_u32_e32 vcc, 0, v4
	v_cmp_ne_u32_e64 s[0:1], 0, v3
	s_and_b64 s[0:1], vcc, s[0:1]
	v_cndmask_b32_e64 v3, 0, 1, s[0:1]
	v_add_u32_e32 v4, v2, v3
; %bb.2831:
	s_or_b64 exec, exec, s[4:5]
	s_mov_b64 s[0:1], 0
	global_store_byte v[0:1], v4, off
.LBB158_2832:
	s_mov_b64 s[4:5], 0
.LBB158_2833:
	s_and_b64 vcc, exec, s[4:5]
	s_cbranch_vccz .LBB158_2836
; %bb.2834:
	s_cmp_eq_u32 s12, 29
	s_mov_b64 s[0:1], -1
	s_cbranch_scc0 .LBB158_2836
; %bb.2835:
	s_mov_b32 s0, 0
	v_cndmask_b32_e64 v2, 0, 1, s[24:25]
	v_mov_b32_e32 v3, s0
	global_store_dwordx2 v[0:1], v[2:3], off
	s_mov_b64 s[0:1], 0
.LBB158_2836:
	s_mov_b64 s[4:5], 0
.LBB158_2837:
	s_and_b64 vcc, exec, s[4:5]
	s_cbranch_vccz .LBB158_2852
; %bb.2838:
	s_cmp_lt_i32 s12, 27
	s_mov_b64 s[4:5], -1
	s_cbranch_scc1 .LBB158_2844
; %bb.2839:
	s_cmp_gt_i32 s12, 27
	v_cndmask_b32_e64 v2, 0, 1, s[24:25]
	s_cbranch_scc0 .LBB158_2841
; %bb.2840:
	global_store_dword v[0:1], v2, off
	s_mov_b64 s[4:5], 0
.LBB158_2841:
	s_andn2_b64 vcc, exec, s[4:5]
	s_cbranch_vccnz .LBB158_2843
; %bb.2842:
	global_store_short v[0:1], v2, off
.LBB158_2843:
	s_mov_b64 s[4:5], 0
.LBB158_2844:
	s_andn2_b64 vcc, exec, s[4:5]
	s_cbranch_vccnz .LBB158_2852
; %bb.2845:
	v_cndmask_b32_e64 v3, 0, 1.0, s[24:25]
	s_mov_b32 s4, 0x43800000
	v_cmp_gt_u32_e32 vcc, s4, v3
	v_mov_b32_e32 v4, 0x80
	s_and_saveexec_b64 s[4:5], vcc
	s_cbranch_execz .LBB158_2851
; %bb.2846:
	s_mov_b32 s8, 0x3bffffff
	v_cmp_lt_u32_e32 vcc, s8, v3
	s_mov_b64 s[8:9], 0
                                        ; implicit-def: $vgpr2
	s_and_saveexec_b64 s[10:11], vcc
	s_xor_b64 s[10:11], exec, s[10:11]
	s_cbranch_execz .LBB158_2913
; %bb.2847:
	v_bfe_u32 v2, v3, 20, 1
	s_mov_b32 s13, 0x487ffff
	v_add3_u32 v2, v3, v2, s13
	s_mov_b64 s[8:9], exec
	v_lshrrev_b32_e32 v2, 20, v2
                                        ; implicit-def: $vgpr3
	s_andn2_saveexec_b64 s[10:11], s[10:11]
	s_cbranch_execnz .LBB158_2914
.LBB158_2848:
	s_or_b64 exec, exec, s[10:11]
	v_mov_b32_e32 v4, 0
	s_and_saveexec_b64 s[10:11], s[8:9]
.LBB158_2849:
	v_mov_b32_e32 v4, v2
.LBB158_2850:
	s_or_b64 exec, exec, s[10:11]
.LBB158_2851:
	s_or_b64 exec, exec, s[4:5]
	global_store_byte v[0:1], v4, off
.LBB158_2852:
	s_mov_b64 s[4:5], 0
.LBB158_2853:
	s_and_b64 vcc, exec, s[4:5]
	s_cbranch_vccz .LBB158_2893
; %bb.2854:
	s_cmp_gt_i32 s12, 22
	s_mov_b64 s[2:3], -1
	s_cbranch_scc0 .LBB158_2886
; %bb.2855:
	s_cmp_lt_i32 s12, 24
	s_cbranch_scc1 .LBB158_2875
; %bb.2856:
	s_cmp_gt_i32 s12, 24
	s_cbranch_scc0 .LBB158_2864
; %bb.2857:
	v_cndmask_b32_e64 v3, 0, 1.0, s[24:25]
	s_mov_b32 s2, 0x47800000
	v_cmp_gt_u32_e32 vcc, s2, v3
	v_mov_b32_e32 v4, 0x80
	s_and_saveexec_b64 s[2:3], vcc
	s_cbranch_execz .LBB158_2863
; %bb.2858:
	s_mov_b32 s4, 0x37ffffff
	v_cmp_lt_u32_e32 vcc, s4, v3
	s_mov_b64 s[4:5], 0
                                        ; implicit-def: $vgpr2
	s_and_saveexec_b64 s[8:9], vcc
	s_xor_b64 s[8:9], exec, s[8:9]
	s_cbranch_execz .LBB158_2916
; %bb.2859:
	v_bfe_u32 v2, v3, 21, 1
	s_mov_b32 s10, 0x88fffff
	v_add3_u32 v2, v3, v2, s10
	s_mov_b64 s[4:5], exec
	v_lshrrev_b32_e32 v2, 21, v2
                                        ; implicit-def: $vgpr3
	s_andn2_saveexec_b64 s[8:9], s[8:9]
	s_cbranch_execnz .LBB158_2917
.LBB158_2860:
	s_or_b64 exec, exec, s[8:9]
	v_mov_b32_e32 v4, 0
	s_and_saveexec_b64 s[8:9], s[4:5]
.LBB158_2861:
	v_mov_b32_e32 v4, v2
.LBB158_2862:
	s_or_b64 exec, exec, s[8:9]
.LBB158_2863:
	s_or_b64 exec, exec, s[2:3]
	s_mov_b64 s[2:3], 0
	global_store_byte v[0:1], v4, off
.LBB158_2864:
	s_and_b64 vcc, exec, s[2:3]
	s_cbranch_vccz .LBB158_2874
; %bb.2865:
	v_cndmask_b32_e64 v2, 0, 1.0, s[24:25]
	s_mov_b32 s2, 0x43f00000
	v_cmp_gt_u32_e32 vcc, s2, v2
                                        ; implicit-def: $vgpr3
	s_and_saveexec_b64 s[2:3], vcc
	s_xor_b64 s[2:3], exec, s[2:3]
	s_cbranch_execz .LBB158_2871
; %bb.2866:
	s_mov_b32 s4, 0x3c7fffff
	v_cmp_lt_u32_e32 vcc, s4, v2
                                        ; implicit-def: $vgpr3
	s_and_saveexec_b64 s[4:5], vcc
	s_xor_b64 s[4:5], exec, s[4:5]
; %bb.2867:
	v_bfe_u32 v3, v2, 20, 1
	s_mov_b32 s8, 0x407ffff
	v_add3_u32 v2, v2, v3, s8
	v_lshrrev_b32_e32 v3, 20, v2
	v_and_b32_e32 v2, 0xff00000, v2
	s_mov_b32 s8, 0x7f00000
	v_mov_b32_e32 v4, 0x7e
	v_cmp_ne_u32_e32 vcc, s8, v2
	v_cndmask_b32_e32 v3, v4, v3, vcc
                                        ; implicit-def: $vgpr2
; %bb.2868:
	s_andn2_saveexec_b64 s[4:5], s[4:5]
; %bb.2869:
	v_add_f32_e32 v3, 0x46800000, v2
; %bb.2870:
	s_or_b64 exec, exec, s[4:5]
                                        ; implicit-def: $vgpr2
.LBB158_2871:
	s_andn2_saveexec_b64 s[2:3], s[2:3]
; %bb.2872:
	s_mov_b32 s4, 0x7f800000
	v_mov_b32_e32 v3, 0x7e
	v_mov_b32_e32 v4, 0x7f
	v_cmp_lt_u32_e32 vcc, s4, v2
	v_cndmask_b32_e32 v3, v3, v4, vcc
; %bb.2873:
	s_or_b64 exec, exec, s[2:3]
	global_store_byte v[0:1], v3, off
.LBB158_2874:
	s_mov_b64 s[2:3], 0
.LBB158_2875:
	s_andn2_b64 vcc, exec, s[2:3]
	s_cbranch_vccnz .LBB158_2885
; %bb.2876:
	v_cndmask_b32_e64 v2, 0, 1.0, s[24:25]
	s_mov_b32 s2, 0x47800000
	v_cmp_gt_u32_e32 vcc, s2, v2
                                        ; implicit-def: $vgpr3
	s_and_saveexec_b64 s[2:3], vcc
	s_xor_b64 s[2:3], exec, s[2:3]
	s_cbranch_execz .LBB158_2882
; %bb.2877:
	s_mov_b32 s4, 0x387fffff
	v_cmp_lt_u32_e32 vcc, s4, v2
                                        ; implicit-def: $vgpr3
	s_and_saveexec_b64 s[4:5], vcc
	s_xor_b64 s[4:5], exec, s[4:5]
; %bb.2878:
	v_bfe_u32 v3, v2, 21, 1
	s_mov_b32 s8, 0x80fffff
	v_add3_u32 v2, v2, v3, s8
	v_lshrrev_b32_e32 v3, 21, v2
                                        ; implicit-def: $vgpr2
; %bb.2879:
	s_andn2_saveexec_b64 s[4:5], s[4:5]
; %bb.2880:
	v_add_f32_e32 v3, 0x43000000, v2
; %bb.2881:
	s_or_b64 exec, exec, s[4:5]
                                        ; implicit-def: $vgpr2
.LBB158_2882:
	s_andn2_saveexec_b64 s[2:3], s[2:3]
; %bb.2883:
	s_mov_b32 s4, 0x7f800000
	v_mov_b32_e32 v3, 0x7c
	v_mov_b32_e32 v4, 0x7f
	v_cmp_lt_u32_e32 vcc, s4, v2
	v_cndmask_b32_e32 v3, v3, v4, vcc
; %bb.2884:
	s_or_b64 exec, exec, s[2:3]
	global_store_byte v[0:1], v3, off
.LBB158_2885:
	s_mov_b64 s[2:3], 0
.LBB158_2886:
	s_andn2_b64 vcc, exec, s[2:3]
	s_mov_b64 s[2:3], 0
	s_cbranch_vccnz .LBB158_2893
; %bb.2887:
	s_cmp_gt_i32 s12, 14
	s_mov_b64 s[4:5], -1
	s_cbranch_scc0 .LBB158_2891
; %bb.2888:
	s_cmp_eq_u32 s12, 15
	s_mov_b64 s[0:1], -1
	s_cbranch_scc0 .LBB158_2890
; %bb.2889:
	v_cndmask_b32_e64 v2, 0, 1.0, s[24:25]
	v_bfe_u32 v3, v2, 16, 1
	s_movk_i32 s0, 0x7fff
	v_add3_u32 v2, v2, v3, s0
	global_store_short_d16_hi v[0:1], v2, off
	s_mov_b64 s[0:1], 0
.LBB158_2890:
	s_mov_b64 s[4:5], 0
.LBB158_2891:
	s_and_b64 vcc, exec, s[4:5]
	s_cbranch_vccz .LBB158_2893
; %bb.2892:
	s_cmp_lg_u32 s12, 11
	s_mov_b64 s[2:3], -1
	s_cselect_b64 s[0:1], -1, 0
.LBB158_2893:
	s_and_b64 vcc, exec, s[0:1]
	s_cbranch_vccnz .LBB158_2915
.LBB158_2894:
	s_mov_b64 s[0:1], 0
	s_branch .LBB158_2405
.LBB158_2895:
	s_mov_b64 s[0:1], 0
	s_branch .LBB158_2404
.LBB158_2896:
	s_mov_b64 s[2:3], 0
	s_mov_b64 s[0:1], -1
	s_branch .LBB158_2405
.LBB158_2897:
	s_trap 2
	s_mov_b64 s[24:25], 0
	s_or_b64 s[18:19], s[18:19], exec
	s_cbranch_execz .LBB158_2347
	s_branch .LBB158_2348
.LBB158_2898:
	s_andn2_saveexec_b64 s[26:27], s[26:27]
	s_cbranch_execz .LBB158_2488
.LBB158_2899:
	v_add_f32_e32 v3, 0x46000000, v4
	v_and_b32_e32 v3, 0xff, v3
	v_cmp_ne_u32_e32 vcc, 0, v3
	s_andn2_b64 s[14:15], s[14:15], exec
	s_and_b64 s[30:31], vcc, exec
	s_or_b64 s[14:15], s[14:15], s[30:31]
	s_or_b64 exec, exec, s[26:27]
	v_mov_b32_e32 v5, 0
	s_and_saveexec_b64 s[26:27], s[14:15]
	s_cbranch_execnz .LBB158_2489
	s_branch .LBB158_2490
.LBB158_2900:
	s_trap 2
	s_or_b64 s[18:19], s[18:19], exec
	s_cbranch_execz .LBB158_2536
	s_branch .LBB158_2537
.LBB158_2901:
	s_andn2_saveexec_b64 s[14:15], s[14:15]
	s_cbranch_execz .LBB158_2501
.LBB158_2902:
	v_add_f32_e32 v3, 0x42800000, v4
	v_and_b32_e32 v3, 0xff, v3
	v_cmp_ne_u32_e32 vcc, 0, v3
	s_andn2_b64 s[10:11], s[10:11], exec
	s_and_b64 s[26:27], vcc, exec
	s_or_b64 s[10:11], s[10:11], s[26:27]
	s_or_b64 exec, exec, s[14:15]
	v_mov_b32_e32 v5, 0
	s_and_saveexec_b64 s[14:15], s[10:11]
	s_cbranch_execnz .LBB158_2502
	s_branch .LBB158_2503
.LBB158_2903:
	s_andn2_saveexec_b64 s[12:13], s[12:13]
	s_cbranch_execz .LBB158_2609
.LBB158_2904:
	v_add_f32_e32 v3, 0x46000000, v4
	v_and_b32_e32 v3, 0xff, v3
	v_cmp_ne_u32_e32 vcc, 0, v3
	s_andn2_b64 s[10:11], s[10:11], exec
	s_and_b64 s[26:27], vcc, exec
	s_or_b64 s[10:11], s[10:11], s[26:27]
	s_or_b64 exec, exec, s[12:13]
	v_mov_b32_e32 v5, 0
	s_and_saveexec_b64 s[12:13], s[10:11]
	s_cbranch_execnz .LBB158_2610
	s_branch .LBB158_2611
.LBB158_2905:
	s_trap 2
	s_or_b64 s[18:19], s[18:19], exec
	s_cbranch_execz .LBB158_2657
	s_branch .LBB158_2658
.LBB158_2906:
	s_andn2_saveexec_b64 s[10:11], s[10:11]
	s_cbranch_execz .LBB158_2622
.LBB158_2907:
	v_add_f32_e32 v3, 0x42800000, v4
	v_and_b32_e32 v3, 0xff, v3
	v_cmp_ne_u32_e32 vcc, 0, v3
	s_andn2_b64 s[4:5], s[4:5], exec
	s_and_b64 s[12:13], vcc, exec
	s_or_b64 s[4:5], s[4:5], s[12:13]
	s_or_b64 exec, exec, s[10:11]
	v_mov_b32_e32 v5, 0
	s_and_saveexec_b64 s[10:11], s[4:5]
	s_cbranch_execnz .LBB158_2623
	s_branch .LBB158_2624
.LBB158_2908:
	s_andn2_saveexec_b64 s[12:13], s[12:13]
	s_cbranch_execz .LBB158_2728
.LBB158_2909:
	v_add_f32_e32 v3, 0x46000000, v4
	v_and_b32_e32 v3, 0xff, v3
	v_cmp_ne_u32_e32 vcc, 0, v3
	s_andn2_b64 s[10:11], s[10:11], exec
	s_and_b64 s[20:21], vcc, exec
	s_or_b64 s[10:11], s[10:11], s[20:21]
	s_or_b64 exec, exec, s[12:13]
	v_mov_b32_e32 v5, 0
	s_and_saveexec_b64 s[12:13], s[10:11]
	s_cbranch_execnz .LBB158_2729
	s_branch .LBB158_2730
.LBB158_2910:
	s_trap 2
	s_or_b64 s[18:19], s[18:19], exec
	s_cbranch_execz .LBB158_2776
	s_branch .LBB158_2777
.LBB158_2911:
	s_andn2_saveexec_b64 s[10:11], s[10:11]
	s_cbranch_execz .LBB158_2741
.LBB158_2912:
	v_add_f32_e32 v3, 0x42800000, v4
	v_and_b32_e32 v3, 0xff, v3
	v_cmp_ne_u32_e32 vcc, 0, v3
	s_andn2_b64 s[4:5], s[4:5], exec
	s_and_b64 s[12:13], vcc, exec
	s_or_b64 s[4:5], s[4:5], s[12:13]
	s_or_b64 exec, exec, s[10:11]
	v_mov_b32_e32 v5, 0
	s_and_saveexec_b64 s[10:11], s[4:5]
	s_cbranch_execnz .LBB158_2742
	s_branch .LBB158_2743
.LBB158_2913:
	s_andn2_saveexec_b64 s[10:11], s[10:11]
	s_cbranch_execz .LBB158_2848
.LBB158_2914:
	v_add_f32_e32 v2, 0x46000000, v3
	v_and_b32_e32 v2, 0xff, v2
	v_cmp_ne_u32_e32 vcc, 0, v2
	s_andn2_b64 s[8:9], s[8:9], exec
	s_and_b64 s[14:15], vcc, exec
	s_or_b64 s[8:9], s[8:9], s[14:15]
	s_or_b64 exec, exec, s[10:11]
	v_mov_b32_e32 v4, 0
	s_and_saveexec_b64 s[10:11], s[8:9]
	s_cbranch_execnz .LBB158_2849
	s_branch .LBB158_2850
.LBB158_2915:
	s_mov_b64 s[2:3], 0
	s_or_b64 s[18:19], s[18:19], exec
	s_trap 2
	s_branch .LBB158_2894
.LBB158_2916:
	s_andn2_saveexec_b64 s[8:9], s[8:9]
	s_cbranch_execz .LBB158_2860
.LBB158_2917:
	v_add_f32_e32 v2, 0x42800000, v3
	v_and_b32_e32 v2, 0xff, v2
	v_cmp_ne_u32_e32 vcc, 0, v2
	s_andn2_b64 s[4:5], s[4:5], exec
	s_and_b64 s[10:11], vcc, exec
	s_or_b64 s[4:5], s[4:5], s[10:11]
	s_or_b64 exec, exec, s[8:9]
	v_mov_b32_e32 v4, 0
	s_and_saveexec_b64 s[8:9], s[4:5]
	s_cbranch_execnz .LBB158_2861
	s_branch .LBB158_2862
	.section	.rodata,"a",@progbits
	.p2align	6, 0x0
	.amdhsa_kernel _ZN2at6native32elementwise_kernel_manual_unrollILi128ELi4EZNS0_15gpu_kernel_implINS0_12_GLOBAL__N_114CompareFunctorIbEEEEvRNS_18TensorIteratorBaseERKT_EUlibE_EEviT1_
		.amdhsa_group_segment_fixed_size 0
		.amdhsa_private_segment_fixed_size 0
		.amdhsa_kernarg_size 56
		.amdhsa_user_sgpr_count 6
		.amdhsa_user_sgpr_private_segment_buffer 1
		.amdhsa_user_sgpr_dispatch_ptr 0
		.amdhsa_user_sgpr_queue_ptr 0
		.amdhsa_user_sgpr_kernarg_segment_ptr 1
		.amdhsa_user_sgpr_dispatch_id 0
		.amdhsa_user_sgpr_flat_scratch_init 0
		.amdhsa_user_sgpr_private_segment_size 0
		.amdhsa_uses_dynamic_stack 0
		.amdhsa_system_sgpr_private_segment_wavefront_offset 0
		.amdhsa_system_sgpr_workgroup_id_x 1
		.amdhsa_system_sgpr_workgroup_id_y 0
		.amdhsa_system_sgpr_workgroup_id_z 0
		.amdhsa_system_sgpr_workgroup_info 0
		.amdhsa_system_vgpr_workitem_id 0
		.amdhsa_next_free_vgpr 9
		.amdhsa_next_free_sgpr 59
		.amdhsa_reserve_vcc 1
		.amdhsa_reserve_flat_scratch 0
		.amdhsa_float_round_mode_32 0
		.amdhsa_float_round_mode_16_64 0
		.amdhsa_float_denorm_mode_32 3
		.amdhsa_float_denorm_mode_16_64 3
		.amdhsa_dx10_clamp 1
		.amdhsa_ieee_mode 1
		.amdhsa_fp16_overflow 0
		.amdhsa_exception_fp_ieee_invalid_op 0
		.amdhsa_exception_fp_denorm_src 0
		.amdhsa_exception_fp_ieee_div_zero 0
		.amdhsa_exception_fp_ieee_overflow 0
		.amdhsa_exception_fp_ieee_underflow 0
		.amdhsa_exception_fp_ieee_inexact 0
		.amdhsa_exception_int_div_zero 0
	.end_amdhsa_kernel
	.section	.text._ZN2at6native32elementwise_kernel_manual_unrollILi128ELi4EZNS0_15gpu_kernel_implINS0_12_GLOBAL__N_114CompareFunctorIbEEEEvRNS_18TensorIteratorBaseERKT_EUlibE_EEviT1_,"axG",@progbits,_ZN2at6native32elementwise_kernel_manual_unrollILi128ELi4EZNS0_15gpu_kernel_implINS0_12_GLOBAL__N_114CompareFunctorIbEEEEvRNS_18TensorIteratorBaseERKT_EUlibE_EEviT1_,comdat
.Lfunc_end158:
	.size	_ZN2at6native32elementwise_kernel_manual_unrollILi128ELi4EZNS0_15gpu_kernel_implINS0_12_GLOBAL__N_114CompareFunctorIbEEEEvRNS_18TensorIteratorBaseERKT_EUlibE_EEviT1_, .Lfunc_end158-_ZN2at6native32elementwise_kernel_manual_unrollILi128ELi4EZNS0_15gpu_kernel_implINS0_12_GLOBAL__N_114CompareFunctorIbEEEEvRNS_18TensorIteratorBaseERKT_EUlibE_EEviT1_
                                        ; -- End function
	.set _ZN2at6native32elementwise_kernel_manual_unrollILi128ELi4EZNS0_15gpu_kernel_implINS0_12_GLOBAL__N_114CompareFunctorIbEEEEvRNS_18TensorIteratorBaseERKT_EUlibE_EEviT1_.num_vgpr, 9
	.set _ZN2at6native32elementwise_kernel_manual_unrollILi128ELi4EZNS0_15gpu_kernel_implINS0_12_GLOBAL__N_114CompareFunctorIbEEEEvRNS_18TensorIteratorBaseERKT_EUlibE_EEviT1_.num_agpr, 0
	.set _ZN2at6native32elementwise_kernel_manual_unrollILi128ELi4EZNS0_15gpu_kernel_implINS0_12_GLOBAL__N_114CompareFunctorIbEEEEvRNS_18TensorIteratorBaseERKT_EUlibE_EEviT1_.numbered_sgpr, 59
	.set _ZN2at6native32elementwise_kernel_manual_unrollILi128ELi4EZNS0_15gpu_kernel_implINS0_12_GLOBAL__N_114CompareFunctorIbEEEEvRNS_18TensorIteratorBaseERKT_EUlibE_EEviT1_.num_named_barrier, 0
	.set _ZN2at6native32elementwise_kernel_manual_unrollILi128ELi4EZNS0_15gpu_kernel_implINS0_12_GLOBAL__N_114CompareFunctorIbEEEEvRNS_18TensorIteratorBaseERKT_EUlibE_EEviT1_.private_seg_size, 0
	.set _ZN2at6native32elementwise_kernel_manual_unrollILi128ELi4EZNS0_15gpu_kernel_implINS0_12_GLOBAL__N_114CompareFunctorIbEEEEvRNS_18TensorIteratorBaseERKT_EUlibE_EEviT1_.uses_vcc, 1
	.set _ZN2at6native32elementwise_kernel_manual_unrollILi128ELi4EZNS0_15gpu_kernel_implINS0_12_GLOBAL__N_114CompareFunctorIbEEEEvRNS_18TensorIteratorBaseERKT_EUlibE_EEviT1_.uses_flat_scratch, 0
	.set _ZN2at6native32elementwise_kernel_manual_unrollILi128ELi4EZNS0_15gpu_kernel_implINS0_12_GLOBAL__N_114CompareFunctorIbEEEEvRNS_18TensorIteratorBaseERKT_EUlibE_EEviT1_.has_dyn_sized_stack, 0
	.set _ZN2at6native32elementwise_kernel_manual_unrollILi128ELi4EZNS0_15gpu_kernel_implINS0_12_GLOBAL__N_114CompareFunctorIbEEEEvRNS_18TensorIteratorBaseERKT_EUlibE_EEviT1_.has_recursion, 0
	.set _ZN2at6native32elementwise_kernel_manual_unrollILi128ELi4EZNS0_15gpu_kernel_implINS0_12_GLOBAL__N_114CompareFunctorIbEEEEvRNS_18TensorIteratorBaseERKT_EUlibE_EEviT1_.has_indirect_call, 0
	.section	.AMDGPU.csdata,"",@progbits
; Kernel info:
; codeLenInByte = 40300
; TotalNumSgprs: 63
; NumVgprs: 9
; ScratchSize: 0
; MemoryBound: 1
; FloatMode: 240
; IeeeMode: 1
; LDSByteSize: 0 bytes/workgroup (compile time only)
; SGPRBlocks: 7
; VGPRBlocks: 2
; NumSGPRsForWavesPerEU: 63
; NumVGPRsForWavesPerEU: 9
; Occupancy: 10
; WaveLimiterHint : 0
; COMPUTE_PGM_RSRC2:SCRATCH_EN: 0
; COMPUTE_PGM_RSRC2:USER_SGPR: 6
; COMPUTE_PGM_RSRC2:TRAP_HANDLER: 0
; COMPUTE_PGM_RSRC2:TGID_X_EN: 1
; COMPUTE_PGM_RSRC2:TGID_Y_EN: 0
; COMPUTE_PGM_RSRC2:TGID_Z_EN: 0
; COMPUTE_PGM_RSRC2:TIDIG_COMP_CNT: 0
	.section	.text._ZN2at6native32elementwise_kernel_manual_unrollILi128ELi4EZNS0_15gpu_kernel_implINS0_12_GLOBAL__N_114CompareFunctorIbEEEEvRNS_18TensorIteratorBaseERKT_EUlibE0_EEviT1_,"axG",@progbits,_ZN2at6native32elementwise_kernel_manual_unrollILi128ELi4EZNS0_15gpu_kernel_implINS0_12_GLOBAL__N_114CompareFunctorIbEEEEvRNS_18TensorIteratorBaseERKT_EUlibE0_EEviT1_,comdat
	.globl	_ZN2at6native32elementwise_kernel_manual_unrollILi128ELi4EZNS0_15gpu_kernel_implINS0_12_GLOBAL__N_114CompareFunctorIbEEEEvRNS_18TensorIteratorBaseERKT_EUlibE0_EEviT1_ ; -- Begin function _ZN2at6native32elementwise_kernel_manual_unrollILi128ELi4EZNS0_15gpu_kernel_implINS0_12_GLOBAL__N_114CompareFunctorIbEEEEvRNS_18TensorIteratorBaseERKT_EUlibE0_EEviT1_
	.p2align	8
	.type	_ZN2at6native32elementwise_kernel_manual_unrollILi128ELi4EZNS0_15gpu_kernel_implINS0_12_GLOBAL__N_114CompareFunctorIbEEEEvRNS_18TensorIteratorBaseERKT_EUlibE0_EEviT1_,@function
_ZN2at6native32elementwise_kernel_manual_unrollILi128ELi4EZNS0_15gpu_kernel_implINS0_12_GLOBAL__N_114CompareFunctorIbEEEEvRNS_18TensorIteratorBaseERKT_EUlibE0_EEviT1_: ; @_ZN2at6native32elementwise_kernel_manual_unrollILi128ELi4EZNS0_15gpu_kernel_implINS0_12_GLOBAL__N_114CompareFunctorIbEEEEvRNS_18TensorIteratorBaseERKT_EUlibE0_EEviT1_
; %bb.0:
	s_load_dword s70, s[4:5], 0x0
	s_load_dword s33, s[4:5], 0x8
	s_add_u32 s2, s4, 8
	s_addc_u32 s3, s5, 0
	v_lshl_or_b32 v8, s6, 9, v0
	v_or_b32_e32 v23, 0x180, v8
	s_waitcnt lgkmcnt(0)
	s_add_i32 s72, s33, -1
	s_cmp_gt_u32 s72, 1
	v_cmp_le_i32_e32 vcc, s70, v23
	s_cselect_b64 s[24:25], -1, 0
	s_mov_b64 s[6:7], 0
	s_mov_b64 s[12:13], 0
	s_and_saveexec_b64 s[0:1], vcc
	s_xor_b64 s[26:27], exec, s[0:1]
	s_cbranch_execz .LBB159_1502
; %bb.1:
	s_cmp_lg_u32 s33, 0
	s_load_dwordx4 s[16:19], s[2:3], 0x4
	s_load_dwordx2 s[30:31], s[2:3], 0x14
	s_load_dwordx8 s[8:15], s[2:3], 0x188
	s_load_dwordx4 s[20:23], s[2:3], 0xc4
	s_load_dwordx2 s[28:29], s[2:3], 0xd4
	s_cselect_b64 s[36:37], -1, 0
	s_min_u32 s75, s72, 15
	s_cmp_gt_u32 s33, 1
	s_cselect_b64 s[34:35], -1, 0
	s_waitcnt lgkmcnt(0)
	s_lshr_b32 s74, s15, 8
	s_lshr_b32 s73, s15, 16
	v_cmp_gt_i32_e32 vcc, s70, v8
	s_mov_b64 s[46:47], -1
	s_mov_b64 s[48:49], 0
	s_mov_b64 s[42:43], 0
	;; [unrolled: 1-line block ×4, first 2 shown]
	s_and_saveexec_b64 s[44:45], vcc
	s_cbranch_execz .LBB159_371
; %bb.2:
	s_andn2_b64 vcc, exec, s[24:25]
	s_cbranch_vccnz .LBB159_8
; %bb.3:
	s_andn2_b64 vcc, exec, s[36:37]
	s_cbranch_vccnz .LBB159_9
; %bb.4:
	s_add_i32 s0, s75, 1
	s_and_b32 s38, s0, 30
	s_add_u32 s0, s2, 0xffffffe8
	s_addc_u32 s1, s3, -1
	v_mov_b32_e32 v2, 0
	v_mov_b32_e32 v4, 0
	v_mov_b32_e32 v0, 0
	v_mov_b32_e32 v1, v8
.LBB159_5:                              ; =>This Inner Loop Header: Depth=1
	s_load_dwordx4 s[40:43], s[0:1], 0x1c
	s_load_dwordx2 s[46:47], s[0:1], 0x2c
	s_load_dwordx2 s[50:51], s[0:1], 0xec
	s_load_dwordx4 s[52:55], s[0:1], 0xdc
	s_add_u32 s0, s0, 24
	s_waitcnt lgkmcnt(0)
	v_mul_hi_u32 v3, s41, v1
	s_addc_u32 s1, s1, 0
	s_add_i32 s38, s38, -2
	s_cmp_lg_u32 s38, 0
	v_add_u32_e32 v3, v1, v3
	v_lshrrev_b32_e32 v3, s42, v3
	v_mul_lo_u32 v5, v3, s40
	v_mul_hi_u32 v6, s46, v3
	v_sub_u32_e32 v5, v1, v5
	v_add_u32_e32 v1, v3, v6
	v_lshrrev_b32_e32 v1, s47, v1
	v_mul_lo_u32 v9, v1, s43
	v_mul_lo_u32 v6, v5, s52
	;; [unrolled: 1-line block ×4, first 2 shown]
	v_sub_u32_e32 v3, v3, v9
	v_mul_lo_u32 v9, v3, s55
	v_mul_lo_u32 v10, v3, s50
	;; [unrolled: 1-line block ×3, first 2 shown]
	v_add3_u32 v0, v6, v0, v9
	v_add3_u32 v4, v7, v4, v10
	;; [unrolled: 1-line block ×3, first 2 shown]
	s_cbranch_scc1 .LBB159_5
; %bb.6:
	s_bitcmp1_b32 s75, 0
	s_cselect_b64 s[38:39], -1, 0
	s_and_b64 vcc, exec, s[38:39]
	s_cbranch_vccnz .LBB159_10
; %bb.7:
	s_load_dwordx2 s[38:39], s[0:1], 0x1c
	s_load_dword s42, s[0:1], 0x24
	s_load_dwordx2 s[40:41], s[0:1], 0xdc
	s_waitcnt lgkmcnt(0)
	v_mul_hi_u32 v3, s39, v1
	v_add_u32_e32 v3, v1, v3
	v_lshrrev_b32_e32 v3, s42, v3
	v_mul_lo_u32 v3, v3, s38
	s_load_dword s38, s[0:1], 0xe4
	v_sub_u32_e32 v3, v1, v3
	v_mad_u64_u32 v[0:1], s[0:1], v3, s40, v[0:1]
	v_mad_u64_u32 v[4:5], s[0:1], v3, s41, v[4:5]
	s_waitcnt lgkmcnt(0)
	v_mad_u64_u32 v[2:3], s[0:1], v3, s38, v[2:3]
	s_cbranch_execz .LBB159_11
	s_branch .LBB159_13
.LBB159_8:
                                        ; implicit-def: $vgpr0
                                        ; implicit-def: $vgpr4
                                        ; implicit-def: $vgpr2
	s_branch .LBB159_11
.LBB159_9:
	v_mov_b32_e32 v0, 0
	v_mov_b32_e32 v4, 0
	;; [unrolled: 1-line block ×3, first 2 shown]
.LBB159_10:
	s_cbranch_execnz .LBB159_13
.LBB159_11:
	v_mul_hi_u32 v0, s17, v8
	s_andn2_b64 vcc, exec, s[34:35]
	v_add_u32_e32 v0, v8, v0
	v_lshrrev_b32_e32 v1, s18, v0
	v_mul_lo_u32 v0, v1, s16
	v_sub_u32_e32 v2, v8, v0
	v_mul_lo_u32 v0, v2, s20
	v_mul_lo_u32 v4, v2, s21
	;; [unrolled: 1-line block ×3, first 2 shown]
	s_cbranch_vccnz .LBB159_13
; %bb.12:
	v_mul_hi_u32 v3, s30, v1
	v_add_u32_e32 v3, v1, v3
	v_lshrrev_b32_e32 v3, s31, v3
	v_mul_lo_u32 v3, v3, s19
	v_sub_u32_e32 v3, v1, v3
	v_mad_u64_u32 v[0:1], s[0:1], v3, s23, v[0:1]
	v_mad_u64_u32 v[4:5], s[0:1], v3, s28, v[4:5]
	;; [unrolled: 1-line block ×3, first 2 shown]
.LBB159_13:
	v_mov_b32_e32 v1, s11
	s_and_b32 s46, s74, 0xff
	v_add_co_u32_e32 v3, vcc, s10, v4
	s_cmp_lt_i32 s46, 11
	v_addc_co_u32_e32 v4, vcc, 0, v1, vcc
	s_cbranch_scc1 .LBB159_20
; %bb.14:
	s_and_b32 s47, 0xffff, s46
	s_cmp_gt_i32 s47, 25
	s_cbranch_scc0 .LBB159_29
; %bb.15:
	s_cmp_gt_i32 s47, 28
	s_cbranch_scc0 .LBB159_31
; %bb.16:
	;; [unrolled: 3-line block ×4, first 2 shown]
	s_cmp_eq_u32 s47, 46
	s_mov_b64 s[40:41], 0
	s_cbranch_scc0 .LBB159_37
; %bb.19:
	global_load_dword v1, v[3:4], off
	s_mov_b64 s[0:1], -1
	s_mov_b64 s[42:43], 0
	s_waitcnt vmcnt(0)
	v_and_b32_e32 v1, 0x7fff7fff, v1
	v_cmp_ne_u32_e64 s[38:39], 0, v1
	s_branch .LBB159_39
.LBB159_20:
	s_mov_b64 s[42:43], 0
                                        ; implicit-def: $sgpr38_sgpr39
	s_mov_b64 s[0:1], 0
	s_cbranch_execnz .LBB159_85
.LBB159_21:
	s_andn2_b64 vcc, exec, s[0:1]
	s_cbranch_vccnz .LBB159_132
.LBB159_22:
	v_mov_b32_e32 v3, s13
	s_and_b32 s50, s73, 0xff
	v_add_co_u32_e32 v1, vcc, s12, v2
	s_cmp_lt_i32 s50, 11
	v_addc_co_u32_e32 v2, vcc, 0, v3, vcc
	s_cbranch_scc1 .LBB159_30
; %bb.23:
	s_and_b32 s51, 0xffff, s50
	s_cmp_gt_i32 s51, 25
	s_cbranch_scc0 .LBB159_32
; %bb.24:
	s_cmp_gt_i32 s51, 28
	s_cbranch_scc0 .LBB159_34
; %bb.25:
	;; [unrolled: 3-line block ×4, first 2 shown]
	s_cmp_eq_u32 s51, 46
	s_mov_b64 s[42:43], 0
	s_cbranch_scc0 .LBB159_134
; %bb.28:
	global_load_dword v3, v[1:2], off
	s_mov_b64 s[0:1], -1
	s_mov_b64 s[40:41], 0
	s_waitcnt vmcnt(0)
	v_and_b32_e32 v3, 0x7fff7fff, v3
	v_cmp_ne_u32_e64 s[46:47], 0, v3
	s_branch .LBB159_136
.LBB159_29:
	s_mov_b64 s[42:43], 0
	s_mov_b64 s[0:1], 0
                                        ; implicit-def: $sgpr38_sgpr39
	s_cbranch_execnz .LBB159_60
	s_branch .LBB159_84
.LBB159_30:
	s_mov_b64 s[40:41], 0
                                        ; implicit-def: $sgpr46_sgpr47
	s_mov_b64 s[0:1], 0
	s_cbranch_execnz .LBB159_183
	s_branch .LBB159_231
.LBB159_31:
	s_mov_b64 s[40:41], -1
	s_mov_b64 s[42:43], 0
	s_mov_b64 s[0:1], 0
                                        ; implicit-def: $sgpr38_sgpr39
	s_branch .LBB159_47
.LBB159_32:
	s_mov_b64 s[42:43], -1
	s_mov_b64 s[40:41], 0
	s_mov_b64 s[0:1], 0
                                        ; implicit-def: $sgpr46_sgpr47
	s_branch .LBB159_157
.LBB159_33:
	s_mov_b64 s[40:41], -1
	s_mov_b64 s[42:43], 0
	s_mov_b64 s[0:1], 0
                                        ; implicit-def: $sgpr38_sgpr39
	s_branch .LBB159_42
.LBB159_34:
	s_mov_b64 s[42:43], -1
	s_mov_b64 s[40:41], 0
	s_mov_b64 s[0:1], 0
                                        ; implicit-def: $sgpr46_sgpr47
	s_branch .LBB159_144
.LBB159_35:
	s_mov_b64 s[40:41], -1
	s_mov_b64 s[42:43], 0
	s_branch .LBB159_38
.LBB159_36:
	s_mov_b64 s[42:43], -1
	s_mov_b64 s[40:41], 0
	s_mov_b64 s[0:1], 0
                                        ; implicit-def: $sgpr46_sgpr47
	s_branch .LBB159_139
.LBB159_37:
	s_mov_b64 s[42:43], -1
.LBB159_38:
	s_mov_b64 s[0:1], 0
                                        ; implicit-def: $sgpr38_sgpr39
.LBB159_39:
	s_and_b64 vcc, exec, s[40:41]
	s_cbranch_vccz .LBB159_41
; %bb.40:
	s_cmp_eq_u32 s47, 44
	s_mov_b64 s[42:43], -1
	s_cselect_b64 s[0:1], -1, 0
	s_or_b64 s[38:39], s[38:39], exec
.LBB159_41:
	s_mov_b64 s[40:41], 0
.LBB159_42:
	s_and_b64 vcc, exec, s[40:41]
	s_cbranch_vccz .LBB159_46
; %bb.43:
	s_cmp_eq_u32 s47, 29
	s_cbranch_scc0 .LBB159_45
; %bb.44:
	global_load_dwordx2 v[5:6], v[3:4], off
	s_mov_b64 s[42:43], 0
	s_mov_b64 s[0:1], -1
	s_mov_b64 s[40:41], 0
	s_waitcnt vmcnt(0)
	v_cmp_ne_u64_e64 s[38:39], 0, v[5:6]
	s_branch .LBB159_47
.LBB159_45:
	s_mov_b64 s[42:43], -1
                                        ; implicit-def: $sgpr38_sgpr39
.LBB159_46:
	s_mov_b64 s[40:41], 0
.LBB159_47:
	s_and_b64 vcc, exec, s[40:41]
	s_cbranch_vccz .LBB159_59
; %bb.48:
	s_cmp_lt_i32 s47, 27
	s_cbranch_scc1 .LBB159_51
; %bb.49:
	s_cmp_gt_i32 s47, 27
	s_cbranch_scc0 .LBB159_52
; %bb.50:
	global_load_dword v1, v[3:4], off
	s_mov_b64 s[0:1], 0
	s_waitcnt vmcnt(0)
	v_cmp_ne_u32_e64 s[38:39], 0, v1
	s_branch .LBB159_53
.LBB159_51:
	s_mov_b64 s[0:1], -1
                                        ; implicit-def: $sgpr38_sgpr39
	s_branch .LBB159_56
.LBB159_52:
	s_mov_b64 s[0:1], -1
                                        ; implicit-def: $sgpr38_sgpr39
.LBB159_53:
	s_andn2_b64 vcc, exec, s[0:1]
	s_cbranch_vccnz .LBB159_55
; %bb.54:
	global_load_ushort v1, v[3:4], off
	s_andn2_b64 s[0:1], s[38:39], exec
	s_waitcnt vmcnt(0)
	v_cmp_ne_u16_e32 vcc, 0, v1
	s_and_b64 s[38:39], vcc, exec
	s_or_b64 s[38:39], s[0:1], s[38:39]
.LBB159_55:
	s_mov_b64 s[0:1], 0
.LBB159_56:
	s_andn2_b64 vcc, exec, s[0:1]
	s_cbranch_vccnz .LBB159_58
; %bb.57:
	global_load_ubyte v1, v[3:4], off
	s_andn2_b64 s[0:1], s[38:39], exec
	s_waitcnt vmcnt(0)
	v_cmp_ne_u16_e32 vcc, 0, v1
	s_and_b64 s[38:39], vcc, exec
	s_or_b64 s[38:39], s[0:1], s[38:39]
.LBB159_58:
	s_mov_b64 s[0:1], -1
.LBB159_59:
	s_branch .LBB159_84
.LBB159_60:
	s_cmp_gt_i32 s47, 22
	s_cbranch_scc0 .LBB159_64
; %bb.61:
	s_cmp_lt_i32 s47, 24
	s_cbranch_scc1 .LBB159_65
; %bb.62:
	s_cmp_gt_i32 s47, 24
	s_cbranch_scc0 .LBB159_66
; %bb.63:
	global_load_ubyte v1, v[3:4], off
	s_mov_b64 s[0:1], 0
	s_waitcnt vmcnt(0)
	v_cmp_ne_u16_e64 s[38:39], 0, v1
	s_branch .LBB159_67
.LBB159_64:
	s_mov_b64 s[40:41], -1
                                        ; implicit-def: $sgpr38_sgpr39
	s_branch .LBB159_73
.LBB159_65:
	s_mov_b64 s[0:1], -1
                                        ; implicit-def: $sgpr38_sgpr39
	s_branch .LBB159_70
.LBB159_66:
	s_mov_b64 s[0:1], -1
                                        ; implicit-def: $sgpr38_sgpr39
.LBB159_67:
	s_andn2_b64 vcc, exec, s[0:1]
	s_cbranch_vccnz .LBB159_69
; %bb.68:
	global_load_ubyte v1, v[3:4], off
	s_andn2_b64 s[0:1], s[38:39], exec
	s_waitcnt vmcnt(0)
	v_and_b32_e32 v1, 0x7f, v1
	v_cmp_ne_u16_e32 vcc, 0, v1
	s_and_b64 s[38:39], vcc, exec
	s_or_b64 s[38:39], s[0:1], s[38:39]
.LBB159_69:
	s_mov_b64 s[0:1], 0
.LBB159_70:
	s_andn2_b64 vcc, exec, s[0:1]
	s_cbranch_vccnz .LBB159_72
; %bb.71:
	global_load_ubyte v1, v[3:4], off
	s_movk_i32 s0, 0x7f00
	s_brev_b32 s1, 16
	s_waitcnt vmcnt(0)
	v_lshlrev_b32_e32 v5, 8, v1
	v_lshlrev_b32_e32 v1, 25, v1
	v_lshrrev_b32_e32 v6, 4, v1
	v_and_or_b32 v5, v5, s0, 0.5
	v_or_b32_e32 v6, 0x70000000, v6
	v_add_f32_e32 v5, -0.5, v5
	v_mul_f32_e32 v6, 0x7800000, v6
	v_cmp_gt_u32_e32 vcc, s1, v1
	v_cndmask_b32_e32 v1, v6, v5, vcc
	v_cmp_neq_f32_e32 vcc, 0, v1
	s_andn2_b64 s[0:1], s[38:39], exec
	s_and_b64 s[38:39], vcc, exec
	s_or_b64 s[38:39], s[0:1], s[38:39]
.LBB159_72:
	s_mov_b64 s[40:41], 0
	s_mov_b64 s[0:1], -1
.LBB159_73:
	s_andn2_b64 vcc, exec, s[40:41]
	s_cbranch_vccnz .LBB159_84
; %bb.74:
	s_cmp_gt_i32 s47, 14
	s_cbranch_scc0 .LBB159_77
; %bb.75:
	s_cmp_eq_u32 s47, 15
	s_cbranch_scc0 .LBB159_78
; %bb.76:
	global_load_ushort v1, v[3:4], off
	s_mov_b64 s[0:1], -1
	s_mov_b64 s[42:43], 0
	s_waitcnt vmcnt(0)
	v_and_b32_e32 v1, 0x7fff, v1
	v_cmp_ne_u16_e64 s[38:39], 0, v1
	s_branch .LBB159_79
.LBB159_77:
	s_mov_b64 s[40:41], -1
                                        ; implicit-def: $sgpr38_sgpr39
	s_branch .LBB159_80
.LBB159_78:
	s_mov_b64 s[42:43], -1
                                        ; implicit-def: $sgpr38_sgpr39
.LBB159_79:
	s_mov_b64 s[40:41], 0
.LBB159_80:
	s_and_b64 vcc, exec, s[40:41]
	s_cbranch_vccz .LBB159_84
; %bb.81:
	s_cmp_eq_u32 s47, 11
	s_cbranch_scc0 .LBB159_83
; %bb.82:
	global_load_ubyte v1, v[3:4], off
	s_mov_b64 s[0:1], -1
	s_mov_b64 s[42:43], 0
	s_waitcnt vmcnt(0)
	v_cmp_ne_u16_e64 s[38:39], 0, v1
	s_branch .LBB159_84
.LBB159_83:
	s_mov_b64 s[42:43], -1
                                        ; implicit-def: $sgpr38_sgpr39
.LBB159_84:
	s_branch .LBB159_21
.LBB159_85:
	s_and_b32 s46, 0xffff, s46
	s_cmp_lt_i32 s46, 5
	s_cbranch_scc1 .LBB159_90
; %bb.86:
	s_cmp_lt_i32 s46, 8
	s_cbranch_scc1 .LBB159_91
; %bb.87:
	;; [unrolled: 3-line block ×3, first 2 shown]
	s_cmp_gt_i32 s46, 9
	s_cbranch_scc0 .LBB159_93
; %bb.89:
	global_load_dwordx4 v[9:12], v[3:4], off
	s_mov_b64 s[40:41], 0
	s_waitcnt vmcnt(0)
	v_cmp_neq_f64_e32 vcc, 0, v[9:10]
	v_cmp_neq_f64_e64 s[0:1], 0, v[11:12]
	s_or_b64 s[38:39], vcc, s[0:1]
	s_branch .LBB159_94
.LBB159_90:
                                        ; implicit-def: $sgpr38_sgpr39
	s_branch .LBB159_112
.LBB159_91:
	s_mov_b64 s[0:1], -1
                                        ; implicit-def: $sgpr38_sgpr39
	s_branch .LBB159_100
.LBB159_92:
	s_mov_b64 s[0:1], -1
                                        ; implicit-def: $sgpr38_sgpr39
	s_branch .LBB159_97
.LBB159_93:
	s_mov_b64 s[40:41], -1
                                        ; implicit-def: $sgpr38_sgpr39
.LBB159_94:
	s_andn2_b64 vcc, exec, s[40:41]
	s_cbranch_vccnz .LBB159_96
; %bb.95:
	global_load_dwordx2 v[5:6], v[3:4], off
	s_andn2_b64 s[0:1], s[38:39], exec
	s_waitcnt vmcnt(0)
	v_or_b32_e32 v1, v5, v6
	v_and_b32_e32 v1, 0x7fffffff, v1
	v_cmp_ne_u32_e32 vcc, 0, v1
	s_and_b64 s[38:39], vcc, exec
	s_or_b64 s[38:39], s[0:1], s[38:39]
.LBB159_96:
	s_mov_b64 s[0:1], 0
.LBB159_97:
	s_andn2_b64 vcc, exec, s[0:1]
	s_cbranch_vccnz .LBB159_99
; %bb.98:
	global_load_dword v1, v[3:4], off
	s_andn2_b64 s[0:1], s[38:39], exec
	s_waitcnt vmcnt(0)
	v_and_b32_e32 v1, 0x7fff7fff, v1
	v_cmp_ne_u32_e32 vcc, 0, v1
	s_and_b64 s[38:39], vcc, exec
	s_or_b64 s[38:39], s[0:1], s[38:39]
.LBB159_99:
	s_mov_b64 s[0:1], 0
.LBB159_100:
	s_andn2_b64 vcc, exec, s[0:1]
	s_cbranch_vccnz .LBB159_111
; %bb.101:
	s_cmp_lt_i32 s46, 6
	s_cbranch_scc1 .LBB159_104
; %bb.102:
	s_cmp_gt_i32 s46, 6
	s_cbranch_scc0 .LBB159_105
; %bb.103:
	global_load_dwordx2 v[5:6], v[3:4], off
	s_mov_b64 s[0:1], 0
	s_waitcnt vmcnt(0)
	v_cmp_neq_f64_e64 s[38:39], 0, v[5:6]
	s_branch .LBB159_106
.LBB159_104:
	s_mov_b64 s[0:1], -1
                                        ; implicit-def: $sgpr38_sgpr39
	s_branch .LBB159_109
.LBB159_105:
	s_mov_b64 s[0:1], -1
                                        ; implicit-def: $sgpr38_sgpr39
.LBB159_106:
	s_andn2_b64 vcc, exec, s[0:1]
	s_cbranch_vccnz .LBB159_108
; %bb.107:
	global_load_dword v1, v[3:4], off
	s_andn2_b64 s[0:1], s[38:39], exec
	s_waitcnt vmcnt(0)
	v_cmp_neq_f32_e32 vcc, 0, v1
	s_and_b64 s[38:39], vcc, exec
	s_or_b64 s[38:39], s[0:1], s[38:39]
.LBB159_108:
	s_mov_b64 s[0:1], 0
.LBB159_109:
	s_andn2_b64 vcc, exec, s[0:1]
	s_cbranch_vccnz .LBB159_111
; %bb.110:
	global_load_ushort v1, v[3:4], off
	s_andn2_b64 s[0:1], s[38:39], exec
	s_waitcnt vmcnt(0)
	v_and_b32_e32 v1, 0x7fff, v1
	v_cmp_ne_u16_e32 vcc, 0, v1
	s_and_b64 s[38:39], vcc, exec
	s_or_b64 s[38:39], s[0:1], s[38:39]
.LBB159_111:
	s_cbranch_execnz .LBB159_131
.LBB159_112:
	s_cmp_lt_i32 s46, 2
	s_cbranch_scc1 .LBB159_116
; %bb.113:
	s_cmp_lt_i32 s46, 3
	s_cbranch_scc1 .LBB159_117
; %bb.114:
	s_cmp_gt_i32 s46, 3
	s_cbranch_scc0 .LBB159_118
; %bb.115:
	global_load_dwordx2 v[5:6], v[3:4], off
	s_mov_b64 s[0:1], 0
	s_waitcnt vmcnt(0)
	v_cmp_ne_u64_e64 s[38:39], 0, v[5:6]
	s_branch .LBB159_119
.LBB159_116:
	s_mov_b64 s[0:1], -1
                                        ; implicit-def: $sgpr38_sgpr39
	s_branch .LBB159_125
.LBB159_117:
	s_mov_b64 s[0:1], -1
                                        ; implicit-def: $sgpr38_sgpr39
	s_branch .LBB159_122
.LBB159_118:
	s_mov_b64 s[0:1], -1
                                        ; implicit-def: $sgpr38_sgpr39
.LBB159_119:
	s_andn2_b64 vcc, exec, s[0:1]
	s_cbranch_vccnz .LBB159_121
; %bb.120:
	global_load_dword v1, v[3:4], off
	s_andn2_b64 s[0:1], s[38:39], exec
	s_waitcnt vmcnt(0)
	v_cmp_ne_u32_e32 vcc, 0, v1
	s_and_b64 s[38:39], vcc, exec
	s_or_b64 s[38:39], s[0:1], s[38:39]
.LBB159_121:
	s_mov_b64 s[0:1], 0
.LBB159_122:
	s_andn2_b64 vcc, exec, s[0:1]
	s_cbranch_vccnz .LBB159_124
; %bb.123:
	global_load_ushort v1, v[3:4], off
	s_andn2_b64 s[0:1], s[38:39], exec
	s_waitcnt vmcnt(0)
	v_cmp_ne_u16_e32 vcc, 0, v1
	s_and_b64 s[38:39], vcc, exec
	s_or_b64 s[38:39], s[0:1], s[38:39]
.LBB159_124:
	s_mov_b64 s[0:1], 0
.LBB159_125:
	s_andn2_b64 vcc, exec, s[0:1]
	s_cbranch_vccnz .LBB159_131
; %bb.126:
	s_cmp_gt_i32 s46, 0
	s_cbranch_scc0 .LBB159_128
; %bb.127:
	global_load_ubyte v1, v[3:4], off
	s_mov_b64 s[0:1], 0
	s_waitcnt vmcnt(0)
	v_cmp_ne_u16_e64 s[38:39], 0, v1
	s_branch .LBB159_129
.LBB159_128:
	s_mov_b64 s[0:1], -1
                                        ; implicit-def: $sgpr38_sgpr39
.LBB159_129:
	s_andn2_b64 vcc, exec, s[0:1]
	s_cbranch_vccnz .LBB159_131
; %bb.130:
	global_load_ubyte v1, v[3:4], off
	s_andn2_b64 s[0:1], s[38:39], exec
	s_waitcnt vmcnt(0)
	v_cmp_ne_u16_e32 vcc, 0, v1
	s_and_b64 s[38:39], vcc, exec
	s_or_b64 s[38:39], s[0:1], s[38:39]
.LBB159_131:
	s_branch .LBB159_22
.LBB159_132:
	s_mov_b64 s[0:1], 0
	s_mov_b64 s[40:41], 0
	;; [unrolled: 1-line block ×3, first 2 shown]
                                        ; implicit-def: $vgpr8
	s_branch .LBB159_370
.LBB159_133:
	s_mov_b64 s[42:43], -1
	s_mov_b64 s[40:41], 0
	s_branch .LBB159_135
.LBB159_134:
	s_mov_b64 s[40:41], -1
.LBB159_135:
	s_mov_b64 s[0:1], 0
                                        ; implicit-def: $sgpr46_sgpr47
.LBB159_136:
	s_and_b64 vcc, exec, s[42:43]
	s_cbranch_vccz .LBB159_138
; %bb.137:
	s_cmp_eq_u32 s51, 44
	s_mov_b64 s[40:41], -1
	s_cselect_b64 s[0:1], -1, 0
	s_or_b64 s[46:47], s[46:47], exec
.LBB159_138:
	s_mov_b64 s[42:43], 0
.LBB159_139:
	s_and_b64 vcc, exec, s[42:43]
	s_cbranch_vccz .LBB159_143
; %bb.140:
	s_cmp_eq_u32 s51, 29
	s_cbranch_scc0 .LBB159_142
; %bb.141:
	global_load_dwordx2 v[3:4], v[1:2], off
	s_mov_b64 s[40:41], 0
	s_mov_b64 s[0:1], -1
	s_mov_b64 s[42:43], 0
	s_waitcnt vmcnt(0)
	v_cmp_ne_u64_e64 s[46:47], 0, v[3:4]
	s_branch .LBB159_144
.LBB159_142:
	s_mov_b64 s[40:41], -1
                                        ; implicit-def: $sgpr46_sgpr47
.LBB159_143:
	s_mov_b64 s[42:43], 0
.LBB159_144:
	s_and_b64 vcc, exec, s[42:43]
	s_cbranch_vccz .LBB159_156
; %bb.145:
	s_cmp_lt_i32 s51, 27
	s_cbranch_scc1 .LBB159_148
; %bb.146:
	s_cmp_gt_i32 s51, 27
	s_cbranch_scc0 .LBB159_149
; %bb.147:
	global_load_dword v3, v[1:2], off
	s_mov_b64 s[0:1], 0
	s_waitcnt vmcnt(0)
	v_cmp_ne_u32_e64 s[46:47], 0, v3
	s_branch .LBB159_150
.LBB159_148:
	s_mov_b64 s[0:1], -1
                                        ; implicit-def: $sgpr46_sgpr47
	s_branch .LBB159_153
.LBB159_149:
	s_mov_b64 s[0:1], -1
                                        ; implicit-def: $sgpr46_sgpr47
.LBB159_150:
	s_andn2_b64 vcc, exec, s[0:1]
	s_cbranch_vccnz .LBB159_152
; %bb.151:
	global_load_ushort v3, v[1:2], off
	s_andn2_b64 s[0:1], s[46:47], exec
	s_waitcnt vmcnt(0)
	v_cmp_ne_u16_e32 vcc, 0, v3
	s_and_b64 s[42:43], vcc, exec
	s_or_b64 s[46:47], s[0:1], s[42:43]
.LBB159_152:
	s_mov_b64 s[0:1], 0
.LBB159_153:
	s_andn2_b64 vcc, exec, s[0:1]
	s_cbranch_vccnz .LBB159_155
; %bb.154:
	global_load_ubyte v3, v[1:2], off
	s_andn2_b64 s[0:1], s[46:47], exec
	s_waitcnt vmcnt(0)
	v_cmp_ne_u16_e32 vcc, 0, v3
	s_and_b64 s[42:43], vcc, exec
	s_or_b64 s[46:47], s[0:1], s[42:43]
.LBB159_155:
	s_mov_b64 s[0:1], -1
.LBB159_156:
	s_mov_b64 s[42:43], 0
.LBB159_157:
	s_and_b64 vcc, exec, s[42:43]
	s_cbranch_vccz .LBB159_182
; %bb.158:
	s_cmp_gt_i32 s51, 22
	s_cbranch_scc0 .LBB159_162
; %bb.159:
	s_cmp_lt_i32 s51, 24
	s_cbranch_scc1 .LBB159_163
; %bb.160:
	s_cmp_gt_i32 s51, 24
	s_cbranch_scc0 .LBB159_164
; %bb.161:
	global_load_ubyte v3, v[1:2], off
	s_mov_b64 s[0:1], 0
	s_waitcnt vmcnt(0)
	v_cmp_ne_u16_e64 s[46:47], 0, v3
	s_branch .LBB159_165
.LBB159_162:
	s_mov_b64 s[42:43], -1
                                        ; implicit-def: $sgpr46_sgpr47
	s_branch .LBB159_171
.LBB159_163:
	s_mov_b64 s[0:1], -1
                                        ; implicit-def: $sgpr46_sgpr47
	s_branch .LBB159_168
.LBB159_164:
	s_mov_b64 s[0:1], -1
                                        ; implicit-def: $sgpr46_sgpr47
.LBB159_165:
	s_andn2_b64 vcc, exec, s[0:1]
	s_cbranch_vccnz .LBB159_167
; %bb.166:
	global_load_ubyte v3, v[1:2], off
	s_andn2_b64 s[0:1], s[46:47], exec
	s_waitcnt vmcnt(0)
	v_and_b32_e32 v3, 0x7f, v3
	v_cmp_ne_u16_e32 vcc, 0, v3
	s_and_b64 s[42:43], vcc, exec
	s_or_b64 s[46:47], s[0:1], s[42:43]
.LBB159_167:
	s_mov_b64 s[0:1], 0
.LBB159_168:
	s_andn2_b64 vcc, exec, s[0:1]
	s_cbranch_vccnz .LBB159_170
; %bb.169:
	global_load_ubyte v3, v[1:2], off
	s_movk_i32 s0, 0x7f00
	s_brev_b32 s1, 16
	s_waitcnt vmcnt(0)
	v_lshlrev_b32_e32 v4, 8, v3
	v_lshlrev_b32_e32 v3, 25, v3
	v_lshrrev_b32_e32 v5, 4, v3
	v_and_or_b32 v4, v4, s0, 0.5
	v_or_b32_e32 v5, 0x70000000, v5
	v_add_f32_e32 v4, -0.5, v4
	v_mul_f32_e32 v5, 0x7800000, v5
	v_cmp_gt_u32_e32 vcc, s1, v3
	v_cndmask_b32_e32 v3, v5, v4, vcc
	v_cmp_neq_f32_e32 vcc, 0, v3
	s_andn2_b64 s[0:1], s[46:47], exec
	s_and_b64 s[42:43], vcc, exec
	s_or_b64 s[46:47], s[0:1], s[42:43]
.LBB159_170:
	s_mov_b64 s[42:43], 0
	s_mov_b64 s[0:1], -1
.LBB159_171:
	s_andn2_b64 vcc, exec, s[42:43]
	s_cbranch_vccnz .LBB159_182
; %bb.172:
	s_cmp_gt_i32 s51, 14
	s_cbranch_scc0 .LBB159_175
; %bb.173:
	s_cmp_eq_u32 s51, 15
	s_cbranch_scc0 .LBB159_176
; %bb.174:
	global_load_ushort v3, v[1:2], off
	s_mov_b64 s[0:1], -1
	s_mov_b64 s[40:41], 0
	s_waitcnt vmcnt(0)
	v_and_b32_e32 v3, 0x7fff, v3
	v_cmp_ne_u16_e64 s[46:47], 0, v3
	s_branch .LBB159_177
.LBB159_175:
	s_mov_b64 s[42:43], -1
                                        ; implicit-def: $sgpr46_sgpr47
	s_branch .LBB159_178
.LBB159_176:
	s_mov_b64 s[40:41], -1
                                        ; implicit-def: $sgpr46_sgpr47
.LBB159_177:
	s_mov_b64 s[42:43], 0
.LBB159_178:
	s_and_b64 vcc, exec, s[42:43]
	s_cbranch_vccz .LBB159_182
; %bb.179:
	s_cmp_eq_u32 s51, 11
	s_cbranch_scc0 .LBB159_181
; %bb.180:
	global_load_ubyte v3, v[1:2], off
	s_mov_b64 s[0:1], -1
	s_mov_b64 s[40:41], 0
	s_waitcnt vmcnt(0)
	v_cmp_ne_u16_e64 s[46:47], 0, v3
	s_branch .LBB159_182
.LBB159_181:
	s_mov_b64 s[40:41], -1
                                        ; implicit-def: $sgpr46_sgpr47
.LBB159_182:
	s_branch .LBB159_231
.LBB159_183:
	s_and_b32 s50, 0xffff, s50
	s_cmp_lt_i32 s50, 5
	s_cbranch_scc1 .LBB159_188
; %bb.184:
	s_cmp_lt_i32 s50, 8
	s_cbranch_scc1 .LBB159_189
; %bb.185:
	;; [unrolled: 3-line block ×3, first 2 shown]
	s_cmp_gt_i32 s50, 9
	s_cbranch_scc0 .LBB159_191
; %bb.187:
	global_load_dwordx4 v[3:6], v[1:2], off
	s_mov_b64 s[42:43], 0
	s_waitcnt vmcnt(0)
	v_cmp_neq_f64_e32 vcc, 0, v[3:4]
	v_cmp_neq_f64_e64 s[0:1], 0, v[5:6]
	s_or_b64 s[46:47], vcc, s[0:1]
	s_branch .LBB159_192
.LBB159_188:
	s_mov_b64 s[0:1], -1
                                        ; implicit-def: $sgpr46_sgpr47
	s_branch .LBB159_210
.LBB159_189:
	s_mov_b64 s[0:1], -1
                                        ; implicit-def: $sgpr46_sgpr47
	s_branch .LBB159_198
.LBB159_190:
	s_mov_b64 s[0:1], -1
                                        ; implicit-def: $sgpr46_sgpr47
	s_branch .LBB159_195
.LBB159_191:
	s_mov_b64 s[42:43], -1
                                        ; implicit-def: $sgpr46_sgpr47
.LBB159_192:
	s_andn2_b64 vcc, exec, s[42:43]
	s_cbranch_vccnz .LBB159_194
; %bb.193:
	global_load_dwordx2 v[3:4], v[1:2], off
	s_andn2_b64 s[0:1], s[46:47], exec
	s_waitcnt vmcnt(0)
	v_or_b32_e32 v3, v3, v4
	v_and_b32_e32 v3, 0x7fffffff, v3
	v_cmp_ne_u32_e32 vcc, 0, v3
	s_and_b64 s[42:43], vcc, exec
	s_or_b64 s[46:47], s[0:1], s[42:43]
.LBB159_194:
	s_mov_b64 s[0:1], 0
.LBB159_195:
	s_andn2_b64 vcc, exec, s[0:1]
	s_cbranch_vccnz .LBB159_197
; %bb.196:
	global_load_dword v3, v[1:2], off
	s_andn2_b64 s[0:1], s[46:47], exec
	s_waitcnt vmcnt(0)
	v_and_b32_e32 v3, 0x7fff7fff, v3
	v_cmp_ne_u32_e32 vcc, 0, v3
	s_and_b64 s[42:43], vcc, exec
	s_or_b64 s[46:47], s[0:1], s[42:43]
.LBB159_197:
	s_mov_b64 s[0:1], 0
.LBB159_198:
	s_andn2_b64 vcc, exec, s[0:1]
	s_cbranch_vccnz .LBB159_209
; %bb.199:
	s_cmp_lt_i32 s50, 6
	s_cbranch_scc1 .LBB159_202
; %bb.200:
	s_cmp_gt_i32 s50, 6
	s_cbranch_scc0 .LBB159_203
; %bb.201:
	global_load_dwordx2 v[3:4], v[1:2], off
	s_mov_b64 s[0:1], 0
	s_waitcnt vmcnt(0)
	v_cmp_neq_f64_e64 s[46:47], 0, v[3:4]
	s_branch .LBB159_204
.LBB159_202:
	s_mov_b64 s[0:1], -1
                                        ; implicit-def: $sgpr46_sgpr47
	s_branch .LBB159_207
.LBB159_203:
	s_mov_b64 s[0:1], -1
                                        ; implicit-def: $sgpr46_sgpr47
.LBB159_204:
	s_andn2_b64 vcc, exec, s[0:1]
	s_cbranch_vccnz .LBB159_206
; %bb.205:
	global_load_dword v3, v[1:2], off
	s_andn2_b64 s[0:1], s[46:47], exec
	s_waitcnt vmcnt(0)
	v_cmp_neq_f32_e32 vcc, 0, v3
	s_and_b64 s[42:43], vcc, exec
	s_or_b64 s[46:47], s[0:1], s[42:43]
.LBB159_206:
	s_mov_b64 s[0:1], 0
.LBB159_207:
	s_andn2_b64 vcc, exec, s[0:1]
	s_cbranch_vccnz .LBB159_209
; %bb.208:
	global_load_ushort v3, v[1:2], off
	s_andn2_b64 s[0:1], s[46:47], exec
	s_waitcnt vmcnt(0)
	v_and_b32_e32 v3, 0x7fff, v3
	v_cmp_ne_u16_e32 vcc, 0, v3
	s_and_b64 s[42:43], vcc, exec
	s_or_b64 s[46:47], s[0:1], s[42:43]
.LBB159_209:
	s_mov_b64 s[0:1], 0
.LBB159_210:
	s_andn2_b64 vcc, exec, s[0:1]
	s_cbranch_vccnz .LBB159_230
; %bb.211:
	s_cmp_lt_i32 s50, 2
	s_cbranch_scc1 .LBB159_215
; %bb.212:
	s_cmp_lt_i32 s50, 3
	s_cbranch_scc1 .LBB159_216
; %bb.213:
	s_cmp_gt_i32 s50, 3
	s_cbranch_scc0 .LBB159_217
; %bb.214:
	global_load_dwordx2 v[3:4], v[1:2], off
	s_mov_b64 s[0:1], 0
	s_waitcnt vmcnt(0)
	v_cmp_ne_u64_e64 s[46:47], 0, v[3:4]
	s_branch .LBB159_218
.LBB159_215:
	s_mov_b64 s[0:1], -1
                                        ; implicit-def: $sgpr46_sgpr47
	s_branch .LBB159_224
.LBB159_216:
	s_mov_b64 s[0:1], -1
                                        ; implicit-def: $sgpr46_sgpr47
	s_branch .LBB159_221
.LBB159_217:
	s_mov_b64 s[0:1], -1
                                        ; implicit-def: $sgpr46_sgpr47
.LBB159_218:
	s_andn2_b64 vcc, exec, s[0:1]
	s_cbranch_vccnz .LBB159_220
; %bb.219:
	global_load_dword v3, v[1:2], off
	s_andn2_b64 s[0:1], s[46:47], exec
	s_waitcnt vmcnt(0)
	v_cmp_ne_u32_e32 vcc, 0, v3
	s_and_b64 s[42:43], vcc, exec
	s_or_b64 s[46:47], s[0:1], s[42:43]
.LBB159_220:
	s_mov_b64 s[0:1], 0
.LBB159_221:
	s_andn2_b64 vcc, exec, s[0:1]
	s_cbranch_vccnz .LBB159_223
; %bb.222:
	global_load_ushort v3, v[1:2], off
	s_andn2_b64 s[0:1], s[46:47], exec
	s_waitcnt vmcnt(0)
	v_cmp_ne_u16_e32 vcc, 0, v3
	s_and_b64 s[42:43], vcc, exec
	s_or_b64 s[46:47], s[0:1], s[42:43]
.LBB159_223:
	s_mov_b64 s[0:1], 0
.LBB159_224:
	s_andn2_b64 vcc, exec, s[0:1]
	s_cbranch_vccnz .LBB159_230
; %bb.225:
	s_cmp_gt_i32 s50, 0
	s_cbranch_scc0 .LBB159_227
; %bb.226:
	global_load_ubyte v3, v[1:2], off
	s_mov_b64 s[0:1], 0
	s_waitcnt vmcnt(0)
	v_cmp_ne_u16_e64 s[46:47], 0, v3
	s_branch .LBB159_228
.LBB159_227:
	s_mov_b64 s[0:1], -1
                                        ; implicit-def: $sgpr46_sgpr47
.LBB159_228:
	s_andn2_b64 vcc, exec, s[0:1]
	s_cbranch_vccnz .LBB159_230
; %bb.229:
	global_load_ubyte v1, v[1:2], off
	s_andn2_b64 s[0:1], s[46:47], exec
	s_waitcnt vmcnt(0)
	v_cmp_ne_u16_e32 vcc, 0, v1
	s_and_b64 s[42:43], vcc, exec
	s_or_b64 s[46:47], s[0:1], s[42:43]
.LBB159_230:
	s_mov_b64 s[0:1], -1
.LBB159_231:
	s_mov_b64 s[42:43], 0
	s_andn2_b64 vcc, exec, s[0:1]
	s_mov_b64 s[0:1], 0
	s_mov_b64 s[50:51], 0
	s_cbranch_vccnz .LBB159_370
; %bb.232:
	s_cmp_lt_i32 s14, 1
	s_cbranch_scc1 .LBB159_236
; %bb.233:
	s_cmp_gt_i32 s14, 1
	s_cbranch_scc0 .LBB159_239
; %bb.234:
	s_cmp_eq_u32 s14, 2
	s_cbranch_scc0 .LBB159_240
; %bb.235:
	s_xor_b64 s[40:41], s[38:39], -1
	s_or_b64 s[40:41], s[46:47], s[40:41]
	s_branch .LBB159_241
.LBB159_236:
                                        ; implicit-def: $sgpr40_sgpr41
	s_cbranch_execnz .LBB159_245
.LBB159_237:
	s_andn2_b64 vcc, exec, s[50:51]
	s_cbranch_vccnz .LBB159_246
.LBB159_238:
	s_xor_b64 s[0:1], s[38:39], -1
	s_and_b64 s[50:51], s[46:47], s[0:1]
	s_andn2_b64 s[40:41], s[40:41], exec
	s_and_b64 s[50:51], s[50:51], exec
	s_or_b64 s[40:41], s[40:41], s[50:51]
	s_cbranch_execz .LBB159_247
	s_branch .LBB159_248
.LBB159_239:
	s_mov_b64 s[52:53], -1
                                        ; implicit-def: $sgpr40_sgpr41
	s_branch .LBB159_242
.LBB159_240:
	s_mov_b64 s[50:51], -1
                                        ; implicit-def: $sgpr40_sgpr41
.LBB159_241:
	s_mov_b64 s[52:53], 0
.LBB159_242:
	s_and_b64 vcc, exec, s[52:53]
	s_cbranch_vccz .LBB159_244
; %bb.243:
	s_xor_b64 s[52:53], s[46:47], -1
	s_and_b64 s[52:53], s[38:39], s[52:53]
	s_andn2_b64 s[40:41], s[40:41], exec
	s_and_b64 s[52:53], s[52:53], exec
	s_or_b64 s[40:41], s[40:41], s[52:53]
.LBB159_244:
	s_branch .LBB159_237
.LBB159_245:
	s_cmp_lg_u32 s14, 0
	s_mov_b64 s[0:1], -1
	s_cselect_b64 s[50:51], -1, 0
	s_andn2_b64 vcc, exec, s[50:51]
	s_cbranch_vccz .LBB159_238
.LBB159_246:
	s_andn2_b64 vcc, exec, s[0:1]
	s_cbranch_vccnz .LBB159_248
.LBB159_247:
	s_xor_b64 s[0:1], s[46:47], -1
	s_or_b64 s[0:1], s[38:39], s[0:1]
	s_andn2_b64 s[38:39], s[40:41], exec
	s_and_b64 s[0:1], s[0:1], exec
	s_or_b64 s[40:41], s[38:39], s[0:1]
.LBB159_248:
	v_mov_b32_e32 v1, s9
	s_and_b32 s52, s15, 0xff
	v_add_co_u32_e32 v0, vcc, s8, v0
	s_cmp_lt_i32 s52, 11
	v_addc_co_u32_e32 v1, vcc, 0, v1, vcc
	s_cbranch_scc1 .LBB159_255
; %bb.249:
	s_and_b32 s53, 0xffff, s52
	s_cmp_gt_i32 s53, 25
	s_cbranch_scc0 .LBB159_256
; %bb.250:
	s_cmp_gt_i32 s53, 28
	s_cbranch_scc0 .LBB159_257
; %bb.251:
	;; [unrolled: 3-line block ×4, first 2 shown]
	s_mov_b64 s[46:47], 0
	s_mov_b64 s[0:1], -1
	s_cmp_eq_u32 s53, 46
	s_mov_b64 s[38:39], 0
	s_cbranch_scc0 .LBB159_260
; %bb.254:
	v_cndmask_b32_e64 v2, 0, 1.0, s[40:41]
	v_bfe_u32 v3, v2, 16, 1
	s_movk_i32 s0, 0x7fff
	v_add3_u32 v2, v2, v3, s0
	v_lshrrev_b32_e32 v2, 16, v2
	global_store_dword v[0:1], v2, off
	s_mov_b64 s[38:39], -1
	s_mov_b64 s[0:1], 0
	s_branch .LBB159_260
.LBB159_255:
	s_mov_b64 s[46:47], -1
	s_mov_b64 s[0:1], 0
	s_mov_b64 s[38:39], 0
	s_branch .LBB159_329
.LBB159_256:
	s_mov_b64 s[46:47], -1
	s_mov_b64 s[0:1], 0
	s_mov_b64 s[38:39], 0
	s_branch .LBB159_287
.LBB159_257:
	s_mov_b64 s[46:47], -1
	s_mov_b64 s[0:1], 0
	s_mov_b64 s[38:39], 0
	s_branch .LBB159_270
.LBB159_258:
	s_mov_b64 s[46:47], -1
	s_mov_b64 s[0:1], 0
	s_mov_b64 s[38:39], 0
	s_branch .LBB159_266
.LBB159_259:
	s_mov_b64 s[46:47], -1
	s_mov_b64 s[0:1], 0
	s_mov_b64 s[38:39], 0
.LBB159_260:
	s_and_b64 vcc, exec, s[46:47]
	s_cbranch_vccz .LBB159_265
; %bb.261:
	s_cmp_eq_u32 s53, 44
	s_mov_b64 s[0:1], -1
	s_cbranch_scc0 .LBB159_265
; %bb.262:
	v_cndmask_b32_e64 v3, 0, 1.0, s[40:41]
	v_lshrrev_b32_e32 v2, 23, v3
	s_movk_i32 s0, 0xff
	v_cmp_ne_u32_e32 vcc, s0, v2
	v_mov_b32_e32 v4, 0xff
	s_and_saveexec_b64 s[38:39], vcc
; %bb.263:
	s_mov_b32 s0, 0x3fffff
	v_and_b32_e32 v4, 0x400000, v3
	v_and_or_b32 v3, v3, s0, v2
	v_cmp_ne_u32_e32 vcc, 0, v4
	v_cmp_ne_u32_e64 s[0:1], 0, v3
	s_and_b64 s[0:1], vcc, s[0:1]
	v_cndmask_b32_e64 v3, 0, 1, s[0:1]
	v_add_u32_e32 v4, v2, v3
; %bb.264:
	s_or_b64 exec, exec, s[38:39]
	s_mov_b64 s[38:39], -1
	s_mov_b64 s[0:1], 0
	global_store_byte v[0:1], v4, off
.LBB159_265:
	s_mov_b64 s[46:47], 0
.LBB159_266:
	s_and_b64 vcc, exec, s[46:47]
	s_cbranch_vccz .LBB159_269
; %bb.267:
	s_cmp_eq_u32 s53, 29
	s_mov_b64 s[0:1], -1
	s_cbranch_scc0 .LBB159_269
; %bb.268:
	s_mov_b32 s0, 0
	v_cndmask_b32_e64 v2, 0, 1, s[40:41]
	v_mov_b32_e32 v3, s0
	global_store_dwordx2 v[0:1], v[2:3], off
	s_mov_b64 s[38:39], -1
	s_mov_b64 s[0:1], 0
.LBB159_269:
	s_mov_b64 s[46:47], 0
.LBB159_270:
	s_and_b64 vcc, exec, s[46:47]
	s_cbranch_vccz .LBB159_286
; %bb.271:
	s_cmp_lt_i32 s53, 27
	s_mov_b64 s[38:39], -1
	s_cbranch_scc1 .LBB159_277
; %bb.272:
	s_cmp_gt_i32 s53, 27
	s_cbranch_scc0 .LBB159_274
; %bb.273:
	v_cndmask_b32_e64 v2, 0, 1, s[40:41]
	s_mov_b64 s[38:39], 0
	global_store_dword v[0:1], v2, off
.LBB159_274:
	s_andn2_b64 vcc, exec, s[38:39]
	s_cbranch_vccnz .LBB159_276
; %bb.275:
	v_cndmask_b32_e64 v2, 0, 1, s[40:41]
	global_store_short v[0:1], v2, off
.LBB159_276:
	s_mov_b64 s[38:39], 0
.LBB159_277:
	s_andn2_b64 vcc, exec, s[38:39]
	s_cbranch_vccnz .LBB159_285
; %bb.278:
	v_cndmask_b32_e64 v3, 0, 1.0, s[40:41]
	s_mov_b32 s38, 0x43800000
	v_cmp_gt_u32_e32 vcc, s38, v3
	v_mov_b32_e32 v4, 0x80
	s_and_saveexec_b64 s[38:39], vcc
	s_cbranch_execz .LBB159_284
; %bb.279:
	s_mov_b32 s46, 0x3bffffff
	v_cmp_lt_u32_e32 vcc, s46, v3
	s_mov_b64 s[46:47], 0
                                        ; implicit-def: $vgpr2
	s_and_saveexec_b64 s[50:51], vcc
	s_xor_b64 s[50:51], exec, s[50:51]
	s_cbranch_execz .LBB159_411
; %bb.280:
	v_bfe_u32 v2, v3, 20, 1
	s_mov_b32 s54, 0x487ffff
	v_add3_u32 v2, v3, v2, s54
	s_mov_b64 s[46:47], exec
	v_lshrrev_b32_e32 v2, 20, v2
                                        ; implicit-def: $vgpr3
	s_andn2_saveexec_b64 s[50:51], s[50:51]
	s_cbranch_execnz .LBB159_412
.LBB159_281:
	s_or_b64 exec, exec, s[50:51]
	v_mov_b32_e32 v4, 0
	s_and_saveexec_b64 s[50:51], s[46:47]
.LBB159_282:
	v_mov_b32_e32 v4, v2
.LBB159_283:
	s_or_b64 exec, exec, s[50:51]
.LBB159_284:
	s_or_b64 exec, exec, s[38:39]
	global_store_byte v[0:1], v4, off
.LBB159_285:
	s_mov_b64 s[38:39], -1
.LBB159_286:
	s_mov_b64 s[46:47], 0
.LBB159_287:
	s_and_b64 vcc, exec, s[46:47]
	s_cbranch_vccz .LBB159_328
; %bb.288:
	s_cmp_gt_i32 s53, 22
	s_mov_b64 s[46:47], -1
	s_cbranch_scc0 .LBB159_320
; %bb.289:
	s_cmp_lt_i32 s53, 24
	s_mov_b64 s[38:39], -1
	s_cbranch_scc1 .LBB159_309
; %bb.290:
	s_cmp_gt_i32 s53, 24
	s_cbranch_scc0 .LBB159_298
; %bb.291:
	v_cndmask_b32_e64 v3, 0, 1.0, s[40:41]
	s_mov_b32 s38, 0x47800000
	v_cmp_gt_u32_e32 vcc, s38, v3
	v_mov_b32_e32 v4, 0x80
	s_and_saveexec_b64 s[38:39], vcc
	s_cbranch_execz .LBB159_297
; %bb.292:
	s_mov_b32 s46, 0x37ffffff
	v_cmp_lt_u32_e32 vcc, s46, v3
	s_mov_b64 s[46:47], 0
                                        ; implicit-def: $vgpr2
	s_and_saveexec_b64 s[50:51], vcc
	s_xor_b64 s[50:51], exec, s[50:51]
	s_cbranch_execz .LBB159_511
; %bb.293:
	v_bfe_u32 v2, v3, 21, 1
	s_mov_b32 s54, 0x88fffff
	v_add3_u32 v2, v3, v2, s54
	s_mov_b64 s[46:47], exec
	v_lshrrev_b32_e32 v2, 21, v2
                                        ; implicit-def: $vgpr3
	s_andn2_saveexec_b64 s[50:51], s[50:51]
	s_cbranch_execnz .LBB159_512
.LBB159_294:
	s_or_b64 exec, exec, s[50:51]
	v_mov_b32_e32 v4, 0
	s_and_saveexec_b64 s[50:51], s[46:47]
.LBB159_295:
	v_mov_b32_e32 v4, v2
.LBB159_296:
	s_or_b64 exec, exec, s[50:51]
.LBB159_297:
	s_or_b64 exec, exec, s[38:39]
	s_mov_b64 s[38:39], 0
	global_store_byte v[0:1], v4, off
.LBB159_298:
	s_and_b64 vcc, exec, s[38:39]
	s_cbranch_vccz .LBB159_308
; %bb.299:
	v_cndmask_b32_e64 v2, 0, 1.0, s[40:41]
	s_mov_b32 s38, 0x43f00000
	v_cmp_gt_u32_e32 vcc, s38, v2
                                        ; implicit-def: $vgpr3
	s_and_saveexec_b64 s[38:39], vcc
	s_xor_b64 s[38:39], exec, s[38:39]
	s_cbranch_execz .LBB159_305
; %bb.300:
	s_mov_b32 s46, 0x3c7fffff
	v_cmp_lt_u32_e32 vcc, s46, v2
                                        ; implicit-def: $vgpr3
	s_and_saveexec_b64 s[46:47], vcc
	s_xor_b64 s[46:47], exec, s[46:47]
; %bb.301:
	v_bfe_u32 v3, v2, 20, 1
	s_mov_b32 s50, 0x407ffff
	v_add3_u32 v2, v2, v3, s50
	v_lshrrev_b32_e32 v3, 20, v2
	v_and_b32_e32 v2, 0xff00000, v2
	s_mov_b32 s50, 0x7f00000
	v_mov_b32_e32 v4, 0x7e
	v_cmp_ne_u32_e32 vcc, s50, v2
	v_cndmask_b32_e32 v3, v4, v3, vcc
                                        ; implicit-def: $vgpr2
; %bb.302:
	s_andn2_saveexec_b64 s[46:47], s[46:47]
; %bb.303:
	v_add_f32_e32 v3, 0x46800000, v2
; %bb.304:
	s_or_b64 exec, exec, s[46:47]
                                        ; implicit-def: $vgpr2
.LBB159_305:
	s_andn2_saveexec_b64 s[38:39], s[38:39]
; %bb.306:
	s_mov_b32 s46, 0x7f800000
	v_mov_b32_e32 v3, 0x7e
	v_mov_b32_e32 v4, 0x7f
	v_cmp_lt_u32_e32 vcc, s46, v2
	v_cndmask_b32_e32 v3, v3, v4, vcc
; %bb.307:
	s_or_b64 exec, exec, s[38:39]
	global_store_byte v[0:1], v3, off
.LBB159_308:
	s_mov_b64 s[38:39], 0
.LBB159_309:
	s_andn2_b64 vcc, exec, s[38:39]
	s_cbranch_vccnz .LBB159_319
; %bb.310:
	v_cndmask_b32_e64 v2, 0, 1.0, s[40:41]
	s_mov_b32 s38, 0x47800000
	v_cmp_gt_u32_e32 vcc, s38, v2
                                        ; implicit-def: $vgpr3
	s_and_saveexec_b64 s[38:39], vcc
	s_xor_b64 s[38:39], exec, s[38:39]
	s_cbranch_execz .LBB159_316
; %bb.311:
	s_mov_b32 s46, 0x387fffff
	v_cmp_lt_u32_e32 vcc, s46, v2
                                        ; implicit-def: $vgpr3
	s_and_saveexec_b64 s[46:47], vcc
	s_xor_b64 s[46:47], exec, s[46:47]
; %bb.312:
	v_bfe_u32 v3, v2, 21, 1
	s_mov_b32 s50, 0x80fffff
	v_add3_u32 v2, v2, v3, s50
	v_lshrrev_b32_e32 v3, 21, v2
                                        ; implicit-def: $vgpr2
; %bb.313:
	s_andn2_saveexec_b64 s[46:47], s[46:47]
; %bb.314:
	v_add_f32_e32 v3, 0x43000000, v2
; %bb.315:
	s_or_b64 exec, exec, s[46:47]
                                        ; implicit-def: $vgpr2
.LBB159_316:
	s_andn2_saveexec_b64 s[38:39], s[38:39]
; %bb.317:
	s_mov_b32 s46, 0x7f800000
	v_mov_b32_e32 v3, 0x7c
	v_mov_b32_e32 v4, 0x7f
	v_cmp_lt_u32_e32 vcc, s46, v2
	v_cndmask_b32_e32 v3, v3, v4, vcc
; %bb.318:
	s_or_b64 exec, exec, s[38:39]
	global_store_byte v[0:1], v3, off
.LBB159_319:
	s_mov_b64 s[46:47], 0
	s_mov_b64 s[38:39], -1
.LBB159_320:
	s_andn2_b64 vcc, exec, s[46:47]
	s_cbranch_vccnz .LBB159_328
; %bb.321:
	s_cmp_gt_i32 s53, 14
	s_mov_b64 s[46:47], -1
	s_cbranch_scc0 .LBB159_325
; %bb.322:
	s_cmp_eq_u32 s53, 15
	s_mov_b64 s[0:1], -1
	s_cbranch_scc0 .LBB159_324
; %bb.323:
	v_cndmask_b32_e64 v2, 0, 1.0, s[40:41]
	v_bfe_u32 v3, v2, 16, 1
	s_movk_i32 s0, 0x7fff
	v_add3_u32 v2, v2, v3, s0
	global_store_short_d16_hi v[0:1], v2, off
	s_mov_b64 s[38:39], -1
	s_mov_b64 s[0:1], 0
.LBB159_324:
	s_mov_b64 s[46:47], 0
.LBB159_325:
	s_and_b64 vcc, exec, s[46:47]
	s_cbranch_vccz .LBB159_328
; %bb.326:
	s_cmp_eq_u32 s53, 11
	s_mov_b64 s[0:1], -1
	s_cbranch_scc0 .LBB159_328
; %bb.327:
	v_cndmask_b32_e64 v2, 0, 1, s[40:41]
	s_mov_b64 s[38:39], -1
	s_mov_b64 s[0:1], 0
	global_store_byte v[0:1], v2, off
.LBB159_328:
	s_mov_b64 s[46:47], 0
.LBB159_329:
	s_and_b64 vcc, exec, s[46:47]
	s_cbranch_vccz .LBB159_368
; %bb.330:
	s_and_b32 s46, 0xffff, s52
	s_cmp_lt_i32 s46, 5
	s_mov_b64 s[38:39], -1
	s_cbranch_scc1 .LBB159_351
; %bb.331:
	s_cmp_lt_i32 s46, 8
	s_cbranch_scc1 .LBB159_341
; %bb.332:
	s_cmp_lt_i32 s46, 9
	s_cbranch_scc1 .LBB159_338
; %bb.333:
	s_cmp_gt_i32 s46, 9
	s_cbranch_scc0 .LBB159_335
; %bb.334:
	v_cndmask_b32_e64 v2, 0, 1, s[40:41]
	v_cvt_f64_u32_e32 v[2:3], v2
	v_mov_b32_e32 v4, 0
	v_mov_b32_e32 v5, v4
	s_mov_b64 s[38:39], 0
	global_store_dwordx4 v[0:1], v[2:5], off
.LBB159_335:
	s_andn2_b64 vcc, exec, s[38:39]
	s_cbranch_vccnz .LBB159_337
; %bb.336:
	v_cndmask_b32_e64 v2, 0, 1.0, s[40:41]
	v_mov_b32_e32 v3, 0
	global_store_dwordx2 v[0:1], v[2:3], off
.LBB159_337:
	s_mov_b64 s[38:39], 0
.LBB159_338:
	s_andn2_b64 vcc, exec, s[38:39]
	s_cbranch_vccnz .LBB159_340
; %bb.339:
	v_cndmask_b32_e64 v2, 0, 1.0, s[40:41]
	v_cvt_f16_f32_e32 v2, v2
	global_store_dword v[0:1], v2, off
.LBB159_340:
	s_mov_b64 s[38:39], 0
.LBB159_341:
	s_andn2_b64 vcc, exec, s[38:39]
	s_cbranch_vccnz .LBB159_350
; %bb.342:
	s_cmp_lt_i32 s46, 6
	s_mov_b64 s[38:39], -1
	s_cbranch_scc1 .LBB159_348
; %bb.343:
	s_cmp_gt_i32 s46, 6
	s_cbranch_scc0 .LBB159_345
; %bb.344:
	v_cndmask_b32_e64 v2, 0, 1, s[40:41]
	v_cvt_f64_u32_e32 v[2:3], v2
	s_mov_b64 s[38:39], 0
	global_store_dwordx2 v[0:1], v[2:3], off
.LBB159_345:
	s_andn2_b64 vcc, exec, s[38:39]
	s_cbranch_vccnz .LBB159_347
; %bb.346:
	v_cndmask_b32_e64 v2, 0, 1.0, s[40:41]
	global_store_dword v[0:1], v2, off
.LBB159_347:
	s_mov_b64 s[38:39], 0
.LBB159_348:
	s_andn2_b64 vcc, exec, s[38:39]
	s_cbranch_vccnz .LBB159_350
; %bb.349:
	v_cndmask_b32_e64 v2, 0, 1.0, s[40:41]
	v_cvt_f16_f32_e32 v2, v2
	global_store_short v[0:1], v2, off
.LBB159_350:
	s_mov_b64 s[38:39], 0
.LBB159_351:
	s_andn2_b64 vcc, exec, s[38:39]
	s_cbranch_vccnz .LBB159_367
; %bb.352:
	s_cmp_lt_i32 s46, 2
	s_mov_b64 s[38:39], -1
	s_cbranch_scc1 .LBB159_362
; %bb.353:
	s_cmp_lt_i32 s46, 3
	s_cbranch_scc1 .LBB159_359
; %bb.354:
	s_cmp_gt_i32 s46, 3
	s_cbranch_scc0 .LBB159_356
; %bb.355:
	s_mov_b32 s38, 0
	v_cndmask_b32_e64 v2, 0, 1, s[40:41]
	v_mov_b32_e32 v3, s38
	global_store_dwordx2 v[0:1], v[2:3], off
	s_mov_b64 s[38:39], 0
.LBB159_356:
	s_andn2_b64 vcc, exec, s[38:39]
	s_cbranch_vccnz .LBB159_358
; %bb.357:
	v_cndmask_b32_e64 v2, 0, 1, s[40:41]
	global_store_dword v[0:1], v2, off
.LBB159_358:
	s_mov_b64 s[38:39], 0
.LBB159_359:
	s_andn2_b64 vcc, exec, s[38:39]
	s_cbranch_vccnz .LBB159_361
; %bb.360:
	v_cndmask_b32_e64 v2, 0, 1, s[40:41]
	global_store_short v[0:1], v2, off
.LBB159_361:
	s_mov_b64 s[38:39], 0
.LBB159_362:
	s_andn2_b64 vcc, exec, s[38:39]
	s_cbranch_vccnz .LBB159_367
; %bb.363:
	s_cmp_gt_i32 s46, 0
	s_mov_b64 s[38:39], -1
	s_cbranch_scc0 .LBB159_365
; %bb.364:
	v_cndmask_b32_e64 v2, 0, 1, s[40:41]
	global_store_byte v[0:1], v2, off
	s_mov_b64 s[38:39], 0
.LBB159_365:
	s_andn2_b64 vcc, exec, s[38:39]
	s_cbranch_vccnz .LBB159_367
; %bb.366:
	v_cndmask_b32_e64 v2, 0, 1, s[40:41]
	global_store_byte v[0:1], v2, off
.LBB159_367:
	s_mov_b64 s[38:39], -1
.LBB159_368:
	s_mov_b64 s[40:41], 0
	s_andn2_b64 vcc, exec, s[38:39]
	s_mov_b64 s[50:51], 0
	s_cbranch_vccnz .LBB159_370
; %bb.369:
	v_add_u32_e32 v8, 0x80, v8
	s_mov_b64 s[50:51], -1
.LBB159_370:
	s_and_b64 s[38:39], s[0:1], exec
	s_and_b64 s[40:41], s[40:41], exec
	;; [unrolled: 1-line block ×3, first 2 shown]
	s_orn2_b64 s[46:47], s[50:51], exec
.LBB159_371:
	s_or_b64 exec, exec, s[44:45]
	s_mov_b64 s[0:1], 0
	s_mov_b64 s[50:51], 0
                                        ; implicit-def: $sgpr54_sgpr55
                                        ; implicit-def: $sgpr76
                                        ; implicit-def: $vgpr3_vgpr4
                                        ; implicit-def: $vgpr0
                                        ; implicit-def: $vgpr2
	s_and_saveexec_b64 s[44:45], s[46:47]
	s_cbranch_execz .LBB159_379
; %bb.372:
	v_cmp_gt_i32_e32 vcc, s70, v8
	s_mov_b64 s[0:1], -1
	s_mov_b64 s[46:47], s[42:43]
	s_mov_b64 s[48:49], s[40:41]
	s_mov_b64 s[50:51], s[38:39]
	s_and_saveexec_b64 s[52:53], vcc
	s_cbranch_execz .LBB159_751
; %bb.373:
	s_andn2_b64 vcc, exec, s[24:25]
	s_cbranch_vccnz .LBB159_382
; %bb.374:
	s_andn2_b64 vcc, exec, s[36:37]
	s_cbranch_vccnz .LBB159_383
; %bb.375:
	s_add_i32 s0, s75, 1
	s_and_b32 s46, s0, 30
	s_add_u32 s0, s2, 0xffffffe8
	s_addc_u32 s1, s3, -1
	v_mov_b32_e32 v2, 0
	v_mov_b32_e32 v4, 0
	;; [unrolled: 1-line block ×4, first 2 shown]
.LBB159_376:                            ; =>This Inner Loop Header: Depth=1
	s_load_dwordx4 s[48:51], s[0:1], 0x1c
	s_load_dwordx2 s[54:55], s[0:1], 0x2c
	s_load_dwordx2 s[60:61], s[0:1], 0xec
	s_load_dwordx4 s[56:59], s[0:1], 0xdc
	s_add_u32 s0, s0, 24
	s_waitcnt lgkmcnt(0)
	v_mul_hi_u32 v3, s49, v1
	s_addc_u32 s1, s1, 0
	s_add_i32 s46, s46, -2
	s_cmp_eq_u32 s46, 0
	v_add_u32_e32 v3, v1, v3
	v_lshrrev_b32_e32 v3, s50, v3
	v_mul_lo_u32 v5, v3, s48
	v_mul_hi_u32 v6, s54, v3
	v_sub_u32_e32 v5, v1, v5
	v_add_u32_e32 v1, v3, v6
	v_lshrrev_b32_e32 v1, s55, v1
	v_mul_lo_u32 v9, v1, s51
	v_mul_lo_u32 v6, v5, s56
	;; [unrolled: 1-line block ×4, first 2 shown]
	v_sub_u32_e32 v3, v3, v9
	v_mul_lo_u32 v9, v3, s59
	v_mul_lo_u32 v10, v3, s60
	;; [unrolled: 1-line block ×3, first 2 shown]
	v_add3_u32 v0, v6, v0, v9
	v_add3_u32 v4, v7, v4, v10
	;; [unrolled: 1-line block ×3, first 2 shown]
	s_cbranch_scc0 .LBB159_376
; %bb.377:
	s_bitcmp1_b32 s75, 0
	s_cselect_b64 s[46:47], -1, 0
	s_and_b64 vcc, exec, s[46:47]
	s_cbranch_vccnz .LBB159_384
; %bb.378:
	s_load_dwordx2 s[46:47], s[0:1], 0x1c
	s_load_dword s50, s[0:1], 0x24
	s_load_dwordx2 s[48:49], s[0:1], 0xdc
	s_waitcnt lgkmcnt(0)
	v_mul_hi_u32 v3, s47, v1
	v_add_u32_e32 v3, v1, v3
	v_lshrrev_b32_e32 v3, s50, v3
	v_mul_lo_u32 v3, v3, s46
	s_load_dword s46, s[0:1], 0xe4
	v_sub_u32_e32 v3, v1, v3
	v_mad_u64_u32 v[0:1], s[0:1], v3, s48, v[0:1]
	v_mad_u64_u32 v[4:5], s[0:1], v3, s49, v[4:5]
	s_waitcnt lgkmcnt(0)
	v_mad_u64_u32 v[2:3], s[0:1], v3, s46, v[2:3]
	s_branch .LBB159_384
.LBB159_379:
	s_or_b64 exec, exec, s[44:45]
	s_mov_b64 s[10:11], 0
	s_and_saveexec_b64 s[16:17], s[42:43]
	s_cbranch_execnz .LBB159_1208
.LBB159_380:
	s_or_b64 exec, exec, s[16:17]
	s_and_saveexec_b64 s[16:17], s[48:49]
	s_xor_b64 s[16:17], exec, s[16:17]
	s_cbranch_execz .LBB159_1209
.LBB159_381:
	global_load_ubyte v1, v[3:4], off
	s_andn2_b64 s[18:19], s[54:55], exec
	s_or_b64 s[50:51], s[50:51], exec
	s_waitcnt vmcnt(0)
	v_cmp_ne_u16_e32 vcc, 0, v1
	s_and_b64 s[20:21], vcc, exec
	s_or_b64 s[54:55], s[18:19], s[20:21]
	s_or_b64 exec, exec, s[16:17]
	s_and_saveexec_b64 s[16:17], s[0:1]
	s_cbranch_execz .LBB159_1255
	s_branch .LBB159_1210
.LBB159_382:
                                        ; implicit-def: $vgpr0
                                        ; implicit-def: $vgpr4
                                        ; implicit-def: $vgpr2
	s_andn2_b64 vcc, exec, s[0:1]
	s_cbranch_vccz .LBB159_385
	s_branch .LBB159_387
.LBB159_383:
	v_mov_b32_e32 v0, 0
	v_mov_b32_e32 v4, 0
	;; [unrolled: 1-line block ×3, first 2 shown]
.LBB159_384:
	s_cbranch_execnz .LBB159_387
.LBB159_385:
	v_mul_hi_u32 v0, s17, v8
	s_andn2_b64 vcc, exec, s[34:35]
	v_add_u32_e32 v0, v8, v0
	v_lshrrev_b32_e32 v1, s18, v0
	v_mul_lo_u32 v0, v1, s16
	v_sub_u32_e32 v2, v8, v0
	v_mul_lo_u32 v0, v2, s20
	v_mul_lo_u32 v4, v2, s21
	;; [unrolled: 1-line block ×3, first 2 shown]
	s_cbranch_vccnz .LBB159_387
; %bb.386:
	v_mul_hi_u32 v3, s30, v1
	v_add_u32_e32 v3, v1, v3
	v_lshrrev_b32_e32 v3, s31, v3
	v_mul_lo_u32 v3, v3, s19
	v_sub_u32_e32 v3, v1, v3
	v_mad_u64_u32 v[0:1], s[0:1], v3, s23, v[0:1]
	v_mad_u64_u32 v[4:5], s[0:1], v3, s28, v[4:5]
	;; [unrolled: 1-line block ×3, first 2 shown]
.LBB159_387:
	v_mov_b32_e32 v1, s11
	s_and_b32 s54, s74, 0xff
	v_add_co_u32_e32 v3, vcc, s10, v4
	s_cmp_lt_i32 s54, 11
	v_addc_co_u32_e32 v4, vcc, 0, v1, vcc
	s_cbranch_scc1 .LBB159_394
; %bb.388:
	s_and_b32 s55, 0xffff, s54
	s_cmp_gt_i32 s55, 25
	s_cbranch_scc0 .LBB159_403
; %bb.389:
	s_cmp_gt_i32 s55, 28
	s_cbranch_scc0 .LBB159_405
; %bb.390:
	;; [unrolled: 3-line block ×4, first 2 shown]
	s_cmp_eq_u32 s55, 46
	s_mov_b64 s[50:51], 0
	s_cbranch_scc0 .LBB159_413
; %bb.393:
	global_load_dword v1, v[3:4], off
	s_mov_b64 s[0:1], -1
	s_mov_b64 s[46:47], 0
	s_waitcnt vmcnt(0)
	v_and_b32_e32 v1, 0x7fff7fff, v1
	v_cmp_ne_u32_e64 s[48:49], 0, v1
	s_branch .LBB159_414
.LBB159_394:
	s_mov_b64 s[0:1], 0
                                        ; implicit-def: $sgpr48_sgpr49
	s_mov_b64 s[46:47], s[42:43]
	s_cbranch_execnz .LBB159_461
.LBB159_395:
	s_andn2_b64 vcc, exec, s[0:1]
	s_cbranch_vccnz .LBB159_509
.LBB159_396:
	v_mov_b32_e32 v3, s13
	s_and_b32 s50, s73, 0xff
	v_add_co_u32_e32 v1, vcc, s12, v2
	s_cmp_lt_i32 s50, 11
	v_addc_co_u32_e32 v2, vcc, 0, v3, vcc
	s_cbranch_scc1 .LBB159_404
; %bb.397:
	s_and_b32 s51, 0xffff, s50
	s_cmp_gt_i32 s51, 25
	s_cbranch_scc0 .LBB159_406
; %bb.398:
	s_cmp_gt_i32 s51, 28
	s_cbranch_scc0 .LBB159_408
; %bb.399:
	;; [unrolled: 3-line block ×4, first 2 shown]
	s_cmp_eq_u32 s51, 46
	s_mov_b64 s[46:47], 0
	s_cbranch_scc0 .LBB159_513
; %bb.402:
	global_load_dword v3, v[1:2], off
	s_mov_b64 s[0:1], -1
	s_mov_b64 s[54:55], 0
	s_waitcnt vmcnt(0)
	v_and_b32_e32 v3, 0x7fff7fff, v3
	v_cmp_ne_u32_e64 s[56:57], 0, v3
	s_branch .LBB159_514
.LBB159_403:
	s_mov_b64 s[50:51], -1
	s_mov_b64 s[0:1], 0
	s_mov_b64 s[46:47], s[42:43]
                                        ; implicit-def: $sgpr48_sgpr49
	s_branch .LBB159_435
.LBB159_404:
	s_mov_b64 s[46:47], -1
	s_mov_b64 s[0:1], 0
                                        ; implicit-def: $sgpr56_sgpr57
	s_mov_b64 s[54:55], s[40:41]
	s_branch .LBB159_561
.LBB159_405:
	s_mov_b64 s[50:51], -1
	s_mov_b64 s[0:1], 0
	s_mov_b64 s[46:47], s[42:43]
                                        ; implicit-def: $sgpr48_sgpr49
	s_branch .LBB159_422
.LBB159_406:
	s_mov_b64 s[46:47], -1
	s_mov_b64 s[0:1], 0
	s_mov_b64 s[54:55], s[40:41]
                                        ; implicit-def: $sgpr56_sgpr57
	s_branch .LBB159_535
.LBB159_407:
	s_mov_b64 s[50:51], -1
	s_mov_b64 s[0:1], 0
	s_mov_b64 s[46:47], s[42:43]
                                        ; implicit-def: $sgpr48_sgpr49
	s_branch .LBB159_417
.LBB159_408:
	s_mov_b64 s[46:47], -1
	s_mov_b64 s[0:1], 0
	s_mov_b64 s[54:55], s[40:41]
                                        ; implicit-def: $sgpr56_sgpr57
	s_branch .LBB159_522
.LBB159_409:
	s_mov_b64 s[50:51], -1
	s_mov_b64 s[0:1], 0
	s_mov_b64 s[46:47], s[42:43]
                                        ; implicit-def: $sgpr48_sgpr49
	s_branch .LBB159_414
.LBB159_410:
	s_mov_b64 s[46:47], -1
	s_mov_b64 s[0:1], 0
	s_mov_b64 s[54:55], s[40:41]
                                        ; implicit-def: $sgpr56_sgpr57
	s_branch .LBB159_517
.LBB159_411:
	s_andn2_saveexec_b64 s[50:51], s[50:51]
	s_cbranch_execz .LBB159_281
.LBB159_412:
	v_add_f32_e32 v2, 0x46000000, v3
	v_and_b32_e32 v2, 0xff, v2
	v_cmp_ne_u32_e32 vcc, 0, v2
	s_andn2_b64 s[46:47], s[46:47], exec
	s_and_b64 s[54:55], vcc, exec
	s_or_b64 s[46:47], s[46:47], s[54:55]
	s_or_b64 exec, exec, s[50:51]
	v_mov_b32_e32 v4, 0
	s_and_saveexec_b64 s[50:51], s[46:47]
	s_cbranch_execnz .LBB159_282
	s_branch .LBB159_283
.LBB159_413:
	s_mov_b64 s[46:47], -1
                                        ; implicit-def: $sgpr48_sgpr49
	s_mov_b64 s[0:1], 0
.LBB159_414:
	s_and_b64 vcc, exec, s[50:51]
	s_cbranch_vccz .LBB159_416
; %bb.415:
	s_cmp_eq_u32 s55, 44
	s_cselect_b64 s[0:1], -1, 0
	s_or_b64 s[48:49], s[48:49], exec
	s_or_b64 s[46:47], s[46:47], exec
.LBB159_416:
	s_mov_b64 s[50:51], 0
.LBB159_417:
	s_and_b64 vcc, exec, s[50:51]
	s_cbranch_vccz .LBB159_421
; %bb.418:
	s_cmp_eq_u32 s55, 29
	s_cbranch_scc0 .LBB159_420
; %bb.419:
	global_load_dwordx2 v[5:6], v[3:4], off
	s_mov_b64 s[46:47], 0
	s_mov_b64 s[0:1], -1
	s_mov_b64 s[50:51], 0
	s_waitcnt vmcnt(0)
	v_cmp_ne_u64_e64 s[48:49], 0, v[5:6]
	s_branch .LBB159_422
.LBB159_420:
	s_mov_b64 s[46:47], -1
                                        ; implicit-def: $sgpr48_sgpr49
.LBB159_421:
	s_mov_b64 s[50:51], 0
.LBB159_422:
	s_and_b64 vcc, exec, s[50:51]
	s_cbranch_vccz .LBB159_434
; %bb.423:
	s_cmp_lt_i32 s55, 27
	s_cbranch_scc1 .LBB159_426
; %bb.424:
	s_cmp_gt_i32 s55, 27
	s_cbranch_scc0 .LBB159_427
; %bb.425:
	global_load_dword v1, v[3:4], off
	s_mov_b64 s[0:1], 0
	s_waitcnt vmcnt(0)
	v_cmp_ne_u32_e64 s[48:49], 0, v1
	s_branch .LBB159_428
.LBB159_426:
	s_mov_b64 s[0:1], -1
                                        ; implicit-def: $sgpr48_sgpr49
	s_branch .LBB159_431
.LBB159_427:
	s_mov_b64 s[0:1], -1
                                        ; implicit-def: $sgpr48_sgpr49
.LBB159_428:
	s_andn2_b64 vcc, exec, s[0:1]
	s_cbranch_vccnz .LBB159_430
; %bb.429:
	global_load_ushort v1, v[3:4], off
	s_andn2_b64 s[0:1], s[48:49], exec
	s_waitcnt vmcnt(0)
	v_cmp_ne_u16_e32 vcc, 0, v1
	s_and_b64 s[48:49], vcc, exec
	s_or_b64 s[48:49], s[0:1], s[48:49]
.LBB159_430:
	s_mov_b64 s[0:1], 0
.LBB159_431:
	s_andn2_b64 vcc, exec, s[0:1]
	s_cbranch_vccnz .LBB159_433
; %bb.432:
	global_load_ubyte v1, v[3:4], off
	s_andn2_b64 s[0:1], s[48:49], exec
	s_waitcnt vmcnt(0)
	v_cmp_ne_u16_e32 vcc, 0, v1
	s_and_b64 s[48:49], vcc, exec
	s_or_b64 s[48:49], s[0:1], s[48:49]
.LBB159_433:
	s_mov_b64 s[0:1], -1
.LBB159_434:
	s_mov_b64 s[50:51], 0
.LBB159_435:
	s_and_b64 vcc, exec, s[50:51]
	s_cbranch_vccz .LBB159_460
; %bb.436:
	s_cmp_gt_i32 s55, 22
	s_cbranch_scc0 .LBB159_440
; %bb.437:
	s_cmp_lt_i32 s55, 24
	s_cbranch_scc1 .LBB159_441
; %bb.438:
	s_cmp_gt_i32 s55, 24
	s_cbranch_scc0 .LBB159_442
; %bb.439:
	global_load_ubyte v1, v[3:4], off
	s_mov_b64 s[0:1], 0
	s_waitcnt vmcnt(0)
	v_cmp_ne_u16_e64 s[48:49], 0, v1
	s_branch .LBB159_443
.LBB159_440:
	s_mov_b64 s[50:51], -1
                                        ; implicit-def: $sgpr48_sgpr49
	s_branch .LBB159_449
.LBB159_441:
	s_mov_b64 s[0:1], -1
                                        ; implicit-def: $sgpr48_sgpr49
	s_branch .LBB159_446
.LBB159_442:
	s_mov_b64 s[0:1], -1
                                        ; implicit-def: $sgpr48_sgpr49
.LBB159_443:
	s_andn2_b64 vcc, exec, s[0:1]
	s_cbranch_vccnz .LBB159_445
; %bb.444:
	global_load_ubyte v1, v[3:4], off
	s_andn2_b64 s[0:1], s[48:49], exec
	s_waitcnt vmcnt(0)
	v_and_b32_e32 v1, 0x7f, v1
	v_cmp_ne_u16_e32 vcc, 0, v1
	s_and_b64 s[48:49], vcc, exec
	s_or_b64 s[48:49], s[0:1], s[48:49]
.LBB159_445:
	s_mov_b64 s[0:1], 0
.LBB159_446:
	s_andn2_b64 vcc, exec, s[0:1]
	s_cbranch_vccnz .LBB159_448
; %bb.447:
	global_load_ubyte v1, v[3:4], off
	s_movk_i32 s0, 0x7f00
	s_brev_b32 s1, 16
	s_waitcnt vmcnt(0)
	v_lshlrev_b32_e32 v5, 8, v1
	v_lshlrev_b32_e32 v1, 25, v1
	v_lshrrev_b32_e32 v6, 4, v1
	v_and_or_b32 v5, v5, s0, 0.5
	v_or_b32_e32 v6, 0x70000000, v6
	v_add_f32_e32 v5, -0.5, v5
	v_mul_f32_e32 v6, 0x7800000, v6
	v_cmp_gt_u32_e32 vcc, s1, v1
	v_cndmask_b32_e32 v1, v6, v5, vcc
	v_cmp_neq_f32_e32 vcc, 0, v1
	s_andn2_b64 s[0:1], s[48:49], exec
	s_and_b64 s[48:49], vcc, exec
	s_or_b64 s[48:49], s[0:1], s[48:49]
.LBB159_448:
	s_mov_b64 s[50:51], 0
	s_mov_b64 s[0:1], -1
.LBB159_449:
	s_andn2_b64 vcc, exec, s[50:51]
	s_cbranch_vccnz .LBB159_460
; %bb.450:
	s_cmp_gt_i32 s55, 14
	s_cbranch_scc0 .LBB159_453
; %bb.451:
	s_cmp_eq_u32 s55, 15
	s_cbranch_scc0 .LBB159_454
; %bb.452:
	global_load_ushort v1, v[3:4], off
	s_mov_b64 s[0:1], -1
	s_mov_b64 s[46:47], 0
	s_waitcnt vmcnt(0)
	v_and_b32_e32 v1, 0x7fff, v1
	v_cmp_ne_u16_e64 s[48:49], 0, v1
	s_branch .LBB159_455
.LBB159_453:
	s_mov_b64 s[50:51], -1
                                        ; implicit-def: $sgpr48_sgpr49
	s_branch .LBB159_456
.LBB159_454:
	s_mov_b64 s[46:47], -1
                                        ; implicit-def: $sgpr48_sgpr49
.LBB159_455:
	s_mov_b64 s[50:51], 0
.LBB159_456:
	s_and_b64 vcc, exec, s[50:51]
	s_cbranch_vccz .LBB159_460
; %bb.457:
	s_cmp_eq_u32 s55, 11
	s_cbranch_scc0 .LBB159_459
; %bb.458:
	global_load_ubyte v1, v[3:4], off
	s_mov_b64 s[0:1], -1
	s_mov_b64 s[46:47], 0
	s_waitcnt vmcnt(0)
	v_cmp_ne_u16_e64 s[48:49], 0, v1
	s_branch .LBB159_460
.LBB159_459:
	s_mov_b64 s[46:47], -1
                                        ; implicit-def: $sgpr48_sgpr49
.LBB159_460:
	s_branch .LBB159_395
.LBB159_461:
	s_and_b32 s54, 0xffff, s54
	s_cmp_lt_i32 s54, 5
	s_cbranch_scc1 .LBB159_466
; %bb.462:
	s_cmp_lt_i32 s54, 8
	s_cbranch_scc1 .LBB159_467
; %bb.463:
	;; [unrolled: 3-line block ×3, first 2 shown]
	s_cmp_gt_i32 s54, 9
	s_cbranch_scc0 .LBB159_469
; %bb.465:
	global_load_dwordx4 v[9:12], v[3:4], off
	s_mov_b64 s[50:51], 0
	s_waitcnt vmcnt(0)
	v_cmp_neq_f64_e32 vcc, 0, v[9:10]
	v_cmp_neq_f64_e64 s[0:1], 0, v[11:12]
	s_or_b64 s[48:49], vcc, s[0:1]
	s_branch .LBB159_470
.LBB159_466:
	s_mov_b64 s[0:1], -1
                                        ; implicit-def: $sgpr48_sgpr49
	s_branch .LBB159_488
.LBB159_467:
	s_mov_b64 s[0:1], -1
                                        ; implicit-def: $sgpr48_sgpr49
	s_branch .LBB159_476
.LBB159_468:
	s_mov_b64 s[0:1], -1
                                        ; implicit-def: $sgpr48_sgpr49
	s_branch .LBB159_473
.LBB159_469:
	s_mov_b64 s[50:51], -1
                                        ; implicit-def: $sgpr48_sgpr49
.LBB159_470:
	s_andn2_b64 vcc, exec, s[50:51]
	s_cbranch_vccnz .LBB159_472
; %bb.471:
	global_load_dwordx2 v[5:6], v[3:4], off
	s_andn2_b64 s[0:1], s[48:49], exec
	s_waitcnt vmcnt(0)
	v_or_b32_e32 v1, v5, v6
	v_and_b32_e32 v1, 0x7fffffff, v1
	v_cmp_ne_u32_e32 vcc, 0, v1
	s_and_b64 s[48:49], vcc, exec
	s_or_b64 s[48:49], s[0:1], s[48:49]
.LBB159_472:
	s_mov_b64 s[0:1], 0
.LBB159_473:
	s_andn2_b64 vcc, exec, s[0:1]
	s_cbranch_vccnz .LBB159_475
; %bb.474:
	global_load_dword v1, v[3:4], off
	s_andn2_b64 s[0:1], s[48:49], exec
	s_waitcnt vmcnt(0)
	v_and_b32_e32 v1, 0x7fff7fff, v1
	v_cmp_ne_u32_e32 vcc, 0, v1
	s_and_b64 s[48:49], vcc, exec
	s_or_b64 s[48:49], s[0:1], s[48:49]
.LBB159_475:
	s_mov_b64 s[0:1], 0
.LBB159_476:
	s_andn2_b64 vcc, exec, s[0:1]
	s_cbranch_vccnz .LBB159_487
; %bb.477:
	s_cmp_lt_i32 s54, 6
	s_cbranch_scc1 .LBB159_480
; %bb.478:
	s_cmp_gt_i32 s54, 6
	s_cbranch_scc0 .LBB159_481
; %bb.479:
	global_load_dwordx2 v[5:6], v[3:4], off
	s_mov_b64 s[0:1], 0
	s_waitcnt vmcnt(0)
	v_cmp_neq_f64_e64 s[48:49], 0, v[5:6]
	s_branch .LBB159_482
.LBB159_480:
	s_mov_b64 s[0:1], -1
                                        ; implicit-def: $sgpr48_sgpr49
	s_branch .LBB159_485
.LBB159_481:
	s_mov_b64 s[0:1], -1
                                        ; implicit-def: $sgpr48_sgpr49
.LBB159_482:
	s_andn2_b64 vcc, exec, s[0:1]
	s_cbranch_vccnz .LBB159_484
; %bb.483:
	global_load_dword v1, v[3:4], off
	s_andn2_b64 s[0:1], s[48:49], exec
	s_waitcnt vmcnt(0)
	v_cmp_neq_f32_e32 vcc, 0, v1
	s_and_b64 s[48:49], vcc, exec
	s_or_b64 s[48:49], s[0:1], s[48:49]
.LBB159_484:
	s_mov_b64 s[0:1], 0
.LBB159_485:
	s_andn2_b64 vcc, exec, s[0:1]
	s_cbranch_vccnz .LBB159_487
; %bb.486:
	global_load_ushort v1, v[3:4], off
	s_andn2_b64 s[0:1], s[48:49], exec
	s_waitcnt vmcnt(0)
	v_and_b32_e32 v1, 0x7fff, v1
	v_cmp_ne_u16_e32 vcc, 0, v1
	s_and_b64 s[48:49], vcc, exec
	s_or_b64 s[48:49], s[0:1], s[48:49]
.LBB159_487:
	s_mov_b64 s[0:1], 0
.LBB159_488:
	s_andn2_b64 vcc, exec, s[0:1]
	s_cbranch_vccnz .LBB159_508
; %bb.489:
	s_cmp_lt_i32 s54, 2
	s_cbranch_scc1 .LBB159_493
; %bb.490:
	s_cmp_lt_i32 s54, 3
	s_cbranch_scc1 .LBB159_494
; %bb.491:
	s_cmp_gt_i32 s54, 3
	s_cbranch_scc0 .LBB159_495
; %bb.492:
	global_load_dwordx2 v[5:6], v[3:4], off
	s_mov_b64 s[0:1], 0
	s_waitcnt vmcnt(0)
	v_cmp_ne_u64_e64 s[48:49], 0, v[5:6]
	s_branch .LBB159_496
.LBB159_493:
	s_mov_b64 s[0:1], -1
                                        ; implicit-def: $sgpr48_sgpr49
	s_branch .LBB159_502
.LBB159_494:
	s_mov_b64 s[0:1], -1
                                        ; implicit-def: $sgpr48_sgpr49
	s_branch .LBB159_499
.LBB159_495:
	s_mov_b64 s[0:1], -1
                                        ; implicit-def: $sgpr48_sgpr49
.LBB159_496:
	s_andn2_b64 vcc, exec, s[0:1]
	s_cbranch_vccnz .LBB159_498
; %bb.497:
	global_load_dword v1, v[3:4], off
	s_andn2_b64 s[0:1], s[48:49], exec
	s_waitcnt vmcnt(0)
	v_cmp_ne_u32_e32 vcc, 0, v1
	s_and_b64 s[48:49], vcc, exec
	s_or_b64 s[48:49], s[0:1], s[48:49]
.LBB159_498:
	s_mov_b64 s[0:1], 0
.LBB159_499:
	s_andn2_b64 vcc, exec, s[0:1]
	s_cbranch_vccnz .LBB159_501
; %bb.500:
	global_load_ushort v1, v[3:4], off
	s_andn2_b64 s[0:1], s[48:49], exec
	s_waitcnt vmcnt(0)
	v_cmp_ne_u16_e32 vcc, 0, v1
	s_and_b64 s[48:49], vcc, exec
	s_or_b64 s[48:49], s[0:1], s[48:49]
.LBB159_501:
	s_mov_b64 s[0:1], 0
.LBB159_502:
	s_andn2_b64 vcc, exec, s[0:1]
	s_cbranch_vccnz .LBB159_508
; %bb.503:
	s_cmp_gt_i32 s54, 0
	s_cbranch_scc0 .LBB159_505
; %bb.504:
	global_load_ubyte v1, v[3:4], off
	s_mov_b64 s[0:1], 0
	s_waitcnt vmcnt(0)
	v_cmp_ne_u16_e64 s[48:49], 0, v1
	s_branch .LBB159_506
.LBB159_505:
	s_mov_b64 s[0:1], -1
                                        ; implicit-def: $sgpr48_sgpr49
.LBB159_506:
	s_andn2_b64 vcc, exec, s[0:1]
	s_cbranch_vccnz .LBB159_508
; %bb.507:
	global_load_ubyte v1, v[3:4], off
	s_andn2_b64 s[0:1], s[48:49], exec
	s_waitcnt vmcnt(0)
	v_cmp_ne_u16_e32 vcc, 0, v1
	s_and_b64 s[48:49], vcc, exec
	s_or_b64 s[48:49], s[0:1], s[48:49]
.LBB159_508:
	s_branch .LBB159_396
.LBB159_509:
	s_mov_b64 s[58:59], 0
	s_mov_b64 s[0:1], s[38:39]
	;; [unrolled: 1-line block ×3, first 2 shown]
                                        ; implicit-def: $vgpr8
	s_branch .LBB159_750
.LBB159_510:
	s_mov_b64 s[46:47], -1
	s_mov_b64 s[0:1], 0
	s_mov_b64 s[54:55], s[40:41]
                                        ; implicit-def: $sgpr56_sgpr57
	s_branch .LBB159_514
.LBB159_511:
	s_andn2_saveexec_b64 s[50:51], s[50:51]
	s_cbranch_execz .LBB159_294
.LBB159_512:
	v_add_f32_e32 v2, 0x42800000, v3
	v_and_b32_e32 v2, 0xff, v2
	v_cmp_ne_u32_e32 vcc, 0, v2
	s_andn2_b64 s[46:47], s[46:47], exec
	s_and_b64 s[54:55], vcc, exec
	s_or_b64 s[46:47], s[46:47], s[54:55]
	s_or_b64 exec, exec, s[50:51]
	v_mov_b32_e32 v4, 0
	s_and_saveexec_b64 s[50:51], s[46:47]
	s_cbranch_execnz .LBB159_295
	s_branch .LBB159_296
.LBB159_513:
	s_mov_b64 s[54:55], -1
                                        ; implicit-def: $sgpr56_sgpr57
	s_mov_b64 s[0:1], 0
.LBB159_514:
	s_and_b64 vcc, exec, s[46:47]
	s_cbranch_vccz .LBB159_516
; %bb.515:
	s_cmp_eq_u32 s51, 44
	s_cselect_b64 s[0:1], -1, 0
	s_or_b64 s[56:57], s[56:57], exec
	s_or_b64 s[54:55], s[54:55], exec
.LBB159_516:
	s_mov_b64 s[46:47], 0
.LBB159_517:
	s_and_b64 vcc, exec, s[46:47]
	s_cbranch_vccz .LBB159_521
; %bb.518:
	s_cmp_eq_u32 s51, 29
	s_cbranch_scc0 .LBB159_520
; %bb.519:
	global_load_dwordx2 v[3:4], v[1:2], off
	s_mov_b64 s[54:55], 0
	s_mov_b64 s[0:1], -1
	s_mov_b64 s[46:47], 0
	s_waitcnt vmcnt(0)
	v_cmp_ne_u64_e64 s[56:57], 0, v[3:4]
	s_branch .LBB159_522
.LBB159_520:
	s_mov_b64 s[54:55], -1
                                        ; implicit-def: $sgpr56_sgpr57
.LBB159_521:
	s_mov_b64 s[46:47], 0
.LBB159_522:
	s_and_b64 vcc, exec, s[46:47]
	s_cbranch_vccz .LBB159_534
; %bb.523:
	s_cmp_lt_i32 s51, 27
	s_cbranch_scc1 .LBB159_526
; %bb.524:
	s_cmp_gt_i32 s51, 27
	s_cbranch_scc0 .LBB159_527
; %bb.525:
	global_load_dword v3, v[1:2], off
	s_mov_b64 s[0:1], 0
	s_waitcnt vmcnt(0)
	v_cmp_ne_u32_e64 s[56:57], 0, v3
	s_branch .LBB159_528
.LBB159_526:
	s_mov_b64 s[0:1], -1
                                        ; implicit-def: $sgpr56_sgpr57
	s_branch .LBB159_531
.LBB159_527:
	s_mov_b64 s[0:1], -1
                                        ; implicit-def: $sgpr56_sgpr57
.LBB159_528:
	s_andn2_b64 vcc, exec, s[0:1]
	s_cbranch_vccnz .LBB159_530
; %bb.529:
	global_load_ushort v3, v[1:2], off
	s_andn2_b64 s[0:1], s[56:57], exec
	s_waitcnt vmcnt(0)
	v_cmp_ne_u16_e32 vcc, 0, v3
	s_and_b64 s[46:47], vcc, exec
	s_or_b64 s[56:57], s[0:1], s[46:47]
.LBB159_530:
	s_mov_b64 s[0:1], 0
.LBB159_531:
	s_andn2_b64 vcc, exec, s[0:1]
	s_cbranch_vccnz .LBB159_533
; %bb.532:
	global_load_ubyte v3, v[1:2], off
	s_andn2_b64 s[0:1], s[56:57], exec
	s_waitcnt vmcnt(0)
	v_cmp_ne_u16_e32 vcc, 0, v3
	s_and_b64 s[46:47], vcc, exec
	s_or_b64 s[56:57], s[0:1], s[46:47]
.LBB159_533:
	s_mov_b64 s[0:1], -1
.LBB159_534:
	s_mov_b64 s[46:47], 0
.LBB159_535:
	s_and_b64 vcc, exec, s[46:47]
	s_cbranch_vccz .LBB159_560
; %bb.536:
	s_cmp_gt_i32 s51, 22
	s_cbranch_scc0 .LBB159_540
; %bb.537:
	s_cmp_lt_i32 s51, 24
	s_cbranch_scc1 .LBB159_541
; %bb.538:
	s_cmp_gt_i32 s51, 24
	s_cbranch_scc0 .LBB159_542
; %bb.539:
	global_load_ubyte v3, v[1:2], off
	s_mov_b64 s[0:1], 0
	s_waitcnt vmcnt(0)
	v_cmp_ne_u16_e64 s[56:57], 0, v3
	s_branch .LBB159_543
.LBB159_540:
	s_mov_b64 s[46:47], -1
                                        ; implicit-def: $sgpr56_sgpr57
	s_branch .LBB159_549
.LBB159_541:
	s_mov_b64 s[0:1], -1
                                        ; implicit-def: $sgpr56_sgpr57
	s_branch .LBB159_546
.LBB159_542:
	s_mov_b64 s[0:1], -1
                                        ; implicit-def: $sgpr56_sgpr57
.LBB159_543:
	s_andn2_b64 vcc, exec, s[0:1]
	s_cbranch_vccnz .LBB159_545
; %bb.544:
	global_load_ubyte v3, v[1:2], off
	s_andn2_b64 s[0:1], s[56:57], exec
	s_waitcnt vmcnt(0)
	v_and_b32_e32 v3, 0x7f, v3
	v_cmp_ne_u16_e32 vcc, 0, v3
	s_and_b64 s[46:47], vcc, exec
	s_or_b64 s[56:57], s[0:1], s[46:47]
.LBB159_545:
	s_mov_b64 s[0:1], 0
.LBB159_546:
	s_andn2_b64 vcc, exec, s[0:1]
	s_cbranch_vccnz .LBB159_548
; %bb.547:
	global_load_ubyte v3, v[1:2], off
	s_movk_i32 s0, 0x7f00
	s_brev_b32 s1, 16
	s_waitcnt vmcnt(0)
	v_lshlrev_b32_e32 v4, 8, v3
	v_lshlrev_b32_e32 v3, 25, v3
	v_lshrrev_b32_e32 v5, 4, v3
	v_and_or_b32 v4, v4, s0, 0.5
	v_or_b32_e32 v5, 0x70000000, v5
	v_add_f32_e32 v4, -0.5, v4
	v_mul_f32_e32 v5, 0x7800000, v5
	v_cmp_gt_u32_e32 vcc, s1, v3
	v_cndmask_b32_e32 v3, v5, v4, vcc
	v_cmp_neq_f32_e32 vcc, 0, v3
	s_andn2_b64 s[0:1], s[56:57], exec
	s_and_b64 s[46:47], vcc, exec
	s_or_b64 s[56:57], s[0:1], s[46:47]
.LBB159_548:
	s_mov_b64 s[46:47], 0
	s_mov_b64 s[0:1], -1
.LBB159_549:
	s_andn2_b64 vcc, exec, s[46:47]
	s_cbranch_vccnz .LBB159_560
; %bb.550:
	s_cmp_gt_i32 s51, 14
	s_cbranch_scc0 .LBB159_553
; %bb.551:
	s_cmp_eq_u32 s51, 15
	s_cbranch_scc0 .LBB159_554
; %bb.552:
	global_load_ushort v3, v[1:2], off
	s_mov_b64 s[0:1], -1
	s_mov_b64 s[54:55], 0
	s_waitcnt vmcnt(0)
	v_and_b32_e32 v3, 0x7fff, v3
	v_cmp_ne_u16_e64 s[56:57], 0, v3
	s_branch .LBB159_555
.LBB159_553:
	s_mov_b64 s[46:47], -1
                                        ; implicit-def: $sgpr56_sgpr57
	s_branch .LBB159_556
.LBB159_554:
	s_mov_b64 s[54:55], -1
                                        ; implicit-def: $sgpr56_sgpr57
.LBB159_555:
	s_mov_b64 s[46:47], 0
.LBB159_556:
	s_and_b64 vcc, exec, s[46:47]
	s_cbranch_vccz .LBB159_560
; %bb.557:
	s_cmp_eq_u32 s51, 11
	s_cbranch_scc0 .LBB159_559
; %bb.558:
	global_load_ubyte v3, v[1:2], off
	s_mov_b64 s[0:1], -1
	s_mov_b64 s[54:55], 0
	s_waitcnt vmcnt(0)
	v_cmp_ne_u16_e64 s[56:57], 0, v3
	s_branch .LBB159_560
.LBB159_559:
	s_mov_b64 s[54:55], -1
                                        ; implicit-def: $sgpr56_sgpr57
.LBB159_560:
	s_mov_b64 s[46:47], 0
.LBB159_561:
	s_and_b64 vcc, exec, s[46:47]
	s_cbranch_vccz .LBB159_610
; %bb.562:
	s_and_b32 s50, 0xffff, s50
	s_cmp_lt_i32 s50, 5
	s_cbranch_scc1 .LBB159_567
; %bb.563:
	s_cmp_lt_i32 s50, 8
	s_cbranch_scc1 .LBB159_568
; %bb.564:
	;; [unrolled: 3-line block ×3, first 2 shown]
	s_cmp_gt_i32 s50, 9
	s_cbranch_scc0 .LBB159_570
; %bb.566:
	global_load_dwordx4 v[3:6], v[1:2], off
	s_mov_b64 s[46:47], 0
	s_waitcnt vmcnt(0)
	v_cmp_neq_f64_e32 vcc, 0, v[3:4]
	v_cmp_neq_f64_e64 s[0:1], 0, v[5:6]
	s_or_b64 s[56:57], vcc, s[0:1]
	s_branch .LBB159_571
.LBB159_567:
	s_mov_b64 s[0:1], -1
                                        ; implicit-def: $sgpr56_sgpr57
	s_branch .LBB159_589
.LBB159_568:
	s_mov_b64 s[0:1], -1
                                        ; implicit-def: $sgpr56_sgpr57
	s_branch .LBB159_577
.LBB159_569:
	s_mov_b64 s[0:1], -1
                                        ; implicit-def: $sgpr56_sgpr57
	s_branch .LBB159_574
.LBB159_570:
	s_mov_b64 s[46:47], -1
                                        ; implicit-def: $sgpr56_sgpr57
.LBB159_571:
	s_andn2_b64 vcc, exec, s[46:47]
	s_cbranch_vccnz .LBB159_573
; %bb.572:
	global_load_dwordx2 v[3:4], v[1:2], off
	s_andn2_b64 s[0:1], s[56:57], exec
	s_waitcnt vmcnt(0)
	v_or_b32_e32 v3, v3, v4
	v_and_b32_e32 v3, 0x7fffffff, v3
	v_cmp_ne_u32_e32 vcc, 0, v3
	s_and_b64 s[46:47], vcc, exec
	s_or_b64 s[56:57], s[0:1], s[46:47]
.LBB159_573:
	s_mov_b64 s[0:1], 0
.LBB159_574:
	s_andn2_b64 vcc, exec, s[0:1]
	s_cbranch_vccnz .LBB159_576
; %bb.575:
	global_load_dword v3, v[1:2], off
	s_andn2_b64 s[0:1], s[56:57], exec
	s_waitcnt vmcnt(0)
	v_and_b32_e32 v3, 0x7fff7fff, v3
	v_cmp_ne_u32_e32 vcc, 0, v3
	s_and_b64 s[46:47], vcc, exec
	s_or_b64 s[56:57], s[0:1], s[46:47]
.LBB159_576:
	s_mov_b64 s[0:1], 0
.LBB159_577:
	s_andn2_b64 vcc, exec, s[0:1]
	s_cbranch_vccnz .LBB159_588
; %bb.578:
	s_cmp_lt_i32 s50, 6
	s_cbranch_scc1 .LBB159_581
; %bb.579:
	s_cmp_gt_i32 s50, 6
	s_cbranch_scc0 .LBB159_582
; %bb.580:
	global_load_dwordx2 v[3:4], v[1:2], off
	s_mov_b64 s[0:1], 0
	s_waitcnt vmcnt(0)
	v_cmp_neq_f64_e64 s[56:57], 0, v[3:4]
	s_branch .LBB159_583
.LBB159_581:
	s_mov_b64 s[0:1], -1
                                        ; implicit-def: $sgpr56_sgpr57
	s_branch .LBB159_586
.LBB159_582:
	s_mov_b64 s[0:1], -1
                                        ; implicit-def: $sgpr56_sgpr57
.LBB159_583:
	s_andn2_b64 vcc, exec, s[0:1]
	s_cbranch_vccnz .LBB159_585
; %bb.584:
	global_load_dword v3, v[1:2], off
	s_andn2_b64 s[0:1], s[56:57], exec
	s_waitcnt vmcnt(0)
	v_cmp_neq_f32_e32 vcc, 0, v3
	s_and_b64 s[46:47], vcc, exec
	s_or_b64 s[56:57], s[0:1], s[46:47]
.LBB159_585:
	s_mov_b64 s[0:1], 0
.LBB159_586:
	s_andn2_b64 vcc, exec, s[0:1]
	s_cbranch_vccnz .LBB159_588
; %bb.587:
	global_load_ushort v3, v[1:2], off
	s_andn2_b64 s[0:1], s[56:57], exec
	s_waitcnt vmcnt(0)
	v_and_b32_e32 v3, 0x7fff, v3
	v_cmp_ne_u16_e32 vcc, 0, v3
	s_and_b64 s[46:47], vcc, exec
	s_or_b64 s[56:57], s[0:1], s[46:47]
.LBB159_588:
	s_mov_b64 s[0:1], 0
.LBB159_589:
	s_andn2_b64 vcc, exec, s[0:1]
	s_cbranch_vccnz .LBB159_609
; %bb.590:
	s_cmp_lt_i32 s50, 2
	s_cbranch_scc1 .LBB159_594
; %bb.591:
	s_cmp_lt_i32 s50, 3
	s_cbranch_scc1 .LBB159_595
; %bb.592:
	s_cmp_gt_i32 s50, 3
	s_cbranch_scc0 .LBB159_596
; %bb.593:
	global_load_dwordx2 v[3:4], v[1:2], off
	s_mov_b64 s[0:1], 0
	s_waitcnt vmcnt(0)
	v_cmp_ne_u64_e64 s[56:57], 0, v[3:4]
	s_branch .LBB159_597
.LBB159_594:
	s_mov_b64 s[0:1], -1
                                        ; implicit-def: $sgpr56_sgpr57
	s_branch .LBB159_603
.LBB159_595:
	s_mov_b64 s[0:1], -1
                                        ; implicit-def: $sgpr56_sgpr57
	s_branch .LBB159_600
.LBB159_596:
	s_mov_b64 s[0:1], -1
                                        ; implicit-def: $sgpr56_sgpr57
.LBB159_597:
	s_andn2_b64 vcc, exec, s[0:1]
	s_cbranch_vccnz .LBB159_599
; %bb.598:
	global_load_dword v3, v[1:2], off
	s_andn2_b64 s[0:1], s[56:57], exec
	s_waitcnt vmcnt(0)
	v_cmp_ne_u32_e32 vcc, 0, v3
	s_and_b64 s[46:47], vcc, exec
	s_or_b64 s[56:57], s[0:1], s[46:47]
.LBB159_599:
	s_mov_b64 s[0:1], 0
.LBB159_600:
	s_andn2_b64 vcc, exec, s[0:1]
	s_cbranch_vccnz .LBB159_602
; %bb.601:
	global_load_ushort v3, v[1:2], off
	s_andn2_b64 s[0:1], s[56:57], exec
	s_waitcnt vmcnt(0)
	v_cmp_ne_u16_e32 vcc, 0, v3
	s_and_b64 s[46:47], vcc, exec
	s_or_b64 s[56:57], s[0:1], s[46:47]
.LBB159_602:
	s_mov_b64 s[0:1], 0
.LBB159_603:
	s_andn2_b64 vcc, exec, s[0:1]
	s_cbranch_vccnz .LBB159_609
; %bb.604:
	s_cmp_gt_i32 s50, 0
	s_cbranch_scc0 .LBB159_606
; %bb.605:
	global_load_ubyte v3, v[1:2], off
	s_mov_b64 s[0:1], 0
	s_waitcnt vmcnt(0)
	v_cmp_ne_u16_e64 s[56:57], 0, v3
	s_branch .LBB159_607
.LBB159_606:
	s_mov_b64 s[0:1], -1
                                        ; implicit-def: $sgpr56_sgpr57
.LBB159_607:
	s_andn2_b64 vcc, exec, s[0:1]
	s_cbranch_vccnz .LBB159_609
; %bb.608:
	global_load_ubyte v1, v[1:2], off
	s_andn2_b64 s[0:1], s[56:57], exec
	s_waitcnt vmcnt(0)
	v_cmp_ne_u16_e32 vcc, 0, v1
	s_and_b64 s[46:47], vcc, exec
	s_or_b64 s[56:57], s[0:1], s[46:47]
.LBB159_609:
	s_mov_b64 s[0:1], -1
.LBB159_610:
	s_mov_b64 s[46:47], 0
	s_andn2_b64 vcc, exec, s[0:1]
	s_mov_b64 s[0:1], s[38:39]
	s_mov_b64 s[58:59], 0
	s_cbranch_vccnz .LBB159_750
; %bb.611:
	s_cmp_lt_i32 s14, 1
	s_mov_b64 s[0:1], 0
	s_cbranch_scc1 .LBB159_615
; %bb.612:
	s_cmp_gt_i32 s14, 1
	s_cbranch_scc0 .LBB159_616
; %bb.613:
	s_cmp_eq_u32 s14, 2
	s_cbranch_scc0 .LBB159_617
; %bb.614:
	s_xor_b64 s[50:51], s[48:49], -1
	s_or_b64 s[50:51], s[56:57], s[50:51]
	s_mov_b64 s[54:55], 0
	s_branch .LBB159_619
.LBB159_615:
	s_mov_b64 s[58:59], -1
                                        ; implicit-def: $sgpr50_sgpr51
	s_mov_b64 s[54:55], 0
	s_branch .LBB159_622
.LBB159_616:
	s_mov_b64 s[58:59], -1
	s_mov_b64 s[54:55], 0
	s_branch .LBB159_618
.LBB159_617:
	s_mov_b64 s[54:55], -1
.LBB159_618:
                                        ; implicit-def: $sgpr50_sgpr51
.LBB159_619:
	s_and_b64 vcc, exec, s[58:59]
	s_cbranch_vccz .LBB159_621
; %bb.620:
	s_xor_b64 s[58:59], s[56:57], -1
	s_and_b64 s[58:59], s[48:49], s[58:59]
	s_andn2_b64 s[50:51], s[50:51], exec
	s_and_b64 s[58:59], s[58:59], exec
	s_or_b64 s[50:51], s[50:51], s[58:59]
.LBB159_621:
	s_mov_b64 s[58:59], 0
.LBB159_622:
	s_and_b64 vcc, exec, s[58:59]
	s_cbranch_vccz .LBB159_633
; %bb.623:
	s_cmp_lg_u32 s14, 0
	s_mov_b64 s[0:1], -1
	s_cselect_b64 s[54:55], -1, 0
	s_andn2_b64 vcc, exec, s[54:55]
	s_cbranch_vccz .LBB159_634
.LBB159_624:
	s_andn2_b64 vcc, exec, s[0:1]
	s_cbranch_vccnz .LBB159_626
.LBB159_625:
	s_xor_b64 s[0:1], s[56:57], -1
	s_or_b64 s[0:1], s[48:49], s[0:1]
	s_andn2_b64 s[48:49], s[50:51], exec
	s_and_b64 s[0:1], s[0:1], exec
	s_or_b64 s[50:51], s[48:49], s[0:1]
.LBB159_626:
	v_mov_b32_e32 v1, s9
	s_and_b32 s58, s15, 0xff
	v_add_co_u32_e32 v0, vcc, s8, v0
	s_cmp_lt_i32 s58, 11
	v_addc_co_u32_e32 v1, vcc, 0, v1, vcc
	s_cbranch_scc1 .LBB159_635
; %bb.627:
	s_and_b32 s59, 0xffff, s58
	s_cmp_gt_i32 s59, 25
	s_cbranch_scc0 .LBB159_636
; %bb.628:
	s_cmp_gt_i32 s59, 28
	s_cbranch_scc0 .LBB159_637
; %bb.629:
	;; [unrolled: 3-line block ×4, first 2 shown]
	s_mov_b64 s[54:55], 0
	s_mov_b64 s[0:1], -1
	s_cmp_eq_u32 s59, 46
	s_mov_b64 s[48:49], 0
	s_cbranch_scc0 .LBB159_640
; %bb.632:
	v_cndmask_b32_e64 v2, 0, 1.0, s[50:51]
	v_bfe_u32 v3, v2, 16, 1
	s_movk_i32 s0, 0x7fff
	v_add3_u32 v2, v2, v3, s0
	v_lshrrev_b32_e32 v2, 16, v2
	global_store_dword v[0:1], v2, off
	s_mov_b64 s[48:49], -1
	s_mov_b64 s[0:1], 0
	s_branch .LBB159_640
.LBB159_633:
	s_andn2_b64 vcc, exec, s[54:55]
	s_cbranch_vccnz .LBB159_624
.LBB159_634:
	s_xor_b64 s[0:1], s[48:49], -1
	s_and_b64 s[54:55], s[56:57], s[0:1]
	s_andn2_b64 s[50:51], s[50:51], exec
	s_and_b64 s[54:55], s[54:55], exec
	s_or_b64 s[50:51], s[50:51], s[54:55]
	s_cbranch_execz .LBB159_625
	s_branch .LBB159_626
.LBB159_635:
	s_mov_b64 s[54:55], -1
	s_mov_b64 s[48:49], 0
	s_mov_b64 s[0:1], s[38:39]
	s_branch .LBB159_709
.LBB159_636:
	s_mov_b64 s[54:55], -1
	s_mov_b64 s[48:49], 0
	s_mov_b64 s[0:1], s[38:39]
	s_branch .LBB159_667
.LBB159_637:
	s_mov_b64 s[54:55], -1
	s_mov_b64 s[48:49], 0
	s_mov_b64 s[0:1], s[38:39]
	s_branch .LBB159_650
.LBB159_638:
	s_mov_b64 s[54:55], -1
	s_mov_b64 s[48:49], 0
	s_mov_b64 s[0:1], s[38:39]
	s_branch .LBB159_646
.LBB159_639:
	s_mov_b64 s[54:55], -1
	s_mov_b64 s[48:49], 0
	s_mov_b64 s[0:1], s[38:39]
.LBB159_640:
	s_and_b64 vcc, exec, s[54:55]
	s_cbranch_vccz .LBB159_645
; %bb.641:
	s_cmp_eq_u32 s59, 44
	s_mov_b64 s[0:1], -1
	s_cbranch_scc0 .LBB159_645
; %bb.642:
	v_cndmask_b32_e64 v3, 0, 1.0, s[50:51]
	v_lshrrev_b32_e32 v2, 23, v3
	s_movk_i32 s0, 0xff
	v_cmp_ne_u32_e32 vcc, s0, v2
	v_mov_b32_e32 v4, 0xff
	s_and_saveexec_b64 s[48:49], vcc
; %bb.643:
	s_mov_b32 s0, 0x3fffff
	v_and_b32_e32 v4, 0x400000, v3
	v_and_or_b32 v3, v3, s0, v2
	v_cmp_ne_u32_e32 vcc, 0, v4
	v_cmp_ne_u32_e64 s[0:1], 0, v3
	s_and_b64 s[0:1], vcc, s[0:1]
	v_cndmask_b32_e64 v3, 0, 1, s[0:1]
	v_add_u32_e32 v4, v2, v3
; %bb.644:
	s_or_b64 exec, exec, s[48:49]
	s_mov_b64 s[48:49], -1
	s_mov_b64 s[0:1], 0
	global_store_byte v[0:1], v4, off
.LBB159_645:
	s_mov_b64 s[54:55], 0
.LBB159_646:
	s_and_b64 vcc, exec, s[54:55]
	s_cbranch_vccz .LBB159_649
; %bb.647:
	s_cmp_eq_u32 s59, 29
	s_mov_b64 s[0:1], -1
	s_cbranch_scc0 .LBB159_649
; %bb.648:
	s_mov_b32 s0, 0
	v_cndmask_b32_e64 v2, 0, 1, s[50:51]
	v_mov_b32_e32 v3, s0
	global_store_dwordx2 v[0:1], v[2:3], off
	s_mov_b64 s[48:49], -1
	s_mov_b64 s[0:1], 0
.LBB159_649:
	s_mov_b64 s[54:55], 0
.LBB159_650:
	s_and_b64 vcc, exec, s[54:55]
	s_cbranch_vccz .LBB159_666
; %bb.651:
	s_cmp_lt_i32 s59, 27
	s_mov_b64 s[48:49], -1
	s_cbranch_scc1 .LBB159_657
; %bb.652:
	s_cmp_gt_i32 s59, 27
	s_cbranch_scc0 .LBB159_654
; %bb.653:
	v_cndmask_b32_e64 v2, 0, 1, s[50:51]
	s_mov_b64 s[48:49], 0
	global_store_dword v[0:1], v2, off
.LBB159_654:
	s_andn2_b64 vcc, exec, s[48:49]
	s_cbranch_vccnz .LBB159_656
; %bb.655:
	v_cndmask_b32_e64 v2, 0, 1, s[50:51]
	global_store_short v[0:1], v2, off
.LBB159_656:
	s_mov_b64 s[48:49], 0
.LBB159_657:
	s_andn2_b64 vcc, exec, s[48:49]
	s_cbranch_vccnz .LBB159_665
; %bb.658:
	v_cndmask_b32_e64 v3, 0, 1.0, s[50:51]
	s_mov_b32 s48, 0x43800000
	v_cmp_gt_u32_e32 vcc, s48, v3
	v_mov_b32_e32 v4, 0x80
	s_and_saveexec_b64 s[48:49], vcc
	s_cbranch_execz .LBB159_664
; %bb.659:
	s_mov_b32 s54, 0x3bffffff
	v_cmp_lt_u32_e32 vcc, s54, v3
	s_mov_b64 s[54:55], 0
                                        ; implicit-def: $vgpr2
	s_and_saveexec_b64 s[56:57], vcc
	s_xor_b64 s[56:57], exec, s[56:57]
	s_cbranch_execz .LBB159_777
; %bb.660:
	v_bfe_u32 v2, v3, 20, 1
	s_mov_b32 s60, 0x487ffff
	v_add3_u32 v2, v3, v2, s60
	s_mov_b64 s[54:55], exec
	v_lshrrev_b32_e32 v2, 20, v2
                                        ; implicit-def: $vgpr3
	s_andn2_saveexec_b64 s[56:57], s[56:57]
	s_cbranch_execnz .LBB159_778
.LBB159_661:
	s_or_b64 exec, exec, s[56:57]
	v_mov_b32_e32 v4, 0
	s_and_saveexec_b64 s[56:57], s[54:55]
.LBB159_662:
	v_mov_b32_e32 v4, v2
.LBB159_663:
	s_or_b64 exec, exec, s[56:57]
.LBB159_664:
	s_or_b64 exec, exec, s[48:49]
	global_store_byte v[0:1], v4, off
.LBB159_665:
	s_mov_b64 s[48:49], -1
.LBB159_666:
	s_mov_b64 s[54:55], 0
.LBB159_667:
	s_and_b64 vcc, exec, s[54:55]
	s_cbranch_vccz .LBB159_708
; %bb.668:
	s_cmp_gt_i32 s59, 22
	s_mov_b64 s[54:55], -1
	s_cbranch_scc0 .LBB159_700
; %bb.669:
	s_cmp_lt_i32 s59, 24
	s_mov_b64 s[48:49], -1
	s_cbranch_scc1 .LBB159_689
; %bb.670:
	s_cmp_gt_i32 s59, 24
	s_cbranch_scc0 .LBB159_678
; %bb.671:
	v_cndmask_b32_e64 v3, 0, 1.0, s[50:51]
	s_mov_b32 s48, 0x47800000
	v_cmp_gt_u32_e32 vcc, s48, v3
	v_mov_b32_e32 v4, 0x80
	s_and_saveexec_b64 s[48:49], vcc
	s_cbranch_execz .LBB159_677
; %bb.672:
	s_mov_b32 s54, 0x37ffffff
	v_cmp_lt_u32_e32 vcc, s54, v3
	s_mov_b64 s[54:55], 0
                                        ; implicit-def: $vgpr2
	s_and_saveexec_b64 s[56:57], vcc
	s_xor_b64 s[56:57], exec, s[56:57]
	s_cbranch_execz .LBB159_890
; %bb.673:
	v_bfe_u32 v2, v3, 21, 1
	s_mov_b32 s60, 0x88fffff
	v_add3_u32 v2, v3, v2, s60
	s_mov_b64 s[54:55], exec
	v_lshrrev_b32_e32 v2, 21, v2
                                        ; implicit-def: $vgpr3
	s_andn2_saveexec_b64 s[56:57], s[56:57]
	s_cbranch_execnz .LBB159_891
.LBB159_674:
	s_or_b64 exec, exec, s[56:57]
	v_mov_b32_e32 v4, 0
	s_and_saveexec_b64 s[56:57], s[54:55]
.LBB159_675:
	v_mov_b32_e32 v4, v2
.LBB159_676:
	s_or_b64 exec, exec, s[56:57]
.LBB159_677:
	s_or_b64 exec, exec, s[48:49]
	s_mov_b64 s[48:49], 0
	global_store_byte v[0:1], v4, off
.LBB159_678:
	s_and_b64 vcc, exec, s[48:49]
	s_cbranch_vccz .LBB159_688
; %bb.679:
	v_cndmask_b32_e64 v2, 0, 1.0, s[50:51]
	s_mov_b32 s48, 0x43f00000
	v_cmp_gt_u32_e32 vcc, s48, v2
                                        ; implicit-def: $vgpr3
	s_and_saveexec_b64 s[48:49], vcc
	s_xor_b64 s[48:49], exec, s[48:49]
	s_cbranch_execz .LBB159_685
; %bb.680:
	s_mov_b32 s54, 0x3c7fffff
	v_cmp_lt_u32_e32 vcc, s54, v2
                                        ; implicit-def: $vgpr3
	s_and_saveexec_b64 s[54:55], vcc
	s_xor_b64 s[54:55], exec, s[54:55]
; %bb.681:
	v_bfe_u32 v3, v2, 20, 1
	s_mov_b32 s56, 0x407ffff
	v_add3_u32 v2, v2, v3, s56
	v_lshrrev_b32_e32 v3, 20, v2
	v_and_b32_e32 v2, 0xff00000, v2
	s_mov_b32 s56, 0x7f00000
	v_mov_b32_e32 v4, 0x7e
	v_cmp_ne_u32_e32 vcc, s56, v2
	v_cndmask_b32_e32 v3, v4, v3, vcc
                                        ; implicit-def: $vgpr2
; %bb.682:
	s_andn2_saveexec_b64 s[54:55], s[54:55]
; %bb.683:
	v_add_f32_e32 v3, 0x46800000, v2
; %bb.684:
	s_or_b64 exec, exec, s[54:55]
                                        ; implicit-def: $vgpr2
.LBB159_685:
	s_andn2_saveexec_b64 s[48:49], s[48:49]
; %bb.686:
	s_mov_b32 s54, 0x7f800000
	v_mov_b32_e32 v3, 0x7e
	v_mov_b32_e32 v4, 0x7f
	v_cmp_lt_u32_e32 vcc, s54, v2
	v_cndmask_b32_e32 v3, v3, v4, vcc
; %bb.687:
	s_or_b64 exec, exec, s[48:49]
	global_store_byte v[0:1], v3, off
.LBB159_688:
	s_mov_b64 s[48:49], 0
.LBB159_689:
	s_andn2_b64 vcc, exec, s[48:49]
	s_cbranch_vccnz .LBB159_699
; %bb.690:
	v_cndmask_b32_e64 v2, 0, 1.0, s[50:51]
	s_mov_b32 s48, 0x47800000
	v_cmp_gt_u32_e32 vcc, s48, v2
                                        ; implicit-def: $vgpr3
	s_and_saveexec_b64 s[48:49], vcc
	s_xor_b64 s[48:49], exec, s[48:49]
	s_cbranch_execz .LBB159_696
; %bb.691:
	s_mov_b32 s54, 0x387fffff
	v_cmp_lt_u32_e32 vcc, s54, v2
                                        ; implicit-def: $vgpr3
	s_and_saveexec_b64 s[54:55], vcc
	s_xor_b64 s[54:55], exec, s[54:55]
; %bb.692:
	v_bfe_u32 v3, v2, 21, 1
	s_mov_b32 s56, 0x80fffff
	v_add3_u32 v2, v2, v3, s56
	v_lshrrev_b32_e32 v3, 21, v2
                                        ; implicit-def: $vgpr2
; %bb.693:
	s_andn2_saveexec_b64 s[54:55], s[54:55]
; %bb.694:
	v_add_f32_e32 v3, 0x43000000, v2
; %bb.695:
	s_or_b64 exec, exec, s[54:55]
                                        ; implicit-def: $vgpr2
.LBB159_696:
	s_andn2_saveexec_b64 s[48:49], s[48:49]
; %bb.697:
	s_mov_b32 s54, 0x7f800000
	v_mov_b32_e32 v3, 0x7c
	v_mov_b32_e32 v4, 0x7f
	v_cmp_lt_u32_e32 vcc, s54, v2
	v_cndmask_b32_e32 v3, v3, v4, vcc
; %bb.698:
	s_or_b64 exec, exec, s[48:49]
	global_store_byte v[0:1], v3, off
.LBB159_699:
	s_mov_b64 s[54:55], 0
	s_mov_b64 s[48:49], -1
.LBB159_700:
	s_andn2_b64 vcc, exec, s[54:55]
	s_cbranch_vccnz .LBB159_708
; %bb.701:
	s_cmp_gt_i32 s59, 14
	s_mov_b64 s[54:55], -1
	s_cbranch_scc0 .LBB159_705
; %bb.702:
	s_cmp_eq_u32 s59, 15
	s_mov_b64 s[0:1], -1
	s_cbranch_scc0 .LBB159_704
; %bb.703:
	v_cndmask_b32_e64 v2, 0, 1.0, s[50:51]
	v_bfe_u32 v3, v2, 16, 1
	s_movk_i32 s0, 0x7fff
	v_add3_u32 v2, v2, v3, s0
	global_store_short_d16_hi v[0:1], v2, off
	s_mov_b64 s[48:49], -1
	s_mov_b64 s[0:1], 0
.LBB159_704:
	s_mov_b64 s[54:55], 0
.LBB159_705:
	s_and_b64 vcc, exec, s[54:55]
	s_cbranch_vccz .LBB159_708
; %bb.706:
	s_cmp_eq_u32 s59, 11
	s_mov_b64 s[0:1], -1
	s_cbranch_scc0 .LBB159_708
; %bb.707:
	v_cndmask_b32_e64 v2, 0, 1, s[50:51]
	s_mov_b64 s[48:49], -1
	s_mov_b64 s[0:1], 0
	global_store_byte v[0:1], v2, off
.LBB159_708:
	s_mov_b64 s[54:55], 0
.LBB159_709:
	s_and_b64 vcc, exec, s[54:55]
	s_cbranch_vccz .LBB159_748
; %bb.710:
	s_and_b32 s54, 0xffff, s58
	s_cmp_lt_i32 s54, 5
	s_mov_b64 s[48:49], -1
	s_cbranch_scc1 .LBB159_731
; %bb.711:
	s_cmp_lt_i32 s54, 8
	s_cbranch_scc1 .LBB159_721
; %bb.712:
	s_cmp_lt_i32 s54, 9
	s_cbranch_scc1 .LBB159_718
; %bb.713:
	s_cmp_gt_i32 s54, 9
	s_cbranch_scc0 .LBB159_715
; %bb.714:
	v_cndmask_b32_e64 v2, 0, 1, s[50:51]
	v_cvt_f64_u32_e32 v[2:3], v2
	v_mov_b32_e32 v4, 0
	v_mov_b32_e32 v5, v4
	s_mov_b64 s[48:49], 0
	global_store_dwordx4 v[0:1], v[2:5], off
.LBB159_715:
	s_andn2_b64 vcc, exec, s[48:49]
	s_cbranch_vccnz .LBB159_717
; %bb.716:
	v_cndmask_b32_e64 v2, 0, 1.0, s[50:51]
	v_mov_b32_e32 v3, 0
	global_store_dwordx2 v[0:1], v[2:3], off
.LBB159_717:
	s_mov_b64 s[48:49], 0
.LBB159_718:
	s_andn2_b64 vcc, exec, s[48:49]
	s_cbranch_vccnz .LBB159_720
; %bb.719:
	v_cndmask_b32_e64 v2, 0, 1.0, s[50:51]
	v_cvt_f16_f32_e32 v2, v2
	global_store_dword v[0:1], v2, off
.LBB159_720:
	s_mov_b64 s[48:49], 0
.LBB159_721:
	s_andn2_b64 vcc, exec, s[48:49]
	s_cbranch_vccnz .LBB159_730
; %bb.722:
	s_cmp_lt_i32 s54, 6
	s_mov_b64 s[48:49], -1
	s_cbranch_scc1 .LBB159_728
; %bb.723:
	s_cmp_gt_i32 s54, 6
	s_cbranch_scc0 .LBB159_725
; %bb.724:
	v_cndmask_b32_e64 v2, 0, 1, s[50:51]
	v_cvt_f64_u32_e32 v[2:3], v2
	s_mov_b64 s[48:49], 0
	global_store_dwordx2 v[0:1], v[2:3], off
.LBB159_725:
	s_andn2_b64 vcc, exec, s[48:49]
	s_cbranch_vccnz .LBB159_727
; %bb.726:
	v_cndmask_b32_e64 v2, 0, 1.0, s[50:51]
	global_store_dword v[0:1], v2, off
.LBB159_727:
	s_mov_b64 s[48:49], 0
.LBB159_728:
	s_andn2_b64 vcc, exec, s[48:49]
	s_cbranch_vccnz .LBB159_730
; %bb.729:
	v_cndmask_b32_e64 v2, 0, 1.0, s[50:51]
	v_cvt_f16_f32_e32 v2, v2
	global_store_short v[0:1], v2, off
.LBB159_730:
	s_mov_b64 s[48:49], 0
.LBB159_731:
	s_andn2_b64 vcc, exec, s[48:49]
	s_cbranch_vccnz .LBB159_747
; %bb.732:
	s_cmp_lt_i32 s54, 2
	s_mov_b64 s[48:49], -1
	s_cbranch_scc1 .LBB159_742
; %bb.733:
	s_cmp_lt_i32 s54, 3
	s_cbranch_scc1 .LBB159_739
; %bb.734:
	s_cmp_gt_i32 s54, 3
	s_cbranch_scc0 .LBB159_736
; %bb.735:
	s_mov_b32 s48, 0
	v_cndmask_b32_e64 v2, 0, 1, s[50:51]
	v_mov_b32_e32 v3, s48
	s_mov_b64 s[48:49], 0
	global_store_dwordx2 v[0:1], v[2:3], off
.LBB159_736:
	s_andn2_b64 vcc, exec, s[48:49]
	s_cbranch_vccnz .LBB159_738
; %bb.737:
	v_cndmask_b32_e64 v2, 0, 1, s[50:51]
	global_store_dword v[0:1], v2, off
.LBB159_738:
	s_mov_b64 s[48:49], 0
.LBB159_739:
	s_andn2_b64 vcc, exec, s[48:49]
	s_cbranch_vccnz .LBB159_741
; %bb.740:
	v_cndmask_b32_e64 v2, 0, 1, s[50:51]
	global_store_short v[0:1], v2, off
.LBB159_741:
	s_mov_b64 s[48:49], 0
.LBB159_742:
	s_andn2_b64 vcc, exec, s[48:49]
	s_cbranch_vccnz .LBB159_747
; %bb.743:
	s_mov_b64 s[48:49], -1
	s_cmp_gt_i32 s54, 0
	v_cndmask_b32_e64 v2, 0, 1, s[50:51]
	s_cbranch_scc0 .LBB159_745
; %bb.744:
	s_mov_b64 s[48:49], 0
	global_store_byte v[0:1], v2, off
.LBB159_745:
	s_andn2_b64 vcc, exec, s[48:49]
	s_cbranch_vccnz .LBB159_747
; %bb.746:
	global_store_byte v[0:1], v2, off
.LBB159_747:
	s_mov_b64 s[48:49], -1
.LBB159_748:
	s_mov_b64 s[54:55], 0
	s_andn2_b64 vcc, exec, s[48:49]
	s_mov_b64 s[58:59], 0
	s_cbranch_vccnz .LBB159_750
; %bb.749:
	v_add_u32_e32 v8, 0x80, v8
	s_mov_b64 s[58:59], -1
.LBB159_750:
	s_andn2_b64 s[48:49], s[38:39], exec
	s_and_b64 s[0:1], s[0:1], exec
	s_or_b64 s[50:51], s[48:49], s[0:1]
	s_andn2_b64 s[0:1], s[40:41], exec
	s_and_b64 s[48:49], s[54:55], exec
	s_or_b64 s[48:49], s[0:1], s[48:49]
	;; [unrolled: 3-line block ×3, first 2 shown]
	s_orn2_b64 s[0:1], s[58:59], exec
.LBB159_751:
	s_or_b64 exec, exec, s[52:53]
	s_mov_b64 s[56:57], 0
	s_mov_b64 s[58:59], 0
	;; [unrolled: 1-line block ×3, first 2 shown]
                                        ; implicit-def: $sgpr54_sgpr55
                                        ; implicit-def: $sgpr76
                                        ; implicit-def: $vgpr3_vgpr4
                                        ; implicit-def: $vgpr0
                                        ; implicit-def: $vgpr2
	s_and_saveexec_b64 s[52:53], s[0:1]
	s_cbranch_execz .LBB159_1207
; %bb.752:
	v_cmp_gt_i32_e32 vcc, s70, v8
	s_mov_b64 s[68:69], -1
	s_mov_b64 s[0:1], s[46:47]
	s_mov_b64 s[58:59], s[48:49]
	;; [unrolled: 1-line block ×3, first 2 shown]
	s_and_saveexec_b64 s[54:55], vcc
	s_cbranch_execz .LBB159_1130
; %bb.753:
	s_andn2_b64 vcc, exec, s[24:25]
	s_cbranch_vccnz .LBB159_759
; %bb.754:
	s_andn2_b64 vcc, exec, s[36:37]
	s_cbranch_vccnz .LBB159_760
; %bb.755:
	s_add_i32 s0, s75, 1
	s_and_b32 s56, s0, 30
	s_add_u32 s0, s2, 0xffffffe8
	s_addc_u32 s1, s3, -1
	v_mov_b32_e32 v2, 0
	v_mov_b32_e32 v4, 0
	v_mov_b32_e32 v0, 0
	v_mov_b32_e32 v1, v8
.LBB159_756:                            ; =>This Inner Loop Header: Depth=1
	s_load_dwordx4 s[60:63], s[0:1], 0x1c
	s_load_dwordx2 s[58:59], s[0:1], 0x2c
	s_load_dwordx2 s[68:69], s[0:1], 0xec
	s_load_dwordx4 s[64:67], s[0:1], 0xdc
	s_add_u32 s0, s0, 24
	s_waitcnt lgkmcnt(0)
	v_mul_hi_u32 v3, s61, v1
	s_addc_u32 s1, s1, 0
	s_add_i32 s56, s56, -2
	s_cmp_eq_u32 s56, 0
	v_add_u32_e32 v3, v1, v3
	v_lshrrev_b32_e32 v3, s62, v3
	v_mul_lo_u32 v5, v3, s60
	v_mul_hi_u32 v6, s58, v3
	v_sub_u32_e32 v5, v1, v5
	v_add_u32_e32 v1, v3, v6
	v_lshrrev_b32_e32 v1, s59, v1
	v_mul_lo_u32 v9, v1, s63
	v_mul_lo_u32 v6, v5, s64
	;; [unrolled: 1-line block ×4, first 2 shown]
	v_sub_u32_e32 v3, v3, v9
	v_mul_lo_u32 v9, v3, s67
	v_mul_lo_u32 v10, v3, s68
	v_mul_lo_u32 v3, v3, s69
	v_add3_u32 v0, v6, v0, v9
	v_add3_u32 v4, v7, v4, v10
	;; [unrolled: 1-line block ×3, first 2 shown]
	s_cbranch_scc0 .LBB159_756
; %bb.757:
	s_bitcmp1_b32 s75, 0
	s_cselect_b64 s[56:57], -1, 0
	s_and_b64 vcc, exec, s[56:57]
	s_cbranch_vccnz .LBB159_761
; %bb.758:
	s_load_dwordx2 s[56:57], s[0:1], 0x1c
	s_load_dword s60, s[0:1], 0x24
	s_load_dwordx2 s[58:59], s[0:1], 0xdc
	s_waitcnt lgkmcnt(0)
	v_mul_hi_u32 v3, s57, v1
	v_add_u32_e32 v3, v1, v3
	v_lshrrev_b32_e32 v3, s60, v3
	v_mul_lo_u32 v3, v3, s56
	s_load_dword s56, s[0:1], 0xe4
	v_sub_u32_e32 v3, v1, v3
	v_mad_u64_u32 v[0:1], s[0:1], v3, s58, v[0:1]
	v_mad_u64_u32 v[4:5], s[0:1], v3, s59, v[4:5]
	s_waitcnt lgkmcnt(0)
	v_mad_u64_u32 v[2:3], s[0:1], v3, s56, v[2:3]
	s_branch .LBB159_761
.LBB159_759:
	s_mov_b64 s[0:1], -1
                                        ; implicit-def: $vgpr0
                                        ; implicit-def: $vgpr4
                                        ; implicit-def: $vgpr2
	s_branch .LBB159_762
.LBB159_760:
	v_mov_b32_e32 v0, 0
	v_mov_b32_e32 v4, 0
	;; [unrolled: 1-line block ×3, first 2 shown]
.LBB159_761:
	s_mov_b64 s[0:1], 0
.LBB159_762:
	s_andn2_b64 vcc, exec, s[0:1]
	s_cbranch_vccnz .LBB159_765
; %bb.763:
	v_mul_hi_u32 v0, s17, v8
	s_andn2_b64 vcc, exec, s[34:35]
	v_add_u32_e32 v0, v8, v0
	v_lshrrev_b32_e32 v1, s18, v0
	v_mul_lo_u32 v0, v1, s16
	v_sub_u32_e32 v2, v8, v0
	v_mul_lo_u32 v0, v2, s20
	v_mul_lo_u32 v4, v2, s21
	;; [unrolled: 1-line block ×3, first 2 shown]
	s_cbranch_vccnz .LBB159_765
; %bb.764:
	v_mul_hi_u32 v3, s30, v1
	v_add_u32_e32 v3, v1, v3
	v_lshrrev_b32_e32 v3, s31, v3
	v_mul_lo_u32 v3, v3, s19
	v_sub_u32_e32 v3, v1, v3
	v_mad_u64_u32 v[0:1], s[0:1], v3, s23, v[0:1]
	v_mad_u64_u32 v[4:5], s[0:1], v3, s28, v[4:5]
	;; [unrolled: 1-line block ×3, first 2 shown]
.LBB159_765:
	v_mov_b32_e32 v1, s11
	s_and_b32 s62, s74, 0xff
	v_add_co_u32_e32 v3, vcc, s10, v4
	s_cmp_lt_i32 s62, 11
	v_addc_co_u32_e32 v4, vcc, 0, v1, vcc
	s_cbranch_scc1 .LBB159_772
; %bb.766:
	s_and_b32 s63, 0xffff, s62
	s_cmp_gt_i32 s63, 25
	s_cbranch_scc0 .LBB159_773
; %bb.767:
	s_cmp_gt_i32 s63, 28
	s_cbranch_scc0 .LBB159_774
; %bb.768:
	;; [unrolled: 3-line block ×4, first 2 shown]
	s_cmp_eq_u32 s63, 46
	s_mov_b64 s[60:61], 0
	s_cbranch_scc0 .LBB159_779
; %bb.771:
	global_load_dword v1, v[3:4], off
	s_mov_b64 s[0:1], -1
	s_mov_b64 s[56:57], 0
	s_waitcnt vmcnt(0)
	v_and_b32_e32 v1, 0x7fff7fff, v1
	v_cmp_ne_u32_e64 s[58:59], 0, v1
	s_branch .LBB159_780
.LBB159_772:
	s_mov_b64 s[60:61], -1
	s_mov_b64 s[0:1], 0
                                        ; implicit-def: $sgpr58_sgpr59
	s_mov_b64 s[56:57], s[46:47]
	s_branch .LBB159_827
.LBB159_773:
	s_mov_b64 s[60:61], -1
	s_mov_b64 s[0:1], 0
	s_mov_b64 s[56:57], s[46:47]
                                        ; implicit-def: $sgpr58_sgpr59
	s_branch .LBB159_801
.LBB159_774:
	s_mov_b64 s[60:61], -1
	s_mov_b64 s[0:1], 0
	s_mov_b64 s[56:57], s[46:47]
                                        ; implicit-def: $sgpr58_sgpr59
	s_branch .LBB159_788
.LBB159_775:
	s_mov_b64 s[60:61], -1
	s_mov_b64 s[0:1], 0
	s_mov_b64 s[56:57], s[46:47]
                                        ; implicit-def: $sgpr58_sgpr59
	s_branch .LBB159_783
.LBB159_776:
	s_mov_b64 s[60:61], -1
	s_mov_b64 s[0:1], 0
	s_mov_b64 s[56:57], s[46:47]
                                        ; implicit-def: $sgpr58_sgpr59
	s_branch .LBB159_780
.LBB159_777:
	s_andn2_saveexec_b64 s[56:57], s[56:57]
	s_cbranch_execz .LBB159_661
.LBB159_778:
	v_add_f32_e32 v2, 0x46000000, v3
	v_and_b32_e32 v2, 0xff, v2
	v_cmp_ne_u32_e32 vcc, 0, v2
	s_andn2_b64 s[54:55], s[54:55], exec
	s_and_b64 s[60:61], vcc, exec
	s_or_b64 s[54:55], s[54:55], s[60:61]
	s_or_b64 exec, exec, s[56:57]
	v_mov_b32_e32 v4, 0
	s_and_saveexec_b64 s[56:57], s[54:55]
	s_cbranch_execnz .LBB159_662
	s_branch .LBB159_663
.LBB159_779:
	s_mov_b64 s[56:57], -1
                                        ; implicit-def: $sgpr58_sgpr59
	s_mov_b64 s[0:1], 0
.LBB159_780:
	s_and_b64 vcc, exec, s[60:61]
	s_cbranch_vccz .LBB159_782
; %bb.781:
	s_cmp_eq_u32 s63, 44
	s_cselect_b64 s[0:1], -1, 0
	s_or_b64 s[58:59], s[58:59], exec
	s_or_b64 s[56:57], s[56:57], exec
.LBB159_782:
	s_mov_b64 s[60:61], 0
.LBB159_783:
	s_and_b64 vcc, exec, s[60:61]
	s_cbranch_vccz .LBB159_787
; %bb.784:
	s_cmp_eq_u32 s63, 29
	s_cbranch_scc0 .LBB159_786
; %bb.785:
	global_load_dwordx2 v[5:6], v[3:4], off
	s_mov_b64 s[56:57], 0
	s_mov_b64 s[0:1], -1
	s_mov_b64 s[60:61], 0
	s_waitcnt vmcnt(0)
	v_cmp_ne_u64_e64 s[58:59], 0, v[5:6]
	s_branch .LBB159_788
.LBB159_786:
	s_mov_b64 s[56:57], -1
                                        ; implicit-def: $sgpr58_sgpr59
.LBB159_787:
	s_mov_b64 s[60:61], 0
.LBB159_788:
	s_and_b64 vcc, exec, s[60:61]
	s_cbranch_vccz .LBB159_800
; %bb.789:
	s_cmp_lt_i32 s63, 27
	s_cbranch_scc1 .LBB159_792
; %bb.790:
	s_cmp_gt_i32 s63, 27
	s_cbranch_scc0 .LBB159_793
; %bb.791:
	global_load_dword v1, v[3:4], off
	s_mov_b64 s[0:1], 0
	s_waitcnt vmcnt(0)
	v_cmp_ne_u32_e64 s[58:59], 0, v1
	s_branch .LBB159_794
.LBB159_792:
	s_mov_b64 s[0:1], -1
                                        ; implicit-def: $sgpr58_sgpr59
	s_branch .LBB159_797
.LBB159_793:
	s_mov_b64 s[0:1], -1
                                        ; implicit-def: $sgpr58_sgpr59
.LBB159_794:
	s_andn2_b64 vcc, exec, s[0:1]
	s_cbranch_vccnz .LBB159_796
; %bb.795:
	global_load_ushort v1, v[3:4], off
	s_andn2_b64 s[0:1], s[58:59], exec
	s_waitcnt vmcnt(0)
	v_cmp_ne_u16_e32 vcc, 0, v1
	s_and_b64 s[58:59], vcc, exec
	s_or_b64 s[58:59], s[0:1], s[58:59]
.LBB159_796:
	s_mov_b64 s[0:1], 0
.LBB159_797:
	s_andn2_b64 vcc, exec, s[0:1]
	s_cbranch_vccnz .LBB159_799
; %bb.798:
	global_load_ubyte v1, v[3:4], off
	s_andn2_b64 s[0:1], s[58:59], exec
	s_waitcnt vmcnt(0)
	v_cmp_ne_u16_e32 vcc, 0, v1
	s_and_b64 s[58:59], vcc, exec
	s_or_b64 s[58:59], s[0:1], s[58:59]
.LBB159_799:
	s_mov_b64 s[0:1], -1
.LBB159_800:
	s_mov_b64 s[60:61], 0
.LBB159_801:
	s_and_b64 vcc, exec, s[60:61]
	s_cbranch_vccz .LBB159_826
; %bb.802:
	s_cmp_gt_i32 s63, 22
	s_cbranch_scc0 .LBB159_806
; %bb.803:
	s_cmp_lt_i32 s63, 24
	s_cbranch_scc1 .LBB159_807
; %bb.804:
	s_cmp_gt_i32 s63, 24
	s_cbranch_scc0 .LBB159_808
; %bb.805:
	global_load_ubyte v1, v[3:4], off
	s_mov_b64 s[0:1], 0
	s_waitcnt vmcnt(0)
	v_cmp_ne_u16_e64 s[58:59], 0, v1
	s_branch .LBB159_809
.LBB159_806:
	s_mov_b64 s[60:61], -1
                                        ; implicit-def: $sgpr58_sgpr59
	s_branch .LBB159_815
.LBB159_807:
	s_mov_b64 s[0:1], -1
                                        ; implicit-def: $sgpr58_sgpr59
	s_branch .LBB159_812
.LBB159_808:
	s_mov_b64 s[0:1], -1
                                        ; implicit-def: $sgpr58_sgpr59
.LBB159_809:
	s_andn2_b64 vcc, exec, s[0:1]
	s_cbranch_vccnz .LBB159_811
; %bb.810:
	global_load_ubyte v1, v[3:4], off
	s_andn2_b64 s[0:1], s[58:59], exec
	s_waitcnt vmcnt(0)
	v_and_b32_e32 v1, 0x7f, v1
	v_cmp_ne_u16_e32 vcc, 0, v1
	s_and_b64 s[58:59], vcc, exec
	s_or_b64 s[58:59], s[0:1], s[58:59]
.LBB159_811:
	s_mov_b64 s[0:1], 0
.LBB159_812:
	s_andn2_b64 vcc, exec, s[0:1]
	s_cbranch_vccnz .LBB159_814
; %bb.813:
	global_load_ubyte v1, v[3:4], off
	s_movk_i32 s0, 0x7f00
	s_brev_b32 s1, 16
	s_waitcnt vmcnt(0)
	v_lshlrev_b32_e32 v5, 8, v1
	v_lshlrev_b32_e32 v1, 25, v1
	v_lshrrev_b32_e32 v6, 4, v1
	v_and_or_b32 v5, v5, s0, 0.5
	v_or_b32_e32 v6, 0x70000000, v6
	v_add_f32_e32 v5, -0.5, v5
	v_mul_f32_e32 v6, 0x7800000, v6
	v_cmp_gt_u32_e32 vcc, s1, v1
	v_cndmask_b32_e32 v1, v6, v5, vcc
	v_cmp_neq_f32_e32 vcc, 0, v1
	s_andn2_b64 s[0:1], s[58:59], exec
	s_and_b64 s[58:59], vcc, exec
	s_or_b64 s[58:59], s[0:1], s[58:59]
.LBB159_814:
	s_mov_b64 s[60:61], 0
	s_mov_b64 s[0:1], -1
.LBB159_815:
	s_andn2_b64 vcc, exec, s[60:61]
	s_cbranch_vccnz .LBB159_826
; %bb.816:
	s_cmp_gt_i32 s63, 14
	s_cbranch_scc0 .LBB159_819
; %bb.817:
	s_cmp_eq_u32 s63, 15
	s_cbranch_scc0 .LBB159_820
; %bb.818:
	global_load_ushort v1, v[3:4], off
	s_mov_b64 s[0:1], -1
	s_mov_b64 s[56:57], 0
	s_waitcnt vmcnt(0)
	v_and_b32_e32 v1, 0x7fff, v1
	v_cmp_ne_u16_e64 s[58:59], 0, v1
	s_branch .LBB159_821
.LBB159_819:
	s_mov_b64 s[60:61], -1
                                        ; implicit-def: $sgpr58_sgpr59
	s_branch .LBB159_822
.LBB159_820:
	s_mov_b64 s[56:57], -1
                                        ; implicit-def: $sgpr58_sgpr59
.LBB159_821:
	s_mov_b64 s[60:61], 0
.LBB159_822:
	s_and_b64 vcc, exec, s[60:61]
	s_cbranch_vccz .LBB159_826
; %bb.823:
	s_cmp_eq_u32 s63, 11
	s_cbranch_scc0 .LBB159_825
; %bb.824:
	global_load_ubyte v1, v[3:4], off
	s_mov_b64 s[0:1], -1
	s_mov_b64 s[56:57], 0
	s_waitcnt vmcnt(0)
	v_cmp_ne_u16_e64 s[58:59], 0, v1
	s_branch .LBB159_826
.LBB159_825:
	s_mov_b64 s[56:57], -1
                                        ; implicit-def: $sgpr58_sgpr59
.LBB159_826:
	s_mov_b64 s[60:61], 0
.LBB159_827:
	s_and_b64 vcc, exec, s[60:61]
	s_cbranch_vccz .LBB159_876
; %bb.828:
	s_and_b32 s62, 0xffff, s62
	s_cmp_lt_i32 s62, 5
	s_cbranch_scc1 .LBB159_833
; %bb.829:
	s_cmp_lt_i32 s62, 8
	s_cbranch_scc1 .LBB159_834
; %bb.830:
	;; [unrolled: 3-line block ×3, first 2 shown]
	s_cmp_gt_i32 s62, 9
	s_cbranch_scc0 .LBB159_836
; %bb.832:
	global_load_dwordx4 v[9:12], v[3:4], off
	s_mov_b64 s[60:61], 0
	s_waitcnt vmcnt(0)
	v_cmp_neq_f64_e32 vcc, 0, v[9:10]
	v_cmp_neq_f64_e64 s[0:1], 0, v[11:12]
	s_or_b64 s[58:59], vcc, s[0:1]
	s_branch .LBB159_837
.LBB159_833:
	s_mov_b64 s[0:1], -1
                                        ; implicit-def: $sgpr58_sgpr59
	s_branch .LBB159_855
.LBB159_834:
	s_mov_b64 s[0:1], -1
                                        ; implicit-def: $sgpr58_sgpr59
	s_branch .LBB159_843
.LBB159_835:
	s_mov_b64 s[0:1], -1
                                        ; implicit-def: $sgpr58_sgpr59
	s_branch .LBB159_840
.LBB159_836:
	s_mov_b64 s[60:61], -1
                                        ; implicit-def: $sgpr58_sgpr59
.LBB159_837:
	s_andn2_b64 vcc, exec, s[60:61]
	s_cbranch_vccnz .LBB159_839
; %bb.838:
	global_load_dwordx2 v[5:6], v[3:4], off
	s_andn2_b64 s[0:1], s[58:59], exec
	s_waitcnt vmcnt(0)
	v_or_b32_e32 v1, v5, v6
	v_and_b32_e32 v1, 0x7fffffff, v1
	v_cmp_ne_u32_e32 vcc, 0, v1
	s_and_b64 s[58:59], vcc, exec
	s_or_b64 s[58:59], s[0:1], s[58:59]
.LBB159_839:
	s_mov_b64 s[0:1], 0
.LBB159_840:
	s_andn2_b64 vcc, exec, s[0:1]
	s_cbranch_vccnz .LBB159_842
; %bb.841:
	global_load_dword v1, v[3:4], off
	s_andn2_b64 s[0:1], s[58:59], exec
	s_waitcnt vmcnt(0)
	v_and_b32_e32 v1, 0x7fff7fff, v1
	v_cmp_ne_u32_e32 vcc, 0, v1
	s_and_b64 s[58:59], vcc, exec
	s_or_b64 s[58:59], s[0:1], s[58:59]
.LBB159_842:
	s_mov_b64 s[0:1], 0
.LBB159_843:
	s_andn2_b64 vcc, exec, s[0:1]
	s_cbranch_vccnz .LBB159_854
; %bb.844:
	s_cmp_lt_i32 s62, 6
	s_cbranch_scc1 .LBB159_847
; %bb.845:
	s_cmp_gt_i32 s62, 6
	s_cbranch_scc0 .LBB159_848
; %bb.846:
	global_load_dwordx2 v[5:6], v[3:4], off
	s_mov_b64 s[0:1], 0
	s_waitcnt vmcnt(0)
	v_cmp_neq_f64_e64 s[58:59], 0, v[5:6]
	s_branch .LBB159_849
.LBB159_847:
	s_mov_b64 s[0:1], -1
                                        ; implicit-def: $sgpr58_sgpr59
	s_branch .LBB159_852
.LBB159_848:
	s_mov_b64 s[0:1], -1
                                        ; implicit-def: $sgpr58_sgpr59
.LBB159_849:
	s_andn2_b64 vcc, exec, s[0:1]
	s_cbranch_vccnz .LBB159_851
; %bb.850:
	global_load_dword v1, v[3:4], off
	s_andn2_b64 s[0:1], s[58:59], exec
	s_waitcnt vmcnt(0)
	v_cmp_neq_f32_e32 vcc, 0, v1
	s_and_b64 s[58:59], vcc, exec
	s_or_b64 s[58:59], s[0:1], s[58:59]
.LBB159_851:
	s_mov_b64 s[0:1], 0
.LBB159_852:
	s_andn2_b64 vcc, exec, s[0:1]
	s_cbranch_vccnz .LBB159_854
; %bb.853:
	global_load_ushort v1, v[3:4], off
	s_andn2_b64 s[0:1], s[58:59], exec
	s_waitcnt vmcnt(0)
	v_and_b32_e32 v1, 0x7fff, v1
	v_cmp_ne_u16_e32 vcc, 0, v1
	s_and_b64 s[58:59], vcc, exec
	s_or_b64 s[58:59], s[0:1], s[58:59]
.LBB159_854:
	s_mov_b64 s[0:1], 0
.LBB159_855:
	s_andn2_b64 vcc, exec, s[0:1]
	s_cbranch_vccnz .LBB159_875
; %bb.856:
	s_cmp_lt_i32 s62, 2
	s_cbranch_scc1 .LBB159_860
; %bb.857:
	s_cmp_lt_i32 s62, 3
	s_cbranch_scc1 .LBB159_861
; %bb.858:
	s_cmp_gt_i32 s62, 3
	s_cbranch_scc0 .LBB159_862
; %bb.859:
	global_load_dwordx2 v[5:6], v[3:4], off
	s_mov_b64 s[0:1], 0
	s_waitcnt vmcnt(0)
	v_cmp_ne_u64_e64 s[58:59], 0, v[5:6]
	s_branch .LBB159_863
.LBB159_860:
	s_mov_b64 s[0:1], -1
                                        ; implicit-def: $sgpr58_sgpr59
	s_branch .LBB159_869
.LBB159_861:
	s_mov_b64 s[0:1], -1
                                        ; implicit-def: $sgpr58_sgpr59
	s_branch .LBB159_866
.LBB159_862:
	s_mov_b64 s[0:1], -1
                                        ; implicit-def: $sgpr58_sgpr59
.LBB159_863:
	s_andn2_b64 vcc, exec, s[0:1]
	s_cbranch_vccnz .LBB159_865
; %bb.864:
	global_load_dword v1, v[3:4], off
	s_andn2_b64 s[0:1], s[58:59], exec
	s_waitcnt vmcnt(0)
	v_cmp_ne_u32_e32 vcc, 0, v1
	s_and_b64 s[58:59], vcc, exec
	s_or_b64 s[58:59], s[0:1], s[58:59]
.LBB159_865:
	s_mov_b64 s[0:1], 0
.LBB159_866:
	s_andn2_b64 vcc, exec, s[0:1]
	s_cbranch_vccnz .LBB159_868
; %bb.867:
	global_load_ushort v1, v[3:4], off
	s_andn2_b64 s[0:1], s[58:59], exec
	s_waitcnt vmcnt(0)
	v_cmp_ne_u16_e32 vcc, 0, v1
	s_and_b64 s[58:59], vcc, exec
	s_or_b64 s[58:59], s[0:1], s[58:59]
.LBB159_868:
	s_mov_b64 s[0:1], 0
.LBB159_869:
	s_andn2_b64 vcc, exec, s[0:1]
	s_cbranch_vccnz .LBB159_875
; %bb.870:
	s_cmp_gt_i32 s62, 0
	s_cbranch_scc0 .LBB159_872
; %bb.871:
	global_load_ubyte v1, v[3:4], off
	s_mov_b64 s[0:1], 0
	s_waitcnt vmcnt(0)
	v_cmp_ne_u16_e64 s[58:59], 0, v1
	s_branch .LBB159_873
.LBB159_872:
	s_mov_b64 s[0:1], -1
                                        ; implicit-def: $sgpr58_sgpr59
.LBB159_873:
	s_andn2_b64 vcc, exec, s[0:1]
	s_cbranch_vccnz .LBB159_875
; %bb.874:
	global_load_ubyte v1, v[3:4], off
	s_andn2_b64 s[0:1], s[58:59], exec
	s_waitcnt vmcnt(0)
	v_cmp_ne_u16_e32 vcc, 0, v1
	s_and_b64 s[58:59], vcc, exec
	s_or_b64 s[58:59], s[0:1], s[58:59]
.LBB159_875:
	s_mov_b64 s[0:1], -1
.LBB159_876:
	s_andn2_b64 vcc, exec, s[0:1]
	s_cbranch_vccnz .LBB159_884
; %bb.877:
	v_mov_b32_e32 v3, s13
	s_and_b32 s60, s73, 0xff
	v_add_co_u32_e32 v1, vcc, s12, v2
	s_cmp_lt_i32 s60, 11
	v_addc_co_u32_e32 v2, vcc, 0, v3, vcc
	s_cbranch_scc1 .LBB159_885
; %bb.878:
	s_and_b32 s61, 0xffff, s60
	s_cmp_gt_i32 s61, 25
	s_cbranch_scc0 .LBB159_886
; %bb.879:
	s_cmp_gt_i32 s61, 28
	s_cbranch_scc0 .LBB159_887
; %bb.880:
	;; [unrolled: 3-line block ×4, first 2 shown]
	s_cmp_eq_u32 s61, 46
	s_mov_b64 s[56:57], 0
	s_cbranch_scc0 .LBB159_892
; %bb.883:
	global_load_dword v3, v[1:2], off
	s_mov_b64 s[0:1], -1
	s_mov_b64 s[62:63], 0
	s_waitcnt vmcnt(0)
	v_and_b32_e32 v3, 0x7fff7fff, v3
	v_cmp_ne_u32_e64 s[64:65], 0, v3
	s_branch .LBB159_893
.LBB159_884:
	s_mov_b64 s[66:67], 0
	s_mov_b64 s[0:1], s[50:51]
	;; [unrolled: 1-line block ×3, first 2 shown]
                                        ; implicit-def: $vgpr8
	s_branch .LBB159_1129
.LBB159_885:
	s_mov_b64 s[56:57], -1
	s_mov_b64 s[0:1], 0
                                        ; implicit-def: $sgpr64_sgpr65
	s_mov_b64 s[62:63], s[48:49]
	s_branch .LBB159_940
.LBB159_886:
	s_mov_b64 s[56:57], -1
	s_mov_b64 s[0:1], 0
	s_mov_b64 s[62:63], s[48:49]
                                        ; implicit-def: $sgpr64_sgpr65
	s_branch .LBB159_914
.LBB159_887:
	s_mov_b64 s[56:57], -1
	s_mov_b64 s[0:1], 0
	s_mov_b64 s[62:63], s[48:49]
                                        ; implicit-def: $sgpr64_sgpr65
	s_branch .LBB159_901
.LBB159_888:
	s_mov_b64 s[56:57], -1
	s_mov_b64 s[0:1], 0
	s_mov_b64 s[62:63], s[48:49]
                                        ; implicit-def: $sgpr64_sgpr65
	s_branch .LBB159_896
.LBB159_889:
	s_mov_b64 s[56:57], -1
	s_mov_b64 s[0:1], 0
	s_mov_b64 s[62:63], s[48:49]
                                        ; implicit-def: $sgpr64_sgpr65
	s_branch .LBB159_893
.LBB159_890:
	s_andn2_saveexec_b64 s[56:57], s[56:57]
	s_cbranch_execz .LBB159_674
.LBB159_891:
	v_add_f32_e32 v2, 0x42800000, v3
	v_and_b32_e32 v2, 0xff, v2
	v_cmp_ne_u32_e32 vcc, 0, v2
	s_andn2_b64 s[54:55], s[54:55], exec
	s_and_b64 s[60:61], vcc, exec
	s_or_b64 s[54:55], s[54:55], s[60:61]
	s_or_b64 exec, exec, s[56:57]
	v_mov_b32_e32 v4, 0
	s_and_saveexec_b64 s[56:57], s[54:55]
	s_cbranch_execnz .LBB159_675
	s_branch .LBB159_676
.LBB159_892:
	s_mov_b64 s[62:63], -1
                                        ; implicit-def: $sgpr64_sgpr65
	s_mov_b64 s[0:1], 0
.LBB159_893:
	s_and_b64 vcc, exec, s[56:57]
	s_cbranch_vccz .LBB159_895
; %bb.894:
	s_cmp_eq_u32 s61, 44
	s_cselect_b64 s[0:1], -1, 0
	s_or_b64 s[64:65], s[64:65], exec
	s_or_b64 s[62:63], s[62:63], exec
.LBB159_895:
	s_mov_b64 s[56:57], 0
.LBB159_896:
	s_and_b64 vcc, exec, s[56:57]
	s_cbranch_vccz .LBB159_900
; %bb.897:
	s_cmp_eq_u32 s61, 29
	s_cbranch_scc0 .LBB159_899
; %bb.898:
	global_load_dwordx2 v[3:4], v[1:2], off
	s_mov_b64 s[62:63], 0
	s_mov_b64 s[0:1], -1
	s_mov_b64 s[56:57], 0
	s_waitcnt vmcnt(0)
	v_cmp_ne_u64_e64 s[64:65], 0, v[3:4]
	s_branch .LBB159_901
.LBB159_899:
	s_mov_b64 s[62:63], -1
                                        ; implicit-def: $sgpr64_sgpr65
.LBB159_900:
	s_mov_b64 s[56:57], 0
.LBB159_901:
	s_and_b64 vcc, exec, s[56:57]
	s_cbranch_vccz .LBB159_913
; %bb.902:
	s_cmp_lt_i32 s61, 27
	s_cbranch_scc1 .LBB159_905
; %bb.903:
	s_cmp_gt_i32 s61, 27
	s_cbranch_scc0 .LBB159_906
; %bb.904:
	global_load_dword v3, v[1:2], off
	s_mov_b64 s[0:1], 0
	s_waitcnt vmcnt(0)
	v_cmp_ne_u32_e64 s[64:65], 0, v3
	s_branch .LBB159_907
.LBB159_905:
	s_mov_b64 s[0:1], -1
                                        ; implicit-def: $sgpr64_sgpr65
	s_branch .LBB159_910
.LBB159_906:
	s_mov_b64 s[0:1], -1
                                        ; implicit-def: $sgpr64_sgpr65
.LBB159_907:
	s_andn2_b64 vcc, exec, s[0:1]
	s_cbranch_vccnz .LBB159_909
; %bb.908:
	global_load_ushort v3, v[1:2], off
	s_andn2_b64 s[0:1], s[64:65], exec
	s_waitcnt vmcnt(0)
	v_cmp_ne_u16_e32 vcc, 0, v3
	s_and_b64 s[56:57], vcc, exec
	s_or_b64 s[64:65], s[0:1], s[56:57]
.LBB159_909:
	s_mov_b64 s[0:1], 0
.LBB159_910:
	s_andn2_b64 vcc, exec, s[0:1]
	s_cbranch_vccnz .LBB159_912
; %bb.911:
	global_load_ubyte v3, v[1:2], off
	s_andn2_b64 s[0:1], s[64:65], exec
	s_waitcnt vmcnt(0)
	v_cmp_ne_u16_e32 vcc, 0, v3
	s_and_b64 s[56:57], vcc, exec
	s_or_b64 s[64:65], s[0:1], s[56:57]
.LBB159_912:
	s_mov_b64 s[0:1], -1
.LBB159_913:
	s_mov_b64 s[56:57], 0
.LBB159_914:
	s_and_b64 vcc, exec, s[56:57]
	s_cbranch_vccz .LBB159_939
; %bb.915:
	s_cmp_gt_i32 s61, 22
	s_cbranch_scc0 .LBB159_919
; %bb.916:
	s_cmp_lt_i32 s61, 24
	s_cbranch_scc1 .LBB159_920
; %bb.917:
	s_cmp_gt_i32 s61, 24
	s_cbranch_scc0 .LBB159_921
; %bb.918:
	global_load_ubyte v3, v[1:2], off
	s_mov_b64 s[0:1], 0
	s_waitcnt vmcnt(0)
	v_cmp_ne_u16_e64 s[64:65], 0, v3
	s_branch .LBB159_922
.LBB159_919:
	s_mov_b64 s[56:57], -1
                                        ; implicit-def: $sgpr64_sgpr65
	s_branch .LBB159_928
.LBB159_920:
	s_mov_b64 s[0:1], -1
                                        ; implicit-def: $sgpr64_sgpr65
	s_branch .LBB159_925
.LBB159_921:
	s_mov_b64 s[0:1], -1
                                        ; implicit-def: $sgpr64_sgpr65
.LBB159_922:
	s_andn2_b64 vcc, exec, s[0:1]
	s_cbranch_vccnz .LBB159_924
; %bb.923:
	global_load_ubyte v3, v[1:2], off
	s_andn2_b64 s[0:1], s[64:65], exec
	s_waitcnt vmcnt(0)
	v_and_b32_e32 v3, 0x7f, v3
	v_cmp_ne_u16_e32 vcc, 0, v3
	s_and_b64 s[56:57], vcc, exec
	s_or_b64 s[64:65], s[0:1], s[56:57]
.LBB159_924:
	s_mov_b64 s[0:1], 0
.LBB159_925:
	s_andn2_b64 vcc, exec, s[0:1]
	s_cbranch_vccnz .LBB159_927
; %bb.926:
	global_load_ubyte v3, v[1:2], off
	s_movk_i32 s0, 0x7f00
	s_brev_b32 s1, 16
	s_waitcnt vmcnt(0)
	v_lshlrev_b32_e32 v4, 8, v3
	v_lshlrev_b32_e32 v3, 25, v3
	v_lshrrev_b32_e32 v5, 4, v3
	v_and_or_b32 v4, v4, s0, 0.5
	v_or_b32_e32 v5, 0x70000000, v5
	v_add_f32_e32 v4, -0.5, v4
	v_mul_f32_e32 v5, 0x7800000, v5
	v_cmp_gt_u32_e32 vcc, s1, v3
	v_cndmask_b32_e32 v3, v5, v4, vcc
	v_cmp_neq_f32_e32 vcc, 0, v3
	s_andn2_b64 s[0:1], s[64:65], exec
	s_and_b64 s[56:57], vcc, exec
	s_or_b64 s[64:65], s[0:1], s[56:57]
.LBB159_927:
	s_mov_b64 s[56:57], 0
	s_mov_b64 s[0:1], -1
.LBB159_928:
	s_andn2_b64 vcc, exec, s[56:57]
	s_cbranch_vccnz .LBB159_939
; %bb.929:
	s_cmp_gt_i32 s61, 14
	s_cbranch_scc0 .LBB159_932
; %bb.930:
	s_cmp_eq_u32 s61, 15
	s_cbranch_scc0 .LBB159_933
; %bb.931:
	global_load_ushort v3, v[1:2], off
	s_mov_b64 s[0:1], -1
	s_mov_b64 s[62:63], 0
	s_waitcnt vmcnt(0)
	v_and_b32_e32 v3, 0x7fff, v3
	v_cmp_ne_u16_e64 s[64:65], 0, v3
	s_branch .LBB159_934
.LBB159_932:
	s_mov_b64 s[56:57], -1
                                        ; implicit-def: $sgpr64_sgpr65
	s_branch .LBB159_935
.LBB159_933:
	s_mov_b64 s[62:63], -1
                                        ; implicit-def: $sgpr64_sgpr65
.LBB159_934:
	s_mov_b64 s[56:57], 0
.LBB159_935:
	s_and_b64 vcc, exec, s[56:57]
	s_cbranch_vccz .LBB159_939
; %bb.936:
	s_cmp_eq_u32 s61, 11
	s_cbranch_scc0 .LBB159_938
; %bb.937:
	global_load_ubyte v3, v[1:2], off
	s_mov_b64 s[0:1], -1
	s_mov_b64 s[62:63], 0
	s_waitcnt vmcnt(0)
	v_cmp_ne_u16_e64 s[64:65], 0, v3
	s_branch .LBB159_939
.LBB159_938:
	s_mov_b64 s[62:63], -1
                                        ; implicit-def: $sgpr64_sgpr65
.LBB159_939:
	s_mov_b64 s[56:57], 0
.LBB159_940:
	s_and_b64 vcc, exec, s[56:57]
	s_cbranch_vccz .LBB159_989
; %bb.941:
	s_and_b32 s60, 0xffff, s60
	s_cmp_lt_i32 s60, 5
	s_cbranch_scc1 .LBB159_946
; %bb.942:
	s_cmp_lt_i32 s60, 8
	s_cbranch_scc1 .LBB159_947
; %bb.943:
	;; [unrolled: 3-line block ×3, first 2 shown]
	s_cmp_gt_i32 s60, 9
	s_cbranch_scc0 .LBB159_949
; %bb.945:
	global_load_dwordx4 v[3:6], v[1:2], off
	s_mov_b64 s[56:57], 0
	s_waitcnt vmcnt(0)
	v_cmp_neq_f64_e32 vcc, 0, v[3:4]
	v_cmp_neq_f64_e64 s[0:1], 0, v[5:6]
	s_or_b64 s[64:65], vcc, s[0:1]
	s_branch .LBB159_950
.LBB159_946:
	s_mov_b64 s[0:1], -1
                                        ; implicit-def: $sgpr64_sgpr65
	s_branch .LBB159_968
.LBB159_947:
	s_mov_b64 s[0:1], -1
                                        ; implicit-def: $sgpr64_sgpr65
	s_branch .LBB159_956
.LBB159_948:
	s_mov_b64 s[0:1], -1
                                        ; implicit-def: $sgpr64_sgpr65
	s_branch .LBB159_953
.LBB159_949:
	s_mov_b64 s[56:57], -1
                                        ; implicit-def: $sgpr64_sgpr65
.LBB159_950:
	s_andn2_b64 vcc, exec, s[56:57]
	s_cbranch_vccnz .LBB159_952
; %bb.951:
	global_load_dwordx2 v[3:4], v[1:2], off
	s_andn2_b64 s[0:1], s[64:65], exec
	s_waitcnt vmcnt(0)
	v_or_b32_e32 v3, v3, v4
	v_and_b32_e32 v3, 0x7fffffff, v3
	v_cmp_ne_u32_e32 vcc, 0, v3
	s_and_b64 s[56:57], vcc, exec
	s_or_b64 s[64:65], s[0:1], s[56:57]
.LBB159_952:
	s_mov_b64 s[0:1], 0
.LBB159_953:
	s_andn2_b64 vcc, exec, s[0:1]
	s_cbranch_vccnz .LBB159_955
; %bb.954:
	global_load_dword v3, v[1:2], off
	s_andn2_b64 s[0:1], s[64:65], exec
	s_waitcnt vmcnt(0)
	v_and_b32_e32 v3, 0x7fff7fff, v3
	v_cmp_ne_u32_e32 vcc, 0, v3
	s_and_b64 s[56:57], vcc, exec
	s_or_b64 s[64:65], s[0:1], s[56:57]
.LBB159_955:
	s_mov_b64 s[0:1], 0
.LBB159_956:
	s_andn2_b64 vcc, exec, s[0:1]
	s_cbranch_vccnz .LBB159_967
; %bb.957:
	s_cmp_lt_i32 s60, 6
	s_cbranch_scc1 .LBB159_960
; %bb.958:
	s_cmp_gt_i32 s60, 6
	s_cbranch_scc0 .LBB159_961
; %bb.959:
	global_load_dwordx2 v[3:4], v[1:2], off
	s_mov_b64 s[0:1], 0
	s_waitcnt vmcnt(0)
	v_cmp_neq_f64_e64 s[64:65], 0, v[3:4]
	s_branch .LBB159_962
.LBB159_960:
	s_mov_b64 s[0:1], -1
                                        ; implicit-def: $sgpr64_sgpr65
	s_branch .LBB159_965
.LBB159_961:
	s_mov_b64 s[0:1], -1
                                        ; implicit-def: $sgpr64_sgpr65
.LBB159_962:
	s_andn2_b64 vcc, exec, s[0:1]
	s_cbranch_vccnz .LBB159_964
; %bb.963:
	global_load_dword v3, v[1:2], off
	s_andn2_b64 s[0:1], s[64:65], exec
	s_waitcnt vmcnt(0)
	v_cmp_neq_f32_e32 vcc, 0, v3
	s_and_b64 s[56:57], vcc, exec
	s_or_b64 s[64:65], s[0:1], s[56:57]
.LBB159_964:
	s_mov_b64 s[0:1], 0
.LBB159_965:
	s_andn2_b64 vcc, exec, s[0:1]
	s_cbranch_vccnz .LBB159_967
; %bb.966:
	global_load_ushort v3, v[1:2], off
	s_andn2_b64 s[0:1], s[64:65], exec
	s_waitcnt vmcnt(0)
	v_and_b32_e32 v3, 0x7fff, v3
	v_cmp_ne_u16_e32 vcc, 0, v3
	s_and_b64 s[56:57], vcc, exec
	s_or_b64 s[64:65], s[0:1], s[56:57]
.LBB159_967:
	s_mov_b64 s[0:1], 0
.LBB159_968:
	s_andn2_b64 vcc, exec, s[0:1]
	s_cbranch_vccnz .LBB159_988
; %bb.969:
	s_cmp_lt_i32 s60, 2
	s_cbranch_scc1 .LBB159_973
; %bb.970:
	s_cmp_lt_i32 s60, 3
	s_cbranch_scc1 .LBB159_974
; %bb.971:
	s_cmp_gt_i32 s60, 3
	s_cbranch_scc0 .LBB159_975
; %bb.972:
	global_load_dwordx2 v[3:4], v[1:2], off
	s_mov_b64 s[0:1], 0
	s_waitcnt vmcnt(0)
	v_cmp_ne_u64_e64 s[64:65], 0, v[3:4]
	s_branch .LBB159_976
.LBB159_973:
	s_mov_b64 s[0:1], -1
                                        ; implicit-def: $sgpr64_sgpr65
	s_branch .LBB159_982
.LBB159_974:
	s_mov_b64 s[0:1], -1
                                        ; implicit-def: $sgpr64_sgpr65
	s_branch .LBB159_979
.LBB159_975:
	s_mov_b64 s[0:1], -1
                                        ; implicit-def: $sgpr64_sgpr65
.LBB159_976:
	s_andn2_b64 vcc, exec, s[0:1]
	s_cbranch_vccnz .LBB159_978
; %bb.977:
	global_load_dword v3, v[1:2], off
	s_andn2_b64 s[0:1], s[64:65], exec
	s_waitcnt vmcnt(0)
	v_cmp_ne_u32_e32 vcc, 0, v3
	s_and_b64 s[56:57], vcc, exec
	s_or_b64 s[64:65], s[0:1], s[56:57]
.LBB159_978:
	s_mov_b64 s[0:1], 0
.LBB159_979:
	s_andn2_b64 vcc, exec, s[0:1]
	s_cbranch_vccnz .LBB159_981
; %bb.980:
	global_load_ushort v3, v[1:2], off
	s_andn2_b64 s[0:1], s[64:65], exec
	s_waitcnt vmcnt(0)
	v_cmp_ne_u16_e32 vcc, 0, v3
	s_and_b64 s[56:57], vcc, exec
	s_or_b64 s[64:65], s[0:1], s[56:57]
.LBB159_981:
	s_mov_b64 s[0:1], 0
.LBB159_982:
	s_andn2_b64 vcc, exec, s[0:1]
	s_cbranch_vccnz .LBB159_988
; %bb.983:
	s_cmp_gt_i32 s60, 0
	s_cbranch_scc0 .LBB159_985
; %bb.984:
	global_load_ubyte v3, v[1:2], off
	s_mov_b64 s[0:1], 0
	s_waitcnt vmcnt(0)
	v_cmp_ne_u16_e64 s[64:65], 0, v3
	s_branch .LBB159_986
.LBB159_985:
	s_mov_b64 s[0:1], -1
                                        ; implicit-def: $sgpr64_sgpr65
.LBB159_986:
	s_andn2_b64 vcc, exec, s[0:1]
	s_cbranch_vccnz .LBB159_988
; %bb.987:
	global_load_ubyte v1, v[1:2], off
	s_andn2_b64 s[0:1], s[64:65], exec
	s_waitcnt vmcnt(0)
	v_cmp_ne_u16_e32 vcc, 0, v1
	s_and_b64 s[56:57], vcc, exec
	s_or_b64 s[64:65], s[0:1], s[56:57]
.LBB159_988:
	s_mov_b64 s[0:1], -1
.LBB159_989:
	s_mov_b64 s[56:57], 0
	s_andn2_b64 vcc, exec, s[0:1]
	s_mov_b64 s[0:1], s[50:51]
	s_mov_b64 s[66:67], 0
	s_cbranch_vccnz .LBB159_1129
; %bb.990:
	s_cmp_lt_i32 s14, 1
	s_mov_b64 s[0:1], 0
	s_cbranch_scc1 .LBB159_994
; %bb.991:
	s_cmp_gt_i32 s14, 1
	s_cbranch_scc0 .LBB159_995
; %bb.992:
	s_cmp_eq_u32 s14, 2
	s_cbranch_scc0 .LBB159_996
; %bb.993:
	s_xor_b64 s[60:61], s[58:59], -1
	s_or_b64 s[60:61], s[64:65], s[60:61]
	s_mov_b64 s[62:63], 0
	s_branch .LBB159_998
.LBB159_994:
	s_mov_b64 s[66:67], -1
                                        ; implicit-def: $sgpr60_sgpr61
	s_mov_b64 s[62:63], 0
	s_branch .LBB159_1001
.LBB159_995:
	s_mov_b64 s[66:67], -1
	s_mov_b64 s[62:63], 0
	s_branch .LBB159_997
.LBB159_996:
	s_mov_b64 s[62:63], -1
.LBB159_997:
                                        ; implicit-def: $sgpr60_sgpr61
.LBB159_998:
	s_and_b64 vcc, exec, s[66:67]
	s_cbranch_vccz .LBB159_1000
; %bb.999:
	s_xor_b64 s[66:67], s[64:65], -1
	s_and_b64 s[66:67], s[58:59], s[66:67]
	s_andn2_b64 s[60:61], s[60:61], exec
	s_and_b64 s[66:67], s[66:67], exec
	s_or_b64 s[60:61], s[60:61], s[66:67]
.LBB159_1000:
	s_mov_b64 s[66:67], 0
.LBB159_1001:
	s_and_b64 vcc, exec, s[66:67]
	s_cbranch_vccz .LBB159_1012
; %bb.1002:
	s_cmp_lg_u32 s14, 0
	s_mov_b64 s[0:1], -1
	s_cselect_b64 s[62:63], -1, 0
	s_andn2_b64 vcc, exec, s[62:63]
	s_cbranch_vccz .LBB159_1013
.LBB159_1003:
	s_andn2_b64 vcc, exec, s[0:1]
	s_cbranch_vccnz .LBB159_1005
.LBB159_1004:
	s_xor_b64 s[0:1], s[64:65], -1
	s_or_b64 s[0:1], s[58:59], s[0:1]
	s_andn2_b64 s[58:59], s[60:61], exec
	s_and_b64 s[0:1], s[0:1], exec
	s_or_b64 s[60:61], s[58:59], s[0:1]
.LBB159_1005:
	v_mov_b32_e32 v1, s9
	s_and_b32 s66, s15, 0xff
	v_add_co_u32_e32 v0, vcc, s8, v0
	s_cmp_lt_i32 s66, 11
	v_addc_co_u32_e32 v1, vcc, 0, v1, vcc
	s_cbranch_scc1 .LBB159_1014
; %bb.1006:
	s_and_b32 s67, 0xffff, s66
	s_cmp_gt_i32 s67, 25
	s_cbranch_scc0 .LBB159_1015
; %bb.1007:
	s_cmp_gt_i32 s67, 28
	s_cbranch_scc0 .LBB159_1016
; %bb.1008:
	;; [unrolled: 3-line block ×4, first 2 shown]
	s_mov_b64 s[62:63], 0
	s_mov_b64 s[0:1], -1
	s_cmp_eq_u32 s67, 46
	s_mov_b64 s[58:59], 0
	s_cbranch_scc0 .LBB159_1019
; %bb.1011:
	v_cndmask_b32_e64 v2, 0, 1.0, s[60:61]
	v_bfe_u32 v3, v2, 16, 1
	s_movk_i32 s0, 0x7fff
	v_add3_u32 v2, v2, v3, s0
	v_lshrrev_b32_e32 v2, 16, v2
	global_store_dword v[0:1], v2, off
	s_mov_b64 s[58:59], -1
	s_mov_b64 s[0:1], 0
	s_branch .LBB159_1019
.LBB159_1012:
	s_andn2_b64 vcc, exec, s[62:63]
	s_cbranch_vccnz .LBB159_1003
.LBB159_1013:
	s_xor_b64 s[0:1], s[58:59], -1
	s_and_b64 s[62:63], s[64:65], s[0:1]
	s_andn2_b64 s[60:61], s[60:61], exec
	s_and_b64 s[62:63], s[62:63], exec
	s_or_b64 s[60:61], s[60:61], s[62:63]
	s_cbranch_execz .LBB159_1004
	s_branch .LBB159_1005
.LBB159_1014:
	s_mov_b64 s[62:63], -1
	s_mov_b64 s[58:59], 0
	s_mov_b64 s[0:1], s[50:51]
	s_branch .LBB159_1088
.LBB159_1015:
	s_mov_b64 s[62:63], -1
	s_mov_b64 s[58:59], 0
	s_mov_b64 s[0:1], s[50:51]
	s_branch .LBB159_1046
.LBB159_1016:
	s_mov_b64 s[62:63], -1
	s_mov_b64 s[58:59], 0
	s_mov_b64 s[0:1], s[50:51]
	s_branch .LBB159_1029
.LBB159_1017:
	s_mov_b64 s[62:63], -1
	s_mov_b64 s[58:59], 0
	s_mov_b64 s[0:1], s[50:51]
	s_branch .LBB159_1025
.LBB159_1018:
	s_mov_b64 s[62:63], -1
	s_mov_b64 s[58:59], 0
	s_mov_b64 s[0:1], s[50:51]
.LBB159_1019:
	s_and_b64 vcc, exec, s[62:63]
	s_cbranch_vccz .LBB159_1024
; %bb.1020:
	s_cmp_eq_u32 s67, 44
	s_mov_b64 s[0:1], -1
	s_cbranch_scc0 .LBB159_1024
; %bb.1021:
	v_cndmask_b32_e64 v3, 0, 1.0, s[60:61]
	v_lshrrev_b32_e32 v2, 23, v3
	s_movk_i32 s0, 0xff
	v_cmp_ne_u32_e32 vcc, s0, v2
	v_mov_b32_e32 v4, 0xff
	s_and_saveexec_b64 s[58:59], vcc
; %bb.1022:
	s_mov_b32 s0, 0x3fffff
	v_and_b32_e32 v4, 0x400000, v3
	v_and_or_b32 v3, v3, s0, v2
	v_cmp_ne_u32_e32 vcc, 0, v4
	v_cmp_ne_u32_e64 s[0:1], 0, v3
	s_and_b64 s[0:1], vcc, s[0:1]
	v_cndmask_b32_e64 v3, 0, 1, s[0:1]
	v_add_u32_e32 v4, v2, v3
; %bb.1023:
	s_or_b64 exec, exec, s[58:59]
	s_mov_b64 s[58:59], -1
	s_mov_b64 s[0:1], 0
	global_store_byte v[0:1], v4, off
.LBB159_1024:
	s_mov_b64 s[62:63], 0
.LBB159_1025:
	s_and_b64 vcc, exec, s[62:63]
	s_cbranch_vccz .LBB159_1028
; %bb.1026:
	s_cmp_eq_u32 s67, 29
	s_mov_b64 s[0:1], -1
	s_cbranch_scc0 .LBB159_1028
; %bb.1027:
	s_mov_b32 s0, 0
	v_cndmask_b32_e64 v2, 0, 1, s[60:61]
	v_mov_b32_e32 v3, s0
	global_store_dwordx2 v[0:1], v[2:3], off
	s_mov_b64 s[58:59], -1
	s_mov_b64 s[0:1], 0
.LBB159_1028:
	s_mov_b64 s[62:63], 0
.LBB159_1029:
	s_and_b64 vcc, exec, s[62:63]
	s_cbranch_vccz .LBB159_1045
; %bb.1030:
	s_cmp_lt_i32 s67, 27
	s_mov_b64 s[58:59], -1
	s_cbranch_scc1 .LBB159_1036
; %bb.1031:
	s_cmp_gt_i32 s67, 27
	s_cbranch_scc0 .LBB159_1033
; %bb.1032:
	v_cndmask_b32_e64 v2, 0, 1, s[60:61]
	s_mov_b64 s[58:59], 0
	global_store_dword v[0:1], v2, off
.LBB159_1033:
	s_andn2_b64 vcc, exec, s[58:59]
	s_cbranch_vccnz .LBB159_1035
; %bb.1034:
	v_cndmask_b32_e64 v2, 0, 1, s[60:61]
	global_store_short v[0:1], v2, off
.LBB159_1035:
	s_mov_b64 s[58:59], 0
.LBB159_1036:
	s_andn2_b64 vcc, exec, s[58:59]
	s_cbranch_vccnz .LBB159_1044
; %bb.1037:
	v_cndmask_b32_e64 v3, 0, 1.0, s[60:61]
	s_mov_b32 s58, 0x43800000
	v_cmp_gt_u32_e32 vcc, s58, v3
	v_mov_b32_e32 v4, 0x80
	s_and_saveexec_b64 s[58:59], vcc
	s_cbranch_execz .LBB159_1043
; %bb.1038:
	s_mov_b32 s62, 0x3bffffff
	v_cmp_lt_u32_e32 vcc, s62, v3
	s_mov_b64 s[62:63], 0
                                        ; implicit-def: $vgpr2
	s_and_saveexec_b64 s[64:65], vcc
	s_xor_b64 s[64:65], exec, s[64:65]
	s_cbranch_execz .LBB159_1156
; %bb.1039:
	v_bfe_u32 v2, v3, 20, 1
	s_mov_b32 s68, 0x487ffff
	v_add3_u32 v2, v3, v2, s68
	s_mov_b64 s[62:63], exec
	v_lshrrev_b32_e32 v2, 20, v2
                                        ; implicit-def: $vgpr3
	s_andn2_saveexec_b64 s[64:65], s[64:65]
	s_cbranch_execnz .LBB159_1157
.LBB159_1040:
	s_or_b64 exec, exec, s[64:65]
	v_mov_b32_e32 v4, 0
	s_and_saveexec_b64 s[64:65], s[62:63]
.LBB159_1041:
	v_mov_b32_e32 v4, v2
.LBB159_1042:
	s_or_b64 exec, exec, s[64:65]
.LBB159_1043:
	s_or_b64 exec, exec, s[58:59]
	global_store_byte v[0:1], v4, off
.LBB159_1044:
	s_mov_b64 s[58:59], -1
.LBB159_1045:
	s_mov_b64 s[62:63], 0
.LBB159_1046:
	s_and_b64 vcc, exec, s[62:63]
	s_cbranch_vccz .LBB159_1087
; %bb.1047:
	s_cmp_gt_i32 s67, 22
	s_mov_b64 s[62:63], -1
	s_cbranch_scc0 .LBB159_1079
; %bb.1048:
	s_cmp_lt_i32 s67, 24
	s_mov_b64 s[58:59], -1
	s_cbranch_scc1 .LBB159_1068
; %bb.1049:
	s_cmp_gt_i32 s67, 24
	s_cbranch_scc0 .LBB159_1057
; %bb.1050:
	v_cndmask_b32_e64 v3, 0, 1.0, s[60:61]
	s_mov_b32 s58, 0x47800000
	v_cmp_gt_u32_e32 vcc, s58, v3
	v_mov_b32_e32 v4, 0x80
	s_and_saveexec_b64 s[58:59], vcc
	s_cbranch_execz .LBB159_1056
; %bb.1051:
	s_mov_b32 s62, 0x37ffffff
	v_cmp_lt_u32_e32 vcc, s62, v3
	s_mov_b64 s[62:63], 0
                                        ; implicit-def: $vgpr2
	s_and_saveexec_b64 s[64:65], vcc
	s_xor_b64 s[64:65], exec, s[64:65]
	s_cbranch_execz .LBB159_2145
; %bb.1052:
	v_bfe_u32 v2, v3, 21, 1
	s_mov_b32 s68, 0x88fffff
	v_add3_u32 v2, v3, v2, s68
	s_mov_b64 s[62:63], exec
	v_lshrrev_b32_e32 v2, 21, v2
                                        ; implicit-def: $vgpr3
	s_andn2_saveexec_b64 s[64:65], s[64:65]
	s_cbranch_execnz .LBB159_2146
.LBB159_1053:
	s_or_b64 exec, exec, s[64:65]
	v_mov_b32_e32 v4, 0
	s_and_saveexec_b64 s[64:65], s[62:63]
.LBB159_1054:
	v_mov_b32_e32 v4, v2
.LBB159_1055:
	s_or_b64 exec, exec, s[64:65]
.LBB159_1056:
	s_or_b64 exec, exec, s[58:59]
	s_mov_b64 s[58:59], 0
	global_store_byte v[0:1], v4, off
.LBB159_1057:
	s_and_b64 vcc, exec, s[58:59]
	s_cbranch_vccz .LBB159_1067
; %bb.1058:
	v_cndmask_b32_e64 v2, 0, 1.0, s[60:61]
	s_mov_b32 s58, 0x43f00000
	v_cmp_gt_u32_e32 vcc, s58, v2
                                        ; implicit-def: $vgpr3
	s_and_saveexec_b64 s[58:59], vcc
	s_xor_b64 s[58:59], exec, s[58:59]
	s_cbranch_execz .LBB159_1064
; %bb.1059:
	s_mov_b32 s62, 0x3c7fffff
	v_cmp_lt_u32_e32 vcc, s62, v2
                                        ; implicit-def: $vgpr3
	s_and_saveexec_b64 s[62:63], vcc
	s_xor_b64 s[62:63], exec, s[62:63]
; %bb.1060:
	v_bfe_u32 v3, v2, 20, 1
	s_mov_b32 s64, 0x407ffff
	v_add3_u32 v2, v2, v3, s64
	v_lshrrev_b32_e32 v3, 20, v2
	v_and_b32_e32 v2, 0xff00000, v2
	s_mov_b32 s64, 0x7f00000
	v_mov_b32_e32 v4, 0x7e
	v_cmp_ne_u32_e32 vcc, s64, v2
	v_cndmask_b32_e32 v3, v4, v3, vcc
                                        ; implicit-def: $vgpr2
; %bb.1061:
	s_andn2_saveexec_b64 s[62:63], s[62:63]
; %bb.1062:
	v_add_f32_e32 v3, 0x46800000, v2
; %bb.1063:
	s_or_b64 exec, exec, s[62:63]
                                        ; implicit-def: $vgpr2
.LBB159_1064:
	s_andn2_saveexec_b64 s[58:59], s[58:59]
; %bb.1065:
	s_mov_b32 s62, 0x7f800000
	v_mov_b32_e32 v3, 0x7e
	v_mov_b32_e32 v4, 0x7f
	v_cmp_lt_u32_e32 vcc, s62, v2
	v_cndmask_b32_e32 v3, v3, v4, vcc
; %bb.1066:
	s_or_b64 exec, exec, s[58:59]
	global_store_byte v[0:1], v3, off
.LBB159_1067:
	s_mov_b64 s[58:59], 0
.LBB159_1068:
	s_andn2_b64 vcc, exec, s[58:59]
	s_cbranch_vccnz .LBB159_1078
; %bb.1069:
	v_cndmask_b32_e64 v2, 0, 1.0, s[60:61]
	s_mov_b32 s58, 0x47800000
	v_cmp_gt_u32_e32 vcc, s58, v2
                                        ; implicit-def: $vgpr3
	s_and_saveexec_b64 s[58:59], vcc
	s_xor_b64 s[58:59], exec, s[58:59]
	s_cbranch_execz .LBB159_1075
; %bb.1070:
	s_mov_b32 s62, 0x387fffff
	v_cmp_lt_u32_e32 vcc, s62, v2
                                        ; implicit-def: $vgpr3
	s_and_saveexec_b64 s[62:63], vcc
	s_xor_b64 s[62:63], exec, s[62:63]
; %bb.1071:
	v_bfe_u32 v3, v2, 21, 1
	s_mov_b32 s64, 0x80fffff
	v_add3_u32 v2, v2, v3, s64
	v_lshrrev_b32_e32 v3, 21, v2
                                        ; implicit-def: $vgpr2
; %bb.1072:
	s_andn2_saveexec_b64 s[62:63], s[62:63]
; %bb.1073:
	v_add_f32_e32 v3, 0x43000000, v2
; %bb.1074:
	s_or_b64 exec, exec, s[62:63]
                                        ; implicit-def: $vgpr2
.LBB159_1075:
	s_andn2_saveexec_b64 s[58:59], s[58:59]
; %bb.1076:
	s_mov_b32 s62, 0x7f800000
	v_mov_b32_e32 v3, 0x7c
	v_mov_b32_e32 v4, 0x7f
	v_cmp_lt_u32_e32 vcc, s62, v2
	v_cndmask_b32_e32 v3, v3, v4, vcc
; %bb.1077:
	s_or_b64 exec, exec, s[58:59]
	global_store_byte v[0:1], v3, off
.LBB159_1078:
	s_mov_b64 s[62:63], 0
	s_mov_b64 s[58:59], -1
.LBB159_1079:
	s_andn2_b64 vcc, exec, s[62:63]
	s_cbranch_vccnz .LBB159_1087
; %bb.1080:
	s_cmp_gt_i32 s67, 14
	s_mov_b64 s[62:63], -1
	s_cbranch_scc0 .LBB159_1084
; %bb.1081:
	s_cmp_eq_u32 s67, 15
	s_mov_b64 s[0:1], -1
	s_cbranch_scc0 .LBB159_1083
; %bb.1082:
	v_cndmask_b32_e64 v2, 0, 1.0, s[60:61]
	v_bfe_u32 v3, v2, 16, 1
	s_movk_i32 s0, 0x7fff
	v_add3_u32 v2, v2, v3, s0
	global_store_short_d16_hi v[0:1], v2, off
	s_mov_b64 s[58:59], -1
	s_mov_b64 s[0:1], 0
.LBB159_1083:
	s_mov_b64 s[62:63], 0
.LBB159_1084:
	s_and_b64 vcc, exec, s[62:63]
	s_cbranch_vccz .LBB159_1087
; %bb.1085:
	s_cmp_eq_u32 s67, 11
	s_mov_b64 s[0:1], -1
	s_cbranch_scc0 .LBB159_1087
; %bb.1086:
	v_cndmask_b32_e64 v2, 0, 1, s[60:61]
	s_mov_b64 s[58:59], -1
	s_mov_b64 s[0:1], 0
	global_store_byte v[0:1], v2, off
.LBB159_1087:
	s_mov_b64 s[62:63], 0
.LBB159_1088:
	s_and_b64 vcc, exec, s[62:63]
	s_cbranch_vccz .LBB159_1127
; %bb.1089:
	s_and_b32 s62, 0xffff, s66
	s_cmp_lt_i32 s62, 5
	s_mov_b64 s[58:59], -1
	s_cbranch_scc1 .LBB159_1110
; %bb.1090:
	s_cmp_lt_i32 s62, 8
	s_cbranch_scc1 .LBB159_1100
; %bb.1091:
	s_cmp_lt_i32 s62, 9
	s_cbranch_scc1 .LBB159_1097
; %bb.1092:
	s_cmp_gt_i32 s62, 9
	s_cbranch_scc0 .LBB159_1094
; %bb.1093:
	v_cndmask_b32_e64 v2, 0, 1, s[60:61]
	v_cvt_f64_u32_e32 v[2:3], v2
	v_mov_b32_e32 v4, 0
	v_mov_b32_e32 v5, v4
	s_mov_b64 s[58:59], 0
	global_store_dwordx4 v[0:1], v[2:5], off
.LBB159_1094:
	s_andn2_b64 vcc, exec, s[58:59]
	s_cbranch_vccnz .LBB159_1096
; %bb.1095:
	v_cndmask_b32_e64 v2, 0, 1.0, s[60:61]
	v_mov_b32_e32 v3, 0
	global_store_dwordx2 v[0:1], v[2:3], off
.LBB159_1096:
	s_mov_b64 s[58:59], 0
.LBB159_1097:
	s_andn2_b64 vcc, exec, s[58:59]
	s_cbranch_vccnz .LBB159_1099
; %bb.1098:
	v_cndmask_b32_e64 v2, 0, 1.0, s[60:61]
	v_cvt_f16_f32_e32 v2, v2
	global_store_dword v[0:1], v2, off
.LBB159_1099:
	s_mov_b64 s[58:59], 0
.LBB159_1100:
	s_andn2_b64 vcc, exec, s[58:59]
	s_cbranch_vccnz .LBB159_1109
; %bb.1101:
	s_cmp_lt_i32 s62, 6
	s_mov_b64 s[58:59], -1
	s_cbranch_scc1 .LBB159_1107
; %bb.1102:
	s_cmp_gt_i32 s62, 6
	s_cbranch_scc0 .LBB159_1104
; %bb.1103:
	v_cndmask_b32_e64 v2, 0, 1, s[60:61]
	v_cvt_f64_u32_e32 v[2:3], v2
	s_mov_b64 s[58:59], 0
	global_store_dwordx2 v[0:1], v[2:3], off
.LBB159_1104:
	s_andn2_b64 vcc, exec, s[58:59]
	s_cbranch_vccnz .LBB159_1106
; %bb.1105:
	v_cndmask_b32_e64 v2, 0, 1.0, s[60:61]
	global_store_dword v[0:1], v2, off
.LBB159_1106:
	s_mov_b64 s[58:59], 0
.LBB159_1107:
	s_andn2_b64 vcc, exec, s[58:59]
	s_cbranch_vccnz .LBB159_1109
; %bb.1108:
	v_cndmask_b32_e64 v2, 0, 1.0, s[60:61]
	v_cvt_f16_f32_e32 v2, v2
	global_store_short v[0:1], v2, off
.LBB159_1109:
	s_mov_b64 s[58:59], 0
.LBB159_1110:
	s_andn2_b64 vcc, exec, s[58:59]
	s_cbranch_vccnz .LBB159_1126
; %bb.1111:
	s_cmp_lt_i32 s62, 2
	s_mov_b64 s[58:59], -1
	s_cbranch_scc1 .LBB159_1121
; %bb.1112:
	s_cmp_lt_i32 s62, 3
	s_cbranch_scc1 .LBB159_1118
; %bb.1113:
	s_cmp_gt_i32 s62, 3
	s_cbranch_scc0 .LBB159_1115
; %bb.1114:
	s_mov_b32 s58, 0
	v_cndmask_b32_e64 v2, 0, 1, s[60:61]
	v_mov_b32_e32 v3, s58
	s_mov_b64 s[58:59], 0
	global_store_dwordx2 v[0:1], v[2:3], off
.LBB159_1115:
	s_andn2_b64 vcc, exec, s[58:59]
	s_cbranch_vccnz .LBB159_1117
; %bb.1116:
	v_cndmask_b32_e64 v2, 0, 1, s[60:61]
	global_store_dword v[0:1], v2, off
.LBB159_1117:
	s_mov_b64 s[58:59], 0
.LBB159_1118:
	s_andn2_b64 vcc, exec, s[58:59]
	s_cbranch_vccnz .LBB159_1120
; %bb.1119:
	v_cndmask_b32_e64 v2, 0, 1, s[60:61]
	global_store_short v[0:1], v2, off
.LBB159_1120:
	s_mov_b64 s[58:59], 0
.LBB159_1121:
	s_andn2_b64 vcc, exec, s[58:59]
	s_cbranch_vccnz .LBB159_1126
; %bb.1122:
	s_mov_b64 s[58:59], -1
	s_cmp_gt_i32 s62, 0
	v_cndmask_b32_e64 v2, 0, 1, s[60:61]
	s_cbranch_scc0 .LBB159_1124
; %bb.1123:
	s_mov_b64 s[58:59], 0
	global_store_byte v[0:1], v2, off
.LBB159_1124:
	s_andn2_b64 vcc, exec, s[58:59]
	s_cbranch_vccnz .LBB159_1126
; %bb.1125:
	global_store_byte v[0:1], v2, off
.LBB159_1126:
	s_mov_b64 s[58:59], -1
.LBB159_1127:
	s_mov_b64 s[62:63], 0
	s_andn2_b64 vcc, exec, s[58:59]
	s_mov_b64 s[66:67], 0
	s_cbranch_vccnz .LBB159_1129
; %bb.1128:
	v_add_u32_e32 v8, 0x80, v8
	s_mov_b64 s[66:67], -1
.LBB159_1129:
	s_andn2_b64 s[58:59], s[50:51], exec
	s_and_b64 s[0:1], s[0:1], exec
	s_or_b64 s[60:61], s[58:59], s[0:1]
	s_andn2_b64 s[0:1], s[48:49], exec
	s_and_b64 s[58:59], s[62:63], exec
	s_or_b64 s[58:59], s[0:1], s[58:59]
	;; [unrolled: 3-line block ×3, first 2 shown]
	s_orn2_b64 s[68:69], s[66:67], exec
.LBB159_1130:
	s_or_b64 exec, exec, s[54:55]
	s_mov_b64 s[62:63], 0
	s_mov_b64 s[64:65], 0
	;; [unrolled: 1-line block ×3, first 2 shown]
                                        ; implicit-def: $sgpr54_sgpr55
                                        ; implicit-def: $sgpr76
                                        ; implicit-def: $vgpr3_vgpr4
                                        ; implicit-def: $vgpr0
                                        ; implicit-def: $vgpr2
	s_and_saveexec_b64 s[56:57], s[68:69]
	s_cbranch_execz .LBB159_1206
; %bb.1131:
	v_cmp_gt_i32_e32 vcc, s70, v8
	s_mov_b64 s[68:69], 0
	s_mov_b64 s[70:71], s[0:1]
                                        ; implicit-def: $sgpr54_sgpr55
                                        ; implicit-def: $sgpr76
                                        ; implicit-def: $vgpr3_vgpr4
                                        ; implicit-def: $vgpr0
                                        ; implicit-def: $vgpr2
	s_and_saveexec_b64 s[62:63], vcc
	s_cbranch_execz .LBB159_1205
; %bb.1132:
	s_andn2_b64 vcc, exec, s[24:25]
	s_cbranch_vccnz .LBB159_1138
; %bb.1133:
	s_andn2_b64 vcc, exec, s[36:37]
	s_cbranch_vccnz .LBB159_1139
; %bb.1134:
	s_add_i32 s36, s75, 1
	s_and_b32 s54, s36, 30
	s_add_u32 s36, s2, 0xffffffe8
	s_addc_u32 s37, s3, -1
	v_mov_b32_e32 v2, 0
	v_mov_b32_e32 v4, 0
	;; [unrolled: 1-line block ×4, first 2 shown]
.LBB159_1135:                           ; =>This Inner Loop Header: Depth=1
	s_load_dwordx4 s[64:67], s[36:37], 0x1c
	s_load_dwordx2 s[76:77], s[36:37], 0x2c
	s_load_dwordx2 s[78:79], s[36:37], 0xec
	s_load_dwordx4 s[68:71], s[36:37], 0xdc
	s_add_u32 s36, s36, 24
	s_waitcnt lgkmcnt(0)
	v_mul_hi_u32 v3, s65, v1
	s_addc_u32 s37, s37, 0
	s_add_i32 s54, s54, -2
	s_cmp_eq_u32 s54, 0
	v_add_u32_e32 v3, v1, v3
	v_lshrrev_b32_e32 v3, s66, v3
	v_mul_lo_u32 v5, v3, s64
	v_mul_hi_u32 v6, s76, v3
	v_sub_u32_e32 v5, v1, v5
	v_add_u32_e32 v1, v3, v6
	v_lshrrev_b32_e32 v1, s77, v1
	v_mul_lo_u32 v9, v1, s67
	v_mul_lo_u32 v6, v5, s68
	;; [unrolled: 1-line block ×4, first 2 shown]
	v_sub_u32_e32 v3, v3, v9
	v_mul_lo_u32 v9, v3, s71
	v_mul_lo_u32 v10, v3, s78
	;; [unrolled: 1-line block ×3, first 2 shown]
	v_add3_u32 v0, v6, v0, v9
	v_add3_u32 v4, v7, v4, v10
	;; [unrolled: 1-line block ×3, first 2 shown]
	s_cbranch_scc0 .LBB159_1135
; %bb.1136:
	s_bitcmp1_b32 s75, 0
	s_cselect_b64 s[54:55], -1, 0
	s_and_b64 vcc, exec, s[54:55]
	s_cbranch_vccnz .LBB159_1140
; %bb.1137:
	s_load_dwordx2 s[54:55], s[36:37], 0x1c
	s_load_dword s66, s[36:37], 0x24
	s_load_dwordx2 s[64:65], s[36:37], 0xdc
	s_waitcnt lgkmcnt(0)
	v_mul_hi_u32 v3, s55, v1
	v_add_u32_e32 v3, v1, v3
	v_lshrrev_b32_e32 v3, s66, v3
	v_mul_lo_u32 v3, v3, s54
	s_load_dword s54, s[36:37], 0xe4
	v_sub_u32_e32 v3, v1, v3
	v_mad_u64_u32 v[0:1], s[36:37], v3, s64, v[0:1]
	v_mad_u64_u32 v[4:5], s[36:37], v3, s65, v[4:5]
	s_waitcnt lgkmcnt(0)
	v_mad_u64_u32 v[2:3], s[36:37], v3, s54, v[2:3]
	s_branch .LBB159_1140
.LBB159_1138:
	s_mov_b64 s[36:37], -1
                                        ; implicit-def: $vgpr0
                                        ; implicit-def: $vgpr4
                                        ; implicit-def: $vgpr2
	s_branch .LBB159_1141
.LBB159_1139:
	v_mov_b32_e32 v0, 0
	v_mov_b32_e32 v4, 0
	;; [unrolled: 1-line block ×3, first 2 shown]
.LBB159_1140:
	s_mov_b64 s[36:37], 0
.LBB159_1141:
	s_andn2_b64 vcc, exec, s[36:37]
	s_cbranch_vccnz .LBB159_1144
; %bb.1142:
	v_mul_hi_u32 v0, s17, v8
	s_andn2_b64 vcc, exec, s[34:35]
	v_add_u32_e32 v0, v8, v0
	v_lshrrev_b32_e32 v1, s18, v0
	v_mul_lo_u32 v0, v1, s16
	v_sub_u32_e32 v2, v8, v0
	v_mul_lo_u32 v0, v2, s20
	v_mul_lo_u32 v4, v2, s21
	;; [unrolled: 1-line block ×3, first 2 shown]
	s_cbranch_vccnz .LBB159_1144
; %bb.1143:
	v_mul_hi_u32 v3, s30, v1
	v_add_u32_e32 v3, v1, v3
	v_lshrrev_b32_e32 v3, s31, v3
	v_mul_lo_u32 v3, v3, s19
	v_sub_u32_e32 v3, v1, v3
	v_mad_u64_u32 v[0:1], s[16:17], v3, s23, v[0:1]
	v_mad_u64_u32 v[4:5], s[16:17], v3, s28, v[4:5]
	;; [unrolled: 1-line block ×3, first 2 shown]
.LBB159_1144:
	v_mov_b32_e32 v1, s11
	s_and_b32 s76, s74, 0xff
	v_add_co_u32_e32 v3, vcc, s10, v4
	s_cmp_lt_i32 s76, 11
	v_addc_co_u32_e32 v4, vcc, 0, v1, vcc
	s_cbranch_scc1 .LBB159_1151
; %bb.1145:
	s_and_b32 s22, 0xffff, s76
	s_cmp_gt_i32 s22, 25
	s_mov_b64 s[16:17], 0
	s_cbranch_scc0 .LBB159_1152
; %bb.1146:
	s_cmp_gt_i32 s22, 28
	s_cbranch_scc0 .LBB159_1153
; %bb.1147:
	s_cmp_gt_i32 s22, 43
	;; [unrolled: 3-line block ×3, first 2 shown]
	s_cbranch_scc0 .LBB159_1155
; %bb.1149:
	s_cmp_eq_u32 s22, 46
	s_mov_b64 s[20:21], 0
	s_cbranch_scc0 .LBB159_1158
; %bb.1150:
	global_load_dword v1, v[3:4], off
	s_mov_b64 s[10:11], 0
	s_mov_b64 s[18:19], -1
	s_waitcnt vmcnt(0)
	v_and_b32_e32 v1, 0x7fff7fff, v1
	v_cmp_ne_u32_e64 s[54:55], 0, v1
	s_branch .LBB159_1159
.LBB159_1151:
	s_mov_b64 s[20:21], -1
	s_mov_b64 s[18:19], 0
	s_mov_b64 s[16:17], 0
	;; [unrolled: 1-line block ×3, first 2 shown]
                                        ; implicit-def: $sgpr54_sgpr55
	s_branch .LBB159_1204
.LBB159_1152:
	s_mov_b64 s[20:21], -1
	s_mov_b64 s[18:19], 0
	s_mov_b64 s[10:11], s[0:1]
                                        ; implicit-def: $sgpr54_sgpr55
	s_branch .LBB159_1180
.LBB159_1153:
	s_mov_b64 s[20:21], -1
	s_mov_b64 s[18:19], 0
	s_mov_b64 s[10:11], s[0:1]
                                        ; implicit-def: $sgpr54_sgpr55
	s_branch .LBB159_1167
.LBB159_1154:
	s_mov_b64 s[20:21], -1
	s_mov_b64 s[18:19], 0
	s_mov_b64 s[10:11], s[0:1]
                                        ; implicit-def: $sgpr54_sgpr55
	s_branch .LBB159_1162
.LBB159_1155:
	s_mov_b64 s[20:21], -1
	s_mov_b64 s[18:19], 0
	s_mov_b64 s[10:11], s[0:1]
                                        ; implicit-def: $sgpr54_sgpr55
	s_branch .LBB159_1159
.LBB159_1156:
	s_andn2_saveexec_b64 s[64:65], s[64:65]
	s_cbranch_execz .LBB159_1040
.LBB159_1157:
	v_add_f32_e32 v2, 0x46000000, v3
	v_and_b32_e32 v2, 0xff, v2
	v_cmp_ne_u32_e32 vcc, 0, v2
	s_andn2_b64 s[62:63], s[62:63], exec
	s_and_b64 s[68:69], vcc, exec
	s_or_b64 s[62:63], s[62:63], s[68:69]
	s_or_b64 exec, exec, s[64:65]
	v_mov_b32_e32 v4, 0
	s_and_saveexec_b64 s[64:65], s[62:63]
	s_cbranch_execnz .LBB159_1041
	s_branch .LBB159_1042
.LBB159_1158:
	s_mov_b64 s[10:11], -1
                                        ; implicit-def: $sgpr54_sgpr55
	s_mov_b64 s[18:19], 0
.LBB159_1159:
	s_and_b64 vcc, exec, s[20:21]
	s_cbranch_vccz .LBB159_1161
; %bb.1160:
	s_cmp_lg_u32 s22, 44
	s_cselect_b64 s[20:21], -1, 0
	s_andn2_b64 s[10:11], s[10:11], exec
	s_and_b64 s[20:21], s[20:21], exec
	s_mov_b64 s[18:19], -1
	s_or_b64 s[54:55], s[54:55], exec
	s_or_b64 s[10:11], s[10:11], s[20:21]
.LBB159_1161:
	s_mov_b64 s[20:21], 0
.LBB159_1162:
	s_and_b64 vcc, exec, s[20:21]
	s_cbranch_vccz .LBB159_1166
; %bb.1163:
	s_cmp_eq_u32 s22, 29
	s_cbranch_scc0 .LBB159_1165
; %bb.1164:
	global_load_dwordx2 v[5:6], v[3:4], off
	s_mov_b64 s[10:11], 0
	s_mov_b64 s[18:19], -1
	s_mov_b64 s[20:21], 0
	s_waitcnt vmcnt(0)
	v_cmp_ne_u64_e64 s[54:55], 0, v[5:6]
	s_branch .LBB159_1167
.LBB159_1165:
	s_mov_b64 s[10:11], -1
                                        ; implicit-def: $sgpr54_sgpr55
.LBB159_1166:
	s_mov_b64 s[20:21], 0
.LBB159_1167:
	s_and_b64 vcc, exec, s[20:21]
	s_cbranch_vccz .LBB159_1179
; %bb.1168:
	s_cmp_lt_i32 s22, 27
	s_cbranch_scc1 .LBB159_1171
; %bb.1169:
	s_cmp_gt_i32 s22, 27
	s_cbranch_scc0 .LBB159_1172
; %bb.1170:
	global_load_dword v1, v[3:4], off
	s_mov_b64 s[18:19], 0
	s_waitcnt vmcnt(0)
	v_cmp_ne_u32_e64 s[54:55], 0, v1
	s_branch .LBB159_1173
.LBB159_1171:
	s_mov_b64 s[18:19], -1
                                        ; implicit-def: $sgpr54_sgpr55
	s_branch .LBB159_1176
.LBB159_1172:
	s_mov_b64 s[18:19], -1
                                        ; implicit-def: $sgpr54_sgpr55
.LBB159_1173:
	s_andn2_b64 vcc, exec, s[18:19]
	s_cbranch_vccnz .LBB159_1175
; %bb.1174:
	global_load_ushort v1, v[3:4], off
	s_andn2_b64 s[18:19], s[54:55], exec
	s_waitcnt vmcnt(0)
	v_cmp_ne_u16_e32 vcc, 0, v1
	s_and_b64 s[20:21], vcc, exec
	s_or_b64 s[54:55], s[18:19], s[20:21]
.LBB159_1175:
	s_mov_b64 s[18:19], 0
.LBB159_1176:
	s_andn2_b64 vcc, exec, s[18:19]
	s_cbranch_vccnz .LBB159_1178
; %bb.1177:
	global_load_ubyte v1, v[3:4], off
	s_andn2_b64 s[18:19], s[54:55], exec
	s_waitcnt vmcnt(0)
	v_cmp_ne_u16_e32 vcc, 0, v1
	s_and_b64 s[20:21], vcc, exec
	s_or_b64 s[54:55], s[18:19], s[20:21]
.LBB159_1178:
	s_mov_b64 s[18:19], -1
.LBB159_1179:
	s_mov_b64 s[20:21], 0
.LBB159_1180:
	s_and_b64 vcc, exec, s[20:21]
	s_cbranch_vccz .LBB159_1203
; %bb.1181:
	s_cmp_gt_i32 s22, 22
	s_cbranch_scc0 .LBB159_1185
; %bb.1182:
	s_cmp_lt_i32 s22, 24
	s_cbranch_scc1 .LBB159_1186
; %bb.1183:
	s_cmp_gt_i32 s22, 24
	s_cbranch_scc0 .LBB159_1187
; %bb.1184:
	global_load_ubyte v1, v[3:4], off
	s_waitcnt vmcnt(0)
	v_cmp_ne_u16_e64 s[54:55], 0, v1
	s_branch .LBB159_1188
.LBB159_1185:
	s_mov_b64 s[16:17], -1
                                        ; implicit-def: $sgpr54_sgpr55
	s_branch .LBB159_1194
.LBB159_1186:
	s_mov_b64 s[16:17], -1
                                        ; implicit-def: $sgpr54_sgpr55
	s_branch .LBB159_1191
.LBB159_1187:
	s_mov_b64 s[16:17], -1
                                        ; implicit-def: $sgpr54_sgpr55
.LBB159_1188:
	s_andn2_b64 vcc, exec, s[16:17]
	s_cbranch_vccnz .LBB159_1190
; %bb.1189:
	global_load_ubyte v1, v[3:4], off
	s_andn2_b64 s[16:17], s[54:55], exec
	s_waitcnt vmcnt(0)
	v_and_b32_e32 v1, 0x7f, v1
	v_cmp_ne_u16_e32 vcc, 0, v1
	s_and_b64 s[18:19], vcc, exec
	s_or_b64 s[54:55], s[16:17], s[18:19]
.LBB159_1190:
	s_mov_b64 s[16:17], 0
.LBB159_1191:
	s_andn2_b64 vcc, exec, s[16:17]
	s_cbranch_vccnz .LBB159_1193
; %bb.1192:
	global_load_ubyte v1, v[3:4], off
	s_movk_i32 s16, 0x7f00
	s_brev_b32 s17, 16
	s_waitcnt vmcnt(0)
	v_lshlrev_b32_e32 v5, 8, v1
	v_lshlrev_b32_e32 v1, 25, v1
	v_lshrrev_b32_e32 v6, 4, v1
	v_and_or_b32 v5, v5, s16, 0.5
	v_or_b32_e32 v6, 0x70000000, v6
	v_add_f32_e32 v5, -0.5, v5
	v_mul_f32_e32 v6, 0x7800000, v6
	v_cmp_gt_u32_e32 vcc, s17, v1
	v_cndmask_b32_e32 v1, v6, v5, vcc
	v_cmp_neq_f32_e32 vcc, 0, v1
	s_andn2_b64 s[16:17], s[54:55], exec
	s_and_b64 s[18:19], vcc, exec
	s_or_b64 s[54:55], s[16:17], s[18:19]
.LBB159_1193:
	s_mov_b64 s[16:17], 0
	s_mov_b64 s[18:19], -1
.LBB159_1194:
	s_andn2_b64 vcc, exec, s[16:17]
	s_mov_b64 s[16:17], 0
	s_cbranch_vccnz .LBB159_1203
; %bb.1195:
	s_cmp_gt_i32 s22, 14
	s_cbranch_scc0 .LBB159_1198
; %bb.1196:
	s_cmp_eq_u32 s22, 15
	s_cbranch_scc0 .LBB159_1199
; %bb.1197:
	global_load_ushort v1, v[3:4], off
	s_mov_b64 s[10:11], 0
	s_mov_b64 s[18:19], -1
	s_waitcnt vmcnt(0)
	v_and_b32_e32 v1, 0x7fff, v1
	v_cmp_ne_u16_e64 s[54:55], 0, v1
	s_branch .LBB159_1200
.LBB159_1198:
	s_mov_b64 s[20:21], -1
                                        ; implicit-def: $sgpr54_sgpr55
	s_branch .LBB159_1201
.LBB159_1199:
	s_mov_b64 s[10:11], -1
                                        ; implicit-def: $sgpr54_sgpr55
.LBB159_1200:
	s_mov_b64 s[20:21], 0
.LBB159_1201:
	s_and_b64 vcc, exec, s[20:21]
	s_cbranch_vccz .LBB159_1203
; %bb.1202:
	s_cmp_lg_u32 s22, 11
	s_cselect_b64 s[20:21], -1, 0
	s_andn2_b64 s[10:11], s[10:11], exec
	s_and_b64 s[20:21], s[20:21], exec
	s_mov_b64 s[16:17], -1
	s_or_b64 s[10:11], s[10:11], s[20:21]
.LBB159_1203:
	s_mov_b64 s[20:21], 0
.LBB159_1204:
	s_and_b64 s[68:69], s[16:17], exec
	s_andn2_b64 s[16:17], s[0:1], exec
	s_and_b64 s[10:11], s[10:11], exec
	s_and_b64 s[66:67], s[18:19], exec
	;; [unrolled: 1-line block ×3, first 2 shown]
	s_or_b64 s[70:71], s[16:17], s[10:11]
.LBB159_1205:
	s_or_b64 exec, exec, s[62:63]
	s_andn2_b64 s[0:1], s[0:1], exec
	s_and_b64 s[10:11], s[70:71], exec
	s_and_b64 s[66:67], s[66:67], exec
	;; [unrolled: 1-line block ×4, first 2 shown]
	s_or_b64 s[0:1], s[0:1], s[10:11]
.LBB159_1206:
	s_or_b64 exec, exec, s[56:57]
	s_andn2_b64 s[10:11], s[50:51], exec
	s_and_b64 s[16:17], s[60:61], exec
	s_or_b64 s[50:51], s[10:11], s[16:17]
	s_andn2_b64 s[10:11], s[48:49], exec
	s_and_b64 s[16:17], s[58:59], exec
	s_or_b64 s[48:49], s[10:11], s[16:17]
	s_andn2_b64 s[10:11], s[46:47], exec
	s_and_b64 s[0:1], s[0:1], exec
	s_and_b64 s[60:61], s[66:67], exec
	s_and_b64 s[58:59], s[64:65], exec
	s_and_b64 s[56:57], s[62:63], exec
	s_or_b64 s[46:47], s[10:11], s[0:1]
.LBB159_1207:
	s_or_b64 exec, exec, s[52:53]
	s_andn2_b64 s[0:1], s[38:39], exec
	s_and_b64 s[10:11], s[50:51], exec
	s_or_b64 s[38:39], s[0:1], s[10:11]
	s_andn2_b64 s[0:1], s[40:41], exec
	s_and_b64 s[10:11], s[48:49], exec
	s_or_b64 s[40:41], s[0:1], s[10:11]
	s_andn2_b64 s[10:11], s[42:43], exec
	s_and_b64 s[16:17], s[46:47], exec
	s_and_b64 s[50:51], s[60:61], exec
	;; [unrolled: 1-line block ×4, first 2 shown]
	s_or_b64 s[42:43], s[10:11], s[16:17]
	s_or_b64 exec, exec, s[44:45]
	s_mov_b64 s[10:11], 0
	s_and_saveexec_b64 s[16:17], s[42:43]
	s_cbranch_execz .LBB159_380
.LBB159_1208:
	s_mov_b64 s[10:11], exec
	s_andn2_b64 s[50:51], s[50:51], exec
	s_andn2_b64 s[48:49], s[48:49], exec
	s_trap 2
	s_or_b64 exec, exec, s[16:17]
	s_and_saveexec_b64 s[16:17], s[48:49]
	s_xor_b64 s[16:17], exec, s[16:17]
	s_cbranch_execnz .LBB159_381
.LBB159_1209:
	s_or_b64 exec, exec, s[16:17]
	s_and_saveexec_b64 s[16:17], s[0:1]
	s_cbranch_execz .LBB159_1255
.LBB159_1210:
	s_sext_i32_i16 s0, s76
	s_cmp_lt_i32 s0, 5
	s_cbranch_scc1 .LBB159_1215
; %bb.1211:
	s_cmp_lt_i32 s0, 8
	s_cbranch_scc1 .LBB159_1216
; %bb.1212:
	;; [unrolled: 3-line block ×3, first 2 shown]
	s_cmp_gt_i32 s0, 9
	s_cbranch_scc0 .LBB159_1218
; %bb.1214:
	global_load_dwordx4 v[5:8], v[3:4], off
	s_mov_b64 s[18:19], 0
	s_waitcnt vmcnt(0)
	v_cmp_neq_f64_e32 vcc, 0, v[5:6]
	v_cmp_neq_f64_e64 s[0:1], 0, v[7:8]
	s_or_b64 s[0:1], vcc, s[0:1]
	s_branch .LBB159_1219
.LBB159_1215:
                                        ; implicit-def: $sgpr0_sgpr1
	s_branch .LBB159_1236
.LBB159_1216:
                                        ; implicit-def: $sgpr0_sgpr1
	s_branch .LBB159_1225
.LBB159_1217:
	s_mov_b64 s[18:19], -1
                                        ; implicit-def: $sgpr0_sgpr1
	s_branch .LBB159_1222
.LBB159_1218:
	s_mov_b64 s[18:19], -1
                                        ; implicit-def: $sgpr0_sgpr1
.LBB159_1219:
	s_andn2_b64 vcc, exec, s[18:19]
	s_cbranch_vccnz .LBB159_1221
; %bb.1220:
	global_load_dwordx2 v[5:6], v[3:4], off
	s_andn2_b64 s[0:1], s[0:1], exec
	s_waitcnt vmcnt(0)
	v_or_b32_e32 v1, v5, v6
	v_and_b32_e32 v1, 0x7fffffff, v1
	v_cmp_ne_u32_e32 vcc, 0, v1
	s_and_b64 s[18:19], vcc, exec
	s_or_b64 s[0:1], s[0:1], s[18:19]
.LBB159_1221:
	s_mov_b64 s[18:19], 0
.LBB159_1222:
	s_andn2_b64 vcc, exec, s[18:19]
	s_cbranch_vccnz .LBB159_1224
; %bb.1223:
	global_load_dword v1, v[3:4], off
	s_andn2_b64 s[0:1], s[0:1], exec
	s_waitcnt vmcnt(0)
	v_and_b32_e32 v1, 0x7fff7fff, v1
	v_cmp_ne_u32_e32 vcc, 0, v1
	s_and_b64 s[18:19], vcc, exec
	s_or_b64 s[0:1], s[0:1], s[18:19]
.LBB159_1224:
	s_cbranch_execnz .LBB159_1235
.LBB159_1225:
	s_sext_i32_i16 s0, s76
	s_cmp_lt_i32 s0, 6
	s_cbranch_scc1 .LBB159_1228
; %bb.1226:
	s_cmp_gt_i32 s0, 6
	s_cbranch_scc0 .LBB159_1229
; %bb.1227:
	global_load_dwordx2 v[5:6], v[3:4], off
	s_mov_b64 s[18:19], 0
	s_waitcnt vmcnt(0)
	v_cmp_neq_f64_e64 s[0:1], 0, v[5:6]
	s_branch .LBB159_1230
.LBB159_1228:
	s_mov_b64 s[18:19], -1
                                        ; implicit-def: $sgpr0_sgpr1
	s_branch .LBB159_1233
.LBB159_1229:
	s_mov_b64 s[18:19], -1
                                        ; implicit-def: $sgpr0_sgpr1
.LBB159_1230:
	s_andn2_b64 vcc, exec, s[18:19]
	s_cbranch_vccnz .LBB159_1232
; %bb.1231:
	global_load_dword v1, v[3:4], off
	s_andn2_b64 s[0:1], s[0:1], exec
	s_waitcnt vmcnt(0)
	v_cmp_neq_f32_e32 vcc, 0, v1
	s_and_b64 s[18:19], vcc, exec
	s_or_b64 s[0:1], s[0:1], s[18:19]
.LBB159_1232:
	s_mov_b64 s[18:19], 0
.LBB159_1233:
	s_andn2_b64 vcc, exec, s[18:19]
	s_cbranch_vccnz .LBB159_1235
; %bb.1234:
	global_load_ushort v1, v[3:4], off
	s_andn2_b64 s[0:1], s[0:1], exec
	s_waitcnt vmcnt(0)
	v_and_b32_e32 v1, 0x7fff, v1
	v_cmp_ne_u16_e32 vcc, 0, v1
	s_and_b64 s[18:19], vcc, exec
	s_or_b64 s[0:1], s[0:1], s[18:19]
.LBB159_1235:
	s_cbranch_execnz .LBB159_1254
.LBB159_1236:
	s_sext_i32_i16 s0, s76
	s_cmp_lt_i32 s0, 2
	s_cbranch_scc1 .LBB159_1240
; %bb.1237:
	s_cmp_lt_i32 s0, 3
	s_cbranch_scc1 .LBB159_1241
; %bb.1238:
	s_cmp_gt_i32 s0, 3
	s_cbranch_scc0 .LBB159_1242
; %bb.1239:
	global_load_dwordx2 v[5:6], v[3:4], off
	s_mov_b64 s[18:19], 0
	s_waitcnt vmcnt(0)
	v_cmp_ne_u64_e64 s[0:1], 0, v[5:6]
	s_branch .LBB159_1243
.LBB159_1240:
                                        ; implicit-def: $sgpr0_sgpr1
	s_branch .LBB159_1249
.LBB159_1241:
	s_mov_b64 s[18:19], -1
                                        ; implicit-def: $sgpr0_sgpr1
	s_branch .LBB159_1246
.LBB159_1242:
	s_mov_b64 s[18:19], -1
                                        ; implicit-def: $sgpr0_sgpr1
.LBB159_1243:
	s_andn2_b64 vcc, exec, s[18:19]
	s_cbranch_vccnz .LBB159_1245
; %bb.1244:
	global_load_dword v1, v[3:4], off
	s_andn2_b64 s[0:1], s[0:1], exec
	s_waitcnt vmcnt(0)
	v_cmp_ne_u32_e32 vcc, 0, v1
	s_and_b64 s[18:19], vcc, exec
	s_or_b64 s[0:1], s[0:1], s[18:19]
.LBB159_1245:
	s_mov_b64 s[18:19], 0
.LBB159_1246:
	s_andn2_b64 vcc, exec, s[18:19]
	s_cbranch_vccnz .LBB159_1248
; %bb.1247:
	global_load_ushort v1, v[3:4], off
	s_andn2_b64 s[0:1], s[0:1], exec
	s_waitcnt vmcnt(0)
	v_cmp_ne_u16_e32 vcc, 0, v1
	s_and_b64 s[18:19], vcc, exec
	s_or_b64 s[0:1], s[0:1], s[18:19]
.LBB159_1248:
	s_cbranch_execnz .LBB159_1254
.LBB159_1249:
	s_sext_i32_i16 s0, s76
	s_cmp_gt_i32 s0, 0
	s_cbranch_scc0 .LBB159_1251
; %bb.1250:
	global_load_ubyte v1, v[3:4], off
	s_mov_b64 s[18:19], 0
	s_waitcnt vmcnt(0)
	v_cmp_ne_u16_e64 s[0:1], 0, v1
	s_branch .LBB159_1252
.LBB159_1251:
	s_mov_b64 s[18:19], -1
                                        ; implicit-def: $sgpr0_sgpr1
.LBB159_1252:
	s_andn2_b64 vcc, exec, s[18:19]
	s_cbranch_vccnz .LBB159_1254
; %bb.1253:
	global_load_ubyte v1, v[3:4], off
	s_andn2_b64 s[0:1], s[0:1], exec
	s_waitcnt vmcnt(0)
	v_cmp_ne_u16_e32 vcc, 0, v1
	s_and_b64 s[18:19], vcc, exec
	s_or_b64 s[0:1], s[0:1], s[18:19]
.LBB159_1254:
	s_andn2_b64 s[18:19], s[54:55], exec
	s_and_b64 s[0:1], s[0:1], exec
	s_or_b64 s[54:55], s[18:19], s[0:1]
	s_or_b64 s[50:51], s[50:51], exec
.LBB159_1255:
	s_or_b64 exec, exec, s[16:17]
	s_mov_b64 s[18:19], 0
	s_mov_b64 s[22:23], 0
	;; [unrolled: 1-line block ×3, first 2 shown]
                                        ; implicit-def: $sgpr16_sgpr17
                                        ; implicit-def: $sgpr28
                                        ; implicit-def: $vgpr3_vgpr4
	s_and_saveexec_b64 s[0:1], s[50:51]
	s_cbranch_execz .LBB159_1263
; %bb.1256:
	v_mov_b32_e32 v1, s13
	s_and_b32 s28, s73, 0xff
	v_add_co_u32_e32 v3, vcc, s12, v2
	s_cmp_lt_i32 s28, 11
	v_addc_co_u32_e32 v4, vcc, 0, v1, vcc
	s_cbranch_scc1 .LBB159_1266
; %bb.1257:
	s_and_b32 s29, 0xffff, s28
	s_cmp_gt_i32 s29, 25
	s_cbranch_scc0 .LBB159_1267
; %bb.1258:
	s_cmp_gt_i32 s29, 28
	s_cbranch_scc0 .LBB159_1268
; %bb.1259:
	;; [unrolled: 3-line block ×4, first 2 shown]
	s_cmp_eq_u32 s29, 46
	s_cbranch_scc0 .LBB159_1271
; %bb.1262:
	global_load_dword v1, v[3:4], off
	s_mov_b64 s[12:13], 0
	s_mov_b64 s[20:21], -1
	s_waitcnt vmcnt(0)
	v_and_b32_e32 v1, 0x7fff7fff, v1
	v_cmp_ne_u32_e64 s[16:17], 0, v1
	s_branch .LBB159_1273
.LBB159_1263:
	s_or_b64 exec, exec, s[0:1]
	s_and_saveexec_b64 s[0:1], s[40:41]
	s_cbranch_execnz .LBB159_1318
.LBB159_1264:
	s_or_b64 exec, exec, s[0:1]
	s_and_saveexec_b64 s[0:1], s[18:19]
	s_xor_b64 s[0:1], exec, s[0:1]
	s_cbranch_execz .LBB159_1319
.LBB159_1265:
	global_load_ubyte v1, v[3:4], off
	s_andn2_b64 s[12:13], s[16:17], exec
	s_or_b64 s[20:21], s[20:21], exec
	s_waitcnt vmcnt(0)
	v_cmp_ne_u16_e32 vcc, 0, v1
	s_and_b64 s[16:17], vcc, exec
	s_or_b64 s[16:17], s[12:13], s[16:17]
	s_or_b64 exec, exec, s[0:1]
	s_and_saveexec_b64 s[12:13], s[22:23]
	s_cbranch_execz .LBB159_1365
	s_branch .LBB159_1320
.LBB159_1266:
	s_mov_b64 s[22:23], -1
                                        ; implicit-def: $sgpr16_sgpr17
	s_mov_b64 s[12:13], s[40:41]
	s_branch .LBB159_1317
.LBB159_1267:
	s_mov_b64 s[12:13], s[40:41]
                                        ; implicit-def: $sgpr16_sgpr17
	s_cbranch_execnz .LBB159_1294
	s_branch .LBB159_1316
.LBB159_1268:
	s_mov_b64 s[22:23], -1
	s_mov_b64 s[12:13], s[40:41]
                                        ; implicit-def: $sgpr16_sgpr17
	s_branch .LBB159_1281
.LBB159_1269:
	s_mov_b64 s[22:23], -1
	s_mov_b64 s[12:13], s[40:41]
                                        ; implicit-def: $sgpr16_sgpr17
	s_branch .LBB159_1276
.LBB159_1270:
	s_mov_b64 s[22:23], -1
	s_mov_b64 s[12:13], s[40:41]
	s_branch .LBB159_1272
.LBB159_1271:
	s_mov_b64 s[12:13], -1
.LBB159_1272:
                                        ; implicit-def: $sgpr16_sgpr17
.LBB159_1273:
	s_and_b64 vcc, exec, s[22:23]
	s_cbranch_vccz .LBB159_1275
; %bb.1274:
	s_cmp_lg_u32 s29, 44
	s_cselect_b64 s[22:23], -1, 0
	s_andn2_b64 s[12:13], s[12:13], exec
	s_and_b64 s[22:23], s[22:23], exec
	s_mov_b64 s[20:21], -1
	s_or_b64 s[16:17], s[16:17], exec
	s_or_b64 s[12:13], s[12:13], s[22:23]
.LBB159_1275:
	s_mov_b64 s[22:23], 0
.LBB159_1276:
	s_and_b64 vcc, exec, s[22:23]
	s_cbranch_vccz .LBB159_1280
; %bb.1277:
	s_cmp_eq_u32 s29, 29
	s_cbranch_scc0 .LBB159_1279
; %bb.1278:
	global_load_dwordx2 v[1:2], v[3:4], off
	s_mov_b64 s[12:13], 0
	s_mov_b64 s[20:21], -1
	s_mov_b64 s[22:23], 0
	s_waitcnt vmcnt(0)
	v_cmp_ne_u64_e64 s[16:17], 0, v[1:2]
	s_branch .LBB159_1281
.LBB159_1279:
	s_mov_b64 s[12:13], -1
                                        ; implicit-def: $sgpr16_sgpr17
.LBB159_1280:
	s_mov_b64 s[22:23], 0
.LBB159_1281:
	s_and_b64 vcc, exec, s[22:23]
	s_cbranch_vccz .LBB159_1293
; %bb.1282:
	s_cmp_lt_i32 s29, 27
	s_cbranch_scc1 .LBB159_1285
; %bb.1283:
	s_cmp_gt_i32 s29, 27
	s_cbranch_scc0 .LBB159_1286
; %bb.1284:
	global_load_dword v1, v[3:4], off
	s_mov_b64 s[20:21], 0
	s_waitcnt vmcnt(0)
	v_cmp_ne_u32_e64 s[16:17], 0, v1
	s_branch .LBB159_1287
.LBB159_1285:
	s_mov_b64 s[20:21], -1
                                        ; implicit-def: $sgpr16_sgpr17
	s_branch .LBB159_1290
.LBB159_1286:
	s_mov_b64 s[20:21], -1
                                        ; implicit-def: $sgpr16_sgpr17
.LBB159_1287:
	s_andn2_b64 vcc, exec, s[20:21]
	s_cbranch_vccnz .LBB159_1289
; %bb.1288:
	global_load_ushort v1, v[3:4], off
	s_andn2_b64 s[16:17], s[16:17], exec
	s_waitcnt vmcnt(0)
	v_cmp_ne_u16_e32 vcc, 0, v1
	s_and_b64 s[20:21], vcc, exec
	s_or_b64 s[16:17], s[16:17], s[20:21]
.LBB159_1289:
	s_mov_b64 s[20:21], 0
.LBB159_1290:
	s_andn2_b64 vcc, exec, s[20:21]
	s_cbranch_vccnz .LBB159_1292
; %bb.1291:
	global_load_ubyte v1, v[3:4], off
	s_andn2_b64 s[16:17], s[16:17], exec
	s_waitcnt vmcnt(0)
	v_cmp_ne_u16_e32 vcc, 0, v1
	s_and_b64 s[20:21], vcc, exec
	s_or_b64 s[16:17], s[16:17], s[20:21]
.LBB159_1292:
	s_mov_b64 s[20:21], -1
.LBB159_1293:
	s_branch .LBB159_1316
.LBB159_1294:
	s_cmp_gt_i32 s29, 22
	s_cbranch_scc0 .LBB159_1298
; %bb.1295:
	s_cmp_lt_i32 s29, 24
	s_cbranch_scc1 .LBB159_1299
; %bb.1296:
	s_cmp_gt_i32 s29, 24
	s_cbranch_scc0 .LBB159_1300
; %bb.1297:
	global_load_ubyte v1, v[3:4], off
	s_waitcnt vmcnt(0)
	v_cmp_ne_u16_e64 s[16:17], 0, v1
	s_branch .LBB159_1301
.LBB159_1298:
	s_mov_b64 s[18:19], -1
                                        ; implicit-def: $sgpr16_sgpr17
	s_branch .LBB159_1307
.LBB159_1299:
	s_mov_b64 s[18:19], -1
                                        ; implicit-def: $sgpr16_sgpr17
	s_branch .LBB159_1304
.LBB159_1300:
	s_mov_b64 s[18:19], -1
                                        ; implicit-def: $sgpr16_sgpr17
.LBB159_1301:
	s_andn2_b64 vcc, exec, s[18:19]
	s_cbranch_vccnz .LBB159_1303
; %bb.1302:
	global_load_ubyte v1, v[3:4], off
	s_andn2_b64 s[16:17], s[16:17], exec
	s_waitcnt vmcnt(0)
	v_and_b32_e32 v1, 0x7f, v1
	v_cmp_ne_u16_e32 vcc, 0, v1
	s_and_b64 s[18:19], vcc, exec
	s_or_b64 s[16:17], s[16:17], s[18:19]
.LBB159_1303:
	s_mov_b64 s[18:19], 0
.LBB159_1304:
	s_andn2_b64 vcc, exec, s[18:19]
	s_cbranch_vccnz .LBB159_1306
; %bb.1305:
	global_load_ubyte v1, v[3:4], off
	s_movk_i32 s18, 0x7f00
	s_brev_b32 s19, 16
	s_andn2_b64 s[16:17], s[16:17], exec
	s_waitcnt vmcnt(0)
	v_lshlrev_b32_e32 v2, 8, v1
	v_lshlrev_b32_e32 v1, 25, v1
	v_lshrrev_b32_e32 v5, 4, v1
	v_and_or_b32 v2, v2, s18, 0.5
	v_or_b32_e32 v5, 0x70000000, v5
	v_add_f32_e32 v2, -0.5, v2
	v_mul_f32_e32 v5, 0x7800000, v5
	v_cmp_gt_u32_e32 vcc, s19, v1
	v_cndmask_b32_e32 v1, v5, v2, vcc
	v_cmp_neq_f32_e32 vcc, 0, v1
	s_and_b64 s[18:19], vcc, exec
	s_or_b64 s[16:17], s[16:17], s[18:19]
.LBB159_1306:
	s_mov_b64 s[18:19], 0
	s_mov_b64 s[20:21], -1
.LBB159_1307:
	s_andn2_b64 vcc, exec, s[18:19]
	s_mov_b64 s[18:19], 0
	s_cbranch_vccnz .LBB159_1316
; %bb.1308:
	s_cmp_gt_i32 s29, 14
	s_cbranch_scc0 .LBB159_1311
; %bb.1309:
	s_cmp_eq_u32 s29, 15
	s_cbranch_scc0 .LBB159_1312
; %bb.1310:
	global_load_ushort v1, v[3:4], off
	s_mov_b64 s[12:13], 0
	s_mov_b64 s[20:21], -1
	s_waitcnt vmcnt(0)
	v_and_b32_e32 v1, 0x7fff, v1
	v_cmp_ne_u16_e64 s[16:17], 0, v1
	s_branch .LBB159_1313
.LBB159_1311:
	s_mov_b64 s[22:23], -1
                                        ; implicit-def: $sgpr16_sgpr17
	s_branch .LBB159_1314
.LBB159_1312:
	s_mov_b64 s[12:13], -1
                                        ; implicit-def: $sgpr16_sgpr17
.LBB159_1313:
	s_mov_b64 s[22:23], 0
.LBB159_1314:
	s_and_b64 vcc, exec, s[22:23]
	s_cbranch_vccz .LBB159_1316
; %bb.1315:
	s_cmp_lg_u32 s29, 11
	s_cselect_b64 s[22:23], -1, 0
	s_andn2_b64 s[12:13], s[12:13], exec
	s_and_b64 s[22:23], s[22:23], exec
	s_mov_b64 s[18:19], -1
	s_or_b64 s[12:13], s[12:13], s[22:23]
.LBB159_1316:
	s_mov_b64 s[22:23], 0
.LBB159_1317:
	s_andn2_b64 s[30:31], s[40:41], exec
	s_and_b64 s[12:13], s[12:13], exec
	s_and_b64 s[20:21], s[20:21], exec
	;; [unrolled: 1-line block ×4, first 2 shown]
	s_or_b64 s[40:41], s[30:31], s[12:13]
	s_or_b64 exec, exec, s[0:1]
	s_and_saveexec_b64 s[0:1], s[40:41]
	s_cbranch_execz .LBB159_1264
.LBB159_1318:
	s_or_b64 s[10:11], s[10:11], exec
	s_andn2_b64 s[20:21], s[20:21], exec
	s_andn2_b64 s[18:19], s[18:19], exec
	s_trap 2
	s_or_b64 exec, exec, s[0:1]
	s_and_saveexec_b64 s[0:1], s[18:19]
	s_xor_b64 s[0:1], exec, s[0:1]
	s_cbranch_execnz .LBB159_1265
.LBB159_1319:
	s_or_b64 exec, exec, s[0:1]
	s_and_saveexec_b64 s[12:13], s[22:23]
	s_cbranch_execz .LBB159_1365
.LBB159_1320:
	s_sext_i32_i16 s0, s28
	s_cmp_lt_i32 s0, 5
	s_cbranch_scc1 .LBB159_1325
; %bb.1321:
	s_cmp_lt_i32 s0, 8
	s_cbranch_scc1 .LBB159_1326
; %bb.1322:
	;; [unrolled: 3-line block ×3, first 2 shown]
	s_cmp_gt_i32 s0, 9
	s_cbranch_scc0 .LBB159_1328
; %bb.1324:
	global_load_dwordx4 v[5:8], v[3:4], off
	s_mov_b64 s[18:19], 0
	s_waitcnt vmcnt(0)
	v_cmp_neq_f64_e32 vcc, 0, v[5:6]
	v_cmp_neq_f64_e64 s[0:1], 0, v[7:8]
	s_or_b64 s[0:1], vcc, s[0:1]
	s_branch .LBB159_1329
.LBB159_1325:
                                        ; implicit-def: $sgpr0_sgpr1
	s_branch .LBB159_1346
.LBB159_1326:
                                        ; implicit-def: $sgpr0_sgpr1
	s_branch .LBB159_1335
.LBB159_1327:
	s_mov_b64 s[18:19], -1
                                        ; implicit-def: $sgpr0_sgpr1
	s_branch .LBB159_1332
.LBB159_1328:
	s_mov_b64 s[18:19], -1
                                        ; implicit-def: $sgpr0_sgpr1
.LBB159_1329:
	s_andn2_b64 vcc, exec, s[18:19]
	s_cbranch_vccnz .LBB159_1331
; %bb.1330:
	global_load_dwordx2 v[1:2], v[3:4], off
	s_andn2_b64 s[0:1], s[0:1], exec
	s_waitcnt vmcnt(0)
	v_or_b32_e32 v1, v1, v2
	v_and_b32_e32 v1, 0x7fffffff, v1
	v_cmp_ne_u32_e32 vcc, 0, v1
	s_and_b64 s[18:19], vcc, exec
	s_or_b64 s[0:1], s[0:1], s[18:19]
.LBB159_1331:
	s_mov_b64 s[18:19], 0
.LBB159_1332:
	s_andn2_b64 vcc, exec, s[18:19]
	s_cbranch_vccnz .LBB159_1334
; %bb.1333:
	global_load_dword v1, v[3:4], off
	s_andn2_b64 s[0:1], s[0:1], exec
	s_waitcnt vmcnt(0)
	v_and_b32_e32 v1, 0x7fff7fff, v1
	v_cmp_ne_u32_e32 vcc, 0, v1
	s_and_b64 s[18:19], vcc, exec
	s_or_b64 s[0:1], s[0:1], s[18:19]
.LBB159_1334:
	s_cbranch_execnz .LBB159_1345
.LBB159_1335:
	s_sext_i32_i16 s0, s28
	s_cmp_lt_i32 s0, 6
	s_cbranch_scc1 .LBB159_1338
; %bb.1336:
	s_cmp_gt_i32 s0, 6
	s_cbranch_scc0 .LBB159_1339
; %bb.1337:
	global_load_dwordx2 v[1:2], v[3:4], off
	s_mov_b64 s[18:19], 0
	s_waitcnt vmcnt(0)
	v_cmp_neq_f64_e64 s[0:1], 0, v[1:2]
	s_branch .LBB159_1340
.LBB159_1338:
	s_mov_b64 s[18:19], -1
                                        ; implicit-def: $sgpr0_sgpr1
	s_branch .LBB159_1343
.LBB159_1339:
	s_mov_b64 s[18:19], -1
                                        ; implicit-def: $sgpr0_sgpr1
.LBB159_1340:
	s_andn2_b64 vcc, exec, s[18:19]
	s_cbranch_vccnz .LBB159_1342
; %bb.1341:
	global_load_dword v1, v[3:4], off
	s_andn2_b64 s[0:1], s[0:1], exec
	s_waitcnt vmcnt(0)
	v_cmp_neq_f32_e32 vcc, 0, v1
	s_and_b64 s[18:19], vcc, exec
	s_or_b64 s[0:1], s[0:1], s[18:19]
.LBB159_1342:
	s_mov_b64 s[18:19], 0
.LBB159_1343:
	s_andn2_b64 vcc, exec, s[18:19]
	s_cbranch_vccnz .LBB159_1345
; %bb.1344:
	global_load_ushort v1, v[3:4], off
	s_andn2_b64 s[0:1], s[0:1], exec
	s_waitcnt vmcnt(0)
	v_and_b32_e32 v1, 0x7fff, v1
	v_cmp_ne_u16_e32 vcc, 0, v1
	s_and_b64 s[18:19], vcc, exec
	s_or_b64 s[0:1], s[0:1], s[18:19]
.LBB159_1345:
	s_cbranch_execnz .LBB159_1364
.LBB159_1346:
	s_sext_i32_i16 s0, s28
	s_cmp_lt_i32 s0, 2
	s_cbranch_scc1 .LBB159_1350
; %bb.1347:
	s_cmp_lt_i32 s0, 3
	s_cbranch_scc1 .LBB159_1351
; %bb.1348:
	s_cmp_gt_i32 s0, 3
	s_cbranch_scc0 .LBB159_1352
; %bb.1349:
	global_load_dwordx2 v[1:2], v[3:4], off
	s_mov_b64 s[18:19], 0
	s_waitcnt vmcnt(0)
	v_cmp_ne_u64_e64 s[0:1], 0, v[1:2]
	s_branch .LBB159_1353
.LBB159_1350:
                                        ; implicit-def: $sgpr0_sgpr1
	s_branch .LBB159_1359
.LBB159_1351:
	s_mov_b64 s[18:19], -1
                                        ; implicit-def: $sgpr0_sgpr1
	s_branch .LBB159_1356
.LBB159_1352:
	s_mov_b64 s[18:19], -1
                                        ; implicit-def: $sgpr0_sgpr1
.LBB159_1353:
	s_andn2_b64 vcc, exec, s[18:19]
	s_cbranch_vccnz .LBB159_1355
; %bb.1354:
	global_load_dword v1, v[3:4], off
	s_andn2_b64 s[0:1], s[0:1], exec
	s_waitcnt vmcnt(0)
	v_cmp_ne_u32_e32 vcc, 0, v1
	s_and_b64 s[18:19], vcc, exec
	s_or_b64 s[0:1], s[0:1], s[18:19]
.LBB159_1355:
	s_mov_b64 s[18:19], 0
.LBB159_1356:
	s_andn2_b64 vcc, exec, s[18:19]
	s_cbranch_vccnz .LBB159_1358
; %bb.1357:
	global_load_ushort v1, v[3:4], off
	s_andn2_b64 s[0:1], s[0:1], exec
	s_waitcnt vmcnt(0)
	v_cmp_ne_u16_e32 vcc, 0, v1
	s_and_b64 s[18:19], vcc, exec
	s_or_b64 s[0:1], s[0:1], s[18:19]
.LBB159_1358:
	s_cbranch_execnz .LBB159_1364
.LBB159_1359:
	s_sext_i32_i16 s0, s28
	s_cmp_gt_i32 s0, 0
	s_cbranch_scc0 .LBB159_1361
; %bb.1360:
	global_load_ubyte v1, v[3:4], off
	s_mov_b64 s[18:19], 0
	s_waitcnt vmcnt(0)
	v_cmp_ne_u16_e64 s[0:1], 0, v1
	s_branch .LBB159_1362
.LBB159_1361:
	s_mov_b64 s[18:19], -1
                                        ; implicit-def: $sgpr0_sgpr1
.LBB159_1362:
	s_andn2_b64 vcc, exec, s[18:19]
	s_cbranch_vccnz .LBB159_1364
; %bb.1363:
	global_load_ubyte v1, v[3:4], off
	s_andn2_b64 s[0:1], s[0:1], exec
	s_waitcnt vmcnt(0)
	v_cmp_ne_u16_e32 vcc, 0, v1
	s_and_b64 s[18:19], vcc, exec
	s_or_b64 s[0:1], s[0:1], s[18:19]
.LBB159_1364:
	s_andn2_b64 s[16:17], s[16:17], exec
	s_and_b64 s[0:1], s[0:1], exec
	s_or_b64 s[16:17], s[16:17], s[0:1]
	s_or_b64 s[20:21], s[20:21], exec
.LBB159_1365:
	s_or_b64 exec, exec, s[12:13]
	s_mov_b64 s[28:29], 0
	s_mov_b64 s[22:23], 0
                                        ; implicit-def: $sgpr12_sgpr13
                                        ; implicit-def: $sgpr30
                                        ; implicit-def: $vgpr1_vgpr2
	s_and_saveexec_b64 s[18:19], s[20:21]
	s_cbranch_execz .LBB159_1370
; %bb.1366:
	s_cmp_lt_i32 s14, 1
	s_mov_b64 s[0:1], 0
	s_cbranch_scc1 .LBB159_1373
; %bb.1367:
	s_cmp_gt_i32 s14, 1
	s_cbranch_scc0 .LBB159_1374
; %bb.1368:
	s_cmp_eq_u32 s14, 2
	s_cbranch_scc0 .LBB159_1375
; %bb.1369:
	s_xor_b64 s[12:13], s[54:55], -1
	s_or_b64 s[12:13], s[16:17], s[12:13]
	s_mov_b64 s[20:21], 0
	s_branch .LBB159_1377
.LBB159_1370:
	s_or_b64 exec, exec, s[18:19]
	s_and_saveexec_b64 s[0:1], s[38:39]
	s_cbranch_execnz .LBB159_1462
.LBB159_1371:
	s_or_b64 exec, exec, s[0:1]
	s_and_saveexec_b64 s[0:1], s[28:29]
	s_xor_b64 s[0:1], exec, s[0:1]
	s_cbranch_execz .LBB159_1463
.LBB159_1372:
	v_cndmask_b32_e64 v0, 0, 1, s[12:13]
	global_store_byte v[1:2], v0, off
	s_or_b64 exec, exec, s[0:1]
	s_and_saveexec_b64 s[0:1], s[22:23]
	s_xor_b64 s[0:1], exec, s[0:1]
	s_cbranch_execz .LBB159_1501
	s_branch .LBB159_1464
.LBB159_1373:
                                        ; implicit-def: $sgpr12_sgpr13
	s_mov_b64 s[20:21], 0
	s_cbranch_execnz .LBB159_1380
	s_branch .LBB159_1381
.LBB159_1374:
	s_mov_b64 s[22:23], -1
	s_mov_b64 s[20:21], 0
	s_branch .LBB159_1376
.LBB159_1375:
	s_mov_b64 s[20:21], -1
.LBB159_1376:
                                        ; implicit-def: $sgpr12_sgpr13
.LBB159_1377:
	s_and_b64 vcc, exec, s[22:23]
	s_cbranch_vccz .LBB159_1379
; %bb.1378:
	s_xor_b64 s[22:23], s[16:17], -1
	s_and_b64 s[22:23], s[54:55], s[22:23]
	s_andn2_b64 s[12:13], s[12:13], exec
	s_and_b64 s[22:23], s[22:23], exec
	s_or_b64 s[12:13], s[12:13], s[22:23]
.LBB159_1379:
	s_branch .LBB159_1381
.LBB159_1380:
	s_cmp_lg_u32 s14, 0
	s_mov_b64 s[0:1], -1
	s_cselect_b64 s[20:21], -1, 0
.LBB159_1381:
	s_andn2_b64 vcc, exec, s[20:21]
	s_cbranch_vccnz .LBB159_1383
; %bb.1382:
	s_xor_b64 s[0:1], s[54:55], -1
	s_and_b64 s[20:21], s[16:17], s[0:1]
	s_andn2_b64 s[12:13], s[12:13], exec
	s_and_b64 s[20:21], s[20:21], exec
	s_or_b64 s[12:13], s[12:13], s[20:21]
	s_cbranch_execz .LBB159_1384
	s_branch .LBB159_1385
.LBB159_1383:
	s_andn2_b64 vcc, exec, s[0:1]
	s_cbranch_vccnz .LBB159_1385
.LBB159_1384:
	s_xor_b64 s[0:1], s[16:17], -1
	s_or_b64 s[0:1], s[54:55], s[0:1]
	s_andn2_b64 s[12:13], s[12:13], exec
	s_and_b64 s[0:1], s[0:1], exec
	s_or_b64 s[12:13], s[12:13], s[0:1]
.LBB159_1385:
	v_mov_b32_e32 v2, s9
	s_and_b32 s30, s15, 0xff
	v_add_co_u32_e32 v1, vcc, s8, v0
	s_cmp_lt_i32 s30, 11
	v_addc_co_u32_e32 v2, vcc, 0, v2, vcc
	s_cbranch_scc1 .LBB159_1459
; %bb.1386:
	s_and_b32 s22, 0xffff, s30
	s_mov_b64 s[14:15], -1
	s_cmp_gt_i32 s22, 25
	s_mov_b64 s[0:1], s[38:39]
	s_cbranch_scc0 .LBB159_1419
; %bb.1387:
	s_mov_b64 s[8:9], -1
	s_cmp_gt_i32 s22, 28
	s_mov_b64 s[0:1], s[38:39]
	s_cbranch_scc0 .LBB159_1403
; %bb.1388:
	s_cmp_gt_i32 s22, 43
	s_mov_b64 s[0:1], s[38:39]
	s_cbranch_scc0 .LBB159_1399
; %bb.1389:
	;; [unrolled: 4-line block ×3, first 2 shown]
	s_cmp_eq_u32 s22, 46
	s_mov_b64 s[0:1], -1
	s_cbranch_scc0 .LBB159_1392
; %bb.1391:
	v_cndmask_b32_e64 v0, 0, 1.0, s[12:13]
	v_bfe_u32 v3, v0, 16, 1
	s_movk_i32 s0, 0x7fff
	v_add3_u32 v0, v0, v3, s0
	v_lshrrev_b32_e32 v0, 16, v0
	global_store_dword v[1:2], v0, off
	s_mov_b64 s[0:1], 0
.LBB159_1392:
	s_mov_b64 s[8:9], 0
.LBB159_1393:
	s_and_b64 vcc, exec, s[8:9]
	s_cbranch_vccz .LBB159_1398
; %bb.1394:
	s_cmp_eq_u32 s22, 44
	s_mov_b64 s[0:1], -1
	s_cbranch_scc0 .LBB159_1398
; %bb.1395:
	v_cndmask_b32_e64 v3, 0, 1.0, s[12:13]
	v_lshrrev_b32_e32 v0, 23, v3
	s_movk_i32 s0, 0xff
	v_cmp_ne_u32_e32 vcc, s0, v0
	v_mov_b32_e32 v4, 0xff
	s_and_saveexec_b64 s[8:9], vcc
; %bb.1396:
	s_mov_b32 s0, 0x3fffff
	v_and_b32_e32 v4, 0x400000, v3
	v_and_or_b32 v3, v3, s0, v0
	v_cmp_ne_u32_e32 vcc, 0, v4
	v_cmp_ne_u32_e64 s[0:1], 0, v3
	s_and_b64 s[0:1], vcc, s[0:1]
	v_cndmask_b32_e64 v3, 0, 1, s[0:1]
	v_add_u32_e32 v4, v0, v3
; %bb.1397:
	s_or_b64 exec, exec, s[8:9]
	s_mov_b64 s[0:1], 0
	global_store_byte v[1:2], v4, off
.LBB159_1398:
	s_mov_b64 s[8:9], 0
.LBB159_1399:
	s_and_b64 vcc, exec, s[8:9]
	s_cbranch_vccz .LBB159_1402
; %bb.1400:
	s_cmp_eq_u32 s22, 29
	s_mov_b64 s[0:1], -1
	s_cbranch_scc0 .LBB159_1402
; %bb.1401:
	s_mov_b32 s0, 0
	v_cndmask_b32_e64 v3, 0, 1, s[12:13]
	v_mov_b32_e32 v4, s0
	global_store_dwordx2 v[1:2], v[3:4], off
	s_mov_b64 s[0:1], 0
.LBB159_1402:
	s_mov_b64 s[8:9], 0
.LBB159_1403:
	s_and_b64 vcc, exec, s[8:9]
	s_cbranch_vccz .LBB159_1418
; %bb.1404:
	s_cmp_lt_i32 s22, 27
	s_mov_b64 s[8:9], -1
	s_cbranch_scc1 .LBB159_1410
; %bb.1405:
	s_cmp_gt_i32 s22, 27
	s_cbranch_scc0 .LBB159_1407
; %bb.1406:
	v_cndmask_b32_e64 v0, 0, 1, s[12:13]
	s_mov_b64 s[8:9], 0
	global_store_dword v[1:2], v0, off
.LBB159_1407:
	s_andn2_b64 vcc, exec, s[8:9]
	s_cbranch_vccnz .LBB159_1409
; %bb.1408:
	v_cndmask_b32_e64 v0, 0, 1, s[12:13]
	global_store_short v[1:2], v0, off
.LBB159_1409:
	s_mov_b64 s[8:9], 0
.LBB159_1410:
	s_andn2_b64 vcc, exec, s[8:9]
	s_cbranch_vccnz .LBB159_1418
; %bb.1411:
	v_cndmask_b32_e64 v3, 0, 1.0, s[12:13]
	s_mov_b32 s8, 0x43800000
	v_cmp_gt_u32_e32 vcc, s8, v3
	v_mov_b32_e32 v4, 0x80
	s_and_saveexec_b64 s[8:9], vcc
	s_cbranch_execz .LBB159_1417
; %bb.1412:
	s_mov_b32 s14, 0x3bffffff
	v_cmp_lt_u32_e32 vcc, s14, v3
	s_mov_b64 s[14:15], 0
                                        ; implicit-def: $vgpr0
	s_and_saveexec_b64 s[16:17], vcc
	s_xor_b64 s[16:17], exec, s[16:17]
	s_cbranch_execz .LBB159_1560
; %bb.1413:
	v_bfe_u32 v0, v3, 20, 1
	s_mov_b32 s20, 0x487ffff
	v_add3_u32 v0, v3, v0, s20
	s_mov_b64 s[14:15], exec
	v_lshrrev_b32_e32 v0, 20, v0
                                        ; implicit-def: $vgpr3
	s_andn2_saveexec_b64 s[16:17], s[16:17]
	s_cbranch_execnz .LBB159_1561
.LBB159_1414:
	s_or_b64 exec, exec, s[16:17]
	v_mov_b32_e32 v4, 0
	s_and_saveexec_b64 s[16:17], s[14:15]
.LBB159_1415:
	v_mov_b32_e32 v4, v0
.LBB159_1416:
	s_or_b64 exec, exec, s[16:17]
.LBB159_1417:
	s_or_b64 exec, exec, s[8:9]
	global_store_byte v[1:2], v4, off
.LBB159_1418:
	s_mov_b64 s[14:15], 0
.LBB159_1419:
	s_mov_b64 s[8:9], 0
	s_and_b64 vcc, exec, s[14:15]
	s_cbranch_vccz .LBB159_1460
; %bb.1420:
	s_cmp_gt_i32 s22, 22
	s_mov_b64 s[14:15], -1
	s_cbranch_scc0 .LBB159_1452
; %bb.1421:
	s_cmp_lt_i32 s22, 24
	s_cbranch_scc1 .LBB159_1441
; %bb.1422:
	s_cmp_gt_i32 s22, 24
	s_cbranch_scc0 .LBB159_1430
; %bb.1423:
	v_cndmask_b32_e64 v3, 0, 1.0, s[12:13]
	s_mov_b32 s14, 0x47800000
	v_cmp_gt_u32_e32 vcc, s14, v3
	v_mov_b32_e32 v4, 0x80
	s_and_saveexec_b64 s[14:15], vcc
	s_cbranch_execz .LBB159_1429
; %bb.1424:
	s_mov_b32 s16, 0x37ffffff
	v_cmp_lt_u32_e32 vcc, s16, v3
	s_mov_b64 s[16:17], 0
                                        ; implicit-def: $vgpr0
	s_and_saveexec_b64 s[20:21], vcc
	s_xor_b64 s[20:21], exec, s[20:21]
	s_cbranch_execz .LBB159_1667
; %bb.1425:
	v_bfe_u32 v0, v3, 21, 1
	s_mov_b32 s23, 0x88fffff
	v_add3_u32 v0, v3, v0, s23
	s_mov_b64 s[16:17], exec
	v_lshrrev_b32_e32 v0, 21, v0
                                        ; implicit-def: $vgpr3
	s_andn2_saveexec_b64 s[20:21], s[20:21]
	s_cbranch_execnz .LBB159_1668
.LBB159_1426:
	s_or_b64 exec, exec, s[20:21]
	v_mov_b32_e32 v4, 0
	s_and_saveexec_b64 s[20:21], s[16:17]
.LBB159_1427:
	v_mov_b32_e32 v4, v0
.LBB159_1428:
	s_or_b64 exec, exec, s[20:21]
.LBB159_1429:
	s_or_b64 exec, exec, s[14:15]
	s_mov_b64 s[14:15], 0
	global_store_byte v[1:2], v4, off
.LBB159_1430:
	s_and_b64 vcc, exec, s[14:15]
	s_cbranch_vccz .LBB159_1440
; %bb.1431:
	v_cndmask_b32_e64 v0, 0, 1.0, s[12:13]
	s_mov_b32 s14, 0x43f00000
	v_cmp_gt_u32_e32 vcc, s14, v0
                                        ; implicit-def: $vgpr3
	s_and_saveexec_b64 s[14:15], vcc
	s_xor_b64 s[14:15], exec, s[14:15]
	s_cbranch_execz .LBB159_1437
; %bb.1432:
	s_mov_b32 s16, 0x3c7fffff
	v_cmp_lt_u32_e32 vcc, s16, v0
                                        ; implicit-def: $vgpr3
	s_and_saveexec_b64 s[16:17], vcc
	s_xor_b64 s[16:17], exec, s[16:17]
; %bb.1433:
	v_bfe_u32 v3, v0, 20, 1
	s_mov_b32 s20, 0x407ffff
	v_add3_u32 v0, v0, v3, s20
	v_lshrrev_b32_e32 v3, 20, v0
	v_and_b32_e32 v0, 0xff00000, v0
	s_mov_b32 s20, 0x7f00000
	v_mov_b32_e32 v4, 0x7e
	v_cmp_ne_u32_e32 vcc, s20, v0
	v_cndmask_b32_e32 v3, v4, v3, vcc
                                        ; implicit-def: $vgpr0
; %bb.1434:
	s_andn2_saveexec_b64 s[16:17], s[16:17]
; %bb.1435:
	v_add_f32_e32 v3, 0x46800000, v0
; %bb.1436:
	s_or_b64 exec, exec, s[16:17]
                                        ; implicit-def: $vgpr0
.LBB159_1437:
	s_andn2_saveexec_b64 s[14:15], s[14:15]
; %bb.1438:
	s_mov_b32 s16, 0x7f800000
	v_mov_b32_e32 v3, 0x7e
	v_mov_b32_e32 v4, 0x7f
	v_cmp_lt_u32_e32 vcc, s16, v0
	v_cndmask_b32_e32 v3, v3, v4, vcc
; %bb.1439:
	s_or_b64 exec, exec, s[14:15]
	global_store_byte v[1:2], v3, off
.LBB159_1440:
	s_mov_b64 s[14:15], 0
.LBB159_1441:
	s_andn2_b64 vcc, exec, s[14:15]
	s_cbranch_vccnz .LBB159_1451
; %bb.1442:
	v_cndmask_b32_e64 v0, 0, 1.0, s[12:13]
	s_mov_b32 s14, 0x47800000
	v_cmp_gt_u32_e32 vcc, s14, v0
                                        ; implicit-def: $vgpr3
	s_and_saveexec_b64 s[14:15], vcc
	s_xor_b64 s[14:15], exec, s[14:15]
	s_cbranch_execz .LBB159_1448
; %bb.1443:
	s_mov_b32 s16, 0x387fffff
	v_cmp_lt_u32_e32 vcc, s16, v0
                                        ; implicit-def: $vgpr3
	s_and_saveexec_b64 s[16:17], vcc
	s_xor_b64 s[16:17], exec, s[16:17]
; %bb.1444:
	v_bfe_u32 v3, v0, 21, 1
	s_mov_b32 s20, 0x80fffff
	v_add3_u32 v0, v0, v3, s20
	v_lshrrev_b32_e32 v3, 21, v0
                                        ; implicit-def: $vgpr0
; %bb.1445:
	s_andn2_saveexec_b64 s[16:17], s[16:17]
; %bb.1446:
	v_add_f32_e32 v3, 0x43000000, v0
; %bb.1447:
	s_or_b64 exec, exec, s[16:17]
                                        ; implicit-def: $vgpr0
.LBB159_1448:
	s_andn2_saveexec_b64 s[14:15], s[14:15]
; %bb.1449:
	s_mov_b32 s16, 0x7f800000
	v_mov_b32_e32 v3, 0x7c
	v_mov_b32_e32 v4, 0x7f
	v_cmp_lt_u32_e32 vcc, s16, v0
	v_cndmask_b32_e32 v3, v3, v4, vcc
; %bb.1450:
	s_or_b64 exec, exec, s[14:15]
	global_store_byte v[1:2], v3, off
.LBB159_1451:
	s_mov_b64 s[14:15], 0
.LBB159_1452:
	s_andn2_b64 vcc, exec, s[14:15]
	s_mov_b64 s[14:15], 0
	s_cbranch_vccnz .LBB159_1461
; %bb.1453:
	s_cmp_gt_i32 s22, 14
	s_mov_b64 s[16:17], -1
	s_cbranch_scc0 .LBB159_1457
; %bb.1454:
	s_cmp_eq_u32 s22, 15
	s_mov_b64 s[0:1], -1
	s_cbranch_scc0 .LBB159_1456
; %bb.1455:
	v_cndmask_b32_e64 v0, 0, 1.0, s[12:13]
	v_bfe_u32 v3, v0, 16, 1
	s_movk_i32 s0, 0x7fff
	v_add3_u32 v0, v0, v3, s0
	global_store_short_d16_hi v[1:2], v0, off
	s_mov_b64 s[0:1], 0
.LBB159_1456:
	s_mov_b64 s[16:17], 0
.LBB159_1457:
	s_and_b64 vcc, exec, s[16:17]
	s_cbranch_vccz .LBB159_1461
; %bb.1458:
	s_cmp_lg_u32 s22, 11
	s_cselect_b64 s[16:17], -1, 0
	s_andn2_b64 s[0:1], s[0:1], exec
	s_and_b64 s[16:17], s[16:17], exec
	s_mov_b64 s[14:15], -1
	s_or_b64 s[0:1], s[0:1], s[16:17]
	s_branch .LBB159_1461
.LBB159_1459:
	s_mov_b64 s[14:15], 0
	s_mov_b64 s[8:9], -1
	s_mov_b64 s[0:1], s[38:39]
	s_branch .LBB159_1461
.LBB159_1460:
	s_mov_b64 s[14:15], 0
.LBB159_1461:
	s_and_b64 s[22:23], s[8:9], exec
	s_andn2_b64 s[8:9], s[38:39], exec
	s_and_b64 s[0:1], s[0:1], exec
	s_and_b64 s[28:29], s[14:15], exec
	s_or_b64 s[38:39], s[8:9], s[0:1]
	s_or_b64 exec, exec, s[18:19]
	s_and_saveexec_b64 s[0:1], s[38:39]
	s_cbranch_execz .LBB159_1371
.LBB159_1462:
	s_or_b64 s[10:11], s[10:11], exec
	s_andn2_b64 s[28:29], s[28:29], exec
	s_trap 2
	s_or_b64 exec, exec, s[0:1]
	s_and_saveexec_b64 s[0:1], s[28:29]
	s_xor_b64 s[0:1], exec, s[0:1]
	s_cbranch_execnz .LBB159_1372
.LBB159_1463:
	s_or_b64 exec, exec, s[0:1]
	s_and_saveexec_b64 s[0:1], s[22:23]
	s_xor_b64 s[0:1], exec, s[0:1]
	s_cbranch_execz .LBB159_1501
.LBB159_1464:
	s_sext_i32_i16 s14, s30
	s_cmp_lt_i32 s14, 5
	s_mov_b64 s[8:9], -1
	s_cbranch_scc1 .LBB159_1485
; %bb.1465:
	s_cmp_lt_i32 s14, 8
	s_cbranch_scc1 .LBB159_1475
; %bb.1466:
	s_cmp_lt_i32 s14, 9
	s_cbranch_scc1 .LBB159_1472
; %bb.1467:
	s_cmp_gt_i32 s14, 9
	s_cbranch_scc0 .LBB159_1469
; %bb.1468:
	v_cndmask_b32_e64 v0, 0, 1, s[12:13]
	v_cvt_f64_u32_e32 v[3:4], v0
	v_mov_b32_e32 v5, 0
	v_mov_b32_e32 v6, v5
	s_mov_b64 s[8:9], 0
	global_store_dwordx4 v[1:2], v[3:6], off
.LBB159_1469:
	s_andn2_b64 vcc, exec, s[8:9]
	s_cbranch_vccnz .LBB159_1471
; %bb.1470:
	v_cndmask_b32_e64 v3, 0, 1.0, s[12:13]
	v_mov_b32_e32 v4, 0
	global_store_dwordx2 v[1:2], v[3:4], off
.LBB159_1471:
	s_mov_b64 s[8:9], 0
.LBB159_1472:
	s_andn2_b64 vcc, exec, s[8:9]
	s_cbranch_vccnz .LBB159_1474
; %bb.1473:
	v_cndmask_b32_e64 v0, 0, 1.0, s[12:13]
	v_cvt_f16_f32_e32 v0, v0
	global_store_dword v[1:2], v0, off
.LBB159_1474:
	s_mov_b64 s[8:9], 0
.LBB159_1475:
	s_andn2_b64 vcc, exec, s[8:9]
	s_cbranch_vccnz .LBB159_1484
; %bb.1476:
	s_sext_i32_i16 s14, s30
	s_cmp_lt_i32 s14, 6
	s_mov_b64 s[8:9], -1
	s_cbranch_scc1 .LBB159_1482
; %bb.1477:
	s_cmp_gt_i32 s14, 6
	s_cbranch_scc0 .LBB159_1479
; %bb.1478:
	v_cndmask_b32_e64 v0, 0, 1, s[12:13]
	v_cvt_f64_u32_e32 v[3:4], v0
	s_mov_b64 s[8:9], 0
	global_store_dwordx2 v[1:2], v[3:4], off
.LBB159_1479:
	s_andn2_b64 vcc, exec, s[8:9]
	s_cbranch_vccnz .LBB159_1481
; %bb.1480:
	v_cndmask_b32_e64 v0, 0, 1.0, s[12:13]
	global_store_dword v[1:2], v0, off
.LBB159_1481:
	s_mov_b64 s[8:9], 0
.LBB159_1482:
	s_andn2_b64 vcc, exec, s[8:9]
	s_cbranch_vccnz .LBB159_1484
; %bb.1483:
	v_cndmask_b32_e64 v0, 0, 1.0, s[12:13]
	v_cvt_f16_f32_e32 v0, v0
	global_store_short v[1:2], v0, off
.LBB159_1484:
	s_mov_b64 s[8:9], 0
.LBB159_1485:
	s_andn2_b64 vcc, exec, s[8:9]
	s_cbranch_vccnz .LBB159_1501
; %bb.1486:
	s_sext_i32_i16 s14, s30
	s_cmp_lt_i32 s14, 2
	s_mov_b64 s[8:9], -1
	s_cbranch_scc1 .LBB159_1496
; %bb.1487:
	s_cmp_lt_i32 s14, 3
	s_cbranch_scc1 .LBB159_1493
; %bb.1488:
	s_cmp_gt_i32 s14, 3
	s_cbranch_scc0 .LBB159_1490
; %bb.1489:
	s_mov_b32 s8, 0
	v_cndmask_b32_e64 v3, 0, 1, s[12:13]
	v_mov_b32_e32 v4, s8
	s_mov_b64 s[8:9], 0
	global_store_dwordx2 v[1:2], v[3:4], off
.LBB159_1490:
	s_andn2_b64 vcc, exec, s[8:9]
	s_cbranch_vccnz .LBB159_1492
; %bb.1491:
	v_cndmask_b32_e64 v0, 0, 1, s[12:13]
	global_store_dword v[1:2], v0, off
.LBB159_1492:
	s_mov_b64 s[8:9], 0
.LBB159_1493:
	s_andn2_b64 vcc, exec, s[8:9]
	s_cbranch_vccnz .LBB159_1495
; %bb.1494:
	v_cndmask_b32_e64 v0, 0, 1, s[12:13]
	global_store_short v[1:2], v0, off
.LBB159_1495:
	s_mov_b64 s[8:9], 0
.LBB159_1496:
	s_andn2_b64 vcc, exec, s[8:9]
	s_cbranch_vccnz .LBB159_1501
; %bb.1497:
	s_sext_i32_i16 s14, s30
	s_mov_b64 s[8:9], -1
	s_cmp_gt_i32 s14, 0
	v_cndmask_b32_e64 v0, 0, 1, s[12:13]
	s_cbranch_scc0 .LBB159_1499
; %bb.1498:
	s_mov_b64 s[8:9], 0
	global_store_byte v[1:2], v0, off
.LBB159_1499:
	s_andn2_b64 vcc, exec, s[8:9]
	s_cbranch_vccnz .LBB159_1501
; %bb.1500:
	global_store_byte v[1:2], v0, off
.LBB159_1501:
	s_or_b64 exec, exec, s[0:1]
	s_and_b64 s[12:13], s[10:11], exec
                                        ; implicit-def: $vgpr23
                                        ; implicit-def: $vgpr8
.LBB159_1502:
	s_or_saveexec_b64 s[14:15], s[26:27]
	s_mov_b64 s[0:1], 0
                                        ; implicit-def: $sgpr10_sgpr11
                                        ; implicit-def: $vgpr0_vgpr1
                                        ; implicit-def: $sgpr26
	s_xor_b64 exec, exec, s[14:15]
	s_cbranch_execz .LBB159_2494
; %bb.1503:
	v_cndmask_b32_e64 v0, 0, 1, s[24:25]
	v_cmp_ne_u32_e64 s[0:1], 1, v0
	s_andn2_b64 vcc, exec, s[24:25]
	s_cbranch_vccnz .LBB159_1509
; %bb.1504:
	s_cmp_lg_u32 s33, 0
	s_cbranch_scc0 .LBB159_1510
; %bb.1505:
	s_min_u32 s8, s72, 15
	s_add_i32 s6, s8, 1
	s_and_b32 s9, s6, 30
	s_add_u32 s6, s2, 0xffffffe8
	s_addc_u32 s7, s3, -1
	v_mov_b32_e32 v19, 0
	v_mov_b32_e32 v21, 0
	;; [unrolled: 1-line block ×4, first 2 shown]
.LBB159_1506:                           ; =>This Inner Loop Header: Depth=1
	s_load_dwordx4 s[16:19], s[6:7], 0x1c
	s_load_dwordx2 s[10:11], s[6:7], 0x2c
	s_load_dwordx2 s[24:25], s[6:7], 0xec
	s_load_dwordx4 s[20:23], s[6:7], 0xdc
	s_add_u32 s6, s6, 24
	s_waitcnt lgkmcnt(0)
	v_mul_hi_u32 v1, s17, v0
	s_addc_u32 s7, s7, 0
	s_add_i32 s9, s9, -2
	s_cmp_lg_u32 s9, 0
	v_add_u32_e32 v1, v0, v1
	v_lshrrev_b32_e32 v1, s18, v1
	v_mul_lo_u32 v2, v1, s16
	v_mul_hi_u32 v3, s10, v1
	v_sub_u32_e32 v2, v0, v2
	v_add_u32_e32 v0, v1, v3
	v_lshrrev_b32_e32 v0, s11, v0
	v_mul_lo_u32 v5, v0, s19
	v_mul_lo_u32 v3, v2, s20
	;; [unrolled: 1-line block ×4, first 2 shown]
	v_sub_u32_e32 v1, v1, v5
	v_mul_lo_u32 v5, v1, s23
	v_mul_lo_u32 v7, v1, s24
	;; [unrolled: 1-line block ×3, first 2 shown]
	v_add3_u32 v6, v3, v6, v5
	v_add3_u32 v21, v4, v21, v7
	;; [unrolled: 1-line block ×3, first 2 shown]
	s_cbranch_scc1 .LBB159_1506
; %bb.1507:
	s_bitcmp1_b32 s8, 0
	s_cselect_b64 s[8:9], -1, 0
	s_and_b64 vcc, exec, s[8:9]
	s_cbranch_vccnz .LBB159_1511
; %bb.1508:
	s_load_dwordx2 s[8:9], s[6:7], 0x1c
	s_load_dword s16, s[6:7], 0x24
	s_load_dwordx2 s[10:11], s[6:7], 0xdc
	s_waitcnt lgkmcnt(0)
	v_mul_hi_u32 v1, s9, v0
	v_add_u32_e32 v1, v0, v1
	v_lshrrev_b32_e32 v1, s16, v1
	v_mul_lo_u32 v1, v1, s8
	s_load_dword s8, s[6:7], 0xe4
	v_sub_u32_e32 v0, v0, v1
	v_mad_u64_u32 v[6:7], s[6:7], v0, s10, v[6:7]
	v_mad_u64_u32 v[21:22], s[6:7], v0, s11, v[21:22]
	s_waitcnt lgkmcnt(0)
	v_mad_u64_u32 v[19:20], s[6:7], v0, s8, v[19:20]
	s_cbranch_execz .LBB159_1512
	s_branch .LBB159_1514
.LBB159_1509:
                                        ; implicit-def: $vgpr6
                                        ; implicit-def: $vgpr21
                                        ; implicit-def: $vgpr19
	s_branch .LBB159_1512
.LBB159_1510:
	v_mov_b32_e32 v6, 0
	v_mov_b32_e32 v21, 0
	;; [unrolled: 1-line block ×3, first 2 shown]
.LBB159_1511:
	s_cbranch_execnz .LBB159_1514
.LBB159_1512:
	s_load_dwordx4 s[8:11], s[2:3], 0x4
	s_load_dwordx4 s[16:19], s[2:3], 0xc4
	s_cmp_lt_u32 s33, 2
	s_waitcnt lgkmcnt(0)
	v_mul_hi_u32 v0, s9, v8
	v_add_u32_e32 v0, v8, v0
	v_lshrrev_b32_e32 v0, s10, v0
	v_mul_lo_u32 v1, v0, s8
	v_sub_u32_e32 v1, v8, v1
	v_mul_lo_u32 v6, v1, s16
	v_mul_lo_u32 v21, v1, s17
	v_mul_lo_u32 v19, v1, s18
	s_cbranch_scc1 .LBB159_1514
; %bb.1513:
	s_load_dwordx4 s[8:11], s[2:3], 0x10
	s_load_dwordx4 s[16:19], s[2:3], 0xd0
	s_waitcnt lgkmcnt(0)
	v_mul_hi_u32 v1, s9, v0
	v_add_u32_e32 v1, v0, v1
	v_lshrrev_b32_e32 v1, s10, v1
	v_mul_lo_u32 v1, v1, s8
	v_sub_u32_e32 v0, v0, v1
	v_mad_u64_u32 v[6:7], s[6:7], v0, s16, v[6:7]
	v_mad_u64_u32 v[21:22], s[6:7], v0, s17, v[21:22]
	;; [unrolled: 1-line block ×3, first 2 shown]
.LBB159_1514:
	s_and_b64 vcc, exec, s[0:1]
	v_add_u32_e32 v0, 0x80, v8
	s_cbranch_vccnz .LBB159_1520
; %bb.1515:
	s_cmp_lg_u32 s33, 0
	s_cbranch_scc0 .LBB159_1521
; %bb.1516:
	s_min_u32 s8, s72, 15
	s_add_i32 s6, s8, 1
	s_and_b32 s9, s6, 30
	s_add_u32 s6, s2, 0xffffffe8
	s_addc_u32 s7, s3, -1
	v_mov_b32_e32 v15, 0
	v_mov_b32_e32 v17, 0
	;; [unrolled: 1-line block ×4, first 2 shown]
.LBB159_1517:                           ; =>This Inner Loop Header: Depth=1
	s_load_dwordx4 s[16:19], s[6:7], 0x1c
	s_load_dwordx2 s[10:11], s[6:7], 0x2c
	s_load_dwordx2 s[24:25], s[6:7], 0xec
	s_load_dwordx4 s[20:23], s[6:7], 0xdc
	s_add_u32 s6, s6, 24
	s_waitcnt lgkmcnt(0)
	v_mul_hi_u32 v2, s17, v1
	s_addc_u32 s7, s7, 0
	s_add_i32 s9, s9, -2
	s_cmp_lg_u32 s9, 0
	v_add_u32_e32 v2, v1, v2
	v_lshrrev_b32_e32 v2, s18, v2
	v_mul_lo_u32 v3, v2, s16
	v_mul_hi_u32 v5, s10, v2
	v_sub_u32_e32 v3, v1, v3
	v_add_u32_e32 v1, v2, v5
	v_lshrrev_b32_e32 v1, s11, v1
	v_mul_lo_u32 v9, v1, s19
	v_mul_lo_u32 v5, v3, s20
	;; [unrolled: 1-line block ×4, first 2 shown]
	v_sub_u32_e32 v2, v2, v9
	v_mul_lo_u32 v9, v2, s23
	v_mul_lo_u32 v10, v2, s24
	;; [unrolled: 1-line block ×3, first 2 shown]
	v_add3_u32 v4, v5, v4, v9
	v_add3_u32 v17, v7, v17, v10
	;; [unrolled: 1-line block ×3, first 2 shown]
	s_cbranch_scc1 .LBB159_1517
; %bb.1518:
	s_bitcmp1_b32 s8, 0
	s_cselect_b64 s[8:9], -1, 0
	s_and_b64 vcc, exec, s[8:9]
	s_cbranch_vccnz .LBB159_1522
; %bb.1519:
	s_load_dwordx2 s[8:9], s[6:7], 0x1c
	s_load_dword s16, s[6:7], 0x24
	s_load_dwordx2 s[10:11], s[6:7], 0xdc
	s_waitcnt lgkmcnt(0)
	v_mul_hi_u32 v2, s9, v1
	v_add_u32_e32 v2, v1, v2
	v_lshrrev_b32_e32 v2, s16, v2
	v_mul_lo_u32 v2, v2, s8
	s_load_dword s8, s[6:7], 0xe4
	v_sub_u32_e32 v1, v1, v2
	v_mad_u64_u32 v[4:5], s[6:7], v1, s10, v[4:5]
	v_mad_u64_u32 v[17:18], s[6:7], v1, s11, v[17:18]
	s_waitcnt lgkmcnt(0)
	v_mad_u64_u32 v[15:16], s[6:7], v1, s8, v[15:16]
	s_cbranch_execz .LBB159_1523
	s_branch .LBB159_1525
.LBB159_1520:
                                        ; implicit-def: $vgpr4
                                        ; implicit-def: $vgpr17
                                        ; implicit-def: $vgpr15
	s_branch .LBB159_1523
.LBB159_1521:
	v_mov_b32_e32 v4, 0
	v_mov_b32_e32 v17, 0
	;; [unrolled: 1-line block ×3, first 2 shown]
.LBB159_1522:
	s_cbranch_execnz .LBB159_1525
.LBB159_1523:
	s_load_dwordx4 s[8:11], s[2:3], 0x4
	s_load_dwordx4 s[16:19], s[2:3], 0xc4
	s_cmp_lt_u32 s33, 2
	s_waitcnt lgkmcnt(0)
	v_mul_hi_u32 v1, s9, v0
	v_add_u32_e32 v1, v0, v1
	v_lshrrev_b32_e32 v1, s10, v1
	v_mul_lo_u32 v2, v1, s8
	v_sub_u32_e32 v0, v0, v2
	v_mul_lo_u32 v4, v0, s16
	v_mul_lo_u32 v17, v0, s17
	;; [unrolled: 1-line block ×3, first 2 shown]
	s_cbranch_scc1 .LBB159_1525
; %bb.1524:
	s_load_dwordx4 s[8:11], s[2:3], 0x10
	s_load_dwordx4 s[16:19], s[2:3], 0xd0
	s_waitcnt lgkmcnt(0)
	v_mul_hi_u32 v0, s9, v1
	v_add_u32_e32 v0, v1, v0
	v_lshrrev_b32_e32 v0, s10, v0
	v_mul_lo_u32 v0, v0, s8
	v_sub_u32_e32 v0, v1, v0
	v_mad_u64_u32 v[4:5], s[6:7], v0, s16, v[4:5]
	v_mad_u64_u32 v[17:18], s[6:7], v0, s17, v[17:18]
	;; [unrolled: 1-line block ×3, first 2 shown]
.LBB159_1525:
	s_and_b64 vcc, exec, s[0:1]
	v_add_u32_e32 v0, 0x100, v8
	s_cbranch_vccnz .LBB159_1531
; %bb.1526:
	s_cmp_lg_u32 s33, 0
	s_cbranch_scc0 .LBB159_1532
; %bb.1527:
	s_min_u32 s8, s72, 15
	s_add_i32 s6, s8, 1
	s_and_b32 s9, s6, 30
	s_add_u32 s6, s2, 0xffffffe8
	s_addc_u32 s7, s3, -1
	v_mov_b32_e32 v11, 0
	v_mov_b32_e32 v13, 0
	;; [unrolled: 1-line block ×4, first 2 shown]
.LBB159_1528:                           ; =>This Inner Loop Header: Depth=1
	s_load_dwordx4 s[16:19], s[6:7], 0x1c
	s_load_dwordx2 s[10:11], s[6:7], 0x2c
	s_load_dwordx2 s[24:25], s[6:7], 0xec
	s_load_dwordx4 s[20:23], s[6:7], 0xdc
	s_add_u32 s6, s6, 24
	s_waitcnt lgkmcnt(0)
	v_mul_hi_u32 v3, s17, v1
	s_addc_u32 s7, s7, 0
	s_add_i32 s9, s9, -2
	s_cmp_lg_u32 s9, 0
	v_add_u32_e32 v3, v1, v3
	v_lshrrev_b32_e32 v3, s18, v3
	v_mul_lo_u32 v5, v3, s16
	v_mul_hi_u32 v7, s10, v3
	v_sub_u32_e32 v5, v1, v5
	v_add_u32_e32 v1, v3, v7
	v_lshrrev_b32_e32 v1, s11, v1
	v_mul_lo_u32 v9, v1, s19
	v_mul_lo_u32 v7, v5, s20
	;; [unrolled: 1-line block ×4, first 2 shown]
	v_sub_u32_e32 v3, v3, v9
	v_mul_lo_u32 v9, v3, s23
	v_mul_lo_u32 v10, v3, s24
	;; [unrolled: 1-line block ×3, first 2 shown]
	v_add3_u32 v2, v7, v2, v9
	v_add3_u32 v13, v8, v13, v10
	;; [unrolled: 1-line block ×3, first 2 shown]
	s_cbranch_scc1 .LBB159_1528
; %bb.1529:
	s_bitcmp1_b32 s8, 0
	s_cselect_b64 s[8:9], -1, 0
	s_and_b64 vcc, exec, s[8:9]
	s_cbranch_vccnz .LBB159_1533
; %bb.1530:
	s_load_dwordx2 s[8:9], s[6:7], 0x1c
	s_load_dword s16, s[6:7], 0x24
	s_load_dwordx2 s[10:11], s[6:7], 0xdc
	s_waitcnt lgkmcnt(0)
	v_mul_hi_u32 v3, s9, v1
	v_add_u32_e32 v3, v1, v3
	v_lshrrev_b32_e32 v3, s16, v3
	v_mul_lo_u32 v3, v3, s8
	s_load_dword s8, s[6:7], 0xe4
	v_sub_u32_e32 v1, v1, v3
	v_mad_u64_u32 v[2:3], s[6:7], v1, s10, v[2:3]
	v_mad_u64_u32 v[13:14], s[6:7], v1, s11, v[13:14]
	s_waitcnt lgkmcnt(0)
	v_mad_u64_u32 v[11:12], s[6:7], v1, s8, v[11:12]
	s_cbranch_execz .LBB159_1534
	s_branch .LBB159_1536
.LBB159_1531:
                                        ; implicit-def: $vgpr2
                                        ; implicit-def: $vgpr13
                                        ; implicit-def: $vgpr11
	s_branch .LBB159_1534
.LBB159_1532:
	v_mov_b32_e32 v2, 0
	v_mov_b32_e32 v13, 0
	v_mov_b32_e32 v11, 0
.LBB159_1533:
	s_cbranch_execnz .LBB159_1536
.LBB159_1534:
	s_load_dwordx4 s[8:11], s[2:3], 0x4
	s_load_dwordx4 s[16:19], s[2:3], 0xc4
	s_cmp_lt_u32 s33, 2
	s_waitcnt lgkmcnt(0)
	v_mul_hi_u32 v1, s9, v0
	v_add_u32_e32 v1, v0, v1
	v_lshrrev_b32_e32 v1, s10, v1
	v_mul_lo_u32 v2, v1, s8
	v_sub_u32_e32 v0, v0, v2
	v_mul_lo_u32 v2, v0, s16
	v_mul_lo_u32 v13, v0, s17
	;; [unrolled: 1-line block ×3, first 2 shown]
	s_cbranch_scc1 .LBB159_1536
; %bb.1535:
	s_load_dwordx4 s[8:11], s[2:3], 0x10
	s_load_dwordx4 s[16:19], s[2:3], 0xd0
	s_waitcnt lgkmcnt(0)
	v_mul_hi_u32 v0, s9, v1
	v_add_u32_e32 v0, v1, v0
	v_lshrrev_b32_e32 v0, s10, v0
	v_mul_lo_u32 v0, v0, s8
	v_sub_u32_e32 v0, v1, v0
	v_mad_u64_u32 v[2:3], s[6:7], v0, s16, v[2:3]
	v_mad_u64_u32 v[13:14], s[6:7], v0, s17, v[13:14]
	;; [unrolled: 1-line block ×3, first 2 shown]
.LBB159_1536:
	s_and_b64 vcc, exec, s[0:1]
	s_cbranch_vccnz .LBB159_1542
; %bb.1537:
	s_cmp_lg_u32 s33, 0
	s_cbranch_scc0 .LBB159_1543
; %bb.1538:
	s_min_u32 s6, s72, 15
	s_add_i32 s0, s6, 1
	s_and_b32 s7, s0, 30
	s_add_u32 s0, s2, 0xffffffe8
	s_addc_u32 s1, s3, -1
	v_mov_b32_e32 v7, 0
	v_mov_b32_e32 v9, 0
	;; [unrolled: 1-line block ×4, first 2 shown]
.LBB159_1539:                           ; =>This Inner Loop Header: Depth=1
	s_load_dwordx4 s[8:11], s[0:1], 0x1c
	s_load_dwordx2 s[20:21], s[0:1], 0x2c
	s_load_dwordx2 s[22:23], s[0:1], 0xec
	s_load_dwordx4 s[16:19], s[0:1], 0xdc
	s_add_u32 s0, s0, 24
	s_waitcnt lgkmcnt(0)
	v_mul_hi_u32 v3, s9, v1
	s_addc_u32 s1, s1, 0
	s_add_i32 s7, s7, -2
	s_cmp_lg_u32 s7, 0
	v_add_u32_e32 v3, v1, v3
	v_lshrrev_b32_e32 v3, s10, v3
	v_mul_lo_u32 v5, v3, s8
	v_mul_hi_u32 v8, s20, v3
	v_sub_u32_e32 v5, v1, v5
	v_add_u32_e32 v1, v3, v8
	v_lshrrev_b32_e32 v1, s21, v1
	v_mul_lo_u32 v12, v1, s11
	v_mul_lo_u32 v8, v5, s16
	v_mul_lo_u32 v10, v5, s17
	v_mul_lo_u32 v5, v5, s18
	v_sub_u32_e32 v3, v3, v12
	v_mul_lo_u32 v12, v3, s19
	v_mul_lo_u32 v14, v3, s22
	;; [unrolled: 1-line block ×3, first 2 shown]
	v_add3_u32 v0, v8, v0, v12
	v_add3_u32 v9, v10, v9, v14
	;; [unrolled: 1-line block ×3, first 2 shown]
	s_cbranch_scc1 .LBB159_1539
; %bb.1540:
	s_bitcmp1_b32 s6, 0
	s_cselect_b64 s[6:7], -1, 0
	s_and_b64 vcc, exec, s[6:7]
	s_cbranch_vccnz .LBB159_1544
; %bb.1541:
	s_load_dwordx2 s[6:7], s[0:1], 0x1c
	s_load_dword s10, s[0:1], 0x24
	s_load_dwordx2 s[8:9], s[0:1], 0xdc
	s_waitcnt lgkmcnt(0)
	v_mul_hi_u32 v3, s7, v1
	v_add_u32_e32 v3, v1, v3
	v_lshrrev_b32_e32 v3, s10, v3
	v_mul_lo_u32 v3, v3, s6
	s_load_dword s6, s[0:1], 0xe4
	v_sub_u32_e32 v3, v1, v3
	v_mad_u64_u32 v[0:1], s[0:1], v3, s8, v[0:1]
	v_mad_u64_u32 v[9:10], s[0:1], v3, s9, v[9:10]
	s_waitcnt lgkmcnt(0)
	v_mad_u64_u32 v[7:8], s[0:1], v3, s6, v[7:8]
	s_cbranch_execz .LBB159_1545
	s_branch .LBB159_1547
.LBB159_1542:
                                        ; implicit-def: $vgpr0
                                        ; implicit-def: $vgpr9
                                        ; implicit-def: $vgpr7
	s_branch .LBB159_1545
.LBB159_1543:
	v_mov_b32_e32 v0, 0
	v_mov_b32_e32 v9, 0
	;; [unrolled: 1-line block ×3, first 2 shown]
.LBB159_1544:
	s_cbranch_execnz .LBB159_1547
.LBB159_1545:
	s_load_dwordx4 s[8:11], s[2:3], 0x4
	s_load_dwordx4 s[16:19], s[2:3], 0xc4
	s_cmp_lt_u32 s33, 2
	s_waitcnt lgkmcnt(0)
	v_mul_hi_u32 v0, s9, v23
	v_add_u32_e32 v0, v23, v0
	v_lshrrev_b32_e32 v1, s10, v0
	v_mul_lo_u32 v0, v1, s8
	v_sub_u32_e32 v3, v23, v0
	v_mul_lo_u32 v0, v3, s16
	v_mul_lo_u32 v9, v3, s17
	;; [unrolled: 1-line block ×3, first 2 shown]
	s_cbranch_scc1 .LBB159_1547
; %bb.1546:
	s_load_dwordx4 s[8:11], s[2:3], 0x10
	s_load_dwordx4 s[16:19], s[2:3], 0xd0
	s_waitcnt lgkmcnt(0)
	v_mul_hi_u32 v3, s9, v1
	v_add_u32_e32 v3, v1, v3
	v_lshrrev_b32_e32 v3, s10, v3
	v_mul_lo_u32 v3, v3, s8
	v_sub_u32_e32 v3, v1, v3
	v_mad_u64_u32 v[0:1], s[0:1], v3, s16, v[0:1]
	v_mad_u64_u32 v[9:10], s[0:1], v3, s17, v[9:10]
	;; [unrolled: 1-line block ×3, first 2 shown]
.LBB159_1547:
	s_load_dwordx4 s[8:11], s[2:3], 0x188
	s_load_dword s26, s[4:5], 0x1ac
	s_waitcnt lgkmcnt(0)
	v_mov_b32_e32 v1, s11
	s_bfe_u32 s20, s26, 0x80008
	v_add_co_u32_e32 v20, vcc, s10, v21
	s_cmp_lt_i32 s20, 11
	v_addc_co_u32_e32 v21, vcc, 0, v1, vcc
	s_cbranch_scc1 .LBB159_1554
; %bb.1548:
	s_and_b32 s21, 0xffff, s20
	s_cmp_gt_i32 s21, 25
	s_mov_b64 s[18:19], 0
	s_cbranch_scc0 .LBB159_1556
; %bb.1549:
	s_cmp_gt_i32 s21, 28
	s_cbranch_scc0 .LBB159_1557
; %bb.1550:
	s_cmp_gt_i32 s21, 43
	;; [unrolled: 3-line block ×3, first 2 shown]
	s_cbranch_scc0 .LBB159_1559
; %bb.1552:
	s_cmp_eq_u32 s21, 46
	s_mov_b64 s[4:5], 0
	s_cbranch_scc0 .LBB159_1562
; %bb.1553:
	global_load_dword v1, v[20:21], off
	s_mov_b64 s[0:1], 0
	s_mov_b64 s[6:7], -1
	s_waitcnt vmcnt(0)
	v_and_b32_e32 v1, 0x7fff7fff, v1
	v_cmp_ne_u32_e64 s[16:17], 0, v1
	s_branch .LBB159_1563
.LBB159_1554:
	s_mov_b64 s[6:7], 0
                                        ; implicit-def: $sgpr16_sgpr17
	s_mov_b64 s[4:5], s[12:13]
	s_cbranch_execnz .LBB159_1608
.LBB159_1555:
	s_andn2_b64 vcc, exec, s[6:7]
	s_cbranch_vccz .LBB159_1653
	s_branch .LBB159_2491
.LBB159_1556:
	s_mov_b64 s[6:7], 0
	s_mov_b64 s[0:1], 0
                                        ; implicit-def: $sgpr16_sgpr17
	s_cbranch_execnz .LBB159_1583
	s_branch .LBB159_1604
.LBB159_1557:
	s_mov_b64 s[4:5], -1
	s_mov_b64 s[6:7], 0
	s_mov_b64 s[0:1], 0
                                        ; implicit-def: $sgpr16_sgpr17
	s_branch .LBB159_1570
.LBB159_1558:
	s_mov_b64 s[6:7], 0
	s_mov_b64 s[0:1], 0
                                        ; implicit-def: $sgpr16_sgpr17
	s_cbranch_execnz .LBB159_1566
	s_branch .LBB159_1569
.LBB159_1559:
	s_mov_b64 s[4:5], -1
	s_mov_b64 s[6:7], 0
	s_mov_b64 s[0:1], 0
                                        ; implicit-def: $sgpr16_sgpr17
	s_branch .LBB159_1563
.LBB159_1560:
	s_andn2_saveexec_b64 s[16:17], s[16:17]
	s_cbranch_execz .LBB159_1414
.LBB159_1561:
	v_add_f32_e32 v0, 0x46000000, v3
	v_and_b32_e32 v0, 0xff, v0
	v_cmp_ne_u32_e32 vcc, 0, v0
	s_andn2_b64 s[14:15], s[14:15], exec
	s_and_b64 s[20:21], vcc, exec
	s_or_b64 s[14:15], s[14:15], s[20:21]
	s_or_b64 exec, exec, s[16:17]
	v_mov_b32_e32 v4, 0
	s_and_saveexec_b64 s[16:17], s[14:15]
	s_cbranch_execnz .LBB159_1415
	s_branch .LBB159_1416
.LBB159_1562:
	s_mov_b64 s[0:1], -1
                                        ; implicit-def: $sgpr16_sgpr17
	s_mov_b64 s[6:7], 0
.LBB159_1563:
	s_and_b64 vcc, exec, s[4:5]
	s_cbranch_vccz .LBB159_1565
; %bb.1564:
	s_cmp_lg_u32 s21, 44
	s_mov_b64 s[6:7], -1
	s_cselect_b64 s[0:1], -1, 0
	s_or_b64 s[16:17], s[16:17], exec
.LBB159_1565:
	s_branch .LBB159_1569
.LBB159_1566:
	s_cmp_eq_u32 s21, 29
	s_cbranch_scc0 .LBB159_1568
; %bb.1567:
	global_load_dwordx2 v[22:23], v[20:21], off
	s_mov_b64 s[0:1], 0
	s_mov_b64 s[6:7], -1
	s_mov_b64 s[4:5], 0
	s_waitcnt vmcnt(0)
	v_cmp_ne_u64_e64 s[16:17], 0, v[22:23]
	s_branch .LBB159_1570
.LBB159_1568:
	s_mov_b64 s[0:1], -1
                                        ; implicit-def: $sgpr16_sgpr17
.LBB159_1569:
	s_mov_b64 s[4:5], 0
.LBB159_1570:
	s_and_b64 vcc, exec, s[4:5]
	s_cbranch_vccz .LBB159_1582
; %bb.1571:
	s_cmp_lt_i32 s21, 27
	s_cbranch_scc1 .LBB159_1574
; %bb.1572:
	s_cmp_gt_i32 s21, 27
	s_cbranch_scc0 .LBB159_1575
; %bb.1573:
	global_load_dword v1, v[20:21], off
	s_mov_b64 s[4:5], 0
	s_waitcnt vmcnt(0)
	v_cmp_ne_u32_e64 s[16:17], 0, v1
	s_branch .LBB159_1576
.LBB159_1574:
	s_mov_b64 s[4:5], -1
                                        ; implicit-def: $sgpr16_sgpr17
	s_branch .LBB159_1579
.LBB159_1575:
	s_mov_b64 s[4:5], -1
                                        ; implicit-def: $sgpr16_sgpr17
.LBB159_1576:
	s_andn2_b64 vcc, exec, s[4:5]
	s_cbranch_vccnz .LBB159_1578
; %bb.1577:
	global_load_ushort v1, v[20:21], off
	s_andn2_b64 s[4:5], s[16:17], exec
	s_waitcnt vmcnt(0)
	v_cmp_ne_u16_e32 vcc, 0, v1
	s_and_b64 s[6:7], vcc, exec
	s_or_b64 s[16:17], s[4:5], s[6:7]
.LBB159_1578:
	s_mov_b64 s[4:5], 0
.LBB159_1579:
	s_andn2_b64 vcc, exec, s[4:5]
	s_cbranch_vccnz .LBB159_1581
; %bb.1580:
	global_load_ubyte v1, v[20:21], off
	s_andn2_b64 s[4:5], s[16:17], exec
	s_waitcnt vmcnt(0)
	v_cmp_ne_u16_e32 vcc, 0, v1
	s_and_b64 s[6:7], vcc, exec
	s_or_b64 s[16:17], s[4:5], s[6:7]
.LBB159_1581:
	s_mov_b64 s[6:7], -1
.LBB159_1582:
	s_branch .LBB159_1604
.LBB159_1583:
	s_cmp_gt_i32 s21, 22
	s_cbranch_scc0 .LBB159_1587
; %bb.1584:
	s_cmp_lt_i32 s21, 24
	s_cbranch_scc1 .LBB159_1588
; %bb.1585:
	s_cmp_gt_i32 s21, 24
	s_cbranch_scc0 .LBB159_1589
; %bb.1586:
	global_load_ubyte v1, v[20:21], off
	s_mov_b64 s[4:5], 0
	s_waitcnt vmcnt(0)
	v_cmp_ne_u16_e64 s[16:17], 0, v1
	s_branch .LBB159_1590
.LBB159_1587:
                                        ; implicit-def: $sgpr16_sgpr17
	s_branch .LBB159_1596
.LBB159_1588:
	s_mov_b64 s[4:5], -1
                                        ; implicit-def: $sgpr16_sgpr17
	s_branch .LBB159_1593
.LBB159_1589:
	s_mov_b64 s[4:5], -1
                                        ; implicit-def: $sgpr16_sgpr17
.LBB159_1590:
	s_andn2_b64 vcc, exec, s[4:5]
	s_cbranch_vccnz .LBB159_1592
; %bb.1591:
	global_load_ubyte v1, v[20:21], off
	s_andn2_b64 s[4:5], s[16:17], exec
	s_waitcnt vmcnt(0)
	v_and_b32_e32 v1, 0x7f, v1
	v_cmp_ne_u16_e32 vcc, 0, v1
	s_and_b64 s[6:7], vcc, exec
	s_or_b64 s[16:17], s[4:5], s[6:7]
.LBB159_1592:
	s_mov_b64 s[4:5], 0
.LBB159_1593:
	s_andn2_b64 vcc, exec, s[4:5]
	s_cbranch_vccnz .LBB159_1595
; %bb.1594:
	global_load_ubyte v1, v[20:21], off
	s_movk_i32 s4, 0x7f00
	s_brev_b32 s5, 16
	s_waitcnt vmcnt(0)
	v_lshlrev_b32_e32 v3, 8, v1
	v_lshlrev_b32_e32 v1, 25, v1
	v_lshrrev_b32_e32 v5, 4, v1
	v_and_or_b32 v3, v3, s4, 0.5
	v_or_b32_e32 v5, 0x70000000, v5
	v_add_f32_e32 v3, -0.5, v3
	v_mul_f32_e32 v5, 0x7800000, v5
	v_cmp_gt_u32_e32 vcc, s5, v1
	v_cndmask_b32_e32 v1, v5, v3, vcc
	v_cmp_neq_f32_e32 vcc, 0, v1
	s_andn2_b64 s[4:5], s[16:17], exec
	s_and_b64 s[6:7], vcc, exec
	s_or_b64 s[16:17], s[4:5], s[6:7]
.LBB159_1595:
	s_mov_b64 s[6:7], -1
	s_cbranch_execnz .LBB159_1604
.LBB159_1596:
	s_cmp_gt_i32 s21, 14
	s_cbranch_scc0 .LBB159_1599
; %bb.1597:
	s_cmp_eq_u32 s21, 15
	s_cbranch_scc0 .LBB159_1600
; %bb.1598:
	global_load_ushort v1, v[20:21], off
	s_mov_b64 s[0:1], 0
	s_mov_b64 s[6:7], -1
	s_waitcnt vmcnt(0)
	v_and_b32_e32 v1, 0x7fff, v1
	v_cmp_ne_u16_e64 s[16:17], 0, v1
	s_branch .LBB159_1601
.LBB159_1599:
	s_mov_b64 s[4:5], -1
                                        ; implicit-def: $sgpr16_sgpr17
	s_branch .LBB159_1602
.LBB159_1600:
	s_mov_b64 s[0:1], -1
                                        ; implicit-def: $sgpr16_sgpr17
.LBB159_1601:
	s_mov_b64 s[4:5], 0
.LBB159_1602:
	s_and_b64 vcc, exec, s[4:5]
	s_cbranch_vccz .LBB159_1604
; %bb.1603:
	s_cmp_lg_u32 s21, 11
	s_mov_b64 s[18:19], -1
	s_cselect_b64 s[0:1], -1, 0
.LBB159_1604:
	s_and_b64 vcc, exec, s[0:1]
	s_mov_b64 s[4:5], s[12:13]
	s_cbranch_vccnz .LBB159_1665
; %bb.1605:
	s_andn2_b64 vcc, exec, s[18:19]
	s_cbranch_vccnz .LBB159_1607
.LBB159_1606:
	global_load_ubyte v1, v[20:21], off
	s_andn2_b64 s[0:1], s[16:17], exec
	s_mov_b64 s[6:7], -1
	s_waitcnt vmcnt(0)
	v_cmp_ne_u16_e32 vcc, 0, v1
	s_and_b64 s[16:17], vcc, exec
	s_or_b64 s[16:17], s[0:1], s[16:17]
.LBB159_1607:
	s_branch .LBB159_1555
.LBB159_1608:
	s_and_b32 s18, 0xffff, s20
	s_cmp_lt_i32 s18, 5
	s_cbranch_scc1 .LBB159_1613
; %bb.1609:
	s_cmp_lt_i32 s18, 8
	s_cbranch_scc1 .LBB159_1614
; %bb.1610:
	s_cmp_lt_i32 s18, 9
	s_cbranch_scc1 .LBB159_1615
; %bb.1611:
	s_cmp_gt_i32 s18, 9
	s_cbranch_scc0 .LBB159_1616
; %bb.1612:
	global_load_dwordx4 v[22:25], v[20:21], off
	s_mov_b64 s[6:7], 0
	s_waitcnt vmcnt(0)
	v_cmp_neq_f64_e32 vcc, 0, v[22:23]
	v_cmp_neq_f64_e64 s[0:1], 0, v[24:25]
	s_or_b64 s[16:17], vcc, s[0:1]
	s_branch .LBB159_1617
.LBB159_1613:
                                        ; implicit-def: $sgpr16_sgpr17
	s_branch .LBB159_1634
.LBB159_1614:
                                        ; implicit-def: $sgpr16_sgpr17
	s_branch .LBB159_1623
.LBB159_1615:
	s_mov_b64 s[0:1], -1
                                        ; implicit-def: $sgpr16_sgpr17
	s_branch .LBB159_1620
.LBB159_1616:
	s_mov_b64 s[6:7], -1
                                        ; implicit-def: $sgpr16_sgpr17
.LBB159_1617:
	s_andn2_b64 vcc, exec, s[6:7]
	s_cbranch_vccnz .LBB159_1619
; %bb.1618:
	global_load_dwordx2 v[22:23], v[20:21], off
	s_andn2_b64 s[0:1], s[16:17], exec
	s_waitcnt vmcnt(0)
	v_or_b32_e32 v1, v22, v23
	v_and_b32_e32 v1, 0x7fffffff, v1
	v_cmp_ne_u32_e32 vcc, 0, v1
	s_and_b64 s[6:7], vcc, exec
	s_or_b64 s[16:17], s[0:1], s[6:7]
.LBB159_1619:
	s_mov_b64 s[0:1], 0
.LBB159_1620:
	s_andn2_b64 vcc, exec, s[0:1]
	s_cbranch_vccnz .LBB159_1622
; %bb.1621:
	global_load_dword v1, v[20:21], off
	s_andn2_b64 s[0:1], s[16:17], exec
	s_waitcnt vmcnt(0)
	v_and_b32_e32 v1, 0x7fff7fff, v1
	v_cmp_ne_u32_e32 vcc, 0, v1
	s_and_b64 s[6:7], vcc, exec
	s_or_b64 s[16:17], s[0:1], s[6:7]
.LBB159_1622:
	s_cbranch_execnz .LBB159_1633
.LBB159_1623:
	s_cmp_lt_i32 s18, 6
	s_cbranch_scc1 .LBB159_1626
; %bb.1624:
	s_cmp_gt_i32 s18, 6
	s_cbranch_scc0 .LBB159_1627
; %bb.1625:
	global_load_dwordx2 v[22:23], v[20:21], off
	s_mov_b64 s[0:1], 0
	s_waitcnt vmcnt(0)
	v_cmp_neq_f64_e64 s[16:17], 0, v[22:23]
	s_branch .LBB159_1628
.LBB159_1626:
	s_mov_b64 s[0:1], -1
                                        ; implicit-def: $sgpr16_sgpr17
	s_branch .LBB159_1631
.LBB159_1627:
	s_mov_b64 s[0:1], -1
                                        ; implicit-def: $sgpr16_sgpr17
.LBB159_1628:
	s_andn2_b64 vcc, exec, s[0:1]
	s_cbranch_vccnz .LBB159_1630
; %bb.1629:
	global_load_dword v1, v[20:21], off
	s_andn2_b64 s[0:1], s[16:17], exec
	s_waitcnt vmcnt(0)
	v_cmp_neq_f32_e32 vcc, 0, v1
	s_and_b64 s[6:7], vcc, exec
	s_or_b64 s[16:17], s[0:1], s[6:7]
.LBB159_1630:
	s_mov_b64 s[0:1], 0
.LBB159_1631:
	s_andn2_b64 vcc, exec, s[0:1]
	s_cbranch_vccnz .LBB159_1633
; %bb.1632:
	global_load_ushort v1, v[20:21], off
	s_andn2_b64 s[0:1], s[16:17], exec
	s_waitcnt vmcnt(0)
	v_and_b32_e32 v1, 0x7fff, v1
	v_cmp_ne_u16_e32 vcc, 0, v1
	s_and_b64 s[6:7], vcc, exec
	s_or_b64 s[16:17], s[0:1], s[6:7]
.LBB159_1633:
	s_cbranch_execnz .LBB159_1652
.LBB159_1634:
	s_cmp_lt_i32 s18, 2
	s_cbranch_scc1 .LBB159_1638
; %bb.1635:
	s_cmp_lt_i32 s18, 3
	s_cbranch_scc1 .LBB159_1639
; %bb.1636:
	s_cmp_gt_i32 s18, 3
	s_cbranch_scc0 .LBB159_1640
; %bb.1637:
	global_load_dwordx2 v[22:23], v[20:21], off
	s_mov_b64 s[0:1], 0
	s_waitcnt vmcnt(0)
	v_cmp_ne_u64_e64 s[16:17], 0, v[22:23]
	s_branch .LBB159_1641
.LBB159_1638:
                                        ; implicit-def: $sgpr16_sgpr17
	s_branch .LBB159_1647
.LBB159_1639:
	s_mov_b64 s[0:1], -1
                                        ; implicit-def: $sgpr16_sgpr17
	s_branch .LBB159_1644
.LBB159_1640:
	s_mov_b64 s[0:1], -1
                                        ; implicit-def: $sgpr16_sgpr17
.LBB159_1641:
	s_andn2_b64 vcc, exec, s[0:1]
	s_cbranch_vccnz .LBB159_1643
; %bb.1642:
	global_load_dword v1, v[20:21], off
	s_andn2_b64 s[0:1], s[16:17], exec
	s_waitcnt vmcnt(0)
	v_cmp_ne_u32_e32 vcc, 0, v1
	s_and_b64 s[6:7], vcc, exec
	s_or_b64 s[16:17], s[0:1], s[6:7]
.LBB159_1643:
	s_mov_b64 s[0:1], 0
.LBB159_1644:
	s_andn2_b64 vcc, exec, s[0:1]
	s_cbranch_vccnz .LBB159_1646
; %bb.1645:
	global_load_ushort v1, v[20:21], off
	s_andn2_b64 s[0:1], s[16:17], exec
	s_waitcnt vmcnt(0)
	v_cmp_ne_u16_e32 vcc, 0, v1
	s_and_b64 s[6:7], vcc, exec
	s_or_b64 s[16:17], s[0:1], s[6:7]
.LBB159_1646:
	s_cbranch_execnz .LBB159_1652
.LBB159_1647:
	s_cmp_gt_i32 s18, 0
	s_cbranch_scc0 .LBB159_1649
; %bb.1648:
	global_load_ubyte v1, v[20:21], off
	s_mov_b64 s[0:1], 0
	s_waitcnt vmcnt(0)
	v_cmp_ne_u16_e64 s[16:17], 0, v1
	s_branch .LBB159_1650
.LBB159_1649:
	s_mov_b64 s[0:1], -1
                                        ; implicit-def: $sgpr16_sgpr17
.LBB159_1650:
	s_andn2_b64 vcc, exec, s[0:1]
	s_cbranch_vccnz .LBB159_1652
; %bb.1651:
	global_load_ubyte v1, v[20:21], off
	s_andn2_b64 s[0:1], s[16:17], exec
	s_waitcnt vmcnt(0)
	v_cmp_ne_u16_e32 vcc, 0, v1
	s_and_b64 s[6:7], vcc, exec
	s_or_b64 s[16:17], s[0:1], s[6:7]
.LBB159_1652:
.LBB159_1653:
	s_load_dwordx2 s[18:19], s[2:3], 0x198
	s_bfe_u32 s27, s26, 0x80010
	s_cmp_lt_i32 s27, 11
	s_waitcnt lgkmcnt(0)
	v_mov_b32_e32 v1, s19
	v_add_co_u32_e32 v18, vcc, s18, v19
	v_addc_co_u32_e32 v19, vcc, 0, v1, vcc
	s_cbranch_scc1 .LBB159_1660
; %bb.1654:
	s_and_b32 s28, 0xffff, s27
	s_cmp_gt_i32 s28, 25
	s_mov_b64 s[22:23], 0
	s_cbranch_scc0 .LBB159_1662
; %bb.1655:
	s_cmp_gt_i32 s28, 28
	s_cbranch_scc0 .LBB159_1663
; %bb.1656:
	s_cmp_gt_i32 s28, 43
	;; [unrolled: 3-line block ×3, first 2 shown]
	s_cbranch_scc0 .LBB159_1666
; %bb.1658:
	s_cmp_eq_u32 s28, 46
	s_mov_b64 s[24:25], 0
	s_cbranch_scc0 .LBB159_1669
; %bb.1659:
	global_load_dword v1, v[18:19], off
	s_mov_b64 s[6:7], 0
	s_mov_b64 s[20:21], -1
	s_waitcnt vmcnt(0)
	v_and_b32_e32 v1, 0x7fff7fff, v1
	v_cmp_ne_u32_e64 s[0:1], 0, v1
	s_branch .LBB159_1670
.LBB159_1660:
	s_mov_b64 s[20:21], 0
                                        ; implicit-def: $sgpr0_sgpr1
	s_cbranch_execnz .LBB159_1717
.LBB159_1661:
	s_andn2_b64 vcc, exec, s[20:21]
	s_cbranch_vccnz .LBB159_2491
	s_branch .LBB159_1764
.LBB159_1662:
	s_mov_b64 s[20:21], 0
	s_mov_b64 s[6:7], 0
                                        ; implicit-def: $sgpr0_sgpr1
	s_cbranch_execnz .LBB159_1691
	s_branch .LBB159_1713
.LBB159_1663:
	s_mov_b64 s[24:25], -1
	s_mov_b64 s[20:21], 0
	s_mov_b64 s[6:7], 0
                                        ; implicit-def: $sgpr0_sgpr1
	s_branch .LBB159_1678
.LBB159_1664:
	s_mov_b64 s[24:25], -1
	s_mov_b64 s[20:21], 0
	s_mov_b64 s[6:7], 0
                                        ; implicit-def: $sgpr0_sgpr1
	s_branch .LBB159_1673
.LBB159_1665:
	s_mov_b64 s[6:7], 0
	s_or_b64 s[4:5], s[12:13], exec
	s_trap 2
	s_cbranch_execz .LBB159_1606
	s_branch .LBB159_1607
.LBB159_1666:
	s_mov_b64 s[24:25], -1
	s_mov_b64 s[20:21], 0
	s_mov_b64 s[6:7], 0
                                        ; implicit-def: $sgpr0_sgpr1
	s_branch .LBB159_1670
.LBB159_1667:
	s_andn2_saveexec_b64 s[20:21], s[20:21]
	s_cbranch_execz .LBB159_1426
.LBB159_1668:
	v_add_f32_e32 v0, 0x42800000, v3
	v_and_b32_e32 v0, 0xff, v0
	v_cmp_ne_u32_e32 vcc, 0, v0
	s_andn2_b64 s[16:17], s[16:17], exec
	s_and_b64 s[28:29], vcc, exec
	s_or_b64 s[16:17], s[16:17], s[28:29]
	s_or_b64 exec, exec, s[20:21]
	v_mov_b32_e32 v4, 0
	s_and_saveexec_b64 s[20:21], s[16:17]
	s_cbranch_execnz .LBB159_1427
	s_branch .LBB159_1428
.LBB159_1669:
	s_mov_b64 s[6:7], -1
                                        ; implicit-def: $sgpr0_sgpr1
	s_mov_b64 s[20:21], 0
.LBB159_1670:
	s_and_b64 vcc, exec, s[24:25]
	s_cbranch_vccz .LBB159_1672
; %bb.1671:
	s_cmp_lg_u32 s28, 44
	s_mov_b64 s[20:21], -1
	s_cselect_b64 s[6:7], -1, 0
	s_or_b64 s[0:1], s[0:1], exec
.LBB159_1672:
	s_mov_b64 s[24:25], 0
.LBB159_1673:
	s_and_b64 vcc, exec, s[24:25]
	s_cbranch_vccz .LBB159_1677
; %bb.1674:
	s_cmp_eq_u32 s28, 29
	s_cbranch_scc0 .LBB159_1676
; %bb.1675:
	global_load_dwordx2 v[20:21], v[18:19], off
	s_mov_b64 s[6:7], 0
	s_mov_b64 s[20:21], -1
	s_mov_b64 s[24:25], 0
	s_waitcnt vmcnt(0)
	v_cmp_ne_u64_e64 s[0:1], 0, v[20:21]
	s_branch .LBB159_1678
.LBB159_1676:
	s_mov_b64 s[6:7], -1
                                        ; implicit-def: $sgpr0_sgpr1
.LBB159_1677:
	s_mov_b64 s[24:25], 0
.LBB159_1678:
	s_and_b64 vcc, exec, s[24:25]
	s_cbranch_vccz .LBB159_1690
; %bb.1679:
	s_cmp_lt_i32 s28, 27
	s_cbranch_scc1 .LBB159_1682
; %bb.1680:
	s_cmp_gt_i32 s28, 27
	s_cbranch_scc0 .LBB159_1683
; %bb.1681:
	global_load_dword v1, v[18:19], off
	s_mov_b64 s[20:21], 0
	s_waitcnt vmcnt(0)
	v_cmp_ne_u32_e64 s[0:1], 0, v1
	s_branch .LBB159_1684
.LBB159_1682:
	s_mov_b64 s[20:21], -1
                                        ; implicit-def: $sgpr0_sgpr1
	s_branch .LBB159_1687
.LBB159_1683:
	s_mov_b64 s[20:21], -1
                                        ; implicit-def: $sgpr0_sgpr1
.LBB159_1684:
	s_andn2_b64 vcc, exec, s[20:21]
	s_cbranch_vccnz .LBB159_1686
; %bb.1685:
	global_load_ushort v1, v[18:19], off
	s_andn2_b64 s[0:1], s[0:1], exec
	s_waitcnt vmcnt(0)
	v_cmp_ne_u16_e32 vcc, 0, v1
	s_and_b64 s[20:21], vcc, exec
	s_or_b64 s[0:1], s[0:1], s[20:21]
.LBB159_1686:
	s_mov_b64 s[20:21], 0
.LBB159_1687:
	s_andn2_b64 vcc, exec, s[20:21]
	s_cbranch_vccnz .LBB159_1689
; %bb.1688:
	global_load_ubyte v1, v[18:19], off
	s_andn2_b64 s[0:1], s[0:1], exec
	s_waitcnt vmcnt(0)
	v_cmp_ne_u16_e32 vcc, 0, v1
	s_and_b64 s[20:21], vcc, exec
	s_or_b64 s[0:1], s[0:1], s[20:21]
.LBB159_1689:
	s_mov_b64 s[20:21], -1
.LBB159_1690:
	s_branch .LBB159_1713
.LBB159_1691:
	s_cmp_gt_i32 s28, 22
	s_cbranch_scc0 .LBB159_1695
; %bb.1692:
	s_cmp_lt_i32 s28, 24
	s_cbranch_scc1 .LBB159_1696
; %bb.1693:
	s_cmp_gt_i32 s28, 24
	s_cbranch_scc0 .LBB159_1697
; %bb.1694:
	global_load_ubyte v1, v[18:19], off
	s_mov_b64 s[20:21], 0
	s_waitcnt vmcnt(0)
	v_cmp_ne_u16_e64 s[0:1], 0, v1
	s_branch .LBB159_1698
.LBB159_1695:
	s_mov_b64 s[22:23], -1
                                        ; implicit-def: $sgpr0_sgpr1
	s_branch .LBB159_1704
.LBB159_1696:
	s_mov_b64 s[20:21], -1
                                        ; implicit-def: $sgpr0_sgpr1
	s_branch .LBB159_1701
.LBB159_1697:
	s_mov_b64 s[20:21], -1
                                        ; implicit-def: $sgpr0_sgpr1
.LBB159_1698:
	s_andn2_b64 vcc, exec, s[20:21]
	s_cbranch_vccnz .LBB159_1700
; %bb.1699:
	global_load_ubyte v1, v[18:19], off
	s_andn2_b64 s[0:1], s[0:1], exec
	s_waitcnt vmcnt(0)
	v_and_b32_e32 v1, 0x7f, v1
	v_cmp_ne_u16_e32 vcc, 0, v1
	s_and_b64 s[20:21], vcc, exec
	s_or_b64 s[0:1], s[0:1], s[20:21]
.LBB159_1700:
	s_mov_b64 s[20:21], 0
.LBB159_1701:
	s_andn2_b64 vcc, exec, s[20:21]
	s_cbranch_vccnz .LBB159_1703
; %bb.1702:
	global_load_ubyte v1, v[18:19], off
	s_movk_i32 s20, 0x7f00
	s_brev_b32 s21, 16
	s_andn2_b64 s[0:1], s[0:1], exec
	s_waitcnt vmcnt(0)
	v_lshlrev_b32_e32 v3, 8, v1
	v_lshlrev_b32_e32 v1, 25, v1
	v_lshrrev_b32_e32 v5, 4, v1
	v_and_or_b32 v3, v3, s20, 0.5
	v_or_b32_e32 v5, 0x70000000, v5
	v_add_f32_e32 v3, -0.5, v3
	v_mul_f32_e32 v5, 0x7800000, v5
	v_cmp_gt_u32_e32 vcc, s21, v1
	v_cndmask_b32_e32 v1, v5, v3, vcc
	v_cmp_neq_f32_e32 vcc, 0, v1
	s_and_b64 s[20:21], vcc, exec
	s_or_b64 s[0:1], s[0:1], s[20:21]
.LBB159_1703:
	s_mov_b64 s[20:21], -1
.LBB159_1704:
	s_andn2_b64 vcc, exec, s[22:23]
	s_mov_b64 s[22:23], 0
	s_cbranch_vccnz .LBB159_1713
; %bb.1705:
	s_cmp_gt_i32 s28, 14
	s_cbranch_scc0 .LBB159_1708
; %bb.1706:
	s_cmp_eq_u32 s28, 15
	s_cbranch_scc0 .LBB159_1709
; %bb.1707:
	global_load_ushort v1, v[18:19], off
	s_mov_b64 s[6:7], 0
	s_mov_b64 s[20:21], -1
	s_waitcnt vmcnt(0)
	v_and_b32_e32 v1, 0x7fff, v1
	v_cmp_ne_u16_e64 s[0:1], 0, v1
	s_branch .LBB159_1710
.LBB159_1708:
	s_mov_b64 s[24:25], -1
                                        ; implicit-def: $sgpr0_sgpr1
	s_branch .LBB159_1711
.LBB159_1709:
	s_mov_b64 s[6:7], -1
                                        ; implicit-def: $sgpr0_sgpr1
.LBB159_1710:
	s_mov_b64 s[24:25], 0
.LBB159_1711:
	s_and_b64 vcc, exec, s[24:25]
	s_cbranch_vccz .LBB159_1713
; %bb.1712:
	s_cmp_lg_u32 s28, 11
	s_mov_b64 s[22:23], -1
	s_cselect_b64 s[6:7], -1, 0
.LBB159_1713:
	s_and_b64 vcc, exec, s[6:7]
	s_cbranch_vccnz .LBB159_1792
; %bb.1714:
	s_andn2_b64 vcc, exec, s[22:23]
	s_cbranch_vccnz .LBB159_1716
.LBB159_1715:
	global_load_ubyte v1, v[18:19], off
	s_andn2_b64 s[0:1], s[0:1], exec
	s_mov_b64 s[20:21], -1
	s_waitcnt vmcnt(0)
	v_cmp_ne_u16_e32 vcc, 0, v1
	s_and_b64 s[6:7], vcc, exec
	s_or_b64 s[0:1], s[0:1], s[6:7]
.LBB159_1716:
	s_branch .LBB159_1661
.LBB159_1717:
	s_and_b32 s20, 0xffff, s27
	s_cmp_lt_i32 s20, 5
	s_cbranch_scc1 .LBB159_1722
; %bb.1718:
	s_cmp_lt_i32 s20, 8
	s_cbranch_scc1 .LBB159_1723
; %bb.1719:
	;; [unrolled: 3-line block ×3, first 2 shown]
	s_cmp_gt_i32 s20, 9
	s_cbranch_scc0 .LBB159_1725
; %bb.1721:
	global_load_dwordx4 v[20:23], v[18:19], off
	s_mov_b64 s[6:7], 0
	s_waitcnt vmcnt(0)
	v_cmp_neq_f64_e32 vcc, 0, v[20:21]
	v_cmp_neq_f64_e64 s[0:1], 0, v[22:23]
	s_or_b64 s[0:1], vcc, s[0:1]
	s_branch .LBB159_1726
.LBB159_1722:
                                        ; implicit-def: $sgpr0_sgpr1
	s_branch .LBB159_1744
.LBB159_1723:
	s_mov_b64 s[6:7], -1
                                        ; implicit-def: $sgpr0_sgpr1
	s_branch .LBB159_1732
.LBB159_1724:
	s_mov_b64 s[6:7], -1
                                        ; implicit-def: $sgpr0_sgpr1
	s_branch .LBB159_1729
.LBB159_1725:
	s_mov_b64 s[6:7], -1
                                        ; implicit-def: $sgpr0_sgpr1
.LBB159_1726:
	s_andn2_b64 vcc, exec, s[6:7]
	s_cbranch_vccnz .LBB159_1728
; %bb.1727:
	global_load_dwordx2 v[20:21], v[18:19], off
	s_andn2_b64 s[0:1], s[0:1], exec
	s_waitcnt vmcnt(0)
	v_or_b32_e32 v1, v20, v21
	v_and_b32_e32 v1, 0x7fffffff, v1
	v_cmp_ne_u32_e32 vcc, 0, v1
	s_and_b64 s[6:7], vcc, exec
	s_or_b64 s[0:1], s[0:1], s[6:7]
.LBB159_1728:
	s_mov_b64 s[6:7], 0
.LBB159_1729:
	s_andn2_b64 vcc, exec, s[6:7]
	s_cbranch_vccnz .LBB159_1731
; %bb.1730:
	global_load_dword v1, v[18:19], off
	s_andn2_b64 s[0:1], s[0:1], exec
	s_waitcnt vmcnt(0)
	v_and_b32_e32 v1, 0x7fff7fff, v1
	v_cmp_ne_u32_e32 vcc, 0, v1
	s_and_b64 s[6:7], vcc, exec
	s_or_b64 s[0:1], s[0:1], s[6:7]
.LBB159_1731:
	s_mov_b64 s[6:7], 0
.LBB159_1732:
	s_andn2_b64 vcc, exec, s[6:7]
	s_cbranch_vccnz .LBB159_1743
; %bb.1733:
	s_cmp_lt_i32 s20, 6
	s_cbranch_scc1 .LBB159_1736
; %bb.1734:
	s_cmp_gt_i32 s20, 6
	s_cbranch_scc0 .LBB159_1737
; %bb.1735:
	global_load_dwordx2 v[20:21], v[18:19], off
	s_mov_b64 s[6:7], 0
	s_waitcnt vmcnt(0)
	v_cmp_neq_f64_e64 s[0:1], 0, v[20:21]
	s_branch .LBB159_1738
.LBB159_1736:
	s_mov_b64 s[6:7], -1
                                        ; implicit-def: $sgpr0_sgpr1
	s_branch .LBB159_1741
.LBB159_1737:
	s_mov_b64 s[6:7], -1
                                        ; implicit-def: $sgpr0_sgpr1
.LBB159_1738:
	s_andn2_b64 vcc, exec, s[6:7]
	s_cbranch_vccnz .LBB159_1740
; %bb.1739:
	global_load_dword v1, v[18:19], off
	s_andn2_b64 s[0:1], s[0:1], exec
	s_waitcnt vmcnt(0)
	v_cmp_neq_f32_e32 vcc, 0, v1
	s_and_b64 s[6:7], vcc, exec
	s_or_b64 s[0:1], s[0:1], s[6:7]
.LBB159_1740:
	s_mov_b64 s[6:7], 0
.LBB159_1741:
	s_andn2_b64 vcc, exec, s[6:7]
	s_cbranch_vccnz .LBB159_1743
; %bb.1742:
	global_load_ushort v1, v[18:19], off
	s_andn2_b64 s[0:1], s[0:1], exec
	s_waitcnt vmcnt(0)
	v_and_b32_e32 v1, 0x7fff, v1
	v_cmp_ne_u16_e32 vcc, 0, v1
	s_and_b64 s[6:7], vcc, exec
	s_or_b64 s[0:1], s[0:1], s[6:7]
.LBB159_1743:
	s_cbranch_execnz .LBB159_1763
.LBB159_1744:
	s_cmp_lt_i32 s20, 2
	s_cbranch_scc1 .LBB159_1748
; %bb.1745:
	s_cmp_lt_i32 s20, 3
	s_cbranch_scc1 .LBB159_1749
; %bb.1746:
	s_cmp_gt_i32 s20, 3
	s_cbranch_scc0 .LBB159_1750
; %bb.1747:
	global_load_dwordx2 v[20:21], v[18:19], off
	s_mov_b64 s[6:7], 0
	s_waitcnt vmcnt(0)
	v_cmp_ne_u64_e64 s[0:1], 0, v[20:21]
	s_branch .LBB159_1751
.LBB159_1748:
	s_mov_b64 s[6:7], -1
                                        ; implicit-def: $sgpr0_sgpr1
	s_branch .LBB159_1757
.LBB159_1749:
	s_mov_b64 s[6:7], -1
                                        ; implicit-def: $sgpr0_sgpr1
	s_branch .LBB159_1754
.LBB159_1750:
	s_mov_b64 s[6:7], -1
                                        ; implicit-def: $sgpr0_sgpr1
.LBB159_1751:
	s_andn2_b64 vcc, exec, s[6:7]
	s_cbranch_vccnz .LBB159_1753
; %bb.1752:
	global_load_dword v1, v[18:19], off
	s_andn2_b64 s[0:1], s[0:1], exec
	s_waitcnt vmcnt(0)
	v_cmp_ne_u32_e32 vcc, 0, v1
	s_and_b64 s[6:7], vcc, exec
	s_or_b64 s[0:1], s[0:1], s[6:7]
.LBB159_1753:
	s_mov_b64 s[6:7], 0
.LBB159_1754:
	s_andn2_b64 vcc, exec, s[6:7]
	s_cbranch_vccnz .LBB159_1756
; %bb.1755:
	global_load_ushort v1, v[18:19], off
	s_andn2_b64 s[0:1], s[0:1], exec
	s_waitcnt vmcnt(0)
	v_cmp_ne_u16_e32 vcc, 0, v1
	s_and_b64 s[6:7], vcc, exec
	s_or_b64 s[0:1], s[0:1], s[6:7]
.LBB159_1756:
	s_mov_b64 s[6:7], 0
.LBB159_1757:
	s_andn2_b64 vcc, exec, s[6:7]
	s_cbranch_vccnz .LBB159_1763
; %bb.1758:
	s_cmp_gt_i32 s20, 0
	s_cbranch_scc0 .LBB159_1760
; %bb.1759:
	global_load_ubyte v1, v[18:19], off
	s_mov_b64 s[6:7], 0
	s_waitcnt vmcnt(0)
	v_cmp_ne_u16_e64 s[0:1], 0, v1
	s_branch .LBB159_1761
.LBB159_1760:
	s_mov_b64 s[6:7], -1
                                        ; implicit-def: $sgpr0_sgpr1
.LBB159_1761:
	s_andn2_b64 vcc, exec, s[6:7]
	s_cbranch_vccnz .LBB159_1763
; %bb.1762:
	global_load_ubyte v1, v[18:19], off
	s_andn2_b64 s[0:1], s[0:1], exec
	s_waitcnt vmcnt(0)
	v_cmp_ne_u16_e32 vcc, 0, v1
	s_and_b64 s[6:7], vcc, exec
	s_or_b64 s[0:1], s[0:1], s[6:7]
.LBB159_1763:
.LBB159_1764:
	s_load_dword s30, s[2:3], 0x1a0
	s_mov_b64 s[20:21], 0
	s_waitcnt lgkmcnt(0)
	s_cmp_lt_i32 s30, 1
	s_cbranch_scc1 .LBB159_1768
; %bb.1765:
	s_cmp_gt_i32 s30, 1
	s_cbranch_scc0 .LBB159_1769
; %bb.1766:
	s_cmp_eq_u32 s30, 2
	s_cbranch_scc0 .LBB159_1770
; %bb.1767:
	s_xor_b64 s[6:7], s[16:17], -1
	s_or_b64 s[6:7], s[0:1], s[6:7]
	s_mov_b64 s[22:23], 0
	s_branch .LBB159_1771
.LBB159_1768:
                                        ; implicit-def: $sgpr6_sgpr7
	s_mov_b64 s[22:23], 0
	s_cbranch_execnz .LBB159_1775
	s_branch .LBB159_1776
.LBB159_1769:
	s_mov_b64 s[24:25], -1
	s_mov_b64 s[22:23], 0
                                        ; implicit-def: $sgpr6_sgpr7
	s_branch .LBB159_1772
.LBB159_1770:
	s_mov_b64 s[22:23], -1
                                        ; implicit-def: $sgpr6_sgpr7
.LBB159_1771:
	s_mov_b64 s[24:25], 0
.LBB159_1772:
	s_and_b64 vcc, exec, s[24:25]
	s_cbranch_vccz .LBB159_1774
; %bb.1773:
	s_xor_b64 s[24:25], s[0:1], -1
	s_and_b64 s[24:25], s[16:17], s[24:25]
	s_andn2_b64 s[6:7], s[6:7], exec
	s_and_b64 s[24:25], s[24:25], exec
	s_or_b64 s[6:7], s[6:7], s[24:25]
.LBB159_1774:
	s_branch .LBB159_1776
.LBB159_1775:
	s_cmp_lg_u32 s30, 0
	s_mov_b64 s[20:21], -1
	s_cselect_b64 s[22:23], -1, 0
.LBB159_1776:
	s_andn2_b64 vcc, exec, s[22:23]
	s_cbranch_vccnz .LBB159_1778
; %bb.1777:
	s_xor_b64 s[20:21], s[16:17], -1
	s_and_b64 s[22:23], s[0:1], s[20:21]
	s_andn2_b64 s[6:7], s[6:7], exec
	s_and_b64 s[22:23], s[22:23], exec
	s_or_b64 s[6:7], s[6:7], s[22:23]
	s_cbranch_execz .LBB159_1779
	s_branch .LBB159_1780
.LBB159_1778:
	s_andn2_b64 vcc, exec, s[20:21]
	s_cbranch_vccnz .LBB159_1780
.LBB159_1779:
	s_xor_b64 s[0:1], s[0:1], -1
	s_or_b64 s[0:1], s[16:17], s[0:1]
	s_andn2_b64 s[6:7], s[6:7], exec
	s_and_b64 s[0:1], s[0:1], exec
	s_or_b64 s[6:7], s[6:7], s[0:1]
.LBB159_1780:
	s_lshr_b32 s0, s26, 8
	s_lshr_b32 s26, s26, 16
	v_mov_b32_e32 v1, s11
	s_and_b32 s31, s0, 0xff
	v_add_co_u32_e32 v16, vcc, s10, v17
	s_cmp_lt_i32 s31, 11
	v_addc_co_u32_e32 v17, vcc, 0, v1, vcc
	s_cbranch_scc1 .LBB159_1787
; %bb.1781:
	s_and_b32 s27, 0xffff, s31
	s_cmp_gt_i32 s27, 25
	s_mov_b64 s[22:23], 0
	s_cbranch_scc0 .LBB159_1789
; %bb.1782:
	s_cmp_gt_i32 s27, 28
	s_cbranch_scc0 .LBB159_1790
; %bb.1783:
	s_cmp_gt_i32 s27, 43
	;; [unrolled: 3-line block ×3, first 2 shown]
	s_cbranch_scc0 .LBB159_1793
; %bb.1785:
	s_cmp_eq_u32 s27, 46
	s_mov_b64 s[24:25], 0
	s_cbranch_scc0 .LBB159_1794
; %bb.1786:
	global_load_dword v1, v[16:17], off
	s_mov_b64 s[0:1], 0
	s_mov_b64 s[16:17], -1
	s_waitcnt vmcnt(0)
	v_and_b32_e32 v1, 0x7fff7fff, v1
	v_cmp_ne_u32_e64 s[20:21], 0, v1
	s_branch .LBB159_1795
.LBB159_1787:
	s_mov_b64 s[16:17], 0
                                        ; implicit-def: $sgpr20_sgpr21
	s_cbranch_execnz .LBB159_1843
.LBB159_1788:
	s_andn2_b64 vcc, exec, s[16:17]
	s_cbranch_vccnz .LBB159_2491
	s_branch .LBB159_1891
.LBB159_1789:
	s_mov_b64 s[24:25], -1
	s_mov_b64 s[16:17], 0
	s_mov_b64 s[0:1], 0
                                        ; implicit-def: $sgpr20_sgpr21
	s_branch .LBB159_1816
.LBB159_1790:
	s_mov_b64 s[24:25], -1
	s_mov_b64 s[16:17], 0
	s_mov_b64 s[0:1], 0
                                        ; implicit-def: $sgpr20_sgpr21
	s_branch .LBB159_1803
.LBB159_1791:
	s_mov_b64 s[24:25], -1
	s_mov_b64 s[16:17], 0
	s_mov_b64 s[0:1], 0
                                        ; implicit-def: $sgpr20_sgpr21
	s_branch .LBB159_1798
.LBB159_1792:
	s_trap 2
	s_mov_b64 s[20:21], 0
	s_or_b64 s[4:5], s[4:5], exec
	s_cbranch_execz .LBB159_1715
	s_branch .LBB159_1716
.LBB159_1793:
	s_mov_b64 s[24:25], -1
	s_mov_b64 s[16:17], 0
	s_mov_b64 s[0:1], 0
                                        ; implicit-def: $sgpr20_sgpr21
	s_branch .LBB159_1795
.LBB159_1794:
	s_mov_b64 s[0:1], -1
                                        ; implicit-def: $sgpr20_sgpr21
	s_mov_b64 s[16:17], 0
.LBB159_1795:
	s_and_b64 vcc, exec, s[24:25]
	s_cbranch_vccz .LBB159_1797
; %bb.1796:
	s_cmp_lg_u32 s27, 44
	s_mov_b64 s[16:17], -1
	s_cselect_b64 s[0:1], -1, 0
	s_or_b64 s[20:21], s[20:21], exec
.LBB159_1797:
	s_mov_b64 s[24:25], 0
.LBB159_1798:
	s_and_b64 vcc, exec, s[24:25]
	s_cbranch_vccz .LBB159_1802
; %bb.1799:
	s_cmp_eq_u32 s27, 29
	s_cbranch_scc0 .LBB159_1801
; %bb.1800:
	global_load_dwordx2 v[18:19], v[16:17], off
	s_mov_b64 s[0:1], 0
	s_mov_b64 s[16:17], -1
	s_mov_b64 s[24:25], 0
	s_waitcnt vmcnt(0)
	v_cmp_ne_u64_e64 s[20:21], 0, v[18:19]
	s_branch .LBB159_1803
.LBB159_1801:
	s_mov_b64 s[0:1], -1
                                        ; implicit-def: $sgpr20_sgpr21
.LBB159_1802:
	s_mov_b64 s[24:25], 0
.LBB159_1803:
	s_and_b64 vcc, exec, s[24:25]
	s_cbranch_vccz .LBB159_1815
; %bb.1804:
	s_cmp_lt_i32 s27, 27
	s_cbranch_scc1 .LBB159_1807
; %bb.1805:
	s_cmp_gt_i32 s27, 27
	s_cbranch_scc0 .LBB159_1808
; %bb.1806:
	global_load_dword v1, v[16:17], off
	s_mov_b64 s[16:17], 0
	s_waitcnt vmcnt(0)
	v_cmp_ne_u32_e64 s[20:21], 0, v1
	s_branch .LBB159_1809
.LBB159_1807:
	s_mov_b64 s[16:17], -1
                                        ; implicit-def: $sgpr20_sgpr21
	s_branch .LBB159_1812
.LBB159_1808:
	s_mov_b64 s[16:17], -1
                                        ; implicit-def: $sgpr20_sgpr21
.LBB159_1809:
	s_andn2_b64 vcc, exec, s[16:17]
	s_cbranch_vccnz .LBB159_1811
; %bb.1810:
	global_load_ushort v1, v[16:17], off
	s_andn2_b64 s[16:17], s[20:21], exec
	s_waitcnt vmcnt(0)
	v_cmp_ne_u16_e32 vcc, 0, v1
	s_and_b64 s[20:21], vcc, exec
	s_or_b64 s[20:21], s[16:17], s[20:21]
.LBB159_1811:
	s_mov_b64 s[16:17], 0
.LBB159_1812:
	s_andn2_b64 vcc, exec, s[16:17]
	s_cbranch_vccnz .LBB159_1814
; %bb.1813:
	global_load_ubyte v1, v[16:17], off
	s_andn2_b64 s[16:17], s[20:21], exec
	s_waitcnt vmcnt(0)
	v_cmp_ne_u16_e32 vcc, 0, v1
	s_and_b64 s[20:21], vcc, exec
	s_or_b64 s[20:21], s[16:17], s[20:21]
.LBB159_1814:
	s_mov_b64 s[16:17], -1
.LBB159_1815:
	s_mov_b64 s[24:25], 0
.LBB159_1816:
	s_and_b64 vcc, exec, s[24:25]
	s_cbranch_vccz .LBB159_1839
; %bb.1817:
	s_cmp_gt_i32 s27, 22
	s_cbranch_scc0 .LBB159_1821
; %bb.1818:
	s_cmp_lt_i32 s27, 24
	s_cbranch_scc1 .LBB159_1822
; %bb.1819:
	s_cmp_gt_i32 s27, 24
	s_cbranch_scc0 .LBB159_1823
; %bb.1820:
	global_load_ubyte v1, v[16:17], off
	s_mov_b64 s[16:17], 0
	s_waitcnt vmcnt(0)
	v_cmp_ne_u16_e64 s[20:21], 0, v1
	s_branch .LBB159_1824
.LBB159_1821:
	s_mov_b64 s[22:23], -1
                                        ; implicit-def: $sgpr20_sgpr21
	s_branch .LBB159_1830
.LBB159_1822:
	s_mov_b64 s[16:17], -1
                                        ; implicit-def: $sgpr20_sgpr21
	s_branch .LBB159_1827
.LBB159_1823:
	s_mov_b64 s[16:17], -1
                                        ; implicit-def: $sgpr20_sgpr21
.LBB159_1824:
	s_andn2_b64 vcc, exec, s[16:17]
	s_cbranch_vccnz .LBB159_1826
; %bb.1825:
	global_load_ubyte v1, v[16:17], off
	s_andn2_b64 s[16:17], s[20:21], exec
	s_waitcnt vmcnt(0)
	v_and_b32_e32 v1, 0x7f, v1
	v_cmp_ne_u16_e32 vcc, 0, v1
	s_and_b64 s[20:21], vcc, exec
	s_or_b64 s[20:21], s[16:17], s[20:21]
.LBB159_1826:
	s_mov_b64 s[16:17], 0
.LBB159_1827:
	s_andn2_b64 vcc, exec, s[16:17]
	s_cbranch_vccnz .LBB159_1829
; %bb.1828:
	global_load_ubyte v1, v[16:17], off
	s_movk_i32 s16, 0x7f00
	s_brev_b32 s17, 16
	s_waitcnt vmcnt(0)
	v_lshlrev_b32_e32 v3, 8, v1
	v_lshlrev_b32_e32 v1, 25, v1
	v_lshrrev_b32_e32 v5, 4, v1
	v_and_or_b32 v3, v3, s16, 0.5
	v_or_b32_e32 v5, 0x70000000, v5
	v_add_f32_e32 v3, -0.5, v3
	v_mul_f32_e32 v5, 0x7800000, v5
	v_cmp_gt_u32_e32 vcc, s17, v1
	v_cndmask_b32_e32 v1, v5, v3, vcc
	v_cmp_neq_f32_e32 vcc, 0, v1
	s_andn2_b64 s[16:17], s[20:21], exec
	s_and_b64 s[20:21], vcc, exec
	s_or_b64 s[20:21], s[16:17], s[20:21]
.LBB159_1829:
	s_mov_b64 s[16:17], -1
.LBB159_1830:
	s_andn2_b64 vcc, exec, s[22:23]
	s_mov_b64 s[22:23], 0
	s_cbranch_vccnz .LBB159_1839
; %bb.1831:
	s_cmp_gt_i32 s27, 14
	s_cbranch_scc0 .LBB159_1834
; %bb.1832:
	s_cmp_eq_u32 s27, 15
	s_cbranch_scc0 .LBB159_1835
; %bb.1833:
	global_load_ushort v1, v[16:17], off
	s_mov_b64 s[0:1], 0
	s_mov_b64 s[16:17], -1
	s_waitcnt vmcnt(0)
	v_and_b32_e32 v1, 0x7fff, v1
	v_cmp_ne_u16_e64 s[20:21], 0, v1
	s_branch .LBB159_1836
.LBB159_1834:
	s_mov_b64 s[24:25], -1
                                        ; implicit-def: $sgpr20_sgpr21
	s_branch .LBB159_1837
.LBB159_1835:
	s_mov_b64 s[0:1], -1
                                        ; implicit-def: $sgpr20_sgpr21
.LBB159_1836:
	s_mov_b64 s[24:25], 0
.LBB159_1837:
	s_and_b64 vcc, exec, s[24:25]
	s_cbranch_vccz .LBB159_1839
; %bb.1838:
	s_cmp_lg_u32 s27, 11
	s_mov_b64 s[22:23], -1
	s_cselect_b64 s[0:1], -1, 0
.LBB159_1839:
	s_and_b64 vcc, exec, s[0:1]
	s_cbranch_vccnz .LBB159_1902
; %bb.1840:
	s_andn2_b64 vcc, exec, s[22:23]
	s_cbranch_vccnz .LBB159_1842
.LBB159_1841:
	global_load_ubyte v1, v[16:17], off
	s_andn2_b64 s[0:1], s[20:21], exec
	s_mov_b64 s[16:17], -1
	s_waitcnt vmcnt(0)
	v_cmp_ne_u16_e32 vcc, 0, v1
	s_and_b64 s[20:21], vcc, exec
	s_or_b64 s[20:21], s[0:1], s[20:21]
.LBB159_1842:
	s_branch .LBB159_1788
.LBB159_1843:
	s_and_b32 s22, 0xffff, s31
	s_cmp_lt_i32 s22, 5
	s_cbranch_scc1 .LBB159_1848
; %bb.1844:
	s_cmp_lt_i32 s22, 8
	s_cbranch_scc1 .LBB159_1849
; %bb.1845:
	;; [unrolled: 3-line block ×3, first 2 shown]
	s_cmp_gt_i32 s22, 9
	s_cbranch_scc0 .LBB159_1851
; %bb.1847:
	global_load_dwordx4 v[18:21], v[16:17], off
	s_mov_b64 s[16:17], 0
	s_waitcnt vmcnt(0)
	v_cmp_neq_f64_e32 vcc, 0, v[18:19]
	v_cmp_neq_f64_e64 s[0:1], 0, v[20:21]
	s_or_b64 s[20:21], vcc, s[0:1]
	s_branch .LBB159_1852
.LBB159_1848:
	s_mov_b64 s[0:1], -1
                                        ; implicit-def: $sgpr20_sgpr21
	s_branch .LBB159_1870
.LBB159_1849:
	s_mov_b64 s[0:1], -1
                                        ; implicit-def: $sgpr20_sgpr21
	s_branch .LBB159_1858
.LBB159_1850:
	s_mov_b64 s[0:1], -1
                                        ; implicit-def: $sgpr20_sgpr21
	s_branch .LBB159_1855
.LBB159_1851:
	s_mov_b64 s[16:17], -1
                                        ; implicit-def: $sgpr20_sgpr21
.LBB159_1852:
	s_andn2_b64 vcc, exec, s[16:17]
	s_cbranch_vccnz .LBB159_1854
; %bb.1853:
	global_load_dwordx2 v[18:19], v[16:17], off
	s_andn2_b64 s[0:1], s[20:21], exec
	s_waitcnt vmcnt(0)
	v_or_b32_e32 v1, v18, v19
	v_and_b32_e32 v1, 0x7fffffff, v1
	v_cmp_ne_u32_e32 vcc, 0, v1
	s_and_b64 s[16:17], vcc, exec
	s_or_b64 s[20:21], s[0:1], s[16:17]
.LBB159_1854:
	s_mov_b64 s[0:1], 0
.LBB159_1855:
	s_andn2_b64 vcc, exec, s[0:1]
	s_cbranch_vccnz .LBB159_1857
; %bb.1856:
	global_load_dword v1, v[16:17], off
	s_andn2_b64 s[0:1], s[20:21], exec
	s_waitcnt vmcnt(0)
	v_and_b32_e32 v1, 0x7fff7fff, v1
	v_cmp_ne_u32_e32 vcc, 0, v1
	s_and_b64 s[16:17], vcc, exec
	s_or_b64 s[20:21], s[0:1], s[16:17]
.LBB159_1857:
	s_mov_b64 s[0:1], 0
.LBB159_1858:
	s_andn2_b64 vcc, exec, s[0:1]
	s_cbranch_vccnz .LBB159_1869
; %bb.1859:
	s_cmp_lt_i32 s22, 6
	s_cbranch_scc1 .LBB159_1862
; %bb.1860:
	s_cmp_gt_i32 s22, 6
	s_cbranch_scc0 .LBB159_1863
; %bb.1861:
	global_load_dwordx2 v[18:19], v[16:17], off
	s_mov_b64 s[0:1], 0
	s_waitcnt vmcnt(0)
	v_cmp_neq_f64_e64 s[20:21], 0, v[18:19]
	s_branch .LBB159_1864
.LBB159_1862:
	s_mov_b64 s[0:1], -1
                                        ; implicit-def: $sgpr20_sgpr21
	s_branch .LBB159_1867
.LBB159_1863:
	s_mov_b64 s[0:1], -1
                                        ; implicit-def: $sgpr20_sgpr21
.LBB159_1864:
	s_andn2_b64 vcc, exec, s[0:1]
	s_cbranch_vccnz .LBB159_1866
; %bb.1865:
	global_load_dword v1, v[16:17], off
	s_andn2_b64 s[0:1], s[20:21], exec
	s_waitcnt vmcnt(0)
	v_cmp_neq_f32_e32 vcc, 0, v1
	s_and_b64 s[16:17], vcc, exec
	s_or_b64 s[20:21], s[0:1], s[16:17]
.LBB159_1866:
	s_mov_b64 s[0:1], 0
.LBB159_1867:
	s_andn2_b64 vcc, exec, s[0:1]
	s_cbranch_vccnz .LBB159_1869
; %bb.1868:
	global_load_ushort v1, v[16:17], off
	s_andn2_b64 s[0:1], s[20:21], exec
	s_waitcnt vmcnt(0)
	v_and_b32_e32 v1, 0x7fff, v1
	v_cmp_ne_u16_e32 vcc, 0, v1
	s_and_b64 s[16:17], vcc, exec
	s_or_b64 s[20:21], s[0:1], s[16:17]
.LBB159_1869:
	s_mov_b64 s[0:1], 0
.LBB159_1870:
	s_andn2_b64 vcc, exec, s[0:1]
	s_cbranch_vccnz .LBB159_1890
; %bb.1871:
	s_cmp_lt_i32 s22, 2
	s_cbranch_scc1 .LBB159_1875
; %bb.1872:
	s_cmp_lt_i32 s22, 3
	s_cbranch_scc1 .LBB159_1876
; %bb.1873:
	s_cmp_gt_i32 s22, 3
	s_cbranch_scc0 .LBB159_1877
; %bb.1874:
	global_load_dwordx2 v[18:19], v[16:17], off
	s_mov_b64 s[0:1], 0
	s_waitcnt vmcnt(0)
	v_cmp_ne_u64_e64 s[20:21], 0, v[18:19]
	s_branch .LBB159_1878
.LBB159_1875:
	s_mov_b64 s[0:1], -1
                                        ; implicit-def: $sgpr20_sgpr21
	s_branch .LBB159_1884
.LBB159_1876:
	s_mov_b64 s[0:1], -1
                                        ; implicit-def: $sgpr20_sgpr21
	s_branch .LBB159_1881
.LBB159_1877:
	s_mov_b64 s[0:1], -1
                                        ; implicit-def: $sgpr20_sgpr21
.LBB159_1878:
	s_andn2_b64 vcc, exec, s[0:1]
	s_cbranch_vccnz .LBB159_1880
; %bb.1879:
	global_load_dword v1, v[16:17], off
	s_andn2_b64 s[0:1], s[20:21], exec
	s_waitcnt vmcnt(0)
	v_cmp_ne_u32_e32 vcc, 0, v1
	s_and_b64 s[16:17], vcc, exec
	s_or_b64 s[20:21], s[0:1], s[16:17]
.LBB159_1880:
	s_mov_b64 s[0:1], 0
.LBB159_1881:
	s_andn2_b64 vcc, exec, s[0:1]
	s_cbranch_vccnz .LBB159_1883
; %bb.1882:
	global_load_ushort v1, v[16:17], off
	s_andn2_b64 s[0:1], s[20:21], exec
	s_waitcnt vmcnt(0)
	v_cmp_ne_u16_e32 vcc, 0, v1
	s_and_b64 s[16:17], vcc, exec
	s_or_b64 s[20:21], s[0:1], s[16:17]
.LBB159_1883:
	s_mov_b64 s[0:1], 0
.LBB159_1884:
	s_andn2_b64 vcc, exec, s[0:1]
	s_cbranch_vccnz .LBB159_1890
; %bb.1885:
	s_cmp_gt_i32 s22, 0
	s_cbranch_scc0 .LBB159_1887
; %bb.1886:
	global_load_ubyte v1, v[16:17], off
	s_mov_b64 s[0:1], 0
	s_waitcnt vmcnt(0)
	v_cmp_ne_u16_e64 s[20:21], 0, v1
	s_branch .LBB159_1888
.LBB159_1887:
	s_mov_b64 s[0:1], -1
                                        ; implicit-def: $sgpr20_sgpr21
.LBB159_1888:
	s_andn2_b64 vcc, exec, s[0:1]
	s_cbranch_vccnz .LBB159_1890
; %bb.1889:
	global_load_ubyte v1, v[16:17], off
	s_andn2_b64 s[0:1], s[20:21], exec
	s_waitcnt vmcnt(0)
	v_cmp_ne_u16_e32 vcc, 0, v1
	s_and_b64 s[16:17], vcc, exec
	s_or_b64 s[20:21], s[0:1], s[16:17]
.LBB159_1890:
.LBB159_1891:
	v_mov_b32_e32 v1, s19
	s_and_b32 s33, s26, 0xff
	v_add_co_u32_e32 v14, vcc, s18, v15
	s_cmp_lt_i32 s33, 11
	v_addc_co_u32_e32 v15, vcc, 0, v1, vcc
	s_cbranch_scc1 .LBB159_1898
; %bb.1892:
	s_and_b32 s28, 0xffff, s33
	s_cmp_gt_i32 s28, 25
	s_mov_b64 s[24:25], 0
	s_cbranch_scc0 .LBB159_1899
; %bb.1893:
	s_cmp_gt_i32 s28, 28
	s_cbranch_scc0 .LBB159_1900
; %bb.1894:
	s_cmp_gt_i32 s28, 43
	s_cbranch_scc0 .LBB159_1901
; %bb.1895:
	s_cmp_gt_i32 s28, 45
	s_cbranch_scc0 .LBB159_1903
; %bb.1896:
	s_cmp_eq_u32 s28, 46
	s_mov_b64 s[26:27], 0
	s_cbranch_scc0 .LBB159_1904
; %bb.1897:
	global_load_dword v1, v[14:15], off
	s_mov_b64 s[16:17], 0
	s_mov_b64 s[22:23], -1
	s_waitcnt vmcnt(0)
	v_and_b32_e32 v1, 0x7fff7fff, v1
	v_cmp_ne_u32_e64 s[0:1], 0, v1
	s_branch .LBB159_1905
.LBB159_1898:
	s_mov_b64 s[16:17], -1
	s_mov_b64 s[22:23], 0
                                        ; implicit-def: $sgpr0_sgpr1
	s_branch .LBB159_1953
.LBB159_1899:
	s_mov_b64 s[26:27], -1
	s_mov_b64 s[22:23], 0
	s_mov_b64 s[16:17], 0
                                        ; implicit-def: $sgpr0_sgpr1
	s_branch .LBB159_1926
.LBB159_1900:
	s_mov_b64 s[26:27], -1
	s_mov_b64 s[22:23], 0
	s_mov_b64 s[16:17], 0
                                        ; implicit-def: $sgpr0_sgpr1
	s_branch .LBB159_1913
.LBB159_1901:
	s_mov_b64 s[26:27], -1
	s_mov_b64 s[22:23], 0
	s_mov_b64 s[16:17], 0
                                        ; implicit-def: $sgpr0_sgpr1
	s_branch .LBB159_1908
.LBB159_1902:
	s_trap 2
	s_mov_b64 s[16:17], 0
	s_or_b64 s[4:5], s[4:5], exec
	s_cbranch_execz .LBB159_1841
	s_branch .LBB159_1842
.LBB159_1903:
	s_mov_b64 s[26:27], -1
	s_mov_b64 s[22:23], 0
	s_mov_b64 s[16:17], 0
                                        ; implicit-def: $sgpr0_sgpr1
	s_branch .LBB159_1905
.LBB159_1904:
	s_mov_b64 s[16:17], -1
                                        ; implicit-def: $sgpr0_sgpr1
	s_mov_b64 s[22:23], 0
.LBB159_1905:
	s_and_b64 vcc, exec, s[26:27]
	s_cbranch_vccz .LBB159_1907
; %bb.1906:
	s_cmp_lg_u32 s28, 44
	s_mov_b64 s[22:23], -1
	s_cselect_b64 s[16:17], -1, 0
	s_or_b64 s[0:1], s[0:1], exec
.LBB159_1907:
	s_mov_b64 s[26:27], 0
.LBB159_1908:
	s_and_b64 vcc, exec, s[26:27]
	s_cbranch_vccz .LBB159_1912
; %bb.1909:
	s_cmp_eq_u32 s28, 29
	s_cbranch_scc0 .LBB159_1911
; %bb.1910:
	global_load_dwordx2 v[16:17], v[14:15], off
	s_mov_b64 s[16:17], 0
	s_mov_b64 s[22:23], -1
	s_mov_b64 s[26:27], 0
	s_waitcnt vmcnt(0)
	v_cmp_ne_u64_e64 s[0:1], 0, v[16:17]
	s_branch .LBB159_1913
.LBB159_1911:
	s_mov_b64 s[16:17], -1
                                        ; implicit-def: $sgpr0_sgpr1
.LBB159_1912:
	s_mov_b64 s[26:27], 0
.LBB159_1913:
	s_and_b64 vcc, exec, s[26:27]
	s_cbranch_vccz .LBB159_1925
; %bb.1914:
	s_cmp_lt_i32 s28, 27
	s_cbranch_scc1 .LBB159_1917
; %bb.1915:
	s_cmp_gt_i32 s28, 27
	s_cbranch_scc0 .LBB159_1918
; %bb.1916:
	global_load_dword v1, v[14:15], off
	s_mov_b64 s[22:23], 0
	s_waitcnt vmcnt(0)
	v_cmp_ne_u32_e64 s[0:1], 0, v1
	s_branch .LBB159_1919
.LBB159_1917:
	s_mov_b64 s[22:23], -1
                                        ; implicit-def: $sgpr0_sgpr1
	s_branch .LBB159_1922
.LBB159_1918:
	s_mov_b64 s[22:23], -1
                                        ; implicit-def: $sgpr0_sgpr1
.LBB159_1919:
	s_andn2_b64 vcc, exec, s[22:23]
	s_cbranch_vccnz .LBB159_1921
; %bb.1920:
	global_load_ushort v1, v[14:15], off
	s_andn2_b64 s[0:1], s[0:1], exec
	s_waitcnt vmcnt(0)
	v_cmp_ne_u16_e32 vcc, 0, v1
	s_and_b64 s[22:23], vcc, exec
	s_or_b64 s[0:1], s[0:1], s[22:23]
.LBB159_1921:
	s_mov_b64 s[22:23], 0
.LBB159_1922:
	s_andn2_b64 vcc, exec, s[22:23]
	s_cbranch_vccnz .LBB159_1924
; %bb.1923:
	global_load_ubyte v1, v[14:15], off
	s_andn2_b64 s[0:1], s[0:1], exec
	s_waitcnt vmcnt(0)
	v_cmp_ne_u16_e32 vcc, 0, v1
	s_and_b64 s[22:23], vcc, exec
	s_or_b64 s[0:1], s[0:1], s[22:23]
.LBB159_1924:
	s_mov_b64 s[22:23], -1
.LBB159_1925:
	s_mov_b64 s[26:27], 0
.LBB159_1926:
	s_and_b64 vcc, exec, s[26:27]
	s_cbranch_vccz .LBB159_1949
; %bb.1927:
	s_cmp_gt_i32 s28, 22
	s_cbranch_scc0 .LBB159_1931
; %bb.1928:
	s_cmp_lt_i32 s28, 24
	s_cbranch_scc1 .LBB159_1932
; %bb.1929:
	s_cmp_gt_i32 s28, 24
	s_cbranch_scc0 .LBB159_1933
; %bb.1930:
	global_load_ubyte v1, v[14:15], off
	s_mov_b64 s[22:23], 0
	s_waitcnt vmcnt(0)
	v_cmp_ne_u16_e64 s[0:1], 0, v1
	s_branch .LBB159_1934
.LBB159_1931:
	s_mov_b64 s[24:25], -1
                                        ; implicit-def: $sgpr0_sgpr1
	s_branch .LBB159_1940
.LBB159_1932:
	s_mov_b64 s[22:23], -1
                                        ; implicit-def: $sgpr0_sgpr1
	s_branch .LBB159_1937
.LBB159_1933:
	s_mov_b64 s[22:23], -1
                                        ; implicit-def: $sgpr0_sgpr1
.LBB159_1934:
	s_andn2_b64 vcc, exec, s[22:23]
	s_cbranch_vccnz .LBB159_1936
; %bb.1935:
	global_load_ubyte v1, v[14:15], off
	s_andn2_b64 s[0:1], s[0:1], exec
	s_waitcnt vmcnt(0)
	v_and_b32_e32 v1, 0x7f, v1
	v_cmp_ne_u16_e32 vcc, 0, v1
	s_and_b64 s[22:23], vcc, exec
	s_or_b64 s[0:1], s[0:1], s[22:23]
.LBB159_1936:
	s_mov_b64 s[22:23], 0
.LBB159_1937:
	s_andn2_b64 vcc, exec, s[22:23]
	s_cbranch_vccnz .LBB159_1939
; %bb.1938:
	global_load_ubyte v1, v[14:15], off
	s_movk_i32 s22, 0x7f00
	s_brev_b32 s23, 16
	s_andn2_b64 s[0:1], s[0:1], exec
	s_waitcnt vmcnt(0)
	v_lshlrev_b32_e32 v3, 8, v1
	v_lshlrev_b32_e32 v1, 25, v1
	v_lshrrev_b32_e32 v5, 4, v1
	v_and_or_b32 v3, v3, s22, 0.5
	v_or_b32_e32 v5, 0x70000000, v5
	v_add_f32_e32 v3, -0.5, v3
	v_mul_f32_e32 v5, 0x7800000, v5
	v_cmp_gt_u32_e32 vcc, s23, v1
	v_cndmask_b32_e32 v1, v5, v3, vcc
	v_cmp_neq_f32_e32 vcc, 0, v1
	s_and_b64 s[22:23], vcc, exec
	s_or_b64 s[0:1], s[0:1], s[22:23]
.LBB159_1939:
	s_mov_b64 s[22:23], -1
.LBB159_1940:
	s_andn2_b64 vcc, exec, s[24:25]
	s_mov_b64 s[24:25], 0
	s_cbranch_vccnz .LBB159_1949
; %bb.1941:
	s_cmp_gt_i32 s28, 14
	s_cbranch_scc0 .LBB159_1944
; %bb.1942:
	s_cmp_eq_u32 s28, 15
	s_cbranch_scc0 .LBB159_1945
; %bb.1943:
	global_load_ushort v1, v[14:15], off
	s_mov_b64 s[16:17], 0
	s_mov_b64 s[22:23], -1
	s_waitcnt vmcnt(0)
	v_and_b32_e32 v1, 0x7fff, v1
	v_cmp_ne_u16_e64 s[0:1], 0, v1
	s_branch .LBB159_1946
.LBB159_1944:
	s_mov_b64 s[26:27], -1
                                        ; implicit-def: $sgpr0_sgpr1
	s_branch .LBB159_1947
.LBB159_1945:
	s_mov_b64 s[16:17], -1
                                        ; implicit-def: $sgpr0_sgpr1
.LBB159_1946:
	s_mov_b64 s[26:27], 0
.LBB159_1947:
	s_and_b64 vcc, exec, s[26:27]
	s_cbranch_vccz .LBB159_1949
; %bb.1948:
	s_cmp_lg_u32 s28, 11
	s_mov_b64 s[24:25], -1
	s_cselect_b64 s[16:17], -1, 0
.LBB159_1949:
	s_and_b64 vcc, exec, s[16:17]
	s_cbranch_vccnz .LBB159_2031
; %bb.1950:
	s_andn2_b64 vcc, exec, s[24:25]
	s_cbranch_vccnz .LBB159_1952
.LBB159_1951:
	global_load_ubyte v1, v[14:15], off
	s_andn2_b64 s[0:1], s[0:1], exec
	s_mov_b64 s[22:23], -1
	s_waitcnt vmcnt(0)
	v_cmp_ne_u16_e32 vcc, 0, v1
	s_and_b64 s[16:17], vcc, exec
	s_or_b64 s[0:1], s[0:1], s[16:17]
.LBB159_1952:
	s_mov_b64 s[16:17], 0
.LBB159_1953:
	s_and_b64 vcc, exec, s[16:17]
	s_cbranch_vccz .LBB159_2002
; %bb.1954:
	s_and_b32 s22, 0xffff, s33
	s_cmp_lt_i32 s22, 5
	s_cbranch_scc1 .LBB159_1959
; %bb.1955:
	s_cmp_lt_i32 s22, 8
	s_cbranch_scc1 .LBB159_1960
; %bb.1956:
	;; [unrolled: 3-line block ×3, first 2 shown]
	s_cmp_gt_i32 s22, 9
	s_cbranch_scc0 .LBB159_1962
; %bb.1958:
	global_load_dwordx4 v[16:19], v[14:15], off
	s_mov_b64 s[16:17], 0
	s_waitcnt vmcnt(0)
	v_cmp_neq_f64_e32 vcc, 0, v[16:17]
	v_cmp_neq_f64_e64 s[0:1], 0, v[18:19]
	s_or_b64 s[0:1], vcc, s[0:1]
	s_branch .LBB159_1963
.LBB159_1959:
	s_mov_b64 s[16:17], -1
                                        ; implicit-def: $sgpr0_sgpr1
	s_branch .LBB159_1981
.LBB159_1960:
	s_mov_b64 s[16:17], -1
                                        ; implicit-def: $sgpr0_sgpr1
	s_branch .LBB159_1969
.LBB159_1961:
	s_mov_b64 s[16:17], -1
                                        ; implicit-def: $sgpr0_sgpr1
	s_branch .LBB159_1966
.LBB159_1962:
	s_mov_b64 s[16:17], -1
                                        ; implicit-def: $sgpr0_sgpr1
.LBB159_1963:
	s_andn2_b64 vcc, exec, s[16:17]
	s_cbranch_vccnz .LBB159_1965
; %bb.1964:
	global_load_dwordx2 v[16:17], v[14:15], off
	s_andn2_b64 s[0:1], s[0:1], exec
	s_waitcnt vmcnt(0)
	v_or_b32_e32 v1, v16, v17
	v_and_b32_e32 v1, 0x7fffffff, v1
	v_cmp_ne_u32_e32 vcc, 0, v1
	s_and_b64 s[16:17], vcc, exec
	s_or_b64 s[0:1], s[0:1], s[16:17]
.LBB159_1965:
	s_mov_b64 s[16:17], 0
.LBB159_1966:
	s_andn2_b64 vcc, exec, s[16:17]
	s_cbranch_vccnz .LBB159_1968
; %bb.1967:
	global_load_dword v1, v[14:15], off
	s_andn2_b64 s[0:1], s[0:1], exec
	s_waitcnt vmcnt(0)
	v_and_b32_e32 v1, 0x7fff7fff, v1
	v_cmp_ne_u32_e32 vcc, 0, v1
	s_and_b64 s[16:17], vcc, exec
	s_or_b64 s[0:1], s[0:1], s[16:17]
.LBB159_1968:
	s_mov_b64 s[16:17], 0
.LBB159_1969:
	s_andn2_b64 vcc, exec, s[16:17]
	s_cbranch_vccnz .LBB159_1980
; %bb.1970:
	s_cmp_lt_i32 s22, 6
	s_cbranch_scc1 .LBB159_1973
; %bb.1971:
	s_cmp_gt_i32 s22, 6
	s_cbranch_scc0 .LBB159_1974
; %bb.1972:
	global_load_dwordx2 v[16:17], v[14:15], off
	s_mov_b64 s[16:17], 0
	s_waitcnt vmcnt(0)
	v_cmp_neq_f64_e64 s[0:1], 0, v[16:17]
	s_branch .LBB159_1975
.LBB159_1973:
	s_mov_b64 s[16:17], -1
                                        ; implicit-def: $sgpr0_sgpr1
	s_branch .LBB159_1978
.LBB159_1974:
	s_mov_b64 s[16:17], -1
                                        ; implicit-def: $sgpr0_sgpr1
.LBB159_1975:
	s_andn2_b64 vcc, exec, s[16:17]
	s_cbranch_vccnz .LBB159_1977
; %bb.1976:
	global_load_dword v1, v[14:15], off
	s_andn2_b64 s[0:1], s[0:1], exec
	s_waitcnt vmcnt(0)
	v_cmp_neq_f32_e32 vcc, 0, v1
	s_and_b64 s[16:17], vcc, exec
	s_or_b64 s[0:1], s[0:1], s[16:17]
.LBB159_1977:
	s_mov_b64 s[16:17], 0
.LBB159_1978:
	s_andn2_b64 vcc, exec, s[16:17]
	s_cbranch_vccnz .LBB159_1980
; %bb.1979:
	global_load_ushort v1, v[14:15], off
	s_andn2_b64 s[0:1], s[0:1], exec
	s_waitcnt vmcnt(0)
	v_and_b32_e32 v1, 0x7fff, v1
	v_cmp_ne_u16_e32 vcc, 0, v1
	s_and_b64 s[16:17], vcc, exec
	s_or_b64 s[0:1], s[0:1], s[16:17]
.LBB159_1980:
	s_mov_b64 s[16:17], 0
.LBB159_1981:
	s_andn2_b64 vcc, exec, s[16:17]
	s_cbranch_vccnz .LBB159_2001
; %bb.1982:
	s_cmp_lt_i32 s22, 2
	s_cbranch_scc1 .LBB159_1986
; %bb.1983:
	s_cmp_lt_i32 s22, 3
	s_cbranch_scc1 .LBB159_1987
; %bb.1984:
	s_cmp_gt_i32 s22, 3
	s_cbranch_scc0 .LBB159_1988
; %bb.1985:
	global_load_dwordx2 v[16:17], v[14:15], off
	s_mov_b64 s[16:17], 0
	s_waitcnt vmcnt(0)
	v_cmp_ne_u64_e64 s[0:1], 0, v[16:17]
	s_branch .LBB159_1989
.LBB159_1986:
	s_mov_b64 s[16:17], -1
                                        ; implicit-def: $sgpr0_sgpr1
	s_branch .LBB159_1995
.LBB159_1987:
	s_mov_b64 s[16:17], -1
                                        ; implicit-def: $sgpr0_sgpr1
	s_branch .LBB159_1992
.LBB159_1988:
	s_mov_b64 s[16:17], -1
                                        ; implicit-def: $sgpr0_sgpr1
.LBB159_1989:
	s_andn2_b64 vcc, exec, s[16:17]
	s_cbranch_vccnz .LBB159_1991
; %bb.1990:
	global_load_dword v1, v[14:15], off
	s_andn2_b64 s[0:1], s[0:1], exec
	s_waitcnt vmcnt(0)
	v_cmp_ne_u32_e32 vcc, 0, v1
	s_and_b64 s[16:17], vcc, exec
	s_or_b64 s[0:1], s[0:1], s[16:17]
.LBB159_1991:
	s_mov_b64 s[16:17], 0
.LBB159_1992:
	s_andn2_b64 vcc, exec, s[16:17]
	s_cbranch_vccnz .LBB159_1994
; %bb.1993:
	global_load_ushort v1, v[14:15], off
	s_andn2_b64 s[0:1], s[0:1], exec
	s_waitcnt vmcnt(0)
	v_cmp_ne_u16_e32 vcc, 0, v1
	s_and_b64 s[16:17], vcc, exec
	s_or_b64 s[0:1], s[0:1], s[16:17]
.LBB159_1994:
	s_mov_b64 s[16:17], 0
.LBB159_1995:
	s_andn2_b64 vcc, exec, s[16:17]
	s_cbranch_vccnz .LBB159_2001
; %bb.1996:
	s_cmp_gt_i32 s22, 0
	s_cbranch_scc0 .LBB159_1998
; %bb.1997:
	global_load_ubyte v1, v[14:15], off
	s_mov_b64 s[16:17], 0
	s_waitcnt vmcnt(0)
	v_cmp_ne_u16_e64 s[0:1], 0, v1
	s_branch .LBB159_1999
.LBB159_1998:
	s_mov_b64 s[16:17], -1
                                        ; implicit-def: $sgpr0_sgpr1
.LBB159_1999:
	s_andn2_b64 vcc, exec, s[16:17]
	s_cbranch_vccnz .LBB159_2001
; %bb.2000:
	global_load_ubyte v1, v[14:15], off
	s_andn2_b64 s[0:1], s[0:1], exec
	s_waitcnt vmcnt(0)
	v_cmp_ne_u16_e32 vcc, 0, v1
	s_and_b64 s[16:17], vcc, exec
	s_or_b64 s[0:1], s[0:1], s[16:17]
.LBB159_2001:
	s_mov_b64 s[22:23], -1
.LBB159_2002:
	s_andn2_b64 vcc, exec, s[22:23]
	s_cbranch_vccnz .LBB159_2491
; %bb.2003:
	s_cmp_lt_i32 s30, 1
	s_mov_b64 s[22:23], 0
	s_cbranch_scc1 .LBB159_2007
; %bb.2004:
	s_cmp_gt_i32 s30, 1
	s_cbranch_scc0 .LBB159_2008
; %bb.2005:
	s_cmp_eq_u32 s30, 2
	s_cbranch_scc0 .LBB159_2009
; %bb.2006:
	s_xor_b64 s[16:17], s[20:21], -1
	s_or_b64 s[16:17], s[0:1], s[16:17]
	s_mov_b64 s[24:25], 0
	s_branch .LBB159_2010
.LBB159_2007:
	s_mov_b64 s[26:27], -1
                                        ; implicit-def: $sgpr16_sgpr17
	s_mov_b64 s[24:25], 0
	s_branch .LBB159_2014
.LBB159_2008:
	s_mov_b64 s[26:27], -1
	s_mov_b64 s[24:25], 0
                                        ; implicit-def: $sgpr16_sgpr17
	s_branch .LBB159_2011
.LBB159_2009:
	s_mov_b64 s[24:25], -1
                                        ; implicit-def: $sgpr16_sgpr17
.LBB159_2010:
	s_mov_b64 s[26:27], 0
.LBB159_2011:
	s_and_b64 vcc, exec, s[26:27]
	s_cbranch_vccz .LBB159_2013
; %bb.2012:
	s_xor_b64 s[26:27], s[0:1], -1
	s_and_b64 s[26:27], s[20:21], s[26:27]
	s_andn2_b64 s[16:17], s[16:17], exec
	s_and_b64 s[26:27], s[26:27], exec
	s_or_b64 s[16:17], s[16:17], s[26:27]
.LBB159_2013:
	s_mov_b64 s[26:27], 0
.LBB159_2014:
	s_and_b64 vcc, exec, s[26:27]
	s_cbranch_vccz .LBB159_2025
; %bb.2015:
	s_cmp_lg_u32 s30, 0
	s_mov_b64 s[22:23], -1
	s_cselect_b64 s[24:25], -1, 0
	s_andn2_b64 vcc, exec, s[24:25]
	s_cbranch_vccz .LBB159_2026
.LBB159_2016:
	s_andn2_b64 vcc, exec, s[22:23]
	s_cbranch_vccnz .LBB159_2018
.LBB159_2017:
	s_xor_b64 s[0:1], s[0:1], -1
	s_or_b64 s[0:1], s[20:21], s[0:1]
	s_andn2_b64 s[16:17], s[16:17], exec
	s_and_b64 s[0:1], s[0:1], exec
	s_or_b64 s[16:17], s[16:17], s[0:1]
.LBB159_2018:
	v_mov_b32_e32 v1, s11
	v_add_co_u32_e32 v12, vcc, s10, v13
	s_cmp_lt_i32 s31, 11
	v_addc_co_u32_e32 v13, vcc, 0, v1, vcc
	s_cbranch_scc1 .LBB159_2027
; %bb.2019:
	s_and_b32 s28, 0xffff, s31
	s_cmp_gt_i32 s28, 25
	s_mov_b64 s[24:25], 0
	s_cbranch_scc0 .LBB159_2028
; %bb.2020:
	s_cmp_gt_i32 s28, 28
	s_cbranch_scc0 .LBB159_2029
; %bb.2021:
	s_cmp_gt_i32 s28, 43
	;; [unrolled: 3-line block ×3, first 2 shown]
	s_cbranch_scc0 .LBB159_2032
; %bb.2023:
	s_cmp_eq_u32 s28, 46
	s_mov_b64 s[26:27], 0
	s_cbranch_scc0 .LBB159_2033
; %bb.2024:
	global_load_dword v1, v[12:13], off
	s_mov_b64 s[0:1], 0
	s_mov_b64 s[20:21], -1
	s_waitcnt vmcnt(0)
	v_and_b32_e32 v1, 0x7fff7fff, v1
	v_cmp_ne_u32_e64 s[22:23], 0, v1
	s_branch .LBB159_2034
.LBB159_2025:
	s_andn2_b64 vcc, exec, s[24:25]
	s_cbranch_vccnz .LBB159_2016
.LBB159_2026:
	s_xor_b64 s[22:23], s[20:21], -1
	s_and_b64 s[24:25], s[0:1], s[22:23]
	s_andn2_b64 s[16:17], s[16:17], exec
	s_and_b64 s[24:25], s[24:25], exec
	s_or_b64 s[16:17], s[16:17], s[24:25]
	s_cbranch_execz .LBB159_2017
	s_branch .LBB159_2018
.LBB159_2027:
	s_mov_b64 s[0:1], -1
	s_mov_b64 s[20:21], 0
                                        ; implicit-def: $sgpr22_sgpr23
	s_branch .LBB159_2082
.LBB159_2028:
	s_mov_b64 s[26:27], -1
	s_mov_b64 s[20:21], 0
	s_mov_b64 s[0:1], 0
                                        ; implicit-def: $sgpr22_sgpr23
	s_branch .LBB159_2055
.LBB159_2029:
	s_mov_b64 s[26:27], -1
	s_mov_b64 s[20:21], 0
	s_mov_b64 s[0:1], 0
                                        ; implicit-def: $sgpr22_sgpr23
	s_branch .LBB159_2042
.LBB159_2030:
	s_mov_b64 s[26:27], -1
	s_mov_b64 s[20:21], 0
	s_mov_b64 s[0:1], 0
                                        ; implicit-def: $sgpr22_sgpr23
	s_branch .LBB159_2037
.LBB159_2031:
	s_trap 2
	s_mov_b64 s[22:23], 0
	s_or_b64 s[4:5], s[4:5], exec
	s_cbranch_execz .LBB159_1951
	s_branch .LBB159_1952
.LBB159_2032:
	s_mov_b64 s[26:27], -1
	s_mov_b64 s[20:21], 0
	s_mov_b64 s[0:1], 0
                                        ; implicit-def: $sgpr22_sgpr23
	s_branch .LBB159_2034
.LBB159_2033:
	s_mov_b64 s[0:1], -1
                                        ; implicit-def: $sgpr22_sgpr23
	s_mov_b64 s[20:21], 0
.LBB159_2034:
	s_and_b64 vcc, exec, s[26:27]
	s_cbranch_vccz .LBB159_2036
; %bb.2035:
	s_cmp_lg_u32 s28, 44
	s_mov_b64 s[20:21], -1
	s_cselect_b64 s[0:1], -1, 0
	s_or_b64 s[22:23], s[22:23], exec
.LBB159_2036:
	s_mov_b64 s[26:27], 0
.LBB159_2037:
	s_and_b64 vcc, exec, s[26:27]
	s_cbranch_vccz .LBB159_2041
; %bb.2038:
	s_cmp_eq_u32 s28, 29
	s_cbranch_scc0 .LBB159_2040
; %bb.2039:
	global_load_dwordx2 v[14:15], v[12:13], off
	s_mov_b64 s[0:1], 0
	s_mov_b64 s[20:21], -1
	s_mov_b64 s[26:27], 0
	s_waitcnt vmcnt(0)
	v_cmp_ne_u64_e64 s[22:23], 0, v[14:15]
	s_branch .LBB159_2042
.LBB159_2040:
	s_mov_b64 s[0:1], -1
                                        ; implicit-def: $sgpr22_sgpr23
.LBB159_2041:
	s_mov_b64 s[26:27], 0
.LBB159_2042:
	s_and_b64 vcc, exec, s[26:27]
	s_cbranch_vccz .LBB159_2054
; %bb.2043:
	s_cmp_lt_i32 s28, 27
	s_cbranch_scc1 .LBB159_2046
; %bb.2044:
	s_cmp_gt_i32 s28, 27
	s_cbranch_scc0 .LBB159_2047
; %bb.2045:
	global_load_dword v1, v[12:13], off
	s_mov_b64 s[20:21], 0
	s_waitcnt vmcnt(0)
	v_cmp_ne_u32_e64 s[22:23], 0, v1
	s_branch .LBB159_2048
.LBB159_2046:
	s_mov_b64 s[20:21], -1
                                        ; implicit-def: $sgpr22_sgpr23
	s_branch .LBB159_2051
.LBB159_2047:
	s_mov_b64 s[20:21], -1
                                        ; implicit-def: $sgpr22_sgpr23
.LBB159_2048:
	s_andn2_b64 vcc, exec, s[20:21]
	s_cbranch_vccnz .LBB159_2050
; %bb.2049:
	global_load_ushort v1, v[12:13], off
	s_andn2_b64 s[20:21], s[22:23], exec
	s_waitcnt vmcnt(0)
	v_cmp_ne_u16_e32 vcc, 0, v1
	s_and_b64 s[22:23], vcc, exec
	s_or_b64 s[22:23], s[20:21], s[22:23]
.LBB159_2050:
	s_mov_b64 s[20:21], 0
.LBB159_2051:
	s_andn2_b64 vcc, exec, s[20:21]
	s_cbranch_vccnz .LBB159_2053
; %bb.2052:
	global_load_ubyte v1, v[12:13], off
	s_andn2_b64 s[20:21], s[22:23], exec
	s_waitcnt vmcnt(0)
	v_cmp_ne_u16_e32 vcc, 0, v1
	s_and_b64 s[22:23], vcc, exec
	s_or_b64 s[22:23], s[20:21], s[22:23]
.LBB159_2053:
	s_mov_b64 s[20:21], -1
.LBB159_2054:
	s_mov_b64 s[26:27], 0
.LBB159_2055:
	s_and_b64 vcc, exec, s[26:27]
	s_cbranch_vccz .LBB159_2078
; %bb.2056:
	s_cmp_gt_i32 s28, 22
	s_cbranch_scc0 .LBB159_2060
; %bb.2057:
	s_cmp_lt_i32 s28, 24
	s_cbranch_scc1 .LBB159_2061
; %bb.2058:
	s_cmp_gt_i32 s28, 24
	s_cbranch_scc0 .LBB159_2062
; %bb.2059:
	global_load_ubyte v1, v[12:13], off
	s_mov_b64 s[20:21], 0
	s_waitcnt vmcnt(0)
	v_cmp_ne_u16_e64 s[22:23], 0, v1
	s_branch .LBB159_2063
.LBB159_2060:
	s_mov_b64 s[24:25], -1
                                        ; implicit-def: $sgpr22_sgpr23
	s_branch .LBB159_2069
.LBB159_2061:
	s_mov_b64 s[20:21], -1
                                        ; implicit-def: $sgpr22_sgpr23
	s_branch .LBB159_2066
.LBB159_2062:
	s_mov_b64 s[20:21], -1
                                        ; implicit-def: $sgpr22_sgpr23
.LBB159_2063:
	s_andn2_b64 vcc, exec, s[20:21]
	s_cbranch_vccnz .LBB159_2065
; %bb.2064:
	global_load_ubyte v1, v[12:13], off
	s_andn2_b64 s[20:21], s[22:23], exec
	s_waitcnt vmcnt(0)
	v_and_b32_e32 v1, 0x7f, v1
	v_cmp_ne_u16_e32 vcc, 0, v1
	s_and_b64 s[22:23], vcc, exec
	s_or_b64 s[22:23], s[20:21], s[22:23]
.LBB159_2065:
	s_mov_b64 s[20:21], 0
.LBB159_2066:
	s_andn2_b64 vcc, exec, s[20:21]
	s_cbranch_vccnz .LBB159_2068
; %bb.2067:
	global_load_ubyte v1, v[12:13], off
	s_movk_i32 s20, 0x7f00
	s_brev_b32 s21, 16
	s_waitcnt vmcnt(0)
	v_lshlrev_b32_e32 v3, 8, v1
	v_lshlrev_b32_e32 v1, 25, v1
	v_lshrrev_b32_e32 v5, 4, v1
	v_and_or_b32 v3, v3, s20, 0.5
	v_or_b32_e32 v5, 0x70000000, v5
	v_add_f32_e32 v3, -0.5, v3
	v_mul_f32_e32 v5, 0x7800000, v5
	v_cmp_gt_u32_e32 vcc, s21, v1
	v_cndmask_b32_e32 v1, v5, v3, vcc
	v_cmp_neq_f32_e32 vcc, 0, v1
	s_andn2_b64 s[20:21], s[22:23], exec
	s_and_b64 s[22:23], vcc, exec
	s_or_b64 s[22:23], s[20:21], s[22:23]
.LBB159_2068:
	s_mov_b64 s[20:21], -1
.LBB159_2069:
	s_andn2_b64 vcc, exec, s[24:25]
	s_mov_b64 s[24:25], 0
	s_cbranch_vccnz .LBB159_2078
; %bb.2070:
	s_cmp_gt_i32 s28, 14
	s_cbranch_scc0 .LBB159_2073
; %bb.2071:
	s_cmp_eq_u32 s28, 15
	s_cbranch_scc0 .LBB159_2074
; %bb.2072:
	global_load_ushort v1, v[12:13], off
	s_mov_b64 s[0:1], 0
	s_mov_b64 s[20:21], -1
	s_waitcnt vmcnt(0)
	v_and_b32_e32 v1, 0x7fff, v1
	v_cmp_ne_u16_e64 s[22:23], 0, v1
	s_branch .LBB159_2075
.LBB159_2073:
	s_mov_b64 s[26:27], -1
                                        ; implicit-def: $sgpr22_sgpr23
	s_branch .LBB159_2076
.LBB159_2074:
	s_mov_b64 s[0:1], -1
                                        ; implicit-def: $sgpr22_sgpr23
.LBB159_2075:
	s_mov_b64 s[26:27], 0
.LBB159_2076:
	s_and_b64 vcc, exec, s[26:27]
	s_cbranch_vccz .LBB159_2078
; %bb.2077:
	s_cmp_lg_u32 s28, 11
	s_mov_b64 s[24:25], -1
	s_cselect_b64 s[0:1], -1, 0
.LBB159_2078:
	s_and_b64 vcc, exec, s[0:1]
	s_cbranch_vccnz .LBB159_2143
; %bb.2079:
	s_andn2_b64 vcc, exec, s[24:25]
	s_cbranch_vccnz .LBB159_2081
.LBB159_2080:
	global_load_ubyte v1, v[12:13], off
	s_andn2_b64 s[0:1], s[22:23], exec
	s_mov_b64 s[20:21], -1
	s_waitcnt vmcnt(0)
	v_cmp_ne_u16_e32 vcc, 0, v1
	s_and_b64 s[22:23], vcc, exec
	s_or_b64 s[22:23], s[0:1], s[22:23]
.LBB159_2081:
	s_mov_b64 s[0:1], 0
.LBB159_2082:
	s_and_b64 vcc, exec, s[0:1]
	s_cbranch_vccz .LBB159_2131
; %bb.2083:
	s_and_b32 s24, 0xffff, s31
	s_cmp_lt_i32 s24, 5
	s_cbranch_scc1 .LBB159_2088
; %bb.2084:
	s_cmp_lt_i32 s24, 8
	s_cbranch_scc1 .LBB159_2089
; %bb.2085:
	;; [unrolled: 3-line block ×3, first 2 shown]
	s_cmp_gt_i32 s24, 9
	s_cbranch_scc0 .LBB159_2091
; %bb.2087:
	global_load_dwordx4 v[14:17], v[12:13], off
	s_mov_b64 s[20:21], 0
	s_waitcnt vmcnt(0)
	v_cmp_neq_f64_e32 vcc, 0, v[14:15]
	v_cmp_neq_f64_e64 s[0:1], 0, v[16:17]
	s_or_b64 s[22:23], vcc, s[0:1]
	s_branch .LBB159_2092
.LBB159_2088:
	s_mov_b64 s[0:1], -1
                                        ; implicit-def: $sgpr22_sgpr23
	s_branch .LBB159_2110
.LBB159_2089:
	s_mov_b64 s[0:1], -1
                                        ; implicit-def: $sgpr22_sgpr23
	s_branch .LBB159_2098
.LBB159_2090:
	s_mov_b64 s[0:1], -1
                                        ; implicit-def: $sgpr22_sgpr23
	s_branch .LBB159_2095
.LBB159_2091:
	s_mov_b64 s[20:21], -1
                                        ; implicit-def: $sgpr22_sgpr23
.LBB159_2092:
	s_andn2_b64 vcc, exec, s[20:21]
	s_cbranch_vccnz .LBB159_2094
; %bb.2093:
	global_load_dwordx2 v[14:15], v[12:13], off
	s_andn2_b64 s[0:1], s[22:23], exec
	s_waitcnt vmcnt(0)
	v_or_b32_e32 v1, v14, v15
	v_and_b32_e32 v1, 0x7fffffff, v1
	v_cmp_ne_u32_e32 vcc, 0, v1
	s_and_b64 s[20:21], vcc, exec
	s_or_b64 s[22:23], s[0:1], s[20:21]
.LBB159_2094:
	s_mov_b64 s[0:1], 0
.LBB159_2095:
	s_andn2_b64 vcc, exec, s[0:1]
	s_cbranch_vccnz .LBB159_2097
; %bb.2096:
	global_load_dword v1, v[12:13], off
	s_andn2_b64 s[0:1], s[22:23], exec
	s_waitcnt vmcnt(0)
	v_and_b32_e32 v1, 0x7fff7fff, v1
	v_cmp_ne_u32_e32 vcc, 0, v1
	s_and_b64 s[20:21], vcc, exec
	s_or_b64 s[22:23], s[0:1], s[20:21]
.LBB159_2097:
	s_mov_b64 s[0:1], 0
.LBB159_2098:
	s_andn2_b64 vcc, exec, s[0:1]
	s_cbranch_vccnz .LBB159_2109
; %bb.2099:
	s_cmp_lt_i32 s24, 6
	s_cbranch_scc1 .LBB159_2102
; %bb.2100:
	s_cmp_gt_i32 s24, 6
	s_cbranch_scc0 .LBB159_2103
; %bb.2101:
	global_load_dwordx2 v[14:15], v[12:13], off
	s_mov_b64 s[0:1], 0
	s_waitcnt vmcnt(0)
	v_cmp_neq_f64_e64 s[22:23], 0, v[14:15]
	s_branch .LBB159_2104
.LBB159_2102:
	s_mov_b64 s[0:1], -1
                                        ; implicit-def: $sgpr22_sgpr23
	s_branch .LBB159_2107
.LBB159_2103:
	s_mov_b64 s[0:1], -1
                                        ; implicit-def: $sgpr22_sgpr23
.LBB159_2104:
	s_andn2_b64 vcc, exec, s[0:1]
	s_cbranch_vccnz .LBB159_2106
; %bb.2105:
	global_load_dword v1, v[12:13], off
	s_andn2_b64 s[0:1], s[22:23], exec
	s_waitcnt vmcnt(0)
	v_cmp_neq_f32_e32 vcc, 0, v1
	s_and_b64 s[20:21], vcc, exec
	s_or_b64 s[22:23], s[0:1], s[20:21]
.LBB159_2106:
	s_mov_b64 s[0:1], 0
.LBB159_2107:
	s_andn2_b64 vcc, exec, s[0:1]
	s_cbranch_vccnz .LBB159_2109
; %bb.2108:
	global_load_ushort v1, v[12:13], off
	s_andn2_b64 s[0:1], s[22:23], exec
	s_waitcnt vmcnt(0)
	v_and_b32_e32 v1, 0x7fff, v1
	v_cmp_ne_u16_e32 vcc, 0, v1
	s_and_b64 s[20:21], vcc, exec
	s_or_b64 s[22:23], s[0:1], s[20:21]
.LBB159_2109:
	s_mov_b64 s[0:1], 0
.LBB159_2110:
	s_andn2_b64 vcc, exec, s[0:1]
	s_cbranch_vccnz .LBB159_2130
; %bb.2111:
	s_cmp_lt_i32 s24, 2
	s_cbranch_scc1 .LBB159_2115
; %bb.2112:
	s_cmp_lt_i32 s24, 3
	s_cbranch_scc1 .LBB159_2116
; %bb.2113:
	s_cmp_gt_i32 s24, 3
	s_cbranch_scc0 .LBB159_2117
; %bb.2114:
	global_load_dwordx2 v[14:15], v[12:13], off
	s_mov_b64 s[0:1], 0
	s_waitcnt vmcnt(0)
	v_cmp_ne_u64_e64 s[22:23], 0, v[14:15]
	s_branch .LBB159_2118
.LBB159_2115:
	s_mov_b64 s[0:1], -1
                                        ; implicit-def: $sgpr22_sgpr23
	s_branch .LBB159_2124
.LBB159_2116:
	s_mov_b64 s[0:1], -1
                                        ; implicit-def: $sgpr22_sgpr23
	s_branch .LBB159_2121
.LBB159_2117:
	s_mov_b64 s[0:1], -1
                                        ; implicit-def: $sgpr22_sgpr23
.LBB159_2118:
	s_andn2_b64 vcc, exec, s[0:1]
	s_cbranch_vccnz .LBB159_2120
; %bb.2119:
	global_load_dword v1, v[12:13], off
	s_andn2_b64 s[0:1], s[22:23], exec
	s_waitcnt vmcnt(0)
	v_cmp_ne_u32_e32 vcc, 0, v1
	s_and_b64 s[20:21], vcc, exec
	s_or_b64 s[22:23], s[0:1], s[20:21]
.LBB159_2120:
	s_mov_b64 s[0:1], 0
.LBB159_2121:
	s_andn2_b64 vcc, exec, s[0:1]
	s_cbranch_vccnz .LBB159_2123
; %bb.2122:
	global_load_ushort v1, v[12:13], off
	s_andn2_b64 s[0:1], s[22:23], exec
	s_waitcnt vmcnt(0)
	v_cmp_ne_u16_e32 vcc, 0, v1
	s_and_b64 s[20:21], vcc, exec
	s_or_b64 s[22:23], s[0:1], s[20:21]
.LBB159_2123:
	s_mov_b64 s[0:1], 0
.LBB159_2124:
	s_andn2_b64 vcc, exec, s[0:1]
	s_cbranch_vccnz .LBB159_2130
; %bb.2125:
	s_cmp_gt_i32 s24, 0
	s_cbranch_scc0 .LBB159_2127
; %bb.2126:
	global_load_ubyte v1, v[12:13], off
	s_mov_b64 s[0:1], 0
	s_waitcnt vmcnt(0)
	v_cmp_ne_u16_e64 s[22:23], 0, v1
	s_branch .LBB159_2128
.LBB159_2127:
	s_mov_b64 s[0:1], -1
                                        ; implicit-def: $sgpr22_sgpr23
.LBB159_2128:
	s_andn2_b64 vcc, exec, s[0:1]
	s_cbranch_vccnz .LBB159_2130
; %bb.2129:
	global_load_ubyte v1, v[12:13], off
	s_andn2_b64 s[0:1], s[22:23], exec
	s_waitcnt vmcnt(0)
	v_cmp_ne_u16_e32 vcc, 0, v1
	s_and_b64 s[20:21], vcc, exec
	s_or_b64 s[22:23], s[0:1], s[20:21]
.LBB159_2130:
	s_mov_b64 s[20:21], -1
.LBB159_2131:
	s_andn2_b64 vcc, exec, s[20:21]
	s_cbranch_vccnz .LBB159_2491
; %bb.2132:
	v_mov_b32_e32 v1, s19
	v_add_co_u32_e32 v10, vcc, s18, v11
	s_cmp_lt_i32 s33, 11
	v_addc_co_u32_e32 v11, vcc, 0, v1, vcc
	s_cbranch_scc1 .LBB159_2139
; %bb.2133:
	s_and_b32 s34, 0xffff, s33
	s_cmp_gt_i32 s34, 25
	s_mov_b64 s[26:27], 0
	s_cbranch_scc0 .LBB159_2140
; %bb.2134:
	s_cmp_gt_i32 s34, 28
	s_cbranch_scc0 .LBB159_2141
; %bb.2135:
	s_cmp_gt_i32 s34, 43
	;; [unrolled: 3-line block ×3, first 2 shown]
	s_cbranch_scc0 .LBB159_2144
; %bb.2137:
	s_cmp_eq_u32 s34, 46
	s_mov_b64 s[28:29], 0
	s_cbranch_scc0 .LBB159_2147
; %bb.2138:
	global_load_dword v1, v[10:11], off
	s_mov_b64 s[20:21], 0
	s_mov_b64 s[24:25], -1
	s_waitcnt vmcnt(0)
	v_and_b32_e32 v1, 0x7fff7fff, v1
	v_cmp_ne_u32_e64 s[0:1], 0, v1
	s_branch .LBB159_2148
.LBB159_2139:
	s_mov_b64 s[20:21], -1
	s_mov_b64 s[24:25], 0
                                        ; implicit-def: $sgpr0_sgpr1
	s_branch .LBB159_2196
.LBB159_2140:
	s_mov_b64 s[28:29], -1
	s_mov_b64 s[24:25], 0
	s_mov_b64 s[20:21], 0
                                        ; implicit-def: $sgpr0_sgpr1
	s_branch .LBB159_2169
.LBB159_2141:
	s_mov_b64 s[28:29], -1
	s_mov_b64 s[24:25], 0
	s_mov_b64 s[20:21], 0
                                        ; implicit-def: $sgpr0_sgpr1
	s_branch .LBB159_2156
.LBB159_2142:
	s_mov_b64 s[28:29], -1
	s_mov_b64 s[24:25], 0
	s_mov_b64 s[20:21], 0
                                        ; implicit-def: $sgpr0_sgpr1
	s_branch .LBB159_2151
.LBB159_2143:
	s_trap 2
	s_mov_b64 s[20:21], 0
	s_or_b64 s[4:5], s[4:5], exec
	s_cbranch_execz .LBB159_2080
	s_branch .LBB159_2081
.LBB159_2144:
	s_mov_b64 s[28:29], -1
	s_mov_b64 s[24:25], 0
	s_mov_b64 s[20:21], 0
                                        ; implicit-def: $sgpr0_sgpr1
	s_branch .LBB159_2148
.LBB159_2145:
	s_andn2_saveexec_b64 s[64:65], s[64:65]
	s_cbranch_execz .LBB159_1053
.LBB159_2146:
	v_add_f32_e32 v2, 0x42800000, v3
	v_and_b32_e32 v2, 0xff, v2
	v_cmp_ne_u32_e32 vcc, 0, v2
	s_andn2_b64 s[62:63], s[62:63], exec
	s_and_b64 s[68:69], vcc, exec
	s_or_b64 s[62:63], s[62:63], s[68:69]
	s_or_b64 exec, exec, s[64:65]
	v_mov_b32_e32 v4, 0
	s_and_saveexec_b64 s[64:65], s[62:63]
	s_cbranch_execnz .LBB159_1054
	s_branch .LBB159_1055
.LBB159_2147:
	s_mov_b64 s[20:21], -1
                                        ; implicit-def: $sgpr0_sgpr1
	s_mov_b64 s[24:25], 0
.LBB159_2148:
	s_and_b64 vcc, exec, s[28:29]
	s_cbranch_vccz .LBB159_2150
; %bb.2149:
	s_cmp_lg_u32 s34, 44
	s_mov_b64 s[24:25], -1
	s_cselect_b64 s[20:21], -1, 0
	s_or_b64 s[0:1], s[0:1], exec
.LBB159_2150:
	s_mov_b64 s[28:29], 0
.LBB159_2151:
	s_and_b64 vcc, exec, s[28:29]
	s_cbranch_vccz .LBB159_2155
; %bb.2152:
	s_cmp_eq_u32 s34, 29
	s_cbranch_scc0 .LBB159_2154
; %bb.2153:
	global_load_dwordx2 v[12:13], v[10:11], off
	s_mov_b64 s[20:21], 0
	s_mov_b64 s[24:25], -1
	s_mov_b64 s[28:29], 0
	s_waitcnt vmcnt(0)
	v_cmp_ne_u64_e64 s[0:1], 0, v[12:13]
	s_branch .LBB159_2156
.LBB159_2154:
	s_mov_b64 s[20:21], -1
                                        ; implicit-def: $sgpr0_sgpr1
.LBB159_2155:
	s_mov_b64 s[28:29], 0
.LBB159_2156:
	s_and_b64 vcc, exec, s[28:29]
	s_cbranch_vccz .LBB159_2168
; %bb.2157:
	s_cmp_lt_i32 s34, 27
	s_cbranch_scc1 .LBB159_2160
; %bb.2158:
	s_cmp_gt_i32 s34, 27
	s_cbranch_scc0 .LBB159_2161
; %bb.2159:
	global_load_dword v1, v[10:11], off
	s_mov_b64 s[24:25], 0
	s_waitcnt vmcnt(0)
	v_cmp_ne_u32_e64 s[0:1], 0, v1
	s_branch .LBB159_2162
.LBB159_2160:
	s_mov_b64 s[24:25], -1
                                        ; implicit-def: $sgpr0_sgpr1
	s_branch .LBB159_2165
.LBB159_2161:
	s_mov_b64 s[24:25], -1
                                        ; implicit-def: $sgpr0_sgpr1
.LBB159_2162:
	s_andn2_b64 vcc, exec, s[24:25]
	s_cbranch_vccnz .LBB159_2164
; %bb.2163:
	global_load_ushort v1, v[10:11], off
	s_andn2_b64 s[0:1], s[0:1], exec
	s_waitcnt vmcnt(0)
	v_cmp_ne_u16_e32 vcc, 0, v1
	s_and_b64 s[24:25], vcc, exec
	s_or_b64 s[0:1], s[0:1], s[24:25]
.LBB159_2164:
	s_mov_b64 s[24:25], 0
.LBB159_2165:
	s_andn2_b64 vcc, exec, s[24:25]
	s_cbranch_vccnz .LBB159_2167
; %bb.2166:
	global_load_ubyte v1, v[10:11], off
	s_andn2_b64 s[0:1], s[0:1], exec
	s_waitcnt vmcnt(0)
	v_cmp_ne_u16_e32 vcc, 0, v1
	s_and_b64 s[24:25], vcc, exec
	s_or_b64 s[0:1], s[0:1], s[24:25]
.LBB159_2167:
	s_mov_b64 s[24:25], -1
.LBB159_2168:
	s_mov_b64 s[28:29], 0
.LBB159_2169:
	s_and_b64 vcc, exec, s[28:29]
	s_cbranch_vccz .LBB159_2192
; %bb.2170:
	s_cmp_gt_i32 s34, 22
	s_cbranch_scc0 .LBB159_2174
; %bb.2171:
	s_cmp_lt_i32 s34, 24
	s_cbranch_scc1 .LBB159_2175
; %bb.2172:
	s_cmp_gt_i32 s34, 24
	s_cbranch_scc0 .LBB159_2176
; %bb.2173:
	global_load_ubyte v1, v[10:11], off
	s_mov_b64 s[24:25], 0
	s_waitcnt vmcnt(0)
	v_cmp_ne_u16_e64 s[0:1], 0, v1
	s_branch .LBB159_2177
.LBB159_2174:
	s_mov_b64 s[26:27], -1
                                        ; implicit-def: $sgpr0_sgpr1
	s_branch .LBB159_2183
.LBB159_2175:
	s_mov_b64 s[24:25], -1
                                        ; implicit-def: $sgpr0_sgpr1
	s_branch .LBB159_2180
.LBB159_2176:
	s_mov_b64 s[24:25], -1
                                        ; implicit-def: $sgpr0_sgpr1
.LBB159_2177:
	s_andn2_b64 vcc, exec, s[24:25]
	s_cbranch_vccnz .LBB159_2179
; %bb.2178:
	global_load_ubyte v1, v[10:11], off
	s_andn2_b64 s[0:1], s[0:1], exec
	s_waitcnt vmcnt(0)
	v_and_b32_e32 v1, 0x7f, v1
	v_cmp_ne_u16_e32 vcc, 0, v1
	s_and_b64 s[24:25], vcc, exec
	s_or_b64 s[0:1], s[0:1], s[24:25]
.LBB159_2179:
	s_mov_b64 s[24:25], 0
.LBB159_2180:
	s_andn2_b64 vcc, exec, s[24:25]
	s_cbranch_vccnz .LBB159_2182
; %bb.2181:
	global_load_ubyte v1, v[10:11], off
	s_movk_i32 s24, 0x7f00
	s_brev_b32 s25, 16
	s_andn2_b64 s[0:1], s[0:1], exec
	s_waitcnt vmcnt(0)
	v_lshlrev_b32_e32 v3, 8, v1
	v_lshlrev_b32_e32 v1, 25, v1
	v_lshrrev_b32_e32 v5, 4, v1
	v_and_or_b32 v3, v3, s24, 0.5
	v_or_b32_e32 v5, 0x70000000, v5
	v_add_f32_e32 v3, -0.5, v3
	v_mul_f32_e32 v5, 0x7800000, v5
	v_cmp_gt_u32_e32 vcc, s25, v1
	v_cndmask_b32_e32 v1, v5, v3, vcc
	v_cmp_neq_f32_e32 vcc, 0, v1
	s_and_b64 s[24:25], vcc, exec
	s_or_b64 s[0:1], s[0:1], s[24:25]
.LBB159_2182:
	s_mov_b64 s[24:25], -1
.LBB159_2183:
	s_andn2_b64 vcc, exec, s[26:27]
	s_mov_b64 s[26:27], 0
	s_cbranch_vccnz .LBB159_2192
; %bb.2184:
	s_cmp_gt_i32 s34, 14
	s_cbranch_scc0 .LBB159_2187
; %bb.2185:
	s_cmp_eq_u32 s34, 15
	s_cbranch_scc0 .LBB159_2188
; %bb.2186:
	global_load_ushort v1, v[10:11], off
	s_mov_b64 s[20:21], 0
	s_mov_b64 s[24:25], -1
	s_waitcnt vmcnt(0)
	v_and_b32_e32 v1, 0x7fff, v1
	v_cmp_ne_u16_e64 s[0:1], 0, v1
	s_branch .LBB159_2189
.LBB159_2187:
	s_mov_b64 s[28:29], -1
                                        ; implicit-def: $sgpr0_sgpr1
	s_branch .LBB159_2190
.LBB159_2188:
	s_mov_b64 s[20:21], -1
                                        ; implicit-def: $sgpr0_sgpr1
.LBB159_2189:
	s_mov_b64 s[28:29], 0
.LBB159_2190:
	s_and_b64 vcc, exec, s[28:29]
	s_cbranch_vccz .LBB159_2192
; %bb.2191:
	s_cmp_lg_u32 s34, 11
	s_mov_b64 s[26:27], -1
	s_cselect_b64 s[20:21], -1, 0
.LBB159_2192:
	s_and_b64 vcc, exec, s[20:21]
	s_cbranch_vccnz .LBB159_2274
; %bb.2193:
	s_andn2_b64 vcc, exec, s[26:27]
	s_cbranch_vccnz .LBB159_2195
.LBB159_2194:
	global_load_ubyte v1, v[10:11], off
	s_andn2_b64 s[0:1], s[0:1], exec
	s_mov_b64 s[24:25], -1
	s_waitcnt vmcnt(0)
	v_cmp_ne_u16_e32 vcc, 0, v1
	s_and_b64 s[20:21], vcc, exec
	s_or_b64 s[0:1], s[0:1], s[20:21]
.LBB159_2195:
	s_mov_b64 s[20:21], 0
.LBB159_2196:
	s_and_b64 vcc, exec, s[20:21]
	s_cbranch_vccz .LBB159_2245
; %bb.2197:
	s_and_b32 s24, 0xffff, s33
	s_cmp_lt_i32 s24, 5
	s_cbranch_scc1 .LBB159_2202
; %bb.2198:
	s_cmp_lt_i32 s24, 8
	s_cbranch_scc1 .LBB159_2203
; %bb.2199:
	s_cmp_lt_i32 s24, 9
	s_cbranch_scc1 .LBB159_2204
; %bb.2200:
	s_cmp_gt_i32 s24, 9
	s_cbranch_scc0 .LBB159_2205
; %bb.2201:
	global_load_dwordx4 v[12:15], v[10:11], off
	s_mov_b64 s[20:21], 0
	s_waitcnt vmcnt(0)
	v_cmp_neq_f64_e32 vcc, 0, v[12:13]
	v_cmp_neq_f64_e64 s[0:1], 0, v[14:15]
	s_or_b64 s[0:1], vcc, s[0:1]
	s_branch .LBB159_2206
.LBB159_2202:
	s_mov_b64 s[20:21], -1
                                        ; implicit-def: $sgpr0_sgpr1
	s_branch .LBB159_2224
.LBB159_2203:
	s_mov_b64 s[20:21], -1
                                        ; implicit-def: $sgpr0_sgpr1
	s_branch .LBB159_2212
.LBB159_2204:
	s_mov_b64 s[20:21], -1
                                        ; implicit-def: $sgpr0_sgpr1
	s_branch .LBB159_2209
.LBB159_2205:
	s_mov_b64 s[20:21], -1
                                        ; implicit-def: $sgpr0_sgpr1
.LBB159_2206:
	s_andn2_b64 vcc, exec, s[20:21]
	s_cbranch_vccnz .LBB159_2208
; %bb.2207:
	global_load_dwordx2 v[12:13], v[10:11], off
	s_andn2_b64 s[0:1], s[0:1], exec
	s_waitcnt vmcnt(0)
	v_or_b32_e32 v1, v12, v13
	v_and_b32_e32 v1, 0x7fffffff, v1
	v_cmp_ne_u32_e32 vcc, 0, v1
	s_and_b64 s[20:21], vcc, exec
	s_or_b64 s[0:1], s[0:1], s[20:21]
.LBB159_2208:
	s_mov_b64 s[20:21], 0
.LBB159_2209:
	s_andn2_b64 vcc, exec, s[20:21]
	s_cbranch_vccnz .LBB159_2211
; %bb.2210:
	global_load_dword v1, v[10:11], off
	s_andn2_b64 s[0:1], s[0:1], exec
	s_waitcnt vmcnt(0)
	v_and_b32_e32 v1, 0x7fff7fff, v1
	v_cmp_ne_u32_e32 vcc, 0, v1
	s_and_b64 s[20:21], vcc, exec
	s_or_b64 s[0:1], s[0:1], s[20:21]
.LBB159_2211:
	s_mov_b64 s[20:21], 0
.LBB159_2212:
	s_andn2_b64 vcc, exec, s[20:21]
	s_cbranch_vccnz .LBB159_2223
; %bb.2213:
	s_cmp_lt_i32 s24, 6
	s_cbranch_scc1 .LBB159_2216
; %bb.2214:
	s_cmp_gt_i32 s24, 6
	s_cbranch_scc0 .LBB159_2217
; %bb.2215:
	global_load_dwordx2 v[12:13], v[10:11], off
	s_mov_b64 s[20:21], 0
	s_waitcnt vmcnt(0)
	v_cmp_neq_f64_e64 s[0:1], 0, v[12:13]
	s_branch .LBB159_2218
.LBB159_2216:
	s_mov_b64 s[20:21], -1
                                        ; implicit-def: $sgpr0_sgpr1
	s_branch .LBB159_2221
.LBB159_2217:
	s_mov_b64 s[20:21], -1
                                        ; implicit-def: $sgpr0_sgpr1
.LBB159_2218:
	s_andn2_b64 vcc, exec, s[20:21]
	s_cbranch_vccnz .LBB159_2220
; %bb.2219:
	global_load_dword v1, v[10:11], off
	s_andn2_b64 s[0:1], s[0:1], exec
	s_waitcnt vmcnt(0)
	v_cmp_neq_f32_e32 vcc, 0, v1
	s_and_b64 s[20:21], vcc, exec
	s_or_b64 s[0:1], s[0:1], s[20:21]
.LBB159_2220:
	s_mov_b64 s[20:21], 0
.LBB159_2221:
	s_andn2_b64 vcc, exec, s[20:21]
	s_cbranch_vccnz .LBB159_2223
; %bb.2222:
	global_load_ushort v1, v[10:11], off
	s_andn2_b64 s[0:1], s[0:1], exec
	s_waitcnt vmcnt(0)
	v_and_b32_e32 v1, 0x7fff, v1
	v_cmp_ne_u16_e32 vcc, 0, v1
	s_and_b64 s[20:21], vcc, exec
	s_or_b64 s[0:1], s[0:1], s[20:21]
.LBB159_2223:
	s_mov_b64 s[20:21], 0
.LBB159_2224:
	s_andn2_b64 vcc, exec, s[20:21]
	s_cbranch_vccnz .LBB159_2244
; %bb.2225:
	s_cmp_lt_i32 s24, 2
	s_cbranch_scc1 .LBB159_2229
; %bb.2226:
	s_cmp_lt_i32 s24, 3
	s_cbranch_scc1 .LBB159_2230
; %bb.2227:
	s_cmp_gt_i32 s24, 3
	s_cbranch_scc0 .LBB159_2231
; %bb.2228:
	global_load_dwordx2 v[12:13], v[10:11], off
	s_mov_b64 s[20:21], 0
	s_waitcnt vmcnt(0)
	v_cmp_ne_u64_e64 s[0:1], 0, v[12:13]
	s_branch .LBB159_2232
.LBB159_2229:
	s_mov_b64 s[20:21], -1
                                        ; implicit-def: $sgpr0_sgpr1
	s_branch .LBB159_2238
.LBB159_2230:
	s_mov_b64 s[20:21], -1
                                        ; implicit-def: $sgpr0_sgpr1
	s_branch .LBB159_2235
.LBB159_2231:
	s_mov_b64 s[20:21], -1
                                        ; implicit-def: $sgpr0_sgpr1
.LBB159_2232:
	s_andn2_b64 vcc, exec, s[20:21]
	s_cbranch_vccnz .LBB159_2234
; %bb.2233:
	global_load_dword v1, v[10:11], off
	s_andn2_b64 s[0:1], s[0:1], exec
	s_waitcnt vmcnt(0)
	v_cmp_ne_u32_e32 vcc, 0, v1
	s_and_b64 s[20:21], vcc, exec
	s_or_b64 s[0:1], s[0:1], s[20:21]
.LBB159_2234:
	s_mov_b64 s[20:21], 0
.LBB159_2235:
	s_andn2_b64 vcc, exec, s[20:21]
	s_cbranch_vccnz .LBB159_2237
; %bb.2236:
	global_load_ushort v1, v[10:11], off
	s_andn2_b64 s[0:1], s[0:1], exec
	s_waitcnt vmcnt(0)
	v_cmp_ne_u16_e32 vcc, 0, v1
	s_and_b64 s[20:21], vcc, exec
	s_or_b64 s[0:1], s[0:1], s[20:21]
.LBB159_2237:
	s_mov_b64 s[20:21], 0
.LBB159_2238:
	s_andn2_b64 vcc, exec, s[20:21]
	s_cbranch_vccnz .LBB159_2244
; %bb.2239:
	s_cmp_gt_i32 s24, 0
	s_cbranch_scc0 .LBB159_2241
; %bb.2240:
	global_load_ubyte v1, v[10:11], off
	s_mov_b64 s[20:21], 0
	s_waitcnt vmcnt(0)
	v_cmp_ne_u16_e64 s[0:1], 0, v1
	s_branch .LBB159_2242
.LBB159_2241:
	s_mov_b64 s[20:21], -1
                                        ; implicit-def: $sgpr0_sgpr1
.LBB159_2242:
	s_andn2_b64 vcc, exec, s[20:21]
	s_cbranch_vccnz .LBB159_2244
; %bb.2243:
	global_load_ubyte v1, v[10:11], off
	s_andn2_b64 s[0:1], s[0:1], exec
	s_waitcnt vmcnt(0)
	v_cmp_ne_u16_e32 vcc, 0, v1
	s_and_b64 s[20:21], vcc, exec
	s_or_b64 s[0:1], s[0:1], s[20:21]
.LBB159_2244:
	s_mov_b64 s[24:25], -1
.LBB159_2245:
	s_andn2_b64 vcc, exec, s[24:25]
	s_cbranch_vccnz .LBB159_2491
; %bb.2246:
	s_cmp_lt_i32 s30, 1
	s_mov_b64 s[24:25], 0
	s_cbranch_scc1 .LBB159_2250
; %bb.2247:
	s_cmp_gt_i32 s30, 1
	s_cbranch_scc0 .LBB159_2251
; %bb.2248:
	s_cmp_eq_u32 s30, 2
	s_cbranch_scc0 .LBB159_2252
; %bb.2249:
	s_xor_b64 s[20:21], s[22:23], -1
	s_or_b64 s[20:21], s[0:1], s[20:21]
	s_mov_b64 s[26:27], 0
	s_branch .LBB159_2253
.LBB159_2250:
	s_mov_b64 s[28:29], -1
                                        ; implicit-def: $sgpr20_sgpr21
	s_mov_b64 s[26:27], 0
	s_branch .LBB159_2257
.LBB159_2251:
	s_mov_b64 s[28:29], -1
	s_mov_b64 s[26:27], 0
                                        ; implicit-def: $sgpr20_sgpr21
	s_branch .LBB159_2254
.LBB159_2252:
	s_mov_b64 s[26:27], -1
                                        ; implicit-def: $sgpr20_sgpr21
.LBB159_2253:
	s_mov_b64 s[28:29], 0
.LBB159_2254:
	s_and_b64 vcc, exec, s[28:29]
	s_cbranch_vccz .LBB159_2256
; %bb.2255:
	s_xor_b64 s[28:29], s[0:1], -1
	s_and_b64 s[28:29], s[22:23], s[28:29]
	s_andn2_b64 s[20:21], s[20:21], exec
	s_and_b64 s[28:29], s[28:29], exec
	s_or_b64 s[20:21], s[20:21], s[28:29]
.LBB159_2256:
	s_mov_b64 s[28:29], 0
.LBB159_2257:
	s_and_b64 vcc, exec, s[28:29]
	s_cbranch_vccz .LBB159_2268
; %bb.2258:
	s_cmp_lg_u32 s30, 0
	s_mov_b64 s[24:25], -1
	s_cselect_b64 s[26:27], -1, 0
	s_andn2_b64 vcc, exec, s[26:27]
	s_cbranch_vccz .LBB159_2269
.LBB159_2259:
	s_andn2_b64 vcc, exec, s[24:25]
	s_cbranch_vccnz .LBB159_2261
.LBB159_2260:
	s_xor_b64 s[0:1], s[0:1], -1
	s_or_b64 s[0:1], s[22:23], s[0:1]
	s_andn2_b64 s[20:21], s[20:21], exec
	s_and_b64 s[0:1], s[0:1], exec
	s_or_b64 s[20:21], s[20:21], s[0:1]
.LBB159_2261:
	v_mov_b32_e32 v1, s11
	v_add_co_u32_e32 v8, vcc, s10, v9
	s_cmp_lt_i32 s31, 11
	v_addc_co_u32_e32 v9, vcc, 0, v1, vcc
	s_cbranch_scc1 .LBB159_2270
; %bb.2262:
	s_and_b32 s28, 0xffff, s31
	s_cmp_gt_i32 s28, 25
	s_mov_b64 s[24:25], 0
	s_cbranch_scc0 .LBB159_2271
; %bb.2263:
	s_cmp_gt_i32 s28, 28
	s_cbranch_scc0 .LBB159_2272
; %bb.2264:
	s_cmp_gt_i32 s28, 43
	;; [unrolled: 3-line block ×3, first 2 shown]
	s_cbranch_scc0 .LBB159_2275
; %bb.2266:
	s_cmp_eq_u32 s28, 46
	s_mov_b64 s[26:27], 0
	s_cbranch_scc0 .LBB159_2276
; %bb.2267:
	global_load_dword v1, v[8:9], off
	s_mov_b64 s[0:1], 0
	s_mov_b64 s[10:11], -1
	s_waitcnt vmcnt(0)
	v_and_b32_e32 v1, 0x7fff7fff, v1
	v_cmp_ne_u32_e64 s[22:23], 0, v1
	s_branch .LBB159_2277
.LBB159_2268:
	s_andn2_b64 vcc, exec, s[26:27]
	s_cbranch_vccnz .LBB159_2259
.LBB159_2269:
	s_xor_b64 s[24:25], s[22:23], -1
	s_and_b64 s[26:27], s[0:1], s[24:25]
	s_andn2_b64 s[20:21], s[20:21], exec
	s_and_b64 s[26:27], s[26:27], exec
	s_or_b64 s[20:21], s[20:21], s[26:27]
	s_cbranch_execz .LBB159_2260
	s_branch .LBB159_2261
.LBB159_2270:
	s_mov_b64 s[0:1], -1
	s_mov_b64 s[10:11], 0
                                        ; implicit-def: $sgpr22_sgpr23
	s_branch .LBB159_2325
.LBB159_2271:
	s_mov_b64 s[26:27], -1
	s_mov_b64 s[10:11], 0
	s_mov_b64 s[0:1], 0
                                        ; implicit-def: $sgpr22_sgpr23
	s_branch .LBB159_2298
.LBB159_2272:
	s_mov_b64 s[26:27], -1
	s_mov_b64 s[10:11], 0
	s_mov_b64 s[0:1], 0
                                        ; implicit-def: $sgpr22_sgpr23
	s_branch .LBB159_2285
.LBB159_2273:
	s_mov_b64 s[26:27], -1
	s_mov_b64 s[10:11], 0
	s_mov_b64 s[0:1], 0
                                        ; implicit-def: $sgpr22_sgpr23
	s_branch .LBB159_2280
.LBB159_2274:
	s_trap 2
	s_mov_b64 s[24:25], 0
	s_or_b64 s[4:5], s[4:5], exec
	s_cbranch_execz .LBB159_2194
	s_branch .LBB159_2195
.LBB159_2275:
	s_mov_b64 s[26:27], -1
	s_mov_b64 s[10:11], 0
	s_mov_b64 s[0:1], 0
                                        ; implicit-def: $sgpr22_sgpr23
	s_branch .LBB159_2277
.LBB159_2276:
	s_mov_b64 s[0:1], -1
                                        ; implicit-def: $sgpr22_sgpr23
	s_mov_b64 s[10:11], 0
.LBB159_2277:
	s_and_b64 vcc, exec, s[26:27]
	s_cbranch_vccz .LBB159_2279
; %bb.2278:
	s_cmp_lg_u32 s28, 44
	s_mov_b64 s[10:11], -1
	s_cselect_b64 s[0:1], -1, 0
	s_or_b64 s[22:23], s[22:23], exec
.LBB159_2279:
	s_mov_b64 s[26:27], 0
.LBB159_2280:
	s_and_b64 vcc, exec, s[26:27]
	s_cbranch_vccz .LBB159_2284
; %bb.2281:
	s_cmp_eq_u32 s28, 29
	s_cbranch_scc0 .LBB159_2283
; %bb.2282:
	global_load_dwordx2 v[10:11], v[8:9], off
	s_mov_b64 s[0:1], 0
	s_mov_b64 s[10:11], -1
	s_mov_b64 s[26:27], 0
	s_waitcnt vmcnt(0)
	v_cmp_ne_u64_e64 s[22:23], 0, v[10:11]
	s_branch .LBB159_2285
.LBB159_2283:
	s_mov_b64 s[0:1], -1
                                        ; implicit-def: $sgpr22_sgpr23
.LBB159_2284:
	s_mov_b64 s[26:27], 0
.LBB159_2285:
	s_and_b64 vcc, exec, s[26:27]
	s_cbranch_vccz .LBB159_2297
; %bb.2286:
	s_cmp_lt_i32 s28, 27
	s_cbranch_scc1 .LBB159_2289
; %bb.2287:
	s_cmp_gt_i32 s28, 27
	s_cbranch_scc0 .LBB159_2290
; %bb.2288:
	global_load_dword v1, v[8:9], off
	s_mov_b64 s[10:11], 0
	s_waitcnt vmcnt(0)
	v_cmp_ne_u32_e64 s[22:23], 0, v1
	s_branch .LBB159_2291
.LBB159_2289:
	s_mov_b64 s[10:11], -1
                                        ; implicit-def: $sgpr22_sgpr23
	s_branch .LBB159_2294
.LBB159_2290:
	s_mov_b64 s[10:11], -1
                                        ; implicit-def: $sgpr22_sgpr23
.LBB159_2291:
	s_andn2_b64 vcc, exec, s[10:11]
	s_cbranch_vccnz .LBB159_2293
; %bb.2292:
	global_load_ushort v1, v[8:9], off
	s_andn2_b64 s[10:11], s[22:23], exec
	s_waitcnt vmcnt(0)
	v_cmp_ne_u16_e32 vcc, 0, v1
	s_and_b64 s[22:23], vcc, exec
	s_or_b64 s[22:23], s[10:11], s[22:23]
.LBB159_2293:
	s_mov_b64 s[10:11], 0
.LBB159_2294:
	s_andn2_b64 vcc, exec, s[10:11]
	s_cbranch_vccnz .LBB159_2296
; %bb.2295:
	global_load_ubyte v1, v[8:9], off
	s_andn2_b64 s[10:11], s[22:23], exec
	s_waitcnt vmcnt(0)
	v_cmp_ne_u16_e32 vcc, 0, v1
	s_and_b64 s[22:23], vcc, exec
	s_or_b64 s[22:23], s[10:11], s[22:23]
.LBB159_2296:
	s_mov_b64 s[10:11], -1
.LBB159_2297:
	s_mov_b64 s[26:27], 0
.LBB159_2298:
	s_and_b64 vcc, exec, s[26:27]
	s_cbranch_vccz .LBB159_2321
; %bb.2299:
	s_cmp_gt_i32 s28, 22
	s_cbranch_scc0 .LBB159_2303
; %bb.2300:
	s_cmp_lt_i32 s28, 24
	s_cbranch_scc1 .LBB159_2304
; %bb.2301:
	s_cmp_gt_i32 s28, 24
	s_cbranch_scc0 .LBB159_2305
; %bb.2302:
	global_load_ubyte v1, v[8:9], off
	s_mov_b64 s[10:11], 0
	s_waitcnt vmcnt(0)
	v_cmp_ne_u16_e64 s[22:23], 0, v1
	s_branch .LBB159_2306
.LBB159_2303:
	s_mov_b64 s[24:25], -1
                                        ; implicit-def: $sgpr22_sgpr23
	s_branch .LBB159_2312
.LBB159_2304:
	s_mov_b64 s[10:11], -1
                                        ; implicit-def: $sgpr22_sgpr23
	s_branch .LBB159_2309
.LBB159_2305:
	s_mov_b64 s[10:11], -1
                                        ; implicit-def: $sgpr22_sgpr23
.LBB159_2306:
	s_andn2_b64 vcc, exec, s[10:11]
	s_cbranch_vccnz .LBB159_2308
; %bb.2307:
	global_load_ubyte v1, v[8:9], off
	s_andn2_b64 s[10:11], s[22:23], exec
	s_waitcnt vmcnt(0)
	v_and_b32_e32 v1, 0x7f, v1
	v_cmp_ne_u16_e32 vcc, 0, v1
	s_and_b64 s[22:23], vcc, exec
	s_or_b64 s[22:23], s[10:11], s[22:23]
.LBB159_2308:
	s_mov_b64 s[10:11], 0
.LBB159_2309:
	s_andn2_b64 vcc, exec, s[10:11]
	s_cbranch_vccnz .LBB159_2311
; %bb.2310:
	global_load_ubyte v1, v[8:9], off
	s_movk_i32 s10, 0x7f00
	s_brev_b32 s11, 16
	s_waitcnt vmcnt(0)
	v_lshlrev_b32_e32 v3, 8, v1
	v_lshlrev_b32_e32 v1, 25, v1
	v_lshrrev_b32_e32 v5, 4, v1
	v_and_or_b32 v3, v3, s10, 0.5
	v_or_b32_e32 v5, 0x70000000, v5
	v_add_f32_e32 v3, -0.5, v3
	v_mul_f32_e32 v5, 0x7800000, v5
	v_cmp_gt_u32_e32 vcc, s11, v1
	v_cndmask_b32_e32 v1, v5, v3, vcc
	v_cmp_neq_f32_e32 vcc, 0, v1
	s_andn2_b64 s[10:11], s[22:23], exec
	s_and_b64 s[22:23], vcc, exec
	s_or_b64 s[22:23], s[10:11], s[22:23]
.LBB159_2311:
	s_mov_b64 s[10:11], -1
.LBB159_2312:
	s_andn2_b64 vcc, exec, s[24:25]
	s_mov_b64 s[24:25], 0
	s_cbranch_vccnz .LBB159_2321
; %bb.2313:
	s_cmp_gt_i32 s28, 14
	s_cbranch_scc0 .LBB159_2316
; %bb.2314:
	s_cmp_eq_u32 s28, 15
	s_cbranch_scc0 .LBB159_2317
; %bb.2315:
	global_load_ushort v1, v[8:9], off
	s_mov_b64 s[0:1], 0
	s_mov_b64 s[10:11], -1
	s_waitcnt vmcnt(0)
	v_and_b32_e32 v1, 0x7fff, v1
	v_cmp_ne_u16_e64 s[22:23], 0, v1
	s_branch .LBB159_2318
.LBB159_2316:
	s_mov_b64 s[26:27], -1
                                        ; implicit-def: $sgpr22_sgpr23
	s_branch .LBB159_2319
.LBB159_2317:
	s_mov_b64 s[0:1], -1
                                        ; implicit-def: $sgpr22_sgpr23
.LBB159_2318:
	s_mov_b64 s[26:27], 0
.LBB159_2319:
	s_and_b64 vcc, exec, s[26:27]
	s_cbranch_vccz .LBB159_2321
; %bb.2320:
	s_cmp_lg_u32 s28, 11
	s_mov_b64 s[24:25], -1
	s_cselect_b64 s[0:1], -1, 0
.LBB159_2321:
	s_and_b64 vcc, exec, s[0:1]
	s_cbranch_vccnz .LBB159_2386
; %bb.2322:
	s_andn2_b64 vcc, exec, s[24:25]
	s_cbranch_vccnz .LBB159_2324
.LBB159_2323:
	global_load_ubyte v1, v[8:9], off
	s_andn2_b64 s[0:1], s[22:23], exec
	s_mov_b64 s[10:11], -1
	s_waitcnt vmcnt(0)
	v_cmp_ne_u16_e32 vcc, 0, v1
	s_and_b64 s[22:23], vcc, exec
	s_or_b64 s[22:23], s[0:1], s[22:23]
.LBB159_2324:
	s_mov_b64 s[0:1], 0
.LBB159_2325:
	s_and_b64 vcc, exec, s[0:1]
	s_cbranch_vccz .LBB159_2374
; %bb.2326:
	s_and_b32 s24, 0xffff, s31
	s_cmp_lt_i32 s24, 5
	s_cbranch_scc1 .LBB159_2331
; %bb.2327:
	s_cmp_lt_i32 s24, 8
	s_cbranch_scc1 .LBB159_2332
; %bb.2328:
	;; [unrolled: 3-line block ×3, first 2 shown]
	s_cmp_gt_i32 s24, 9
	s_cbranch_scc0 .LBB159_2334
; %bb.2330:
	global_load_dwordx4 v[10:13], v[8:9], off
	s_mov_b64 s[10:11], 0
	s_waitcnt vmcnt(0)
	v_cmp_neq_f64_e32 vcc, 0, v[10:11]
	v_cmp_neq_f64_e64 s[0:1], 0, v[12:13]
	s_or_b64 s[22:23], vcc, s[0:1]
	s_branch .LBB159_2335
.LBB159_2331:
	s_mov_b64 s[0:1], -1
                                        ; implicit-def: $sgpr22_sgpr23
	s_branch .LBB159_2353
.LBB159_2332:
	s_mov_b64 s[0:1], -1
                                        ; implicit-def: $sgpr22_sgpr23
	s_branch .LBB159_2341
.LBB159_2333:
	s_mov_b64 s[0:1], -1
                                        ; implicit-def: $sgpr22_sgpr23
	s_branch .LBB159_2338
.LBB159_2334:
	s_mov_b64 s[10:11], -1
                                        ; implicit-def: $sgpr22_sgpr23
.LBB159_2335:
	s_andn2_b64 vcc, exec, s[10:11]
	s_cbranch_vccnz .LBB159_2337
; %bb.2336:
	global_load_dwordx2 v[10:11], v[8:9], off
	s_andn2_b64 s[0:1], s[22:23], exec
	s_waitcnt vmcnt(0)
	v_or_b32_e32 v1, v10, v11
	v_and_b32_e32 v1, 0x7fffffff, v1
	v_cmp_ne_u32_e32 vcc, 0, v1
	s_and_b64 s[10:11], vcc, exec
	s_or_b64 s[22:23], s[0:1], s[10:11]
.LBB159_2337:
	s_mov_b64 s[0:1], 0
.LBB159_2338:
	s_andn2_b64 vcc, exec, s[0:1]
	s_cbranch_vccnz .LBB159_2340
; %bb.2339:
	global_load_dword v1, v[8:9], off
	s_andn2_b64 s[0:1], s[22:23], exec
	s_waitcnt vmcnt(0)
	v_and_b32_e32 v1, 0x7fff7fff, v1
	v_cmp_ne_u32_e32 vcc, 0, v1
	s_and_b64 s[10:11], vcc, exec
	s_or_b64 s[22:23], s[0:1], s[10:11]
.LBB159_2340:
	s_mov_b64 s[0:1], 0
.LBB159_2341:
	s_andn2_b64 vcc, exec, s[0:1]
	s_cbranch_vccnz .LBB159_2352
; %bb.2342:
	s_cmp_lt_i32 s24, 6
	s_cbranch_scc1 .LBB159_2345
; %bb.2343:
	s_cmp_gt_i32 s24, 6
	s_cbranch_scc0 .LBB159_2346
; %bb.2344:
	global_load_dwordx2 v[10:11], v[8:9], off
	s_mov_b64 s[0:1], 0
	s_waitcnt vmcnt(0)
	v_cmp_neq_f64_e64 s[22:23], 0, v[10:11]
	s_branch .LBB159_2347
.LBB159_2345:
	s_mov_b64 s[0:1], -1
                                        ; implicit-def: $sgpr22_sgpr23
	s_branch .LBB159_2350
.LBB159_2346:
	s_mov_b64 s[0:1], -1
                                        ; implicit-def: $sgpr22_sgpr23
.LBB159_2347:
	s_andn2_b64 vcc, exec, s[0:1]
	s_cbranch_vccnz .LBB159_2349
; %bb.2348:
	global_load_dword v1, v[8:9], off
	s_andn2_b64 s[0:1], s[22:23], exec
	s_waitcnt vmcnt(0)
	v_cmp_neq_f32_e32 vcc, 0, v1
	s_and_b64 s[10:11], vcc, exec
	s_or_b64 s[22:23], s[0:1], s[10:11]
.LBB159_2349:
	s_mov_b64 s[0:1], 0
.LBB159_2350:
	s_andn2_b64 vcc, exec, s[0:1]
	s_cbranch_vccnz .LBB159_2352
; %bb.2351:
	global_load_ushort v1, v[8:9], off
	s_andn2_b64 s[0:1], s[22:23], exec
	s_waitcnt vmcnt(0)
	v_and_b32_e32 v1, 0x7fff, v1
	v_cmp_ne_u16_e32 vcc, 0, v1
	s_and_b64 s[10:11], vcc, exec
	s_or_b64 s[22:23], s[0:1], s[10:11]
.LBB159_2352:
	s_mov_b64 s[0:1], 0
.LBB159_2353:
	s_andn2_b64 vcc, exec, s[0:1]
	s_cbranch_vccnz .LBB159_2373
; %bb.2354:
	s_cmp_lt_i32 s24, 2
	s_cbranch_scc1 .LBB159_2358
; %bb.2355:
	s_cmp_lt_i32 s24, 3
	s_cbranch_scc1 .LBB159_2359
; %bb.2356:
	s_cmp_gt_i32 s24, 3
	s_cbranch_scc0 .LBB159_2360
; %bb.2357:
	global_load_dwordx2 v[10:11], v[8:9], off
	s_mov_b64 s[0:1], 0
	s_waitcnt vmcnt(0)
	v_cmp_ne_u64_e64 s[22:23], 0, v[10:11]
	s_branch .LBB159_2361
.LBB159_2358:
	s_mov_b64 s[0:1], -1
                                        ; implicit-def: $sgpr22_sgpr23
	s_branch .LBB159_2367
.LBB159_2359:
	s_mov_b64 s[0:1], -1
                                        ; implicit-def: $sgpr22_sgpr23
	s_branch .LBB159_2364
.LBB159_2360:
	s_mov_b64 s[0:1], -1
                                        ; implicit-def: $sgpr22_sgpr23
.LBB159_2361:
	s_andn2_b64 vcc, exec, s[0:1]
	s_cbranch_vccnz .LBB159_2363
; %bb.2362:
	global_load_dword v1, v[8:9], off
	s_andn2_b64 s[0:1], s[22:23], exec
	s_waitcnt vmcnt(0)
	v_cmp_ne_u32_e32 vcc, 0, v1
	s_and_b64 s[10:11], vcc, exec
	s_or_b64 s[22:23], s[0:1], s[10:11]
.LBB159_2363:
	s_mov_b64 s[0:1], 0
.LBB159_2364:
	s_andn2_b64 vcc, exec, s[0:1]
	s_cbranch_vccnz .LBB159_2366
; %bb.2365:
	global_load_ushort v1, v[8:9], off
	s_andn2_b64 s[0:1], s[22:23], exec
	s_waitcnt vmcnt(0)
	v_cmp_ne_u16_e32 vcc, 0, v1
	s_and_b64 s[10:11], vcc, exec
	s_or_b64 s[22:23], s[0:1], s[10:11]
.LBB159_2366:
	s_mov_b64 s[0:1], 0
.LBB159_2367:
	s_andn2_b64 vcc, exec, s[0:1]
	s_cbranch_vccnz .LBB159_2373
; %bb.2368:
	s_cmp_gt_i32 s24, 0
	s_cbranch_scc0 .LBB159_2370
; %bb.2369:
	global_load_ubyte v1, v[8:9], off
	s_mov_b64 s[0:1], 0
	s_waitcnt vmcnt(0)
	v_cmp_ne_u16_e64 s[22:23], 0, v1
	s_branch .LBB159_2371
.LBB159_2370:
	s_mov_b64 s[0:1], -1
                                        ; implicit-def: $sgpr22_sgpr23
.LBB159_2371:
	s_andn2_b64 vcc, exec, s[0:1]
	s_cbranch_vccnz .LBB159_2373
; %bb.2372:
	global_load_ubyte v1, v[8:9], off
	s_andn2_b64 s[0:1], s[22:23], exec
	s_waitcnt vmcnt(0)
	v_cmp_ne_u16_e32 vcc, 0, v1
	s_and_b64 s[10:11], vcc, exec
	s_or_b64 s[22:23], s[0:1], s[10:11]
.LBB159_2373:
	s_mov_b64 s[10:11], -1
.LBB159_2374:
	s_andn2_b64 vcc, exec, s[10:11]
	s_cbranch_vccnz .LBB159_2491
; %bb.2375:
	v_mov_b32_e32 v1, s19
	v_add_co_u32_e32 v7, vcc, s18, v7
	s_cmp_lt_i32 s33, 11
	v_addc_co_u32_e32 v8, vcc, 0, v1, vcc
	s_cbranch_scc1 .LBB159_2382
; %bb.2376:
	s_and_b32 s28, 0xffff, s33
	s_cmp_gt_i32 s28, 25
	s_mov_b64 s[24:25], 0
	s_cbranch_scc0 .LBB159_2383
; %bb.2377:
	s_cmp_gt_i32 s28, 28
	s_cbranch_scc0 .LBB159_2384
; %bb.2378:
	s_cmp_gt_i32 s28, 43
	;; [unrolled: 3-line block ×3, first 2 shown]
	s_cbranch_scc0 .LBB159_2387
; %bb.2380:
	s_cmp_eq_u32 s28, 46
	s_mov_b64 s[26:27], 0
	s_cbranch_scc0 .LBB159_2388
; %bb.2381:
	global_load_dword v1, v[7:8], off
	s_mov_b64 s[10:11], 0
	s_mov_b64 s[18:19], -1
	s_waitcnt vmcnt(0)
	v_and_b32_e32 v1, 0x7fff7fff, v1
	v_cmp_ne_u32_e64 s[0:1], 0, v1
	s_branch .LBB159_2389
.LBB159_2382:
	s_mov_b64 s[10:11], -1
	s_mov_b64 s[18:19], 0
                                        ; implicit-def: $sgpr0_sgpr1
	s_branch .LBB159_2437
.LBB159_2383:
	s_mov_b64 s[26:27], -1
	s_mov_b64 s[18:19], 0
	s_mov_b64 s[10:11], 0
                                        ; implicit-def: $sgpr0_sgpr1
	s_branch .LBB159_2410
.LBB159_2384:
	s_mov_b64 s[26:27], -1
	s_mov_b64 s[18:19], 0
	s_mov_b64 s[10:11], 0
                                        ; implicit-def: $sgpr0_sgpr1
	s_branch .LBB159_2397
.LBB159_2385:
	s_mov_b64 s[26:27], -1
	s_mov_b64 s[18:19], 0
	s_mov_b64 s[10:11], 0
                                        ; implicit-def: $sgpr0_sgpr1
	s_branch .LBB159_2392
.LBB159_2386:
	s_trap 2
	s_mov_b64 s[10:11], 0
	s_or_b64 s[4:5], s[4:5], exec
	s_cbranch_execz .LBB159_2323
	s_branch .LBB159_2324
.LBB159_2387:
	s_mov_b64 s[26:27], -1
	s_mov_b64 s[18:19], 0
	s_mov_b64 s[10:11], 0
                                        ; implicit-def: $sgpr0_sgpr1
	s_branch .LBB159_2389
.LBB159_2388:
	s_mov_b64 s[10:11], -1
                                        ; implicit-def: $sgpr0_sgpr1
	s_mov_b64 s[18:19], 0
.LBB159_2389:
	s_and_b64 vcc, exec, s[26:27]
	s_cbranch_vccz .LBB159_2391
; %bb.2390:
	s_cmp_lg_u32 s28, 44
	s_mov_b64 s[18:19], -1
	s_cselect_b64 s[10:11], -1, 0
	s_or_b64 s[0:1], s[0:1], exec
.LBB159_2391:
	s_mov_b64 s[26:27], 0
.LBB159_2392:
	s_and_b64 vcc, exec, s[26:27]
	s_cbranch_vccz .LBB159_2396
; %bb.2393:
	s_cmp_eq_u32 s28, 29
	s_cbranch_scc0 .LBB159_2395
; %bb.2394:
	global_load_dwordx2 v[9:10], v[7:8], off
	s_mov_b64 s[10:11], 0
	s_mov_b64 s[18:19], -1
	s_mov_b64 s[26:27], 0
	s_waitcnt vmcnt(0)
	v_cmp_ne_u64_e64 s[0:1], 0, v[9:10]
	s_branch .LBB159_2397
.LBB159_2395:
	s_mov_b64 s[10:11], -1
                                        ; implicit-def: $sgpr0_sgpr1
.LBB159_2396:
	s_mov_b64 s[26:27], 0
.LBB159_2397:
	s_and_b64 vcc, exec, s[26:27]
	s_cbranch_vccz .LBB159_2409
; %bb.2398:
	s_cmp_lt_i32 s28, 27
	s_cbranch_scc1 .LBB159_2401
; %bb.2399:
	s_cmp_gt_i32 s28, 27
	s_cbranch_scc0 .LBB159_2402
; %bb.2400:
	global_load_dword v1, v[7:8], off
	s_mov_b64 s[18:19], 0
	s_waitcnt vmcnt(0)
	v_cmp_ne_u32_e64 s[0:1], 0, v1
	s_branch .LBB159_2403
.LBB159_2401:
	s_mov_b64 s[18:19], -1
                                        ; implicit-def: $sgpr0_sgpr1
	s_branch .LBB159_2406
.LBB159_2402:
	s_mov_b64 s[18:19], -1
                                        ; implicit-def: $sgpr0_sgpr1
.LBB159_2403:
	s_andn2_b64 vcc, exec, s[18:19]
	s_cbranch_vccnz .LBB159_2405
; %bb.2404:
	global_load_ushort v1, v[7:8], off
	s_andn2_b64 s[0:1], s[0:1], exec
	s_waitcnt vmcnt(0)
	v_cmp_ne_u16_e32 vcc, 0, v1
	s_and_b64 s[18:19], vcc, exec
	s_or_b64 s[0:1], s[0:1], s[18:19]
.LBB159_2405:
	s_mov_b64 s[18:19], 0
.LBB159_2406:
	s_andn2_b64 vcc, exec, s[18:19]
	s_cbranch_vccnz .LBB159_2408
; %bb.2407:
	global_load_ubyte v1, v[7:8], off
	s_andn2_b64 s[0:1], s[0:1], exec
	s_waitcnt vmcnt(0)
	v_cmp_ne_u16_e32 vcc, 0, v1
	s_and_b64 s[18:19], vcc, exec
	s_or_b64 s[0:1], s[0:1], s[18:19]
.LBB159_2408:
	s_mov_b64 s[18:19], -1
.LBB159_2409:
	s_mov_b64 s[26:27], 0
.LBB159_2410:
	s_and_b64 vcc, exec, s[26:27]
	s_cbranch_vccz .LBB159_2433
; %bb.2411:
	s_cmp_gt_i32 s28, 22
	s_cbranch_scc0 .LBB159_2415
; %bb.2412:
	s_cmp_lt_i32 s28, 24
	s_cbranch_scc1 .LBB159_2416
; %bb.2413:
	s_cmp_gt_i32 s28, 24
	s_cbranch_scc0 .LBB159_2417
; %bb.2414:
	global_load_ubyte v1, v[7:8], off
	s_mov_b64 s[18:19], 0
	s_waitcnt vmcnt(0)
	v_cmp_ne_u16_e64 s[0:1], 0, v1
	s_branch .LBB159_2418
.LBB159_2415:
	s_mov_b64 s[24:25], -1
                                        ; implicit-def: $sgpr0_sgpr1
	s_branch .LBB159_2424
.LBB159_2416:
	s_mov_b64 s[18:19], -1
                                        ; implicit-def: $sgpr0_sgpr1
	s_branch .LBB159_2421
.LBB159_2417:
	s_mov_b64 s[18:19], -1
                                        ; implicit-def: $sgpr0_sgpr1
.LBB159_2418:
	s_andn2_b64 vcc, exec, s[18:19]
	s_cbranch_vccnz .LBB159_2420
; %bb.2419:
	global_load_ubyte v1, v[7:8], off
	s_andn2_b64 s[0:1], s[0:1], exec
	s_waitcnt vmcnt(0)
	v_and_b32_e32 v1, 0x7f, v1
	v_cmp_ne_u16_e32 vcc, 0, v1
	s_and_b64 s[18:19], vcc, exec
	s_or_b64 s[0:1], s[0:1], s[18:19]
.LBB159_2420:
	s_mov_b64 s[18:19], 0
.LBB159_2421:
	s_andn2_b64 vcc, exec, s[18:19]
	s_cbranch_vccnz .LBB159_2423
; %bb.2422:
	global_load_ubyte v1, v[7:8], off
	s_movk_i32 s18, 0x7f00
	s_brev_b32 s19, 16
	s_andn2_b64 s[0:1], s[0:1], exec
	s_waitcnt vmcnt(0)
	v_lshlrev_b32_e32 v3, 8, v1
	v_lshlrev_b32_e32 v1, 25, v1
	v_lshrrev_b32_e32 v5, 4, v1
	v_and_or_b32 v3, v3, s18, 0.5
	v_or_b32_e32 v5, 0x70000000, v5
	v_add_f32_e32 v3, -0.5, v3
	v_mul_f32_e32 v5, 0x7800000, v5
	v_cmp_gt_u32_e32 vcc, s19, v1
	v_cndmask_b32_e32 v1, v5, v3, vcc
	v_cmp_neq_f32_e32 vcc, 0, v1
	s_and_b64 s[18:19], vcc, exec
	s_or_b64 s[0:1], s[0:1], s[18:19]
.LBB159_2423:
	s_mov_b64 s[18:19], -1
.LBB159_2424:
	s_andn2_b64 vcc, exec, s[24:25]
	s_mov_b64 s[24:25], 0
	s_cbranch_vccnz .LBB159_2433
; %bb.2425:
	s_cmp_gt_i32 s28, 14
	s_cbranch_scc0 .LBB159_2428
; %bb.2426:
	s_cmp_eq_u32 s28, 15
	s_cbranch_scc0 .LBB159_2429
; %bb.2427:
	global_load_ushort v1, v[7:8], off
	s_mov_b64 s[10:11], 0
	s_mov_b64 s[18:19], -1
	s_waitcnt vmcnt(0)
	v_and_b32_e32 v1, 0x7fff, v1
	v_cmp_ne_u16_e64 s[0:1], 0, v1
	s_branch .LBB159_2430
.LBB159_2428:
	s_mov_b64 s[26:27], -1
                                        ; implicit-def: $sgpr0_sgpr1
	s_branch .LBB159_2431
.LBB159_2429:
	s_mov_b64 s[10:11], -1
                                        ; implicit-def: $sgpr0_sgpr1
.LBB159_2430:
	s_mov_b64 s[26:27], 0
.LBB159_2431:
	s_and_b64 vcc, exec, s[26:27]
	s_cbranch_vccz .LBB159_2433
; %bb.2432:
	s_cmp_lg_u32 s28, 11
	s_mov_b64 s[24:25], -1
	s_cselect_b64 s[10:11], -1, 0
.LBB159_2433:
	s_and_b64 vcc, exec, s[10:11]
	s_cbranch_vccnz .LBB159_2985
; %bb.2434:
	s_andn2_b64 vcc, exec, s[24:25]
	s_cbranch_vccnz .LBB159_2436
.LBB159_2435:
	global_load_ubyte v1, v[7:8], off
	s_andn2_b64 s[0:1], s[0:1], exec
	s_mov_b64 s[18:19], -1
	s_waitcnt vmcnt(0)
	v_cmp_ne_u16_e32 vcc, 0, v1
	s_and_b64 s[10:11], vcc, exec
	s_or_b64 s[0:1], s[0:1], s[10:11]
.LBB159_2436:
	s_mov_b64 s[10:11], 0
.LBB159_2437:
	s_and_b64 vcc, exec, s[10:11]
	s_cbranch_vccz .LBB159_2486
; %bb.2438:
	s_and_b32 s18, 0xffff, s33
	s_cmp_lt_i32 s18, 5
	s_cbranch_scc1 .LBB159_2443
; %bb.2439:
	s_cmp_lt_i32 s18, 8
	s_cbranch_scc1 .LBB159_2444
; %bb.2440:
	;; [unrolled: 3-line block ×3, first 2 shown]
	s_cmp_gt_i32 s18, 9
	s_cbranch_scc0 .LBB159_2446
; %bb.2442:
	global_load_dwordx4 v[9:12], v[7:8], off
	s_mov_b64 s[10:11], 0
	s_waitcnt vmcnt(0)
	v_cmp_neq_f64_e32 vcc, 0, v[9:10]
	v_cmp_neq_f64_e64 s[0:1], 0, v[11:12]
	s_or_b64 s[0:1], vcc, s[0:1]
	s_branch .LBB159_2447
.LBB159_2443:
	s_mov_b64 s[10:11], -1
                                        ; implicit-def: $sgpr0_sgpr1
	s_branch .LBB159_2465
.LBB159_2444:
	s_mov_b64 s[10:11], -1
                                        ; implicit-def: $sgpr0_sgpr1
	s_branch .LBB159_2453
.LBB159_2445:
	s_mov_b64 s[10:11], -1
                                        ; implicit-def: $sgpr0_sgpr1
	s_branch .LBB159_2450
.LBB159_2446:
	s_mov_b64 s[10:11], -1
                                        ; implicit-def: $sgpr0_sgpr1
.LBB159_2447:
	s_andn2_b64 vcc, exec, s[10:11]
	s_cbranch_vccnz .LBB159_2449
; %bb.2448:
	global_load_dwordx2 v[9:10], v[7:8], off
	s_andn2_b64 s[0:1], s[0:1], exec
	s_waitcnt vmcnt(0)
	v_or_b32_e32 v1, v9, v10
	v_and_b32_e32 v1, 0x7fffffff, v1
	v_cmp_ne_u32_e32 vcc, 0, v1
	s_and_b64 s[10:11], vcc, exec
	s_or_b64 s[0:1], s[0:1], s[10:11]
.LBB159_2449:
	s_mov_b64 s[10:11], 0
.LBB159_2450:
	s_andn2_b64 vcc, exec, s[10:11]
	s_cbranch_vccnz .LBB159_2452
; %bb.2451:
	global_load_dword v1, v[7:8], off
	s_andn2_b64 s[0:1], s[0:1], exec
	s_waitcnt vmcnt(0)
	v_and_b32_e32 v1, 0x7fff7fff, v1
	v_cmp_ne_u32_e32 vcc, 0, v1
	s_and_b64 s[10:11], vcc, exec
	s_or_b64 s[0:1], s[0:1], s[10:11]
.LBB159_2452:
	s_mov_b64 s[10:11], 0
.LBB159_2453:
	s_andn2_b64 vcc, exec, s[10:11]
	s_cbranch_vccnz .LBB159_2464
; %bb.2454:
	s_cmp_lt_i32 s18, 6
	s_cbranch_scc1 .LBB159_2457
; %bb.2455:
	s_cmp_gt_i32 s18, 6
	s_cbranch_scc0 .LBB159_2458
; %bb.2456:
	global_load_dwordx2 v[9:10], v[7:8], off
	s_mov_b64 s[10:11], 0
	s_waitcnt vmcnt(0)
	v_cmp_neq_f64_e64 s[0:1], 0, v[9:10]
	s_branch .LBB159_2459
.LBB159_2457:
	s_mov_b64 s[10:11], -1
                                        ; implicit-def: $sgpr0_sgpr1
	s_branch .LBB159_2462
.LBB159_2458:
	s_mov_b64 s[10:11], -1
                                        ; implicit-def: $sgpr0_sgpr1
.LBB159_2459:
	s_andn2_b64 vcc, exec, s[10:11]
	s_cbranch_vccnz .LBB159_2461
; %bb.2460:
	global_load_dword v1, v[7:8], off
	s_andn2_b64 s[0:1], s[0:1], exec
	s_waitcnt vmcnt(0)
	v_cmp_neq_f32_e32 vcc, 0, v1
	s_and_b64 s[10:11], vcc, exec
	s_or_b64 s[0:1], s[0:1], s[10:11]
.LBB159_2461:
	s_mov_b64 s[10:11], 0
.LBB159_2462:
	s_andn2_b64 vcc, exec, s[10:11]
	s_cbranch_vccnz .LBB159_2464
; %bb.2463:
	global_load_ushort v1, v[7:8], off
	s_andn2_b64 s[0:1], s[0:1], exec
	s_waitcnt vmcnt(0)
	v_and_b32_e32 v1, 0x7fff, v1
	v_cmp_ne_u16_e32 vcc, 0, v1
	s_and_b64 s[10:11], vcc, exec
	s_or_b64 s[0:1], s[0:1], s[10:11]
.LBB159_2464:
	s_mov_b64 s[10:11], 0
.LBB159_2465:
	s_andn2_b64 vcc, exec, s[10:11]
	s_cbranch_vccnz .LBB159_2485
; %bb.2466:
	s_cmp_lt_i32 s18, 2
	s_cbranch_scc1 .LBB159_2470
; %bb.2467:
	s_cmp_lt_i32 s18, 3
	s_cbranch_scc1 .LBB159_2471
; %bb.2468:
	s_cmp_gt_i32 s18, 3
	s_cbranch_scc0 .LBB159_2472
; %bb.2469:
	global_load_dwordx2 v[9:10], v[7:8], off
	s_mov_b64 s[10:11], 0
	s_waitcnt vmcnt(0)
	v_cmp_ne_u64_e64 s[0:1], 0, v[9:10]
	s_branch .LBB159_2473
.LBB159_2470:
	s_mov_b64 s[10:11], -1
                                        ; implicit-def: $sgpr0_sgpr1
	s_branch .LBB159_2479
.LBB159_2471:
	s_mov_b64 s[10:11], -1
                                        ; implicit-def: $sgpr0_sgpr1
	s_branch .LBB159_2476
.LBB159_2472:
	s_mov_b64 s[10:11], -1
                                        ; implicit-def: $sgpr0_sgpr1
.LBB159_2473:
	s_andn2_b64 vcc, exec, s[10:11]
	s_cbranch_vccnz .LBB159_2475
; %bb.2474:
	global_load_dword v1, v[7:8], off
	s_andn2_b64 s[0:1], s[0:1], exec
	s_waitcnt vmcnt(0)
	v_cmp_ne_u32_e32 vcc, 0, v1
	s_and_b64 s[10:11], vcc, exec
	s_or_b64 s[0:1], s[0:1], s[10:11]
.LBB159_2475:
	s_mov_b64 s[10:11], 0
.LBB159_2476:
	s_andn2_b64 vcc, exec, s[10:11]
	s_cbranch_vccnz .LBB159_2478
; %bb.2477:
	global_load_ushort v1, v[7:8], off
	s_andn2_b64 s[0:1], s[0:1], exec
	s_waitcnt vmcnt(0)
	v_cmp_ne_u16_e32 vcc, 0, v1
	s_and_b64 s[10:11], vcc, exec
	s_or_b64 s[0:1], s[0:1], s[10:11]
.LBB159_2478:
	s_mov_b64 s[10:11], 0
.LBB159_2479:
	s_andn2_b64 vcc, exec, s[10:11]
	s_cbranch_vccnz .LBB159_2485
; %bb.2480:
	s_cmp_gt_i32 s18, 0
	s_cbranch_scc0 .LBB159_2482
; %bb.2481:
	global_load_ubyte v1, v[7:8], off
	s_mov_b64 s[10:11], 0
	s_waitcnt vmcnt(0)
	v_cmp_ne_u16_e64 s[0:1], 0, v1
	s_branch .LBB159_2483
.LBB159_2482:
	s_mov_b64 s[10:11], -1
                                        ; implicit-def: $sgpr0_sgpr1
.LBB159_2483:
	s_andn2_b64 vcc, exec, s[10:11]
	s_cbranch_vccnz .LBB159_2485
; %bb.2484:
	global_load_ubyte v1, v[7:8], off
	s_andn2_b64 s[0:1], s[0:1], exec
	s_waitcnt vmcnt(0)
	v_cmp_ne_u16_e32 vcc, 0, v1
	s_and_b64 s[10:11], vcc, exec
	s_or_b64 s[0:1], s[0:1], s[10:11]
.LBB159_2485:
	s_mov_b64 s[18:19], -1
.LBB159_2486:
	s_andn2_b64 vcc, exec, s[18:19]
	s_cbranch_vccnz .LBB159_2491
; %bb.2487:
	s_cmp_lt_i32 s30, 1
	s_mov_b64 s[18:19], 0
	s_cbranch_scc1 .LBB159_2537
; %bb.2488:
	s_cmp_gt_i32 s30, 1
	s_cbranch_scc0 .LBB159_2538
; %bb.2489:
	s_cmp_eq_u32 s30, 2
	s_cbranch_scc0 .LBB159_2539
; %bb.2490:
	s_xor_b64 s[10:11], s[22:23], -1
	s_or_b64 s[10:11], s[0:1], s[10:11]
	s_mov_b64 s[24:25], 0
	s_branch .LBB159_2540
.LBB159_2491:
	s_mov_b64 s[0:1], 0
                                        ; implicit-def: $sgpr10_sgpr11
.LBB159_2492:
	s_mov_b64 s[2:3], 0
                                        ; implicit-def: $vgpr0_vgpr1
                                        ; implicit-def: $sgpr26
.LBB159_2493:
	s_and_b64 s[6:7], s[2:3], exec
	s_andn2_b64 s[2:3], s[12:13], exec
	s_and_b64 s[4:5], s[4:5], exec
	s_and_b64 s[0:1], s[0:1], exec
	s_or_b64 s[12:13], s[2:3], s[4:5]
.LBB159_2494:
	s_or_b64 exec, exec, s[14:15]
	s_and_saveexec_b64 s[2:3], s[12:13]
	s_cbranch_execz .LBB159_2497
; %bb.2495:
	; divergent unreachable
	s_or_b64 exec, exec, s[2:3]
	s_and_saveexec_b64 s[2:3], s[6:7]
	s_xor_b64 s[2:3], exec, s[2:3]
	s_cbranch_execnz .LBB159_2498
.LBB159_2496:
	s_or_b64 exec, exec, s[2:3]
	s_and_saveexec_b64 s[2:3], s[0:1]
	s_cbranch_execnz .LBB159_2499
	s_branch .LBB159_2536
.LBB159_2497:
	s_or_b64 exec, exec, s[2:3]
	s_and_saveexec_b64 s[2:3], s[6:7]
	s_xor_b64 s[2:3], exec, s[2:3]
	s_cbranch_execz .LBB159_2496
.LBB159_2498:
	v_cndmask_b32_e64 v2, 0, 1, s[10:11]
	global_store_byte v[0:1], v2, off
	s_or_b64 exec, exec, s[2:3]
	s_and_saveexec_b64 s[2:3], s[0:1]
	s_cbranch_execz .LBB159_2536
.LBB159_2499:
	s_sext_i32_i16 s2, s26
	s_cmp_lt_i32 s2, 5
	s_mov_b64 s[0:1], -1
	s_cbranch_scc1 .LBB159_2520
; %bb.2500:
	s_cmp_lt_i32 s2, 8
	s_cbranch_scc1 .LBB159_2510
; %bb.2501:
	s_cmp_lt_i32 s2, 9
	s_cbranch_scc1 .LBB159_2507
; %bb.2502:
	s_cmp_gt_i32 s2, 9
	s_cbranch_scc0 .LBB159_2504
; %bb.2503:
	v_cndmask_b32_e64 v2, 0, 1, s[10:11]
	v_cvt_f64_u32_e32 v[2:3], v2
	v_mov_b32_e32 v4, 0
	v_mov_b32_e32 v5, v4
	s_mov_b64 s[0:1], 0
	global_store_dwordx4 v[0:1], v[2:5], off
.LBB159_2504:
	s_andn2_b64 vcc, exec, s[0:1]
	s_cbranch_vccnz .LBB159_2506
; %bb.2505:
	v_cndmask_b32_e64 v2, 0, 1.0, s[10:11]
	v_mov_b32_e32 v3, 0
	global_store_dwordx2 v[0:1], v[2:3], off
.LBB159_2506:
	s_mov_b64 s[0:1], 0
.LBB159_2507:
	s_andn2_b64 vcc, exec, s[0:1]
	s_cbranch_vccnz .LBB159_2509
; %bb.2508:
	v_cndmask_b32_e64 v2, 0, 1.0, s[10:11]
	v_cvt_f16_f32_e32 v2, v2
	global_store_dword v[0:1], v2, off
.LBB159_2509:
	s_mov_b64 s[0:1], 0
.LBB159_2510:
	s_andn2_b64 vcc, exec, s[0:1]
	s_cbranch_vccnz .LBB159_2519
; %bb.2511:
	s_sext_i32_i16 s2, s26
	s_cmp_lt_i32 s2, 6
	s_mov_b64 s[0:1], -1
	s_cbranch_scc1 .LBB159_2517
; %bb.2512:
	s_cmp_gt_i32 s2, 6
	s_cbranch_scc0 .LBB159_2514
; %bb.2513:
	v_cndmask_b32_e64 v2, 0, 1, s[10:11]
	v_cvt_f64_u32_e32 v[2:3], v2
	s_mov_b64 s[0:1], 0
	global_store_dwordx2 v[0:1], v[2:3], off
.LBB159_2514:
	s_andn2_b64 vcc, exec, s[0:1]
	s_cbranch_vccnz .LBB159_2516
; %bb.2515:
	v_cndmask_b32_e64 v2, 0, 1.0, s[10:11]
	global_store_dword v[0:1], v2, off
.LBB159_2516:
	s_mov_b64 s[0:1], 0
.LBB159_2517:
	s_andn2_b64 vcc, exec, s[0:1]
	s_cbranch_vccnz .LBB159_2519
; %bb.2518:
	v_cndmask_b32_e64 v2, 0, 1.0, s[10:11]
	v_cvt_f16_f32_e32 v2, v2
	global_store_short v[0:1], v2, off
.LBB159_2519:
	s_mov_b64 s[0:1], 0
.LBB159_2520:
	s_andn2_b64 vcc, exec, s[0:1]
	s_cbranch_vccnz .LBB159_2536
; %bb.2521:
	s_sext_i32_i16 s2, s26
	s_cmp_lt_i32 s2, 2
	s_mov_b64 s[0:1], -1
	s_cbranch_scc1 .LBB159_2531
; %bb.2522:
	s_cmp_lt_i32 s2, 3
	s_cbranch_scc1 .LBB159_2528
; %bb.2523:
	s_cmp_gt_i32 s2, 3
	s_cbranch_scc0 .LBB159_2525
; %bb.2524:
	s_mov_b32 s0, 0
	v_cndmask_b32_e64 v2, 0, 1, s[10:11]
	v_mov_b32_e32 v3, s0
	global_store_dwordx2 v[0:1], v[2:3], off
	s_mov_b64 s[0:1], 0
.LBB159_2525:
	s_andn2_b64 vcc, exec, s[0:1]
	s_cbranch_vccnz .LBB159_2527
; %bb.2526:
	v_cndmask_b32_e64 v2, 0, 1, s[10:11]
	global_store_dword v[0:1], v2, off
.LBB159_2527:
	s_mov_b64 s[0:1], 0
.LBB159_2528:
	s_andn2_b64 vcc, exec, s[0:1]
	s_cbranch_vccnz .LBB159_2530
; %bb.2529:
	v_cndmask_b32_e64 v2, 0, 1, s[10:11]
	global_store_short v[0:1], v2, off
.LBB159_2530:
	s_mov_b64 s[0:1], 0
.LBB159_2531:
	s_andn2_b64 vcc, exec, s[0:1]
	s_cbranch_vccnz .LBB159_2536
; %bb.2532:
	s_sext_i32_i16 s0, s26
	s_cmp_gt_i32 s0, 0
	s_mov_b64 s[0:1], -1
	s_cbranch_scc0 .LBB159_2534
; %bb.2533:
	v_cndmask_b32_e64 v2, 0, 1, s[10:11]
	global_store_byte v[0:1], v2, off
	s_mov_b64 s[0:1], 0
.LBB159_2534:
	s_andn2_b64 vcc, exec, s[0:1]
	s_cbranch_vccnz .LBB159_2536
; %bb.2535:
	v_cndmask_b32_e64 v2, 0, 1, s[10:11]
	global_store_byte v[0:1], v2, off
	s_endpgm
.LBB159_2536:
	s_endpgm
.LBB159_2537:
	s_mov_b64 s[26:27], -1
                                        ; implicit-def: $sgpr10_sgpr11
	s_mov_b64 s[24:25], 0
	s_branch .LBB159_2544
.LBB159_2538:
	s_mov_b64 s[26:27], -1
	s_mov_b64 s[24:25], 0
                                        ; implicit-def: $sgpr10_sgpr11
	s_branch .LBB159_2541
.LBB159_2539:
	s_mov_b64 s[24:25], -1
                                        ; implicit-def: $sgpr10_sgpr11
.LBB159_2540:
	s_mov_b64 s[26:27], 0
.LBB159_2541:
	s_and_b64 vcc, exec, s[26:27]
	s_cbranch_vccz .LBB159_2543
; %bb.2542:
	s_xor_b64 s[26:27], s[0:1], -1
	s_and_b64 s[26:27], s[22:23], s[26:27]
	s_andn2_b64 s[10:11], s[10:11], exec
	s_and_b64 s[26:27], s[26:27], exec
	s_or_b64 s[10:11], s[10:11], s[26:27]
.LBB159_2543:
	s_mov_b64 s[26:27], 0
.LBB159_2544:
	s_and_b64 vcc, exec, s[26:27]
	s_cbranch_vccz .LBB159_2626
; %bb.2545:
	s_cmp_lg_u32 s30, 0
	s_mov_b64 s[18:19], -1
	s_cselect_b64 s[24:25], -1, 0
	s_andn2_b64 vcc, exec, s[24:25]
	s_cbranch_vccz .LBB159_2627
.LBB159_2546:
	s_andn2_b64 vcc, exec, s[18:19]
	s_cbranch_vccnz .LBB159_2548
.LBB159_2547:
	s_xor_b64 s[0:1], s[0:1], -1
	s_or_b64 s[0:1], s[22:23], s[0:1]
	s_andn2_b64 s[10:11], s[10:11], exec
	s_and_b64 s[0:1], s[0:1], exec
	s_or_b64 s[10:11], s[10:11], s[0:1]
.LBB159_2548:
	s_load_dword s0, s[2:3], 0x1a4
	v_mov_b32_e32 v1, s9
	v_add_co_u32_e32 v5, vcc, s8, v6
	v_addc_co_u32_e32 v6, vcc, 0, v1, vcc
	s_waitcnt lgkmcnt(0)
	s_and_b32 s26, s0, 0xff
	s_cmp_lt_i32 s26, 11
	s_cbranch_scc1 .LBB159_2628
; %bb.2549:
	s_and_b32 s27, 0xffff, s26
	s_mov_b64 s[22:23], -1
	s_mov_b64 s[2:3], 0
	s_cmp_gt_i32 s27, 25
	s_mov_b64 s[18:19], 0
	s_mov_b64 s[0:1], 0
	s_cbranch_scc0 .LBB159_2582
; %bb.2550:
	s_cmp_gt_i32 s27, 28
	s_cbranch_scc0 .LBB159_2565
; %bb.2551:
	s_cmp_gt_i32 s27, 43
	s_cbranch_scc0 .LBB159_2561
; %bb.2552:
	s_cmp_gt_i32 s27, 45
	s_cbranch_scc0 .LBB159_2555
; %bb.2553:
	s_mov_b64 s[0:1], -1
	s_mov_b64 s[22:23], 0
	s_cmp_eq_u32 s27, 46
	s_cbranch_scc0 .LBB159_2555
; %bb.2554:
	v_cndmask_b32_e64 v1, 0, 1.0, s[6:7]
	v_bfe_u32 v3, v1, 16, 1
	s_movk_i32 s0, 0x7fff
	v_add3_u32 v1, v1, v3, s0
	v_lshrrev_b32_e32 v1, 16, v1
	global_store_dword v[5:6], v1, off
	s_mov_b64 s[0:1], 0
	s_mov_b64 s[18:19], -1
.LBB159_2555:
	s_and_b64 vcc, exec, s[22:23]
	s_cbranch_vccz .LBB159_2560
; %bb.2556:
	s_cmp_eq_u32 s27, 44
	s_mov_b64 s[0:1], -1
	s_cbranch_scc0 .LBB159_2560
; %bb.2557:
	v_cndmask_b32_e64 v3, 0, 1.0, s[6:7]
	v_lshrrev_b32_e32 v1, 23, v3
	s_movk_i32 s0, 0xff
	v_cmp_ne_u32_e32 vcc, s0, v1
	v_mov_b32_e32 v7, 0xff
	s_and_saveexec_b64 s[18:19], vcc
; %bb.2558:
	s_mov_b32 s0, 0x3fffff
	v_and_b32_e32 v7, 0x400000, v3
	v_and_or_b32 v3, v3, s0, v1
	v_cmp_ne_u32_e32 vcc, 0, v7
	v_cmp_ne_u32_e64 s[0:1], 0, v3
	s_and_b64 s[0:1], vcc, s[0:1]
	v_cndmask_b32_e64 v3, 0, 1, s[0:1]
	v_add_u32_e32 v7, v1, v3
; %bb.2559:
	s_or_b64 exec, exec, s[18:19]
	s_mov_b64 s[0:1], 0
	s_mov_b64 s[18:19], -1
	global_store_byte v[5:6], v7, off
.LBB159_2560:
	s_mov_b64 s[22:23], 0
.LBB159_2561:
	s_and_b64 vcc, exec, s[22:23]
	s_cbranch_vccz .LBB159_2564
; %bb.2562:
	s_cmp_eq_u32 s27, 29
	s_mov_b64 s[0:1], -1
	s_cbranch_scc0 .LBB159_2564
; %bb.2563:
	s_mov_b32 s0, 0
	v_cndmask_b32_e64 v7, 0, 1, s[6:7]
	v_mov_b32_e32 v8, s0
	global_store_dwordx2 v[5:6], v[7:8], off
	s_mov_b64 s[0:1], 0
	s_mov_b64 s[18:19], -1
.LBB159_2564:
	s_mov_b64 s[22:23], 0
.LBB159_2565:
	s_and_b64 vcc, exec, s[22:23]
	s_cbranch_vccz .LBB159_2581
; %bb.2566:
	s_cmp_lt_i32 s27, 27
	s_mov_b64 s[18:19], -1
	s_cbranch_scc1 .LBB159_2572
; %bb.2567:
	s_cmp_gt_i32 s27, 27
	s_cbranch_scc0 .LBB159_2569
; %bb.2568:
	v_cndmask_b32_e64 v1, 0, 1, s[6:7]
	s_mov_b64 s[18:19], 0
	global_store_dword v[5:6], v1, off
.LBB159_2569:
	s_andn2_b64 vcc, exec, s[18:19]
	s_cbranch_vccnz .LBB159_2571
; %bb.2570:
	v_cndmask_b32_e64 v1, 0, 1, s[6:7]
	global_store_short v[5:6], v1, off
.LBB159_2571:
	s_mov_b64 s[18:19], 0
.LBB159_2572:
	s_andn2_b64 vcc, exec, s[18:19]
	s_cbranch_vccnz .LBB159_2580
; %bb.2573:
	v_cndmask_b32_e64 v3, 0, 1.0, s[6:7]
	s_mov_b32 s18, 0x43800000
	v_cmp_gt_u32_e32 vcc, s18, v3
	v_mov_b32_e32 v7, 0x80
	s_and_saveexec_b64 s[18:19], vcc
	s_cbranch_execz .LBB159_2579
; %bb.2574:
	s_mov_b32 s22, 0x3bffffff
	v_cmp_lt_u32_e32 vcc, s22, v3
	s_mov_b64 s[22:23], 0
                                        ; implicit-def: $vgpr1
	s_and_saveexec_b64 s[24:25], vcc
	s_xor_b64 s[24:25], exec, s[24:25]
	s_cbranch_execz .LBB159_2986
; %bb.2575:
	v_bfe_u32 v1, v3, 20, 1
	s_mov_b32 s28, 0x487ffff
	v_add3_u32 v1, v3, v1, s28
	s_mov_b64 s[22:23], exec
	v_lshrrev_b32_e32 v1, 20, v1
                                        ; implicit-def: $vgpr3
	s_andn2_saveexec_b64 s[24:25], s[24:25]
	s_cbranch_execnz .LBB159_2987
.LBB159_2576:
	s_or_b64 exec, exec, s[24:25]
	v_mov_b32_e32 v7, 0
	s_and_saveexec_b64 s[24:25], s[22:23]
.LBB159_2577:
	v_mov_b32_e32 v7, v1
.LBB159_2578:
	s_or_b64 exec, exec, s[24:25]
.LBB159_2579:
	s_or_b64 exec, exec, s[18:19]
	global_store_byte v[5:6], v7, off
.LBB159_2580:
	s_mov_b64 s[18:19], -1
.LBB159_2581:
	s_mov_b64 s[22:23], 0
.LBB159_2582:
	s_and_b64 vcc, exec, s[22:23]
	s_cbranch_vccz .LBB159_2622
; %bb.2583:
	s_cmp_gt_i32 s27, 22
	s_mov_b64 s[2:3], -1
	s_cbranch_scc0 .LBB159_2615
; %bb.2584:
	s_cmp_lt_i32 s27, 24
	s_cbranch_scc1 .LBB159_2604
; %bb.2585:
	s_cmp_gt_i32 s27, 24
	s_cbranch_scc0 .LBB159_2593
; %bb.2586:
	v_cndmask_b32_e64 v3, 0, 1.0, s[6:7]
	s_mov_b32 s2, 0x47800000
	v_cmp_gt_u32_e32 vcc, s2, v3
	v_mov_b32_e32 v7, 0x80
	s_and_saveexec_b64 s[2:3], vcc
	s_cbranch_execz .LBB159_2592
; %bb.2587:
	s_mov_b32 s18, 0x37ffffff
	v_cmp_lt_u32_e32 vcc, s18, v3
	s_mov_b64 s[18:19], 0
                                        ; implicit-def: $vgpr1
	s_and_saveexec_b64 s[22:23], vcc
	s_xor_b64 s[22:23], exec, s[22:23]
	s_cbranch_execz .LBB159_2989
; %bb.2588:
	v_bfe_u32 v1, v3, 21, 1
	s_mov_b32 s24, 0x88fffff
	v_add3_u32 v1, v3, v1, s24
	s_mov_b64 s[18:19], exec
	v_lshrrev_b32_e32 v1, 21, v1
                                        ; implicit-def: $vgpr3
	s_andn2_saveexec_b64 s[22:23], s[22:23]
	s_cbranch_execnz .LBB159_2990
.LBB159_2589:
	s_or_b64 exec, exec, s[22:23]
	v_mov_b32_e32 v7, 0
	s_and_saveexec_b64 s[22:23], s[18:19]
.LBB159_2590:
	v_mov_b32_e32 v7, v1
.LBB159_2591:
	s_or_b64 exec, exec, s[22:23]
.LBB159_2592:
	s_or_b64 exec, exec, s[2:3]
	s_mov_b64 s[2:3], 0
	global_store_byte v[5:6], v7, off
.LBB159_2593:
	s_and_b64 vcc, exec, s[2:3]
	s_cbranch_vccz .LBB159_2603
; %bb.2594:
	v_cndmask_b32_e64 v1, 0, 1.0, s[6:7]
	s_mov_b32 s2, 0x43f00000
	v_cmp_gt_u32_e32 vcc, s2, v1
                                        ; implicit-def: $vgpr3
	s_and_saveexec_b64 s[2:3], vcc
	s_xor_b64 s[2:3], exec, s[2:3]
	s_cbranch_execz .LBB159_2600
; %bb.2595:
	s_mov_b32 s18, 0x3c7fffff
	v_cmp_lt_u32_e32 vcc, s18, v1
                                        ; implicit-def: $vgpr3
	s_and_saveexec_b64 s[18:19], vcc
	s_xor_b64 s[18:19], exec, s[18:19]
; %bb.2596:
	v_bfe_u32 v3, v1, 20, 1
	s_mov_b32 s22, 0x407ffff
	v_add3_u32 v1, v1, v3, s22
	v_lshrrev_b32_e32 v3, 20, v1
	v_and_b32_e32 v1, 0xff00000, v1
	s_mov_b32 s22, 0x7f00000
	v_mov_b32_e32 v7, 0x7e
	v_cmp_ne_u32_e32 vcc, s22, v1
	v_cndmask_b32_e32 v3, v7, v3, vcc
                                        ; implicit-def: $vgpr1
; %bb.2597:
	s_andn2_saveexec_b64 s[18:19], s[18:19]
; %bb.2598:
	v_add_f32_e32 v3, 0x46800000, v1
; %bb.2599:
	s_or_b64 exec, exec, s[18:19]
                                        ; implicit-def: $vgpr1
.LBB159_2600:
	s_andn2_saveexec_b64 s[2:3], s[2:3]
; %bb.2601:
	s_mov_b32 s18, 0x7f800000
	v_mov_b32_e32 v3, 0x7e
	v_mov_b32_e32 v7, 0x7f
	v_cmp_lt_u32_e32 vcc, s18, v1
	v_cndmask_b32_e32 v3, v3, v7, vcc
; %bb.2602:
	s_or_b64 exec, exec, s[2:3]
	global_store_byte v[5:6], v3, off
.LBB159_2603:
	s_mov_b64 s[2:3], 0
.LBB159_2604:
	s_andn2_b64 vcc, exec, s[2:3]
	s_cbranch_vccnz .LBB159_2614
; %bb.2605:
	v_cndmask_b32_e64 v1, 0, 1.0, s[6:7]
	s_mov_b32 s2, 0x47800000
	v_cmp_gt_u32_e32 vcc, s2, v1
                                        ; implicit-def: $vgpr3
	s_and_saveexec_b64 s[2:3], vcc
	s_xor_b64 s[2:3], exec, s[2:3]
	s_cbranch_execz .LBB159_2611
; %bb.2606:
	s_mov_b32 s18, 0x387fffff
	v_cmp_lt_u32_e32 vcc, s18, v1
                                        ; implicit-def: $vgpr3
	s_and_saveexec_b64 s[18:19], vcc
	s_xor_b64 s[18:19], exec, s[18:19]
; %bb.2607:
	v_bfe_u32 v3, v1, 21, 1
	s_mov_b32 s22, 0x80fffff
	v_add3_u32 v1, v1, v3, s22
	v_lshrrev_b32_e32 v3, 21, v1
                                        ; implicit-def: $vgpr1
; %bb.2608:
	s_andn2_saveexec_b64 s[18:19], s[18:19]
; %bb.2609:
	v_add_f32_e32 v3, 0x43000000, v1
; %bb.2610:
	s_or_b64 exec, exec, s[18:19]
                                        ; implicit-def: $vgpr1
.LBB159_2611:
	s_andn2_saveexec_b64 s[2:3], s[2:3]
; %bb.2612:
	s_mov_b32 s18, 0x7f800000
	v_mov_b32_e32 v3, 0x7c
	v_mov_b32_e32 v7, 0x7f
	v_cmp_lt_u32_e32 vcc, s18, v1
	v_cndmask_b32_e32 v3, v3, v7, vcc
; %bb.2613:
	s_or_b64 exec, exec, s[2:3]
	global_store_byte v[5:6], v3, off
.LBB159_2614:
	s_mov_b64 s[2:3], 0
	s_mov_b64 s[18:19], -1
.LBB159_2615:
	s_andn2_b64 vcc, exec, s[2:3]
	s_mov_b64 s[2:3], 0
	s_cbranch_vccnz .LBB159_2622
; %bb.2616:
	s_cmp_gt_i32 s27, 14
	s_mov_b64 s[22:23], -1
	s_cbranch_scc0 .LBB159_2620
; %bb.2617:
	s_cmp_eq_u32 s27, 15
	s_mov_b64 s[0:1], -1
	s_cbranch_scc0 .LBB159_2619
; %bb.2618:
	v_cndmask_b32_e64 v1, 0, 1.0, s[6:7]
	v_bfe_u32 v3, v1, 16, 1
	s_movk_i32 s0, 0x7fff
	v_add3_u32 v1, v1, v3, s0
	global_store_short_d16_hi v[5:6], v1, off
	s_mov_b64 s[0:1], 0
	s_mov_b64 s[18:19], -1
.LBB159_2619:
	s_mov_b64 s[22:23], 0
.LBB159_2620:
	s_and_b64 vcc, exec, s[22:23]
	s_cbranch_vccz .LBB159_2622
; %bb.2621:
	s_cmp_lg_u32 s27, 11
	s_mov_b64 s[2:3], -1
	s_cselect_b64 s[0:1], -1, 0
.LBB159_2622:
	s_and_b64 vcc, exec, s[0:1]
	s_cbranch_vccnz .LBB159_2988
; %bb.2623:
	s_andn2_b64 vcc, exec, s[2:3]
	s_cbranch_vccnz .LBB159_2625
.LBB159_2624:
	v_cndmask_b32_e64 v1, 0, 1, s[6:7]
	s_mov_b64 s[18:19], -1
	global_store_byte v[5:6], v1, off
.LBB159_2625:
	s_mov_b64 s[0:1], 0
	s_branch .LBB159_2629
.LBB159_2626:
	s_andn2_b64 vcc, exec, s[24:25]
	s_cbranch_vccnz .LBB159_2546
.LBB159_2627:
	s_xor_b64 s[18:19], s[22:23], -1
	s_and_b64 s[24:25], s[0:1], s[18:19]
	s_andn2_b64 s[10:11], s[10:11], exec
	s_and_b64 s[24:25], s[24:25], exec
	s_or_b64 s[10:11], s[10:11], s[24:25]
	s_cbranch_execz .LBB159_2547
	s_branch .LBB159_2548
.LBB159_2628:
	s_mov_b64 s[0:1], -1
	s_mov_b64 s[18:19], 0
.LBB159_2629:
	s_and_b64 vcc, exec, s[0:1]
	s_cbranch_vccz .LBB159_2668
; %bb.2630:
	s_and_b32 s2, 0xffff, s26
	s_cmp_lt_i32 s2, 5
	s_mov_b64 s[0:1], -1
	s_cbranch_scc1 .LBB159_2651
; %bb.2631:
	s_cmp_lt_i32 s2, 8
	s_cbranch_scc1 .LBB159_2641
; %bb.2632:
	s_cmp_lt_i32 s2, 9
	s_cbranch_scc1 .LBB159_2638
; %bb.2633:
	s_cmp_gt_i32 s2, 9
	s_cbranch_scc0 .LBB159_2635
; %bb.2634:
	v_cndmask_b32_e64 v1, 0, 1, s[6:7]
	v_cvt_f64_u32_e32 v[7:8], v1
	v_mov_b32_e32 v9, 0
	v_mov_b32_e32 v10, v9
	s_mov_b64 s[0:1], 0
	global_store_dwordx4 v[5:6], v[7:10], off
.LBB159_2635:
	s_andn2_b64 vcc, exec, s[0:1]
	s_cbranch_vccnz .LBB159_2637
; %bb.2636:
	v_cndmask_b32_e64 v7, 0, 1.0, s[6:7]
	v_mov_b32_e32 v8, 0
	global_store_dwordx2 v[5:6], v[7:8], off
.LBB159_2637:
	s_mov_b64 s[0:1], 0
.LBB159_2638:
	s_andn2_b64 vcc, exec, s[0:1]
	s_cbranch_vccnz .LBB159_2640
; %bb.2639:
	v_cndmask_b32_e64 v1, 0, 1.0, s[6:7]
	v_cvt_f16_f32_e32 v1, v1
	global_store_dword v[5:6], v1, off
.LBB159_2640:
	s_mov_b64 s[0:1], 0
.LBB159_2641:
	s_andn2_b64 vcc, exec, s[0:1]
	s_cbranch_vccnz .LBB159_2650
; %bb.2642:
	s_cmp_lt_i32 s2, 6
	s_mov_b64 s[0:1], -1
	s_cbranch_scc1 .LBB159_2648
; %bb.2643:
	s_cmp_gt_i32 s2, 6
	s_cbranch_scc0 .LBB159_2645
; %bb.2644:
	v_cndmask_b32_e64 v1, 0, 1, s[6:7]
	v_cvt_f64_u32_e32 v[7:8], v1
	s_mov_b64 s[0:1], 0
	global_store_dwordx2 v[5:6], v[7:8], off
.LBB159_2645:
	s_andn2_b64 vcc, exec, s[0:1]
	s_cbranch_vccnz .LBB159_2647
; %bb.2646:
	v_cndmask_b32_e64 v1, 0, 1.0, s[6:7]
	global_store_dword v[5:6], v1, off
.LBB159_2647:
	s_mov_b64 s[0:1], 0
.LBB159_2648:
	s_andn2_b64 vcc, exec, s[0:1]
	s_cbranch_vccnz .LBB159_2650
; %bb.2649:
	v_cndmask_b32_e64 v1, 0, 1.0, s[6:7]
	v_cvt_f16_f32_e32 v1, v1
	global_store_short v[5:6], v1, off
.LBB159_2650:
	s_mov_b64 s[0:1], 0
.LBB159_2651:
	s_andn2_b64 vcc, exec, s[0:1]
	s_cbranch_vccnz .LBB159_2667
; %bb.2652:
	s_cmp_lt_i32 s2, 2
	s_mov_b64 s[0:1], -1
	s_cbranch_scc1 .LBB159_2662
; %bb.2653:
	s_cmp_lt_i32 s2, 3
	s_cbranch_scc1 .LBB159_2659
; %bb.2654:
	s_cmp_gt_i32 s2, 3
	s_cbranch_scc0 .LBB159_2656
; %bb.2655:
	s_mov_b32 s0, 0
	v_cndmask_b32_e64 v7, 0, 1, s[6:7]
	v_mov_b32_e32 v8, s0
	global_store_dwordx2 v[5:6], v[7:8], off
	s_mov_b64 s[0:1], 0
.LBB159_2656:
	s_andn2_b64 vcc, exec, s[0:1]
	s_cbranch_vccnz .LBB159_2658
; %bb.2657:
	v_cndmask_b32_e64 v1, 0, 1, s[6:7]
	global_store_dword v[5:6], v1, off
.LBB159_2658:
	s_mov_b64 s[0:1], 0
.LBB159_2659:
	s_andn2_b64 vcc, exec, s[0:1]
	s_cbranch_vccnz .LBB159_2661
; %bb.2660:
	v_cndmask_b32_e64 v1, 0, 1, s[6:7]
	global_store_short v[5:6], v1, off
.LBB159_2661:
	s_mov_b64 s[0:1], 0
.LBB159_2662:
	s_andn2_b64 vcc, exec, s[0:1]
	s_cbranch_vccnz .LBB159_2667
; %bb.2663:
	s_mov_b64 s[0:1], -1
	s_cmp_gt_i32 s2, 0
	v_cndmask_b32_e64 v1, 0, 1, s[6:7]
	s_cbranch_scc0 .LBB159_2665
; %bb.2664:
	global_store_byte v[5:6], v1, off
	s_mov_b64 s[0:1], 0
.LBB159_2665:
	s_andn2_b64 vcc, exec, s[0:1]
	s_cbranch_vccnz .LBB159_2667
; %bb.2666:
	global_store_byte v[5:6], v1, off
.LBB159_2667:
	s_mov_b64 s[18:19], -1
.LBB159_2668:
	s_andn2_b64 vcc, exec, s[18:19]
	s_cbranch_vccnz .LBB159_2983
; %bb.2669:
	v_mov_b32_e32 v1, s9
	s_and_b32 s24, 0xffff, s26
	v_add_co_u32_e32 v3, vcc, s8, v4
	s_cmp_lt_i32 s24, 11
	v_addc_co_u32_e32 v4, vcc, 0, v1, vcc
	s_cbranch_scc1 .LBB159_2747
; %bb.2670:
	s_mov_b64 s[18:19], -1
	s_mov_b64 s[2:3], 0
	s_cmp_gt_i32 s24, 25
	s_mov_b64 s[6:7], 0
	s_mov_b64 s[0:1], 0
	s_cbranch_scc0 .LBB159_2703
; %bb.2671:
	s_cmp_gt_i32 s24, 28
	s_cbranch_scc0 .LBB159_2686
; %bb.2672:
	s_cmp_gt_i32 s24, 43
	;; [unrolled: 3-line block ×3, first 2 shown]
	s_cbranch_scc0 .LBB159_2676
; %bb.2674:
	s_mov_b64 s[0:1], -1
	s_mov_b64 s[18:19], 0
	s_cmp_eq_u32 s24, 46
	s_cbranch_scc0 .LBB159_2676
; %bb.2675:
	v_cndmask_b32_e64 v1, 0, 1.0, s[16:17]
	v_bfe_u32 v5, v1, 16, 1
	s_movk_i32 s0, 0x7fff
	v_add3_u32 v1, v1, v5, s0
	v_lshrrev_b32_e32 v1, 16, v1
	global_store_dword v[3:4], v1, off
	s_mov_b64 s[0:1], 0
	s_mov_b64 s[6:7], -1
.LBB159_2676:
	s_and_b64 vcc, exec, s[18:19]
	s_cbranch_vccz .LBB159_2681
; %bb.2677:
	s_cmp_eq_u32 s24, 44
	s_mov_b64 s[0:1], -1
	s_cbranch_scc0 .LBB159_2681
; %bb.2678:
	v_cndmask_b32_e64 v5, 0, 1.0, s[16:17]
	v_lshrrev_b32_e32 v1, 23, v5
	s_movk_i32 s0, 0xff
	v_cmp_ne_u32_e32 vcc, s0, v1
	v_mov_b32_e32 v6, 0xff
	s_and_saveexec_b64 s[6:7], vcc
; %bb.2679:
	s_mov_b32 s0, 0x3fffff
	v_and_b32_e32 v6, 0x400000, v5
	v_and_or_b32 v5, v5, s0, v1
	v_cmp_ne_u32_e32 vcc, 0, v6
	v_cmp_ne_u32_e64 s[0:1], 0, v5
	s_and_b64 s[0:1], vcc, s[0:1]
	v_cndmask_b32_e64 v5, 0, 1, s[0:1]
	v_add_u32_e32 v6, v1, v5
; %bb.2680:
	s_or_b64 exec, exec, s[6:7]
	s_mov_b64 s[0:1], 0
	s_mov_b64 s[6:7], -1
	global_store_byte v[3:4], v6, off
.LBB159_2681:
	s_mov_b64 s[18:19], 0
.LBB159_2682:
	s_and_b64 vcc, exec, s[18:19]
	s_cbranch_vccz .LBB159_2685
; %bb.2683:
	s_cmp_eq_u32 s24, 29
	s_mov_b64 s[0:1], -1
	s_cbranch_scc0 .LBB159_2685
; %bb.2684:
	s_mov_b32 s0, 0
	v_cndmask_b32_e64 v5, 0, 1, s[16:17]
	v_mov_b32_e32 v6, s0
	global_store_dwordx2 v[3:4], v[5:6], off
	s_mov_b64 s[0:1], 0
	s_mov_b64 s[6:7], -1
.LBB159_2685:
	s_mov_b64 s[18:19], 0
.LBB159_2686:
	s_and_b64 vcc, exec, s[18:19]
	s_cbranch_vccz .LBB159_2702
; %bb.2687:
	s_cmp_lt_i32 s24, 27
	s_mov_b64 s[6:7], -1
	s_cbranch_scc1 .LBB159_2693
; %bb.2688:
	s_cmp_gt_i32 s24, 27
	s_cbranch_scc0 .LBB159_2690
; %bb.2689:
	v_cndmask_b32_e64 v1, 0, 1, s[16:17]
	s_mov_b64 s[6:7], 0
	global_store_dword v[3:4], v1, off
.LBB159_2690:
	s_andn2_b64 vcc, exec, s[6:7]
	s_cbranch_vccnz .LBB159_2692
; %bb.2691:
	v_cndmask_b32_e64 v1, 0, 1, s[16:17]
	global_store_short v[3:4], v1, off
.LBB159_2692:
	s_mov_b64 s[6:7], 0
.LBB159_2693:
	s_andn2_b64 vcc, exec, s[6:7]
	s_cbranch_vccnz .LBB159_2701
; %bb.2694:
	v_cndmask_b32_e64 v5, 0, 1.0, s[16:17]
	s_mov_b32 s6, 0x43800000
	v_cmp_gt_u32_e32 vcc, s6, v5
	v_mov_b32_e32 v6, 0x80
	s_and_saveexec_b64 s[6:7], vcc
	s_cbranch_execz .LBB159_2700
; %bb.2695:
	s_mov_b32 s18, 0x3bffffff
	v_cmp_lt_u32_e32 vcc, s18, v5
	s_mov_b64 s[18:19], 0
                                        ; implicit-def: $vgpr1
	s_and_saveexec_b64 s[22:23], vcc
	s_xor_b64 s[22:23], exec, s[22:23]
	s_cbranch_execz .LBB159_2991
; %bb.2696:
	v_bfe_u32 v1, v5, 20, 1
	s_mov_b32 s25, 0x487ffff
	v_add3_u32 v1, v5, v1, s25
	s_mov_b64 s[18:19], exec
	v_lshrrev_b32_e32 v1, 20, v1
                                        ; implicit-def: $vgpr5
	s_andn2_saveexec_b64 s[22:23], s[22:23]
	s_cbranch_execnz .LBB159_2992
.LBB159_2697:
	s_or_b64 exec, exec, s[22:23]
	v_mov_b32_e32 v6, 0
	s_and_saveexec_b64 s[22:23], s[18:19]
.LBB159_2698:
	v_mov_b32_e32 v6, v1
.LBB159_2699:
	s_or_b64 exec, exec, s[22:23]
.LBB159_2700:
	s_or_b64 exec, exec, s[6:7]
	global_store_byte v[3:4], v6, off
.LBB159_2701:
	s_mov_b64 s[6:7], -1
.LBB159_2702:
	s_mov_b64 s[18:19], 0
.LBB159_2703:
	s_and_b64 vcc, exec, s[18:19]
	s_cbranch_vccz .LBB159_2743
; %bb.2704:
	s_cmp_gt_i32 s24, 22
	s_mov_b64 s[2:3], -1
	s_cbranch_scc0 .LBB159_2736
; %bb.2705:
	s_cmp_lt_i32 s24, 24
	s_cbranch_scc1 .LBB159_2725
; %bb.2706:
	s_cmp_gt_i32 s24, 24
	s_cbranch_scc0 .LBB159_2714
; %bb.2707:
	v_cndmask_b32_e64 v5, 0, 1.0, s[16:17]
	s_mov_b32 s2, 0x47800000
	v_cmp_gt_u32_e32 vcc, s2, v5
	v_mov_b32_e32 v6, 0x80
	s_and_saveexec_b64 s[2:3], vcc
	s_cbranch_execz .LBB159_2713
; %bb.2708:
	s_mov_b32 s6, 0x37ffffff
	v_cmp_lt_u32_e32 vcc, s6, v5
	s_mov_b64 s[6:7], 0
                                        ; implicit-def: $vgpr1
	s_and_saveexec_b64 s[18:19], vcc
	s_xor_b64 s[18:19], exec, s[18:19]
	s_cbranch_execz .LBB159_2994
; %bb.2709:
	v_bfe_u32 v1, v5, 21, 1
	s_mov_b32 s22, 0x88fffff
	v_add3_u32 v1, v5, v1, s22
	s_mov_b64 s[6:7], exec
	v_lshrrev_b32_e32 v1, 21, v1
                                        ; implicit-def: $vgpr5
	s_andn2_saveexec_b64 s[18:19], s[18:19]
	s_cbranch_execnz .LBB159_2995
.LBB159_2710:
	s_or_b64 exec, exec, s[18:19]
	v_mov_b32_e32 v6, 0
	s_and_saveexec_b64 s[18:19], s[6:7]
.LBB159_2711:
	v_mov_b32_e32 v6, v1
.LBB159_2712:
	s_or_b64 exec, exec, s[18:19]
.LBB159_2713:
	s_or_b64 exec, exec, s[2:3]
	s_mov_b64 s[2:3], 0
	global_store_byte v[3:4], v6, off
.LBB159_2714:
	s_and_b64 vcc, exec, s[2:3]
	s_cbranch_vccz .LBB159_2724
; %bb.2715:
	v_cndmask_b32_e64 v1, 0, 1.0, s[16:17]
	s_mov_b32 s2, 0x43f00000
	v_cmp_gt_u32_e32 vcc, s2, v1
                                        ; implicit-def: $vgpr5
	s_and_saveexec_b64 s[2:3], vcc
	s_xor_b64 s[2:3], exec, s[2:3]
	s_cbranch_execz .LBB159_2721
; %bb.2716:
	s_mov_b32 s6, 0x3c7fffff
	v_cmp_lt_u32_e32 vcc, s6, v1
                                        ; implicit-def: $vgpr5
	s_and_saveexec_b64 s[6:7], vcc
	s_xor_b64 s[6:7], exec, s[6:7]
; %bb.2717:
	v_bfe_u32 v5, v1, 20, 1
	s_mov_b32 s18, 0x407ffff
	v_add3_u32 v1, v1, v5, s18
	v_lshrrev_b32_e32 v5, 20, v1
	v_and_b32_e32 v1, 0xff00000, v1
	s_mov_b32 s18, 0x7f00000
	v_mov_b32_e32 v6, 0x7e
	v_cmp_ne_u32_e32 vcc, s18, v1
	v_cndmask_b32_e32 v5, v6, v5, vcc
                                        ; implicit-def: $vgpr1
; %bb.2718:
	s_andn2_saveexec_b64 s[6:7], s[6:7]
; %bb.2719:
	v_add_f32_e32 v5, 0x46800000, v1
; %bb.2720:
	s_or_b64 exec, exec, s[6:7]
                                        ; implicit-def: $vgpr1
.LBB159_2721:
	s_andn2_saveexec_b64 s[2:3], s[2:3]
; %bb.2722:
	s_mov_b32 s6, 0x7f800000
	v_mov_b32_e32 v5, 0x7e
	v_mov_b32_e32 v6, 0x7f
	v_cmp_lt_u32_e32 vcc, s6, v1
	v_cndmask_b32_e32 v5, v5, v6, vcc
; %bb.2723:
	s_or_b64 exec, exec, s[2:3]
	global_store_byte v[3:4], v5, off
.LBB159_2724:
	s_mov_b64 s[2:3], 0
.LBB159_2725:
	s_andn2_b64 vcc, exec, s[2:3]
	s_cbranch_vccnz .LBB159_2735
; %bb.2726:
	v_cndmask_b32_e64 v1, 0, 1.0, s[16:17]
	s_mov_b32 s2, 0x47800000
	v_cmp_gt_u32_e32 vcc, s2, v1
                                        ; implicit-def: $vgpr5
	s_and_saveexec_b64 s[2:3], vcc
	s_xor_b64 s[2:3], exec, s[2:3]
	s_cbranch_execz .LBB159_2732
; %bb.2727:
	s_mov_b32 s6, 0x387fffff
	v_cmp_lt_u32_e32 vcc, s6, v1
                                        ; implicit-def: $vgpr5
	s_and_saveexec_b64 s[6:7], vcc
	s_xor_b64 s[6:7], exec, s[6:7]
; %bb.2728:
	v_bfe_u32 v5, v1, 21, 1
	s_mov_b32 s18, 0x80fffff
	v_add3_u32 v1, v1, v5, s18
	v_lshrrev_b32_e32 v5, 21, v1
                                        ; implicit-def: $vgpr1
; %bb.2729:
	s_andn2_saveexec_b64 s[6:7], s[6:7]
; %bb.2730:
	v_add_f32_e32 v5, 0x43000000, v1
; %bb.2731:
	s_or_b64 exec, exec, s[6:7]
                                        ; implicit-def: $vgpr1
.LBB159_2732:
	s_andn2_saveexec_b64 s[2:3], s[2:3]
; %bb.2733:
	s_mov_b32 s6, 0x7f800000
	v_mov_b32_e32 v5, 0x7c
	v_mov_b32_e32 v6, 0x7f
	v_cmp_lt_u32_e32 vcc, s6, v1
	v_cndmask_b32_e32 v5, v5, v6, vcc
; %bb.2734:
	s_or_b64 exec, exec, s[2:3]
	global_store_byte v[3:4], v5, off
.LBB159_2735:
	s_mov_b64 s[2:3], 0
	s_mov_b64 s[6:7], -1
.LBB159_2736:
	s_andn2_b64 vcc, exec, s[2:3]
	s_mov_b64 s[2:3], 0
	s_cbranch_vccnz .LBB159_2743
; %bb.2737:
	s_cmp_gt_i32 s24, 14
	s_mov_b64 s[18:19], -1
	s_cbranch_scc0 .LBB159_2741
; %bb.2738:
	s_cmp_eq_u32 s24, 15
	s_mov_b64 s[0:1], -1
	s_cbranch_scc0 .LBB159_2740
; %bb.2739:
	v_cndmask_b32_e64 v1, 0, 1.0, s[16:17]
	v_bfe_u32 v5, v1, 16, 1
	s_movk_i32 s0, 0x7fff
	v_add3_u32 v1, v1, v5, s0
	global_store_short_d16_hi v[3:4], v1, off
	s_mov_b64 s[0:1], 0
	s_mov_b64 s[6:7], -1
.LBB159_2740:
	s_mov_b64 s[18:19], 0
.LBB159_2741:
	s_and_b64 vcc, exec, s[18:19]
	s_cbranch_vccz .LBB159_2743
; %bb.2742:
	s_cmp_lg_u32 s24, 11
	s_mov_b64 s[2:3], -1
	s_cselect_b64 s[0:1], -1, 0
.LBB159_2743:
	s_and_b64 vcc, exec, s[0:1]
	s_cbranch_vccnz .LBB159_2993
; %bb.2744:
	s_andn2_b64 vcc, exec, s[2:3]
	s_cbranch_vccnz .LBB159_2746
.LBB159_2745:
	v_cndmask_b32_e64 v1, 0, 1, s[16:17]
	s_mov_b64 s[6:7], -1
	global_store_byte v[3:4], v1, off
.LBB159_2746:
	s_mov_b64 s[0:1], 0
	s_branch .LBB159_2748
.LBB159_2747:
	s_mov_b64 s[0:1], -1
	s_mov_b64 s[6:7], 0
.LBB159_2748:
	s_and_b64 vcc, exec, s[0:1]
	s_cbranch_vccz .LBB159_2787
; %bb.2749:
	s_cmp_lt_i32 s24, 5
	s_mov_b64 s[0:1], -1
	s_cbranch_scc1 .LBB159_2770
; %bb.2750:
	s_cmp_lt_i32 s24, 8
	s_cbranch_scc1 .LBB159_2760
; %bb.2751:
	s_cmp_lt_i32 s24, 9
	s_cbranch_scc1 .LBB159_2757
; %bb.2752:
	s_cmp_gt_i32 s24, 9
	s_cbranch_scc0 .LBB159_2754
; %bb.2753:
	v_cndmask_b32_e64 v1, 0, 1, s[16:17]
	v_cvt_f64_u32_e32 v[5:6], v1
	v_mov_b32_e32 v7, 0
	v_mov_b32_e32 v8, v7
	s_mov_b64 s[0:1], 0
	global_store_dwordx4 v[3:4], v[5:8], off
.LBB159_2754:
	s_andn2_b64 vcc, exec, s[0:1]
	s_cbranch_vccnz .LBB159_2756
; %bb.2755:
	v_cndmask_b32_e64 v5, 0, 1.0, s[16:17]
	v_mov_b32_e32 v6, 0
	global_store_dwordx2 v[3:4], v[5:6], off
.LBB159_2756:
	s_mov_b64 s[0:1], 0
.LBB159_2757:
	s_andn2_b64 vcc, exec, s[0:1]
	s_cbranch_vccnz .LBB159_2759
; %bb.2758:
	v_cndmask_b32_e64 v1, 0, 1.0, s[16:17]
	v_cvt_f16_f32_e32 v1, v1
	global_store_dword v[3:4], v1, off
.LBB159_2759:
	s_mov_b64 s[0:1], 0
.LBB159_2760:
	s_andn2_b64 vcc, exec, s[0:1]
	s_cbranch_vccnz .LBB159_2769
; %bb.2761:
	s_cmp_lt_i32 s24, 6
	s_mov_b64 s[0:1], -1
	s_cbranch_scc1 .LBB159_2767
; %bb.2762:
	s_cmp_gt_i32 s24, 6
	s_cbranch_scc0 .LBB159_2764
; %bb.2763:
	v_cndmask_b32_e64 v1, 0, 1, s[16:17]
	v_cvt_f64_u32_e32 v[5:6], v1
	s_mov_b64 s[0:1], 0
	global_store_dwordx2 v[3:4], v[5:6], off
.LBB159_2764:
	s_andn2_b64 vcc, exec, s[0:1]
	s_cbranch_vccnz .LBB159_2766
; %bb.2765:
	v_cndmask_b32_e64 v1, 0, 1.0, s[16:17]
	global_store_dword v[3:4], v1, off
.LBB159_2766:
	s_mov_b64 s[0:1], 0
.LBB159_2767:
	s_andn2_b64 vcc, exec, s[0:1]
	s_cbranch_vccnz .LBB159_2769
; %bb.2768:
	v_cndmask_b32_e64 v1, 0, 1.0, s[16:17]
	v_cvt_f16_f32_e32 v1, v1
	global_store_short v[3:4], v1, off
.LBB159_2769:
	s_mov_b64 s[0:1], 0
.LBB159_2770:
	s_andn2_b64 vcc, exec, s[0:1]
	s_cbranch_vccnz .LBB159_2786
; %bb.2771:
	s_cmp_lt_i32 s24, 2
	s_mov_b64 s[0:1], -1
	s_cbranch_scc1 .LBB159_2781
; %bb.2772:
	s_cmp_lt_i32 s24, 3
	s_cbranch_scc1 .LBB159_2778
; %bb.2773:
	s_cmp_gt_i32 s24, 3
	s_cbranch_scc0 .LBB159_2775
; %bb.2774:
	s_mov_b32 s0, 0
	v_cndmask_b32_e64 v5, 0, 1, s[16:17]
	v_mov_b32_e32 v6, s0
	global_store_dwordx2 v[3:4], v[5:6], off
	s_mov_b64 s[0:1], 0
.LBB159_2775:
	s_andn2_b64 vcc, exec, s[0:1]
	s_cbranch_vccnz .LBB159_2777
; %bb.2776:
	v_cndmask_b32_e64 v1, 0, 1, s[16:17]
	global_store_dword v[3:4], v1, off
.LBB159_2777:
	s_mov_b64 s[0:1], 0
.LBB159_2778:
	s_andn2_b64 vcc, exec, s[0:1]
	s_cbranch_vccnz .LBB159_2780
; %bb.2779:
	v_cndmask_b32_e64 v1, 0, 1, s[16:17]
	global_store_short v[3:4], v1, off
.LBB159_2780:
	s_mov_b64 s[0:1], 0
.LBB159_2781:
	s_andn2_b64 vcc, exec, s[0:1]
	s_cbranch_vccnz .LBB159_2786
; %bb.2782:
	s_mov_b64 s[0:1], -1
	s_cmp_gt_i32 s24, 0
	v_cndmask_b32_e64 v1, 0, 1, s[16:17]
	s_cbranch_scc0 .LBB159_2784
; %bb.2783:
	global_store_byte v[3:4], v1, off
	s_mov_b64 s[0:1], 0
.LBB159_2784:
	s_andn2_b64 vcc, exec, s[0:1]
	s_cbranch_vccnz .LBB159_2786
; %bb.2785:
	global_store_byte v[3:4], v1, off
.LBB159_2786:
	s_mov_b64 s[6:7], -1
.LBB159_2787:
	s_andn2_b64 vcc, exec, s[6:7]
	s_cbranch_vccnz .LBB159_2983
; %bb.2788:
	v_mov_b32_e32 v3, s9
	v_add_co_u32_e32 v1, vcc, s8, v2
	s_cmp_lt_i32 s24, 11
	v_addc_co_u32_e32 v2, vcc, 0, v3, vcc
	s_cbranch_scc1 .LBB159_2866
; %bb.2789:
	s_mov_b64 s[16:17], -1
	s_mov_b64 s[2:3], 0
	s_cmp_gt_i32 s24, 25
	s_mov_b64 s[6:7], 0
	s_mov_b64 s[0:1], 0
	s_cbranch_scc0 .LBB159_2822
; %bb.2790:
	s_cmp_gt_i32 s24, 28
	s_cbranch_scc0 .LBB159_2805
; %bb.2791:
	s_cmp_gt_i32 s24, 43
	;; [unrolled: 3-line block ×3, first 2 shown]
	s_cbranch_scc0 .LBB159_2795
; %bb.2793:
	s_mov_b64 s[0:1], -1
	s_mov_b64 s[16:17], 0
	s_cmp_eq_u32 s24, 46
	s_cbranch_scc0 .LBB159_2795
; %bb.2794:
	v_cndmask_b32_e64 v3, 0, 1.0, s[20:21]
	v_bfe_u32 v4, v3, 16, 1
	s_movk_i32 s0, 0x7fff
	v_add3_u32 v3, v3, v4, s0
	v_lshrrev_b32_e32 v3, 16, v3
	global_store_dword v[1:2], v3, off
	s_mov_b64 s[0:1], 0
	s_mov_b64 s[6:7], -1
.LBB159_2795:
	s_and_b64 vcc, exec, s[16:17]
	s_cbranch_vccz .LBB159_2800
; %bb.2796:
	s_cmp_eq_u32 s24, 44
	s_mov_b64 s[0:1], -1
	s_cbranch_scc0 .LBB159_2800
; %bb.2797:
	v_cndmask_b32_e64 v4, 0, 1.0, s[20:21]
	v_lshrrev_b32_e32 v3, 23, v4
	s_movk_i32 s0, 0xff
	v_cmp_ne_u32_e32 vcc, s0, v3
	v_mov_b32_e32 v5, 0xff
	s_and_saveexec_b64 s[6:7], vcc
; %bb.2798:
	s_mov_b32 s0, 0x3fffff
	v_and_b32_e32 v5, 0x400000, v4
	v_and_or_b32 v4, v4, s0, v3
	v_cmp_ne_u32_e32 vcc, 0, v5
	v_cmp_ne_u32_e64 s[0:1], 0, v4
	s_and_b64 s[0:1], vcc, s[0:1]
	v_cndmask_b32_e64 v4, 0, 1, s[0:1]
	v_add_u32_e32 v5, v3, v4
; %bb.2799:
	s_or_b64 exec, exec, s[6:7]
	s_mov_b64 s[0:1], 0
	s_mov_b64 s[6:7], -1
	global_store_byte v[1:2], v5, off
.LBB159_2800:
	s_mov_b64 s[16:17], 0
.LBB159_2801:
	s_and_b64 vcc, exec, s[16:17]
	s_cbranch_vccz .LBB159_2804
; %bb.2802:
	s_cmp_eq_u32 s24, 29
	s_mov_b64 s[0:1], -1
	s_cbranch_scc0 .LBB159_2804
; %bb.2803:
	s_mov_b32 s0, 0
	v_cndmask_b32_e64 v3, 0, 1, s[20:21]
	v_mov_b32_e32 v4, s0
	global_store_dwordx2 v[1:2], v[3:4], off
	s_mov_b64 s[0:1], 0
	s_mov_b64 s[6:7], -1
.LBB159_2804:
	s_mov_b64 s[16:17], 0
.LBB159_2805:
	s_and_b64 vcc, exec, s[16:17]
	s_cbranch_vccz .LBB159_2821
; %bb.2806:
	s_cmp_lt_i32 s24, 27
	s_mov_b64 s[6:7], -1
	s_cbranch_scc1 .LBB159_2812
; %bb.2807:
	s_cmp_gt_i32 s24, 27
	s_cbranch_scc0 .LBB159_2809
; %bb.2808:
	v_cndmask_b32_e64 v3, 0, 1, s[20:21]
	s_mov_b64 s[6:7], 0
	global_store_dword v[1:2], v3, off
.LBB159_2809:
	s_andn2_b64 vcc, exec, s[6:7]
	s_cbranch_vccnz .LBB159_2811
; %bb.2810:
	v_cndmask_b32_e64 v3, 0, 1, s[20:21]
	global_store_short v[1:2], v3, off
.LBB159_2811:
	s_mov_b64 s[6:7], 0
.LBB159_2812:
	s_andn2_b64 vcc, exec, s[6:7]
	s_cbranch_vccnz .LBB159_2820
; %bb.2813:
	v_cndmask_b32_e64 v4, 0, 1.0, s[20:21]
	s_mov_b32 s6, 0x43800000
	v_cmp_gt_u32_e32 vcc, s6, v4
	v_mov_b32_e32 v5, 0x80
	s_and_saveexec_b64 s[6:7], vcc
	s_cbranch_execz .LBB159_2819
; %bb.2814:
	s_mov_b32 s16, 0x3bffffff
	v_cmp_lt_u32_e32 vcc, s16, v4
	s_mov_b64 s[16:17], 0
                                        ; implicit-def: $vgpr3
	s_and_saveexec_b64 s[18:19], vcc
	s_xor_b64 s[18:19], exec, s[18:19]
	s_cbranch_execz .LBB159_2996
; %bb.2815:
	v_bfe_u32 v3, v4, 20, 1
	s_mov_b32 s22, 0x487ffff
	v_add3_u32 v3, v4, v3, s22
	s_mov_b64 s[16:17], exec
	v_lshrrev_b32_e32 v3, 20, v3
                                        ; implicit-def: $vgpr4
	s_andn2_saveexec_b64 s[18:19], s[18:19]
	s_cbranch_execnz .LBB159_2997
.LBB159_2816:
	s_or_b64 exec, exec, s[18:19]
	v_mov_b32_e32 v5, 0
	s_and_saveexec_b64 s[18:19], s[16:17]
.LBB159_2817:
	v_mov_b32_e32 v5, v3
.LBB159_2818:
	s_or_b64 exec, exec, s[18:19]
.LBB159_2819:
	s_or_b64 exec, exec, s[6:7]
	global_store_byte v[1:2], v5, off
.LBB159_2820:
	s_mov_b64 s[6:7], -1
.LBB159_2821:
	s_mov_b64 s[16:17], 0
.LBB159_2822:
	s_and_b64 vcc, exec, s[16:17]
	s_cbranch_vccz .LBB159_2862
; %bb.2823:
	s_cmp_gt_i32 s24, 22
	s_mov_b64 s[2:3], -1
	s_cbranch_scc0 .LBB159_2855
; %bb.2824:
	s_cmp_lt_i32 s24, 24
	s_cbranch_scc1 .LBB159_2844
; %bb.2825:
	s_cmp_gt_i32 s24, 24
	s_cbranch_scc0 .LBB159_2833
; %bb.2826:
	v_cndmask_b32_e64 v4, 0, 1.0, s[20:21]
	s_mov_b32 s2, 0x47800000
	v_cmp_gt_u32_e32 vcc, s2, v4
	v_mov_b32_e32 v5, 0x80
	s_and_saveexec_b64 s[2:3], vcc
	s_cbranch_execz .LBB159_2832
; %bb.2827:
	s_mov_b32 s6, 0x37ffffff
	v_cmp_lt_u32_e32 vcc, s6, v4
	s_mov_b64 s[6:7], 0
                                        ; implicit-def: $vgpr3
	s_and_saveexec_b64 s[16:17], vcc
	s_xor_b64 s[16:17], exec, s[16:17]
	s_cbranch_execz .LBB159_2999
; %bb.2828:
	v_bfe_u32 v3, v4, 21, 1
	s_mov_b32 s18, 0x88fffff
	v_add3_u32 v3, v4, v3, s18
	s_mov_b64 s[6:7], exec
	v_lshrrev_b32_e32 v3, 21, v3
                                        ; implicit-def: $vgpr4
	s_andn2_saveexec_b64 s[16:17], s[16:17]
	s_cbranch_execnz .LBB159_3000
.LBB159_2829:
	s_or_b64 exec, exec, s[16:17]
	v_mov_b32_e32 v5, 0
	s_and_saveexec_b64 s[16:17], s[6:7]
.LBB159_2830:
	v_mov_b32_e32 v5, v3
.LBB159_2831:
	s_or_b64 exec, exec, s[16:17]
.LBB159_2832:
	s_or_b64 exec, exec, s[2:3]
	s_mov_b64 s[2:3], 0
	global_store_byte v[1:2], v5, off
.LBB159_2833:
	s_and_b64 vcc, exec, s[2:3]
	s_cbranch_vccz .LBB159_2843
; %bb.2834:
	v_cndmask_b32_e64 v3, 0, 1.0, s[20:21]
	s_mov_b32 s2, 0x43f00000
	v_cmp_gt_u32_e32 vcc, s2, v3
                                        ; implicit-def: $vgpr4
	s_and_saveexec_b64 s[2:3], vcc
	s_xor_b64 s[2:3], exec, s[2:3]
	s_cbranch_execz .LBB159_2840
; %bb.2835:
	s_mov_b32 s6, 0x3c7fffff
	v_cmp_lt_u32_e32 vcc, s6, v3
                                        ; implicit-def: $vgpr4
	s_and_saveexec_b64 s[6:7], vcc
	s_xor_b64 s[6:7], exec, s[6:7]
; %bb.2836:
	v_bfe_u32 v4, v3, 20, 1
	s_mov_b32 s16, 0x407ffff
	v_add3_u32 v3, v3, v4, s16
	v_lshrrev_b32_e32 v4, 20, v3
	v_and_b32_e32 v3, 0xff00000, v3
	s_mov_b32 s16, 0x7f00000
	v_mov_b32_e32 v5, 0x7e
	v_cmp_ne_u32_e32 vcc, s16, v3
	v_cndmask_b32_e32 v4, v5, v4, vcc
                                        ; implicit-def: $vgpr3
; %bb.2837:
	s_andn2_saveexec_b64 s[6:7], s[6:7]
; %bb.2838:
	v_add_f32_e32 v4, 0x46800000, v3
; %bb.2839:
	s_or_b64 exec, exec, s[6:7]
                                        ; implicit-def: $vgpr3
.LBB159_2840:
	s_andn2_saveexec_b64 s[2:3], s[2:3]
; %bb.2841:
	s_mov_b32 s6, 0x7f800000
	v_mov_b32_e32 v4, 0x7e
	v_mov_b32_e32 v5, 0x7f
	v_cmp_lt_u32_e32 vcc, s6, v3
	v_cndmask_b32_e32 v4, v4, v5, vcc
; %bb.2842:
	s_or_b64 exec, exec, s[2:3]
	global_store_byte v[1:2], v4, off
.LBB159_2843:
	s_mov_b64 s[2:3], 0
.LBB159_2844:
	s_andn2_b64 vcc, exec, s[2:3]
	s_cbranch_vccnz .LBB159_2854
; %bb.2845:
	v_cndmask_b32_e64 v3, 0, 1.0, s[20:21]
	s_mov_b32 s2, 0x47800000
	v_cmp_gt_u32_e32 vcc, s2, v3
                                        ; implicit-def: $vgpr4
	s_and_saveexec_b64 s[2:3], vcc
	s_xor_b64 s[2:3], exec, s[2:3]
	s_cbranch_execz .LBB159_2851
; %bb.2846:
	s_mov_b32 s6, 0x387fffff
	v_cmp_lt_u32_e32 vcc, s6, v3
                                        ; implicit-def: $vgpr4
	s_and_saveexec_b64 s[6:7], vcc
	s_xor_b64 s[6:7], exec, s[6:7]
; %bb.2847:
	v_bfe_u32 v4, v3, 21, 1
	s_mov_b32 s16, 0x80fffff
	v_add3_u32 v3, v3, v4, s16
	v_lshrrev_b32_e32 v4, 21, v3
                                        ; implicit-def: $vgpr3
; %bb.2848:
	s_andn2_saveexec_b64 s[6:7], s[6:7]
; %bb.2849:
	v_add_f32_e32 v4, 0x43000000, v3
; %bb.2850:
	s_or_b64 exec, exec, s[6:7]
                                        ; implicit-def: $vgpr3
.LBB159_2851:
	s_andn2_saveexec_b64 s[2:3], s[2:3]
; %bb.2852:
	s_mov_b32 s6, 0x7f800000
	v_mov_b32_e32 v4, 0x7c
	v_mov_b32_e32 v5, 0x7f
	v_cmp_lt_u32_e32 vcc, s6, v3
	v_cndmask_b32_e32 v4, v4, v5, vcc
; %bb.2853:
	s_or_b64 exec, exec, s[2:3]
	global_store_byte v[1:2], v4, off
.LBB159_2854:
	s_mov_b64 s[2:3], 0
	s_mov_b64 s[6:7], -1
.LBB159_2855:
	s_andn2_b64 vcc, exec, s[2:3]
	s_mov_b64 s[2:3], 0
	s_cbranch_vccnz .LBB159_2862
; %bb.2856:
	s_cmp_gt_i32 s24, 14
	s_mov_b64 s[16:17], -1
	s_cbranch_scc0 .LBB159_2860
; %bb.2857:
	s_cmp_eq_u32 s24, 15
	s_mov_b64 s[0:1], -1
	s_cbranch_scc0 .LBB159_2859
; %bb.2858:
	v_cndmask_b32_e64 v3, 0, 1.0, s[20:21]
	v_bfe_u32 v4, v3, 16, 1
	s_movk_i32 s0, 0x7fff
	v_add3_u32 v3, v3, v4, s0
	global_store_short_d16_hi v[1:2], v3, off
	s_mov_b64 s[0:1], 0
	s_mov_b64 s[6:7], -1
.LBB159_2859:
	s_mov_b64 s[16:17], 0
.LBB159_2860:
	s_and_b64 vcc, exec, s[16:17]
	s_cbranch_vccz .LBB159_2862
; %bb.2861:
	s_cmp_lg_u32 s24, 11
	s_mov_b64 s[2:3], -1
	s_cselect_b64 s[0:1], -1, 0
.LBB159_2862:
	s_and_b64 vcc, exec, s[0:1]
	s_cbranch_vccnz .LBB159_2998
; %bb.2863:
	s_andn2_b64 vcc, exec, s[2:3]
	s_cbranch_vccnz .LBB159_2865
.LBB159_2864:
	v_cndmask_b32_e64 v3, 0, 1, s[20:21]
	s_mov_b64 s[6:7], -1
	global_store_byte v[1:2], v3, off
.LBB159_2865:
	s_mov_b64 s[0:1], 0
	s_branch .LBB159_2867
.LBB159_2866:
	s_mov_b64 s[0:1], -1
	s_mov_b64 s[6:7], 0
.LBB159_2867:
	s_and_b64 vcc, exec, s[0:1]
	s_cbranch_vccz .LBB159_2906
; %bb.2868:
	s_cmp_lt_i32 s24, 5
	s_mov_b64 s[0:1], -1
	s_cbranch_scc1 .LBB159_2889
; %bb.2869:
	s_cmp_lt_i32 s24, 8
	s_cbranch_scc1 .LBB159_2879
; %bb.2870:
	s_cmp_lt_i32 s24, 9
	s_cbranch_scc1 .LBB159_2876
; %bb.2871:
	s_cmp_gt_i32 s24, 9
	s_cbranch_scc0 .LBB159_2873
; %bb.2872:
	v_cndmask_b32_e64 v3, 0, 1, s[20:21]
	v_cvt_f64_u32_e32 v[3:4], v3
	v_mov_b32_e32 v5, 0
	v_mov_b32_e32 v6, v5
	s_mov_b64 s[0:1], 0
	global_store_dwordx4 v[1:2], v[3:6], off
.LBB159_2873:
	s_andn2_b64 vcc, exec, s[0:1]
	s_cbranch_vccnz .LBB159_2875
; %bb.2874:
	v_cndmask_b32_e64 v3, 0, 1.0, s[20:21]
	v_mov_b32_e32 v4, 0
	global_store_dwordx2 v[1:2], v[3:4], off
.LBB159_2875:
	s_mov_b64 s[0:1], 0
.LBB159_2876:
	s_andn2_b64 vcc, exec, s[0:1]
	s_cbranch_vccnz .LBB159_2878
; %bb.2877:
	v_cndmask_b32_e64 v3, 0, 1.0, s[20:21]
	v_cvt_f16_f32_e32 v3, v3
	global_store_dword v[1:2], v3, off
.LBB159_2878:
	s_mov_b64 s[0:1], 0
.LBB159_2879:
	s_andn2_b64 vcc, exec, s[0:1]
	s_cbranch_vccnz .LBB159_2888
; %bb.2880:
	s_cmp_lt_i32 s24, 6
	s_mov_b64 s[0:1], -1
	s_cbranch_scc1 .LBB159_2886
; %bb.2881:
	s_cmp_gt_i32 s24, 6
	s_cbranch_scc0 .LBB159_2883
; %bb.2882:
	v_cndmask_b32_e64 v3, 0, 1, s[20:21]
	v_cvt_f64_u32_e32 v[3:4], v3
	s_mov_b64 s[0:1], 0
	global_store_dwordx2 v[1:2], v[3:4], off
.LBB159_2883:
	s_andn2_b64 vcc, exec, s[0:1]
	s_cbranch_vccnz .LBB159_2885
; %bb.2884:
	v_cndmask_b32_e64 v3, 0, 1.0, s[20:21]
	global_store_dword v[1:2], v3, off
.LBB159_2885:
	s_mov_b64 s[0:1], 0
.LBB159_2886:
	s_andn2_b64 vcc, exec, s[0:1]
	s_cbranch_vccnz .LBB159_2888
; %bb.2887:
	v_cndmask_b32_e64 v3, 0, 1.0, s[20:21]
	v_cvt_f16_f32_e32 v3, v3
	global_store_short v[1:2], v3, off
.LBB159_2888:
	s_mov_b64 s[0:1], 0
.LBB159_2889:
	s_andn2_b64 vcc, exec, s[0:1]
	s_cbranch_vccnz .LBB159_2905
; %bb.2890:
	s_cmp_lt_i32 s24, 2
	s_mov_b64 s[0:1], -1
	s_cbranch_scc1 .LBB159_2900
; %bb.2891:
	s_cmp_lt_i32 s24, 3
	s_cbranch_scc1 .LBB159_2897
; %bb.2892:
	s_cmp_gt_i32 s24, 3
	s_cbranch_scc0 .LBB159_2894
; %bb.2893:
	s_mov_b32 s0, 0
	v_cndmask_b32_e64 v3, 0, 1, s[20:21]
	v_mov_b32_e32 v4, s0
	global_store_dwordx2 v[1:2], v[3:4], off
	s_mov_b64 s[0:1], 0
.LBB159_2894:
	s_andn2_b64 vcc, exec, s[0:1]
	s_cbranch_vccnz .LBB159_2896
; %bb.2895:
	v_cndmask_b32_e64 v3, 0, 1, s[20:21]
	global_store_dword v[1:2], v3, off
.LBB159_2896:
	s_mov_b64 s[0:1], 0
.LBB159_2897:
	s_andn2_b64 vcc, exec, s[0:1]
	s_cbranch_vccnz .LBB159_2899
; %bb.2898:
	v_cndmask_b32_e64 v3, 0, 1, s[20:21]
	global_store_short v[1:2], v3, off
.LBB159_2899:
	s_mov_b64 s[0:1], 0
.LBB159_2900:
	s_andn2_b64 vcc, exec, s[0:1]
	s_cbranch_vccnz .LBB159_2905
; %bb.2901:
	s_cmp_gt_i32 s24, 0
	s_mov_b64 s[0:1], -1
	s_cbranch_scc0 .LBB159_2903
; %bb.2902:
	v_cndmask_b32_e64 v3, 0, 1, s[20:21]
	global_store_byte v[1:2], v3, off
	s_mov_b64 s[0:1], 0
.LBB159_2903:
	s_andn2_b64 vcc, exec, s[0:1]
	s_cbranch_vccnz .LBB159_2905
; %bb.2904:
	v_cndmask_b32_e64 v3, 0, 1, s[20:21]
	global_store_byte v[1:2], v3, off
.LBB159_2905:
	s_mov_b64 s[6:7], -1
.LBB159_2906:
	s_andn2_b64 vcc, exec, s[6:7]
	s_cbranch_vccnz .LBB159_2983
; %bb.2907:
	v_mov_b32_e32 v1, s9
	v_add_co_u32_e32 v0, vcc, s8, v0
	s_cmp_lt_i32 s24, 11
	v_addc_co_u32_e32 v1, vcc, 0, v1, vcc
	s_cbranch_scc1 .LBB159_2984
; %bb.2908:
	s_mov_b64 s[6:7], -1
	s_mov_b64 s[2:3], 0
	s_cmp_gt_i32 s24, 25
	s_mov_b64 s[0:1], 0
	s_cbranch_scc0 .LBB159_2941
; %bb.2909:
	s_cmp_gt_i32 s24, 28
	s_cbranch_scc0 .LBB159_2925
; %bb.2910:
	s_cmp_gt_i32 s24, 43
	;; [unrolled: 3-line block ×3, first 2 shown]
	s_cbranch_scc0 .LBB159_2915
; %bb.2912:
	s_cmp_eq_u32 s24, 46
	s_mov_b64 s[0:1], -1
	s_cbranch_scc0 .LBB159_2914
; %bb.2913:
	v_cndmask_b32_e64 v2, 0, 1.0, s[10:11]
	v_bfe_u32 v3, v2, 16, 1
	s_movk_i32 s0, 0x7fff
	v_add3_u32 v2, v2, v3, s0
	v_lshrrev_b32_e32 v2, 16, v2
	global_store_dword v[0:1], v2, off
	s_mov_b64 s[0:1], 0
.LBB159_2914:
	s_mov_b64 s[6:7], 0
.LBB159_2915:
	s_and_b64 vcc, exec, s[6:7]
	s_cbranch_vccz .LBB159_2920
; %bb.2916:
	s_cmp_eq_u32 s24, 44
	s_mov_b64 s[0:1], -1
	s_cbranch_scc0 .LBB159_2920
; %bb.2917:
	v_cndmask_b32_e64 v3, 0, 1.0, s[10:11]
	v_lshrrev_b32_e32 v2, 23, v3
	s_movk_i32 s0, 0xff
	v_cmp_ne_u32_e32 vcc, s0, v2
	v_mov_b32_e32 v4, 0xff
	s_and_saveexec_b64 s[6:7], vcc
; %bb.2918:
	s_mov_b32 s0, 0x3fffff
	v_and_b32_e32 v4, 0x400000, v3
	v_and_or_b32 v3, v3, s0, v2
	v_cmp_ne_u32_e32 vcc, 0, v4
	v_cmp_ne_u32_e64 s[0:1], 0, v3
	s_and_b64 s[0:1], vcc, s[0:1]
	v_cndmask_b32_e64 v3, 0, 1, s[0:1]
	v_add_u32_e32 v4, v2, v3
; %bb.2919:
	s_or_b64 exec, exec, s[6:7]
	s_mov_b64 s[0:1], 0
	global_store_byte v[0:1], v4, off
.LBB159_2920:
	s_mov_b64 s[6:7], 0
.LBB159_2921:
	s_and_b64 vcc, exec, s[6:7]
	s_cbranch_vccz .LBB159_2924
; %bb.2922:
	s_cmp_eq_u32 s24, 29
	s_mov_b64 s[0:1], -1
	s_cbranch_scc0 .LBB159_2924
; %bb.2923:
	s_mov_b32 s0, 0
	v_cndmask_b32_e64 v2, 0, 1, s[10:11]
	v_mov_b32_e32 v3, s0
	global_store_dwordx2 v[0:1], v[2:3], off
	s_mov_b64 s[0:1], 0
.LBB159_2924:
	s_mov_b64 s[6:7], 0
.LBB159_2925:
	s_and_b64 vcc, exec, s[6:7]
	s_cbranch_vccz .LBB159_2940
; %bb.2926:
	s_cmp_lt_i32 s24, 27
	s_mov_b64 s[6:7], -1
	s_cbranch_scc1 .LBB159_2932
; %bb.2927:
	s_cmp_gt_i32 s24, 27
	v_cndmask_b32_e64 v2, 0, 1, s[10:11]
	s_cbranch_scc0 .LBB159_2929
; %bb.2928:
	global_store_dword v[0:1], v2, off
	s_mov_b64 s[6:7], 0
.LBB159_2929:
	s_andn2_b64 vcc, exec, s[6:7]
	s_cbranch_vccnz .LBB159_2931
; %bb.2930:
	global_store_short v[0:1], v2, off
.LBB159_2931:
	s_mov_b64 s[6:7], 0
.LBB159_2932:
	s_andn2_b64 vcc, exec, s[6:7]
	s_cbranch_vccnz .LBB159_2940
; %bb.2933:
	v_cndmask_b32_e64 v3, 0, 1.0, s[10:11]
	s_mov_b32 s6, 0x43800000
	v_cmp_gt_u32_e32 vcc, s6, v3
	v_mov_b32_e32 v4, 0x80
	s_and_saveexec_b64 s[6:7], vcc
	s_cbranch_execz .LBB159_2939
; %bb.2934:
	s_mov_b32 s8, 0x3bffffff
	v_cmp_lt_u32_e32 vcc, s8, v3
	s_mov_b64 s[8:9], 0
                                        ; implicit-def: $vgpr2
	s_and_saveexec_b64 s[16:17], vcc
	s_xor_b64 s[16:17], exec, s[16:17]
	s_cbranch_execz .LBB159_3001
; %bb.2935:
	v_bfe_u32 v2, v3, 20, 1
	s_mov_b32 s18, 0x487ffff
	v_add3_u32 v2, v3, v2, s18
	s_mov_b64 s[8:9], exec
	v_lshrrev_b32_e32 v2, 20, v2
                                        ; implicit-def: $vgpr3
	s_andn2_saveexec_b64 s[16:17], s[16:17]
	s_cbranch_execnz .LBB159_3002
.LBB159_2936:
	s_or_b64 exec, exec, s[16:17]
	v_mov_b32_e32 v4, 0
	s_and_saveexec_b64 s[16:17], s[8:9]
.LBB159_2937:
	v_mov_b32_e32 v4, v2
.LBB159_2938:
	s_or_b64 exec, exec, s[16:17]
.LBB159_2939:
	s_or_b64 exec, exec, s[6:7]
	global_store_byte v[0:1], v4, off
.LBB159_2940:
	s_mov_b64 s[6:7], 0
.LBB159_2941:
	s_and_b64 vcc, exec, s[6:7]
	s_cbranch_vccz .LBB159_2981
; %bb.2942:
	s_cmp_gt_i32 s24, 22
	s_mov_b64 s[2:3], -1
	s_cbranch_scc0 .LBB159_2974
; %bb.2943:
	s_cmp_lt_i32 s24, 24
	s_cbranch_scc1 .LBB159_2963
; %bb.2944:
	s_cmp_gt_i32 s24, 24
	s_cbranch_scc0 .LBB159_2952
; %bb.2945:
	v_cndmask_b32_e64 v3, 0, 1.0, s[10:11]
	s_mov_b32 s2, 0x47800000
	v_cmp_gt_u32_e32 vcc, s2, v3
	v_mov_b32_e32 v4, 0x80
	s_and_saveexec_b64 s[2:3], vcc
	s_cbranch_execz .LBB159_2951
; %bb.2946:
	s_mov_b32 s6, 0x37ffffff
	v_cmp_lt_u32_e32 vcc, s6, v3
	s_mov_b64 s[6:7], 0
                                        ; implicit-def: $vgpr2
	s_and_saveexec_b64 s[8:9], vcc
	s_xor_b64 s[8:9], exec, s[8:9]
	s_cbranch_execz .LBB159_3004
; %bb.2947:
	v_bfe_u32 v2, v3, 21, 1
	s_mov_b32 s16, 0x88fffff
	v_add3_u32 v2, v3, v2, s16
	s_mov_b64 s[6:7], exec
	v_lshrrev_b32_e32 v2, 21, v2
                                        ; implicit-def: $vgpr3
	s_andn2_saveexec_b64 s[8:9], s[8:9]
	s_cbranch_execnz .LBB159_3005
.LBB159_2948:
	s_or_b64 exec, exec, s[8:9]
	v_mov_b32_e32 v4, 0
	s_and_saveexec_b64 s[8:9], s[6:7]
.LBB159_2949:
	v_mov_b32_e32 v4, v2
.LBB159_2950:
	s_or_b64 exec, exec, s[8:9]
.LBB159_2951:
	s_or_b64 exec, exec, s[2:3]
	s_mov_b64 s[2:3], 0
	global_store_byte v[0:1], v4, off
.LBB159_2952:
	s_and_b64 vcc, exec, s[2:3]
	s_cbranch_vccz .LBB159_2962
; %bb.2953:
	v_cndmask_b32_e64 v2, 0, 1.0, s[10:11]
	s_mov_b32 s2, 0x43f00000
	v_cmp_gt_u32_e32 vcc, s2, v2
                                        ; implicit-def: $vgpr3
	s_and_saveexec_b64 s[2:3], vcc
	s_xor_b64 s[2:3], exec, s[2:3]
	s_cbranch_execz .LBB159_2959
; %bb.2954:
	s_mov_b32 s6, 0x3c7fffff
	v_cmp_lt_u32_e32 vcc, s6, v2
                                        ; implicit-def: $vgpr3
	s_and_saveexec_b64 s[6:7], vcc
	s_xor_b64 s[6:7], exec, s[6:7]
; %bb.2955:
	v_bfe_u32 v3, v2, 20, 1
	s_mov_b32 s8, 0x407ffff
	v_add3_u32 v2, v2, v3, s8
	v_lshrrev_b32_e32 v3, 20, v2
	v_and_b32_e32 v2, 0xff00000, v2
	s_mov_b32 s8, 0x7f00000
	v_mov_b32_e32 v4, 0x7e
	v_cmp_ne_u32_e32 vcc, s8, v2
	v_cndmask_b32_e32 v3, v4, v3, vcc
                                        ; implicit-def: $vgpr2
; %bb.2956:
	s_andn2_saveexec_b64 s[6:7], s[6:7]
; %bb.2957:
	v_add_f32_e32 v3, 0x46800000, v2
; %bb.2958:
	s_or_b64 exec, exec, s[6:7]
                                        ; implicit-def: $vgpr2
.LBB159_2959:
	s_andn2_saveexec_b64 s[2:3], s[2:3]
; %bb.2960:
	s_mov_b32 s6, 0x7f800000
	v_mov_b32_e32 v3, 0x7e
	v_mov_b32_e32 v4, 0x7f
	v_cmp_lt_u32_e32 vcc, s6, v2
	v_cndmask_b32_e32 v3, v3, v4, vcc
; %bb.2961:
	s_or_b64 exec, exec, s[2:3]
	global_store_byte v[0:1], v3, off
.LBB159_2962:
	s_mov_b64 s[2:3], 0
.LBB159_2963:
	s_andn2_b64 vcc, exec, s[2:3]
	s_cbranch_vccnz .LBB159_2973
; %bb.2964:
	v_cndmask_b32_e64 v2, 0, 1.0, s[10:11]
	s_mov_b32 s2, 0x47800000
	v_cmp_gt_u32_e32 vcc, s2, v2
                                        ; implicit-def: $vgpr3
	s_and_saveexec_b64 s[2:3], vcc
	s_xor_b64 s[2:3], exec, s[2:3]
	s_cbranch_execz .LBB159_2970
; %bb.2965:
	s_mov_b32 s6, 0x387fffff
	v_cmp_lt_u32_e32 vcc, s6, v2
                                        ; implicit-def: $vgpr3
	s_and_saveexec_b64 s[6:7], vcc
	s_xor_b64 s[6:7], exec, s[6:7]
; %bb.2966:
	v_bfe_u32 v3, v2, 21, 1
	s_mov_b32 s8, 0x80fffff
	v_add3_u32 v2, v2, v3, s8
	v_lshrrev_b32_e32 v3, 21, v2
                                        ; implicit-def: $vgpr2
; %bb.2967:
	s_andn2_saveexec_b64 s[6:7], s[6:7]
; %bb.2968:
	v_add_f32_e32 v3, 0x43000000, v2
; %bb.2969:
	s_or_b64 exec, exec, s[6:7]
                                        ; implicit-def: $vgpr2
.LBB159_2970:
	s_andn2_saveexec_b64 s[2:3], s[2:3]
; %bb.2971:
	s_mov_b32 s6, 0x7f800000
	v_mov_b32_e32 v3, 0x7c
	v_mov_b32_e32 v4, 0x7f
	v_cmp_lt_u32_e32 vcc, s6, v2
	v_cndmask_b32_e32 v3, v3, v4, vcc
; %bb.2972:
	s_or_b64 exec, exec, s[2:3]
	global_store_byte v[0:1], v3, off
.LBB159_2973:
	s_mov_b64 s[2:3], 0
.LBB159_2974:
	s_andn2_b64 vcc, exec, s[2:3]
	s_mov_b64 s[2:3], 0
	s_cbranch_vccnz .LBB159_2981
; %bb.2975:
	s_cmp_gt_i32 s24, 14
	s_mov_b64 s[6:7], -1
	s_cbranch_scc0 .LBB159_2979
; %bb.2976:
	s_cmp_eq_u32 s24, 15
	s_mov_b64 s[0:1], -1
	s_cbranch_scc0 .LBB159_2978
; %bb.2977:
	v_cndmask_b32_e64 v2, 0, 1.0, s[10:11]
	v_bfe_u32 v3, v2, 16, 1
	s_movk_i32 s0, 0x7fff
	v_add3_u32 v2, v2, v3, s0
	global_store_short_d16_hi v[0:1], v2, off
	s_mov_b64 s[0:1], 0
.LBB159_2978:
	s_mov_b64 s[6:7], 0
.LBB159_2979:
	s_and_b64 vcc, exec, s[6:7]
	s_cbranch_vccz .LBB159_2981
; %bb.2980:
	s_cmp_lg_u32 s24, 11
	s_mov_b64 s[2:3], -1
	s_cselect_b64 s[0:1], -1, 0
.LBB159_2981:
	s_and_b64 vcc, exec, s[0:1]
	s_cbranch_vccnz .LBB159_3003
.LBB159_2982:
	s_mov_b64 s[0:1], 0
	s_branch .LBB159_2493
.LBB159_2983:
	s_mov_b64 s[0:1], 0
	s_branch .LBB159_2492
.LBB159_2984:
	s_mov_b64 s[2:3], 0
	s_mov_b64 s[0:1], -1
	s_branch .LBB159_2493
.LBB159_2985:
	s_trap 2
	s_mov_b64 s[18:19], 0
	s_or_b64 s[4:5], s[4:5], exec
	s_cbranch_execz .LBB159_2435
	s_branch .LBB159_2436
.LBB159_2986:
	s_andn2_saveexec_b64 s[24:25], s[24:25]
	s_cbranch_execz .LBB159_2576
.LBB159_2987:
	v_add_f32_e32 v1, 0x46000000, v3
	v_and_b32_e32 v1, 0xff, v1
	v_cmp_ne_u32_e32 vcc, 0, v1
	s_andn2_b64 s[22:23], s[22:23], exec
	s_and_b64 s[28:29], vcc, exec
	s_or_b64 s[22:23], s[22:23], s[28:29]
	s_or_b64 exec, exec, s[24:25]
	v_mov_b32_e32 v7, 0
	s_and_saveexec_b64 s[24:25], s[22:23]
	s_cbranch_execnz .LBB159_2577
	s_branch .LBB159_2578
.LBB159_2988:
	s_trap 2
	s_or_b64 s[4:5], s[4:5], exec
	s_cbranch_execz .LBB159_2624
	s_branch .LBB159_2625
.LBB159_2989:
	s_andn2_saveexec_b64 s[22:23], s[22:23]
	s_cbranch_execz .LBB159_2589
.LBB159_2990:
	v_add_f32_e32 v1, 0x42800000, v3
	v_and_b32_e32 v1, 0xff, v1
	v_cmp_ne_u32_e32 vcc, 0, v1
	s_andn2_b64 s[18:19], s[18:19], exec
	s_and_b64 s[24:25], vcc, exec
	s_or_b64 s[18:19], s[18:19], s[24:25]
	s_or_b64 exec, exec, s[22:23]
	v_mov_b32_e32 v7, 0
	s_and_saveexec_b64 s[22:23], s[18:19]
	s_cbranch_execnz .LBB159_2590
	s_branch .LBB159_2591
.LBB159_2991:
	s_andn2_saveexec_b64 s[22:23], s[22:23]
	s_cbranch_execz .LBB159_2697
.LBB159_2992:
	v_add_f32_e32 v1, 0x46000000, v5
	v_and_b32_e32 v1, 0xff, v1
	v_cmp_ne_u32_e32 vcc, 0, v1
	s_andn2_b64 s[18:19], s[18:19], exec
	s_and_b64 s[28:29], vcc, exec
	s_or_b64 s[18:19], s[18:19], s[28:29]
	s_or_b64 exec, exec, s[22:23]
	v_mov_b32_e32 v6, 0
	s_and_saveexec_b64 s[22:23], s[18:19]
	s_cbranch_execnz .LBB159_2698
	s_branch .LBB159_2699
.LBB159_2993:
	s_trap 2
	s_or_b64 s[4:5], s[4:5], exec
	s_cbranch_execz .LBB159_2745
	s_branch .LBB159_2746
.LBB159_2994:
	s_andn2_saveexec_b64 s[18:19], s[18:19]
	s_cbranch_execz .LBB159_2710
.LBB159_2995:
	v_add_f32_e32 v1, 0x42800000, v5
	v_and_b32_e32 v1, 0xff, v1
	v_cmp_ne_u32_e32 vcc, 0, v1
	s_andn2_b64 s[6:7], s[6:7], exec
	s_and_b64 s[22:23], vcc, exec
	s_or_b64 s[6:7], s[6:7], s[22:23]
	s_or_b64 exec, exec, s[18:19]
	v_mov_b32_e32 v6, 0
	s_and_saveexec_b64 s[18:19], s[6:7]
	s_cbranch_execnz .LBB159_2711
	s_branch .LBB159_2712
.LBB159_2996:
	s_andn2_saveexec_b64 s[18:19], s[18:19]
	s_cbranch_execz .LBB159_2816
.LBB159_2997:
	v_add_f32_e32 v3, 0x46000000, v4
	v_and_b32_e32 v3, 0xff, v3
	v_cmp_ne_u32_e32 vcc, 0, v3
	s_andn2_b64 s[16:17], s[16:17], exec
	s_and_b64 s[22:23], vcc, exec
	s_or_b64 s[16:17], s[16:17], s[22:23]
	s_or_b64 exec, exec, s[18:19]
	v_mov_b32_e32 v5, 0
	s_and_saveexec_b64 s[18:19], s[16:17]
	s_cbranch_execnz .LBB159_2817
	s_branch .LBB159_2818
.LBB159_2998:
	s_trap 2
	s_or_b64 s[4:5], s[4:5], exec
	s_cbranch_execz .LBB159_2864
	s_branch .LBB159_2865
.LBB159_2999:
	s_andn2_saveexec_b64 s[16:17], s[16:17]
	s_cbranch_execz .LBB159_2829
.LBB159_3000:
	v_add_f32_e32 v3, 0x42800000, v4
	v_and_b32_e32 v3, 0xff, v3
	v_cmp_ne_u32_e32 vcc, 0, v3
	s_andn2_b64 s[6:7], s[6:7], exec
	s_and_b64 s[18:19], vcc, exec
	s_or_b64 s[6:7], s[6:7], s[18:19]
	s_or_b64 exec, exec, s[16:17]
	v_mov_b32_e32 v5, 0
	s_and_saveexec_b64 s[16:17], s[6:7]
	s_cbranch_execnz .LBB159_2830
	s_branch .LBB159_2831
.LBB159_3001:
	s_andn2_saveexec_b64 s[16:17], s[16:17]
	s_cbranch_execz .LBB159_2936
.LBB159_3002:
	v_add_f32_e32 v2, 0x46000000, v3
	v_and_b32_e32 v2, 0xff, v2
	v_cmp_ne_u32_e32 vcc, 0, v2
	s_andn2_b64 s[8:9], s[8:9], exec
	s_and_b64 s[18:19], vcc, exec
	s_or_b64 s[8:9], s[8:9], s[18:19]
	s_or_b64 exec, exec, s[16:17]
	v_mov_b32_e32 v4, 0
	s_and_saveexec_b64 s[16:17], s[8:9]
	s_cbranch_execnz .LBB159_2937
	s_branch .LBB159_2938
.LBB159_3003:
	s_mov_b64 s[2:3], 0
	s_or_b64 s[4:5], s[4:5], exec
	s_trap 2
	s_branch .LBB159_2982
.LBB159_3004:
	s_andn2_saveexec_b64 s[8:9], s[8:9]
	s_cbranch_execz .LBB159_2948
.LBB159_3005:
	v_add_f32_e32 v2, 0x42800000, v3
	v_and_b32_e32 v2, 0xff, v2
	v_cmp_ne_u32_e32 vcc, 0, v2
	s_andn2_b64 s[6:7], s[6:7], exec
	s_and_b64 s[16:17], vcc, exec
	s_or_b64 s[6:7], s[6:7], s[16:17]
	s_or_b64 exec, exec, s[8:9]
	v_mov_b32_e32 v4, 0
	s_and_saveexec_b64 s[8:9], s[6:7]
	s_cbranch_execnz .LBB159_2949
	s_branch .LBB159_2950
	.section	.rodata,"a",@progbits
	.p2align	6, 0x0
	.amdhsa_kernel _ZN2at6native32elementwise_kernel_manual_unrollILi128ELi4EZNS0_15gpu_kernel_implINS0_12_GLOBAL__N_114CompareFunctorIbEEEEvRNS_18TensorIteratorBaseERKT_EUlibE0_EEviT1_
		.amdhsa_group_segment_fixed_size 0
		.amdhsa_private_segment_fixed_size 0
		.amdhsa_kernarg_size 432
		.amdhsa_user_sgpr_count 6
		.amdhsa_user_sgpr_private_segment_buffer 1
		.amdhsa_user_sgpr_dispatch_ptr 0
		.amdhsa_user_sgpr_queue_ptr 0
		.amdhsa_user_sgpr_kernarg_segment_ptr 1
		.amdhsa_user_sgpr_dispatch_id 0
		.amdhsa_user_sgpr_flat_scratch_init 0
		.amdhsa_user_sgpr_private_segment_size 0
		.amdhsa_uses_dynamic_stack 0
		.amdhsa_system_sgpr_private_segment_wavefront_offset 0
		.amdhsa_system_sgpr_workgroup_id_x 1
		.amdhsa_system_sgpr_workgroup_id_y 0
		.amdhsa_system_sgpr_workgroup_id_z 0
		.amdhsa_system_sgpr_workgroup_info 0
		.amdhsa_system_vgpr_workitem_id 0
		.amdhsa_next_free_vgpr 26
		.amdhsa_next_free_sgpr 80
		.amdhsa_reserve_vcc 1
		.amdhsa_reserve_flat_scratch 0
		.amdhsa_float_round_mode_32 0
		.amdhsa_float_round_mode_16_64 0
		.amdhsa_float_denorm_mode_32 3
		.amdhsa_float_denorm_mode_16_64 3
		.amdhsa_dx10_clamp 1
		.amdhsa_ieee_mode 1
		.amdhsa_fp16_overflow 0
		.amdhsa_exception_fp_ieee_invalid_op 0
		.amdhsa_exception_fp_denorm_src 0
		.amdhsa_exception_fp_ieee_div_zero 0
		.amdhsa_exception_fp_ieee_overflow 0
		.amdhsa_exception_fp_ieee_underflow 0
		.amdhsa_exception_fp_ieee_inexact 0
		.amdhsa_exception_int_div_zero 0
	.end_amdhsa_kernel
	.section	.text._ZN2at6native32elementwise_kernel_manual_unrollILi128ELi4EZNS0_15gpu_kernel_implINS0_12_GLOBAL__N_114CompareFunctorIbEEEEvRNS_18TensorIteratorBaseERKT_EUlibE0_EEviT1_,"axG",@progbits,_ZN2at6native32elementwise_kernel_manual_unrollILi128ELi4EZNS0_15gpu_kernel_implINS0_12_GLOBAL__N_114CompareFunctorIbEEEEvRNS_18TensorIteratorBaseERKT_EUlibE0_EEviT1_,comdat
.Lfunc_end159:
	.size	_ZN2at6native32elementwise_kernel_manual_unrollILi128ELi4EZNS0_15gpu_kernel_implINS0_12_GLOBAL__N_114CompareFunctorIbEEEEvRNS_18TensorIteratorBaseERKT_EUlibE0_EEviT1_, .Lfunc_end159-_ZN2at6native32elementwise_kernel_manual_unrollILi128ELi4EZNS0_15gpu_kernel_implINS0_12_GLOBAL__N_114CompareFunctorIbEEEEvRNS_18TensorIteratorBaseERKT_EUlibE0_EEviT1_
                                        ; -- End function
	.set _ZN2at6native32elementwise_kernel_manual_unrollILi128ELi4EZNS0_15gpu_kernel_implINS0_12_GLOBAL__N_114CompareFunctorIbEEEEvRNS_18TensorIteratorBaseERKT_EUlibE0_EEviT1_.num_vgpr, 26
	.set _ZN2at6native32elementwise_kernel_manual_unrollILi128ELi4EZNS0_15gpu_kernel_implINS0_12_GLOBAL__N_114CompareFunctorIbEEEEvRNS_18TensorIteratorBaseERKT_EUlibE0_EEviT1_.num_agpr, 0
	.set _ZN2at6native32elementwise_kernel_manual_unrollILi128ELi4EZNS0_15gpu_kernel_implINS0_12_GLOBAL__N_114CompareFunctorIbEEEEvRNS_18TensorIteratorBaseERKT_EUlibE0_EEviT1_.numbered_sgpr, 80
	.set _ZN2at6native32elementwise_kernel_manual_unrollILi128ELi4EZNS0_15gpu_kernel_implINS0_12_GLOBAL__N_114CompareFunctorIbEEEEvRNS_18TensorIteratorBaseERKT_EUlibE0_EEviT1_.num_named_barrier, 0
	.set _ZN2at6native32elementwise_kernel_manual_unrollILi128ELi4EZNS0_15gpu_kernel_implINS0_12_GLOBAL__N_114CompareFunctorIbEEEEvRNS_18TensorIteratorBaseERKT_EUlibE0_EEviT1_.private_seg_size, 0
	.set _ZN2at6native32elementwise_kernel_manual_unrollILi128ELi4EZNS0_15gpu_kernel_implINS0_12_GLOBAL__N_114CompareFunctorIbEEEEvRNS_18TensorIteratorBaseERKT_EUlibE0_EEviT1_.uses_vcc, 1
	.set _ZN2at6native32elementwise_kernel_manual_unrollILi128ELi4EZNS0_15gpu_kernel_implINS0_12_GLOBAL__N_114CompareFunctorIbEEEEvRNS_18TensorIteratorBaseERKT_EUlibE0_EEviT1_.uses_flat_scratch, 0
	.set _ZN2at6native32elementwise_kernel_manual_unrollILi128ELi4EZNS0_15gpu_kernel_implINS0_12_GLOBAL__N_114CompareFunctorIbEEEEvRNS_18TensorIteratorBaseERKT_EUlibE0_EEviT1_.has_dyn_sized_stack, 0
	.set _ZN2at6native32elementwise_kernel_manual_unrollILi128ELi4EZNS0_15gpu_kernel_implINS0_12_GLOBAL__N_114CompareFunctorIbEEEEvRNS_18TensorIteratorBaseERKT_EUlibE0_EEviT1_.has_recursion, 0
	.set _ZN2at6native32elementwise_kernel_manual_unrollILi128ELi4EZNS0_15gpu_kernel_implINS0_12_GLOBAL__N_114CompareFunctorIbEEEEvRNS_18TensorIteratorBaseERKT_EUlibE0_EEviT1_.has_indirect_call, 0
	.section	.AMDGPU.csdata,"",@progbits
; Kernel info:
; codeLenInByte = 44392
; TotalNumSgprs: 84
; NumVgprs: 26
; ScratchSize: 0
; MemoryBound: 1
; FloatMode: 240
; IeeeMode: 1
; LDSByteSize: 0 bytes/workgroup (compile time only)
; SGPRBlocks: 10
; VGPRBlocks: 6
; NumSGPRsForWavesPerEU: 84
; NumVGPRsForWavesPerEU: 26
; Occupancy: 9
; WaveLimiterHint : 1
; COMPUTE_PGM_RSRC2:SCRATCH_EN: 0
; COMPUTE_PGM_RSRC2:USER_SGPR: 6
; COMPUTE_PGM_RSRC2:TRAP_HANDLER: 0
; COMPUTE_PGM_RSRC2:TGID_X_EN: 1
; COMPUTE_PGM_RSRC2:TGID_Y_EN: 0
; COMPUTE_PGM_RSRC2:TGID_Z_EN: 0
; COMPUTE_PGM_RSRC2:TIDIG_COMP_CNT: 0
	.section	.AMDGPU.gpr_maximums,"",@progbits
	.set amdgpu.max_num_vgpr, 0
	.set amdgpu.max_num_agpr, 0
	.set amdgpu.max_num_sgpr, 0
	.section	.AMDGPU.csdata,"",@progbits
	.type	__hip_cuid_f79129908b311550,@object ; @__hip_cuid_f79129908b311550
	.section	.bss,"aw",@nobits
	.globl	__hip_cuid_f79129908b311550
__hip_cuid_f79129908b311550:
	.byte	0                               ; 0x0
	.size	__hip_cuid_f79129908b311550, 1

	.ident	"AMD clang version 22.0.0git (https://github.com/RadeonOpenCompute/llvm-project roc-7.2.4 26084 f58b06dce1f9c15707c5f808fd002e18c2accf7e)"
	.section	".note.GNU-stack","",@progbits
	.addrsig
	.addrsig_sym __hip_cuid_f79129908b311550
	.amdgpu_metadata
---
amdhsa.kernels:
  - .args:
      - .offset:         0
        .size:           4
        .value_kind:     by_value
      - .offset:         4
        .size:           8
        .value_kind:     by_value
      - .offset:         16
        .size:           16
        .value_kind:     by_value
    .group_segment_fixed_size: 0
    .kernarg_segment_align: 8
    .kernarg_segment_size: 32
    .language:       OpenCL C
    .language_version:
      - 2
      - 0
    .max_flat_workgroup_size: 256
    .name:           _ZN2at6native29vectorized_elementwise_kernelILi16EZNS0_21compare_scalar_kernelIhEEvRNS_18TensorIteratorBaseENS0_12_GLOBAL__N_16OpTypeET_EUlhE_St5arrayIPcLm2EEEEviT0_T1_
    .private_segment_fixed_size: 0
    .sgpr_count:     52
    .sgpr_spill_count: 0
    .symbol:         _ZN2at6native29vectorized_elementwise_kernelILi16EZNS0_21compare_scalar_kernelIhEEvRNS_18TensorIteratorBaseENS0_12_GLOBAL__N_16OpTypeET_EUlhE_St5arrayIPcLm2EEEEviT0_T1_.kd
    .uniform_work_group_size: 1
    .uses_dynamic_stack: false
    .vgpr_count:     22
    .vgpr_spill_count: 0
    .wavefront_size: 64
  - .args:
      - .offset:         0
        .size:           4
        .value_kind:     by_value
      - .offset:         4
        .size:           8
        .value_kind:     by_value
      - .offset:         16
        .size:           16
        .value_kind:     by_value
    .group_segment_fixed_size: 0
    .kernarg_segment_align: 8
    .kernarg_segment_size: 32
    .language:       OpenCL C
    .language_version:
      - 2
      - 0
    .max_flat_workgroup_size: 256
    .name:           _ZN2at6native29vectorized_elementwise_kernelILi8EZNS0_21compare_scalar_kernelIhEEvRNS_18TensorIteratorBaseENS0_12_GLOBAL__N_16OpTypeET_EUlhE_St5arrayIPcLm2EEEEviT0_T1_
    .private_segment_fixed_size: 0
    .sgpr_count:     52
    .sgpr_spill_count: 0
    .symbol:         _ZN2at6native29vectorized_elementwise_kernelILi8EZNS0_21compare_scalar_kernelIhEEvRNS_18TensorIteratorBaseENS0_12_GLOBAL__N_16OpTypeET_EUlhE_St5arrayIPcLm2EEEEviT0_T1_.kd
    .uniform_work_group_size: 1
    .uses_dynamic_stack: false
    .vgpr_count:     22
    .vgpr_spill_count: 0
    .wavefront_size: 64
  - .args:
      - .offset:         0
        .size:           4
        .value_kind:     by_value
      - .offset:         4
        .size:           8
        .value_kind:     by_value
      - .offset:         16
        .size:           16
        .value_kind:     by_value
    .group_segment_fixed_size: 0
    .kernarg_segment_align: 8
    .kernarg_segment_size: 32
    .language:       OpenCL C
    .language_version:
      - 2
      - 0
    .max_flat_workgroup_size: 256
    .name:           _ZN2at6native29vectorized_elementwise_kernelILi4EZNS0_21compare_scalar_kernelIhEEvRNS_18TensorIteratorBaseENS0_12_GLOBAL__N_16OpTypeET_EUlhE_St5arrayIPcLm2EEEEviT0_T1_
    .private_segment_fixed_size: 0
    .sgpr_count:     52
    .sgpr_spill_count: 0
    .symbol:         _ZN2at6native29vectorized_elementwise_kernelILi4EZNS0_21compare_scalar_kernelIhEEvRNS_18TensorIteratorBaseENS0_12_GLOBAL__N_16OpTypeET_EUlhE_St5arrayIPcLm2EEEEviT0_T1_.kd
    .uniform_work_group_size: 1
    .uses_dynamic_stack: false
    .vgpr_count:     22
    .vgpr_spill_count: 0
    .wavefront_size: 64
  - .args:
      - .offset:         0
        .size:           4
        .value_kind:     by_value
      - .offset:         4
        .size:           8
        .value_kind:     by_value
      - .offset:         16
        .size:           16
        .value_kind:     by_value
    .group_segment_fixed_size: 0
    .kernarg_segment_align: 8
    .kernarg_segment_size: 32
    .language:       OpenCL C
    .language_version:
      - 2
      - 0
    .max_flat_workgroup_size: 256
    .name:           _ZN2at6native29vectorized_elementwise_kernelILi2EZNS0_21compare_scalar_kernelIhEEvRNS_18TensorIteratorBaseENS0_12_GLOBAL__N_16OpTypeET_EUlhE_St5arrayIPcLm2EEEEviT0_T1_
    .private_segment_fixed_size: 0
    .sgpr_count:     52
    .sgpr_spill_count: 0
    .symbol:         _ZN2at6native29vectorized_elementwise_kernelILi2EZNS0_21compare_scalar_kernelIhEEvRNS_18TensorIteratorBaseENS0_12_GLOBAL__N_16OpTypeET_EUlhE_St5arrayIPcLm2EEEEviT0_T1_.kd
    .uniform_work_group_size: 1
    .uses_dynamic_stack: false
    .vgpr_count:     22
    .vgpr_spill_count: 0
    .wavefront_size: 64
  - .args:
      - .offset:         0
        .size:           4
        .value_kind:     by_value
      - .offset:         4
        .size:           8
        .value_kind:     by_value
      - .offset:         16
        .size:           16
        .value_kind:     by_value
      - .offset:         32
        .size:           1
        .value_kind:     by_value
      - .offset:         33
        .size:           1
        .value_kind:     by_value
      - .offset:         34
        .size:           1
        .value_kind:     by_value
      - .offset:         35
        .size:           1
        .value_kind:     by_value
    .group_segment_fixed_size: 0
    .kernarg_segment_align: 8
    .kernarg_segment_size: 36
    .language:       OpenCL C
    .language_version:
      - 2
      - 0
    .max_flat_workgroup_size: 256
    .name:           _ZN2at6native27unrolled_elementwise_kernelIZNS0_21compare_scalar_kernelIhEEvRNS_18TensorIteratorBaseENS0_12_GLOBAL__N_16OpTypeET_EUlhE_St5arrayIPcLm2EELi4E23TrivialOffsetCalculatorILi1EjESD_NS0_6memory15LoadWithoutCastENSE_16StoreWithoutCastEEEviS7_T0_T2_T3_T4_T5_
    .private_segment_fixed_size: 0
    .sgpr_count:     22
    .sgpr_spill_count: 0
    .symbol:         _ZN2at6native27unrolled_elementwise_kernelIZNS0_21compare_scalar_kernelIhEEvRNS_18TensorIteratorBaseENS0_12_GLOBAL__N_16OpTypeET_EUlhE_St5arrayIPcLm2EELi4E23TrivialOffsetCalculatorILi1EjESD_NS0_6memory15LoadWithoutCastENSE_16StoreWithoutCastEEEviS7_T0_T2_T3_T4_T5_.kd
    .uniform_work_group_size: 1
    .uses_dynamic_stack: false
    .vgpr_count:     8
    .vgpr_spill_count: 0
    .wavefront_size: 64
  - .args:
      - .offset:         0
        .size:           4
        .value_kind:     by_value
      - .offset:         8
        .size:           352
        .value_kind:     by_value
    .group_segment_fixed_size: 0
    .kernarg_segment_align: 8
    .kernarg_segment_size: 360
    .language:       OpenCL C
    .language_version:
      - 2
      - 0
    .max_flat_workgroup_size: 128
    .name:           _ZN2at6native32elementwise_kernel_manual_unrollILi128ELi8EZNS0_22gpu_kernel_impl_nocastIZNS0_21compare_scalar_kernelIhEEvRNS_18TensorIteratorBaseENS0_12_GLOBAL__N_16OpTypeET_EUlhE_EEvS5_RKS8_EUlibE_EEviT1_
    .private_segment_fixed_size: 0
    .sgpr_count:     66
    .sgpr_spill_count: 0
    .symbol:         _ZN2at6native32elementwise_kernel_manual_unrollILi128ELi8EZNS0_22gpu_kernel_impl_nocastIZNS0_21compare_scalar_kernelIhEEvRNS_18TensorIteratorBaseENS0_12_GLOBAL__N_16OpTypeET_EUlhE_EEvS5_RKS8_EUlibE_EEviT1_.kd
    .uniform_work_group_size: 1
    .uses_dynamic_stack: false
    .vgpr_count:     26
    .vgpr_spill_count: 0
    .wavefront_size: 64
  - .args:
      - .offset:         0
        .size:           4
        .value_kind:     by_value
      - .offset:         8
        .size:           40
        .value_kind:     by_value
    .group_segment_fixed_size: 0
    .kernarg_segment_align: 8
    .kernarg_segment_size: 48
    .language:       OpenCL C
    .language_version:
      - 2
      - 0
    .max_flat_workgroup_size: 128
    .name:           _ZN2at6native32elementwise_kernel_manual_unrollILi128ELi4EZNS0_15gpu_kernel_implIZNS0_21compare_scalar_kernelIhEEvRNS_18TensorIteratorBaseENS0_12_GLOBAL__N_16OpTypeET_EUlhE_EEvS5_RKS8_EUlibE_EEviT1_
    .private_segment_fixed_size: 0
    .sgpr_count:     50
    .sgpr_spill_count: 0
    .symbol:         _ZN2at6native32elementwise_kernel_manual_unrollILi128ELi4EZNS0_15gpu_kernel_implIZNS0_21compare_scalar_kernelIhEEvRNS_18TensorIteratorBaseENS0_12_GLOBAL__N_16OpTypeET_EUlhE_EEvS5_RKS8_EUlibE_EEviT1_.kd
    .uniform_work_group_size: 1
    .uses_dynamic_stack: false
    .vgpr_count:     10
    .vgpr_spill_count: 0
    .wavefront_size: 64
  - .args:
      - .offset:         0
        .size:           4
        .value_kind:     by_value
      - .offset:         8
        .size:           360
        .value_kind:     by_value
    .group_segment_fixed_size: 0
    .kernarg_segment_align: 8
    .kernarg_segment_size: 368
    .language:       OpenCL C
    .language_version:
      - 2
      - 0
    .max_flat_workgroup_size: 128
    .name:           _ZN2at6native32elementwise_kernel_manual_unrollILi128ELi4EZNS0_15gpu_kernel_implIZNS0_21compare_scalar_kernelIhEEvRNS_18TensorIteratorBaseENS0_12_GLOBAL__N_16OpTypeET_EUlhE_EEvS5_RKS8_EUlibE0_EEviT1_
    .private_segment_fixed_size: 0
    .sgpr_count:     84
    .sgpr_spill_count: 0
    .symbol:         _ZN2at6native32elementwise_kernel_manual_unrollILi128ELi4EZNS0_15gpu_kernel_implIZNS0_21compare_scalar_kernelIhEEvRNS_18TensorIteratorBaseENS0_12_GLOBAL__N_16OpTypeET_EUlhE_EEvS5_RKS8_EUlibE0_EEviT1_.kd
    .uniform_work_group_size: 1
    .uses_dynamic_stack: false
    .vgpr_count:     18
    .vgpr_spill_count: 0
    .wavefront_size: 64
  - .args:
      - .offset:         0
        .size:           4
        .value_kind:     by_value
      - .offset:         4
        .size:           4
        .value_kind:     by_value
      - .offset:         8
        .size:           24
        .value_kind:     by_value
    .group_segment_fixed_size: 0
    .kernarg_segment_align: 8
    .kernarg_segment_size: 32
    .language:       OpenCL C
    .language_version:
      - 2
      - 0
    .max_flat_workgroup_size: 256
    .name:           _ZN2at6native29vectorized_elementwise_kernelILi16ENS0_12_GLOBAL__N_114CompareFunctorIhEESt5arrayIPcLm3EEEEviT0_T1_
    .private_segment_fixed_size: 0
    .sgpr_count:     53
    .sgpr_spill_count: 0
    .symbol:         _ZN2at6native29vectorized_elementwise_kernelILi16ENS0_12_GLOBAL__N_114CompareFunctorIhEESt5arrayIPcLm3EEEEviT0_T1_.kd
    .uniform_work_group_size: 1
    .uses_dynamic_stack: false
    .vgpr_count:     39
    .vgpr_spill_count: 0
    .wavefront_size: 64
  - .args:
      - .offset:         0
        .size:           4
        .value_kind:     by_value
      - .offset:         4
        .size:           4
        .value_kind:     by_value
      - .offset:         8
        .size:           24
        .value_kind:     by_value
    .group_segment_fixed_size: 0
    .kernarg_segment_align: 8
    .kernarg_segment_size: 32
    .language:       OpenCL C
    .language_version:
      - 2
      - 0
    .max_flat_workgroup_size: 256
    .name:           _ZN2at6native29vectorized_elementwise_kernelILi8ENS0_12_GLOBAL__N_114CompareFunctorIhEESt5arrayIPcLm3EEEEviT0_T1_
    .private_segment_fixed_size: 0
    .sgpr_count:     53
    .sgpr_spill_count: 0
    .symbol:         _ZN2at6native29vectorized_elementwise_kernelILi8ENS0_12_GLOBAL__N_114CompareFunctorIhEESt5arrayIPcLm3EEEEviT0_T1_.kd
    .uniform_work_group_size: 1
    .uses_dynamic_stack: false
    .vgpr_count:     39
    .vgpr_spill_count: 0
    .wavefront_size: 64
  - .args:
      - .offset:         0
        .size:           4
        .value_kind:     by_value
      - .offset:         4
        .size:           4
        .value_kind:     by_value
      - .offset:         8
        .size:           24
        .value_kind:     by_value
    .group_segment_fixed_size: 0
    .kernarg_segment_align: 8
    .kernarg_segment_size: 32
    .language:       OpenCL C
    .language_version:
      - 2
      - 0
    .max_flat_workgroup_size: 256
    .name:           _ZN2at6native29vectorized_elementwise_kernelILi4ENS0_12_GLOBAL__N_114CompareFunctorIhEESt5arrayIPcLm3EEEEviT0_T1_
    .private_segment_fixed_size: 0
    .sgpr_count:     53
    .sgpr_spill_count: 0
    .symbol:         _ZN2at6native29vectorized_elementwise_kernelILi4ENS0_12_GLOBAL__N_114CompareFunctorIhEESt5arrayIPcLm3EEEEviT0_T1_.kd
    .uniform_work_group_size: 1
    .uses_dynamic_stack: false
    .vgpr_count:     39
    .vgpr_spill_count: 0
    .wavefront_size: 64
  - .args:
      - .offset:         0
        .size:           4
        .value_kind:     by_value
      - .offset:         4
        .size:           4
        .value_kind:     by_value
      - .offset:         8
        .size:           24
        .value_kind:     by_value
    .group_segment_fixed_size: 0
    .kernarg_segment_align: 8
    .kernarg_segment_size: 32
    .language:       OpenCL C
    .language_version:
      - 2
      - 0
    .max_flat_workgroup_size: 256
    .name:           _ZN2at6native29vectorized_elementwise_kernelILi2ENS0_12_GLOBAL__N_114CompareFunctorIhEESt5arrayIPcLm3EEEEviT0_T1_
    .private_segment_fixed_size: 0
    .sgpr_count:     53
    .sgpr_spill_count: 0
    .symbol:         _ZN2at6native29vectorized_elementwise_kernelILi2ENS0_12_GLOBAL__N_114CompareFunctorIhEESt5arrayIPcLm3EEEEviT0_T1_.kd
    .uniform_work_group_size: 1
    .uses_dynamic_stack: false
    .vgpr_count:     39
    .vgpr_spill_count: 0
    .wavefront_size: 64
  - .args:
      - .offset:         0
        .size:           4
        .value_kind:     by_value
      - .offset:         4
        .size:           4
        .value_kind:     by_value
      - .offset:         8
        .size:           24
        .value_kind:     by_value
      - .offset:         32
        .size:           1
        .value_kind:     by_value
      - .offset:         33
        .size:           1
        .value_kind:     by_value
      - .offset:         34
        .size:           1
        .value_kind:     by_value
      - .offset:         35
        .size:           1
        .value_kind:     by_value
    .group_segment_fixed_size: 0
    .kernarg_segment_align: 8
    .kernarg_segment_size: 36
    .language:       OpenCL C
    .language_version:
      - 2
      - 0
    .max_flat_workgroup_size: 256
    .name:           _ZN2at6native27unrolled_elementwise_kernelINS0_12_GLOBAL__N_114CompareFunctorIhEESt5arrayIPcLm3EELi4E23TrivialOffsetCalculatorILi2EjES8_ILi1EjENS0_6memory15LoadWithoutCastENSB_16StoreWithoutCastEEEviT_T0_T2_T3_T4_T5_
    .private_segment_fixed_size: 0
    .sgpr_count:     23
    .sgpr_spill_count: 0
    .symbol:         _ZN2at6native27unrolled_elementwise_kernelINS0_12_GLOBAL__N_114CompareFunctorIhEESt5arrayIPcLm3EELi4E23TrivialOffsetCalculatorILi2EjES8_ILi1EjENS0_6memory15LoadWithoutCastENSB_16StoreWithoutCastEEEviT_T0_T2_T3_T4_T5_.kd
    .uniform_work_group_size: 1
    .uses_dynamic_stack: false
    .vgpr_count:     12
    .vgpr_spill_count: 0
    .wavefront_size: 64
  - .args:
      - .offset:         0
        .size:           4
        .value_kind:     by_value
      - .offset:         8
        .size:           424
        .value_kind:     by_value
    .group_segment_fixed_size: 0
    .kernarg_segment_align: 8
    .kernarg_segment_size: 432
    .language:       OpenCL C
    .language_version:
      - 2
      - 0
    .max_flat_workgroup_size: 128
    .name:           _ZN2at6native32elementwise_kernel_manual_unrollILi128ELi8EZNS0_22gpu_kernel_impl_nocastINS0_12_GLOBAL__N_114CompareFunctorIhEEEEvRNS_18TensorIteratorBaseERKT_EUlibE_EEviT1_
    .private_segment_fixed_size: 0
    .sgpr_count:     56
    .sgpr_spill_count: 0
    .symbol:         _ZN2at6native32elementwise_kernel_manual_unrollILi128ELi8EZNS0_22gpu_kernel_impl_nocastINS0_12_GLOBAL__N_114CompareFunctorIhEEEEvRNS_18TensorIteratorBaseERKT_EUlibE_EEviT1_.kd
    .uniform_work_group_size: 1
    .uses_dynamic_stack: false
    .vgpr_count:     38
    .vgpr_spill_count: 0
    .wavefront_size: 64
  - .args:
      - .offset:         0
        .size:           4
        .value_kind:     by_value
      - .offset:         8
        .size:           48
        .value_kind:     by_value
    .group_segment_fixed_size: 0
    .kernarg_segment_align: 8
    .kernarg_segment_size: 56
    .language:       OpenCL C
    .language_version:
      - 2
      - 0
    .max_flat_workgroup_size: 128
    .name:           _ZN2at6native32elementwise_kernel_manual_unrollILi128ELi4EZNS0_15gpu_kernel_implINS0_12_GLOBAL__N_114CompareFunctorIhEEEEvRNS_18TensorIteratorBaseERKT_EUlibE_EEviT1_
    .private_segment_fixed_size: 0
    .sgpr_count:     61
    .sgpr_spill_count: 0
    .symbol:         _ZN2at6native32elementwise_kernel_manual_unrollILi128ELi4EZNS0_15gpu_kernel_implINS0_12_GLOBAL__N_114CompareFunctorIhEEEEvRNS_18TensorIteratorBaseERKT_EUlibE_EEviT1_.kd
    .uniform_work_group_size: 1
    .uses_dynamic_stack: false
    .vgpr_count:     12
    .vgpr_spill_count: 0
    .wavefront_size: 64
  - .args:
      - .offset:         0
        .size:           4
        .value_kind:     by_value
      - .offset:         8
        .size:           424
        .value_kind:     by_value
    .group_segment_fixed_size: 0
    .kernarg_segment_align: 8
    .kernarg_segment_size: 432
    .language:       OpenCL C
    .language_version:
      - 2
      - 0
    .max_flat_workgroup_size: 128
    .name:           _ZN2at6native32elementwise_kernel_manual_unrollILi128ELi4EZNS0_15gpu_kernel_implINS0_12_GLOBAL__N_114CompareFunctorIhEEEEvRNS_18TensorIteratorBaseERKT_EUlibE0_EEviT1_
    .private_segment_fixed_size: 0
    .sgpr_count:     84
    .sgpr_spill_count: 0
    .symbol:         _ZN2at6native32elementwise_kernel_manual_unrollILi128ELi4EZNS0_15gpu_kernel_implINS0_12_GLOBAL__N_114CompareFunctorIhEEEEvRNS_18TensorIteratorBaseERKT_EUlibE0_EEviT1_.kd
    .uniform_work_group_size: 1
    .uses_dynamic_stack: false
    .vgpr_count:     26
    .vgpr_spill_count: 0
    .wavefront_size: 64
  - .args:
      - .offset:         0
        .size:           4
        .value_kind:     by_value
      - .offset:         4
        .size:           8
        .value_kind:     by_value
      - .offset:         16
        .size:           16
        .value_kind:     by_value
    .group_segment_fixed_size: 0
    .kernarg_segment_align: 8
    .kernarg_segment_size: 32
    .language:       OpenCL C
    .language_version:
      - 2
      - 0
    .max_flat_workgroup_size: 256
    .name:           _ZN2at6native29vectorized_elementwise_kernelILi16EZNS0_21compare_scalar_kernelIaEEvRNS_18TensorIteratorBaseENS0_12_GLOBAL__N_16OpTypeET_EUlaE_St5arrayIPcLm2EEEEviT0_T1_
    .private_segment_fixed_size: 0
    .sgpr_count:     52
    .sgpr_spill_count: 0
    .symbol:         _ZN2at6native29vectorized_elementwise_kernelILi16EZNS0_21compare_scalar_kernelIaEEvRNS_18TensorIteratorBaseENS0_12_GLOBAL__N_16OpTypeET_EUlaE_St5arrayIPcLm2EEEEviT0_T1_.kd
    .uniform_work_group_size: 1
    .uses_dynamic_stack: false
    .vgpr_count:     22
    .vgpr_spill_count: 0
    .wavefront_size: 64
  - .args:
      - .offset:         0
        .size:           4
        .value_kind:     by_value
      - .offset:         4
        .size:           8
        .value_kind:     by_value
      - .offset:         16
        .size:           16
        .value_kind:     by_value
    .group_segment_fixed_size: 0
    .kernarg_segment_align: 8
    .kernarg_segment_size: 32
    .language:       OpenCL C
    .language_version:
      - 2
      - 0
    .max_flat_workgroup_size: 256
    .name:           _ZN2at6native29vectorized_elementwise_kernelILi8EZNS0_21compare_scalar_kernelIaEEvRNS_18TensorIteratorBaseENS0_12_GLOBAL__N_16OpTypeET_EUlaE_St5arrayIPcLm2EEEEviT0_T1_
    .private_segment_fixed_size: 0
    .sgpr_count:     52
    .sgpr_spill_count: 0
    .symbol:         _ZN2at6native29vectorized_elementwise_kernelILi8EZNS0_21compare_scalar_kernelIaEEvRNS_18TensorIteratorBaseENS0_12_GLOBAL__N_16OpTypeET_EUlaE_St5arrayIPcLm2EEEEviT0_T1_.kd
    .uniform_work_group_size: 1
    .uses_dynamic_stack: false
    .vgpr_count:     22
    .vgpr_spill_count: 0
    .wavefront_size: 64
  - .args:
      - .offset:         0
        .size:           4
        .value_kind:     by_value
      - .offset:         4
        .size:           8
        .value_kind:     by_value
      - .offset:         16
        .size:           16
        .value_kind:     by_value
    .group_segment_fixed_size: 0
    .kernarg_segment_align: 8
    .kernarg_segment_size: 32
    .language:       OpenCL C
    .language_version:
      - 2
      - 0
    .max_flat_workgroup_size: 256
    .name:           _ZN2at6native29vectorized_elementwise_kernelILi4EZNS0_21compare_scalar_kernelIaEEvRNS_18TensorIteratorBaseENS0_12_GLOBAL__N_16OpTypeET_EUlaE_St5arrayIPcLm2EEEEviT0_T1_
    .private_segment_fixed_size: 0
    .sgpr_count:     52
    .sgpr_spill_count: 0
    .symbol:         _ZN2at6native29vectorized_elementwise_kernelILi4EZNS0_21compare_scalar_kernelIaEEvRNS_18TensorIteratorBaseENS0_12_GLOBAL__N_16OpTypeET_EUlaE_St5arrayIPcLm2EEEEviT0_T1_.kd
    .uniform_work_group_size: 1
    .uses_dynamic_stack: false
    .vgpr_count:     22
    .vgpr_spill_count: 0
    .wavefront_size: 64
  - .args:
      - .offset:         0
        .size:           4
        .value_kind:     by_value
      - .offset:         4
        .size:           8
        .value_kind:     by_value
      - .offset:         16
        .size:           16
        .value_kind:     by_value
    .group_segment_fixed_size: 0
    .kernarg_segment_align: 8
    .kernarg_segment_size: 32
    .language:       OpenCL C
    .language_version:
      - 2
      - 0
    .max_flat_workgroup_size: 256
    .name:           _ZN2at6native29vectorized_elementwise_kernelILi2EZNS0_21compare_scalar_kernelIaEEvRNS_18TensorIteratorBaseENS0_12_GLOBAL__N_16OpTypeET_EUlaE_St5arrayIPcLm2EEEEviT0_T1_
    .private_segment_fixed_size: 0
    .sgpr_count:     52
    .sgpr_spill_count: 0
    .symbol:         _ZN2at6native29vectorized_elementwise_kernelILi2EZNS0_21compare_scalar_kernelIaEEvRNS_18TensorIteratorBaseENS0_12_GLOBAL__N_16OpTypeET_EUlaE_St5arrayIPcLm2EEEEviT0_T1_.kd
    .uniform_work_group_size: 1
    .uses_dynamic_stack: false
    .vgpr_count:     22
    .vgpr_spill_count: 0
    .wavefront_size: 64
  - .args:
      - .offset:         0
        .size:           4
        .value_kind:     by_value
      - .offset:         4
        .size:           8
        .value_kind:     by_value
      - .offset:         16
        .size:           16
        .value_kind:     by_value
      - .offset:         32
        .size:           1
        .value_kind:     by_value
      - .offset:         33
        .size:           1
        .value_kind:     by_value
      - .offset:         34
        .size:           1
        .value_kind:     by_value
      - .offset:         35
        .size:           1
        .value_kind:     by_value
    .group_segment_fixed_size: 0
    .kernarg_segment_align: 8
    .kernarg_segment_size: 36
    .language:       OpenCL C
    .language_version:
      - 2
      - 0
    .max_flat_workgroup_size: 256
    .name:           _ZN2at6native27unrolled_elementwise_kernelIZNS0_21compare_scalar_kernelIaEEvRNS_18TensorIteratorBaseENS0_12_GLOBAL__N_16OpTypeET_EUlaE_St5arrayIPcLm2EELi4E23TrivialOffsetCalculatorILi1EjESD_NS0_6memory15LoadWithoutCastENSE_16StoreWithoutCastEEEviS7_T0_T2_T3_T4_T5_
    .private_segment_fixed_size: 0
    .sgpr_count:     23
    .sgpr_spill_count: 0
    .symbol:         _ZN2at6native27unrolled_elementwise_kernelIZNS0_21compare_scalar_kernelIaEEvRNS_18TensorIteratorBaseENS0_12_GLOBAL__N_16OpTypeET_EUlaE_St5arrayIPcLm2EELi4E23TrivialOffsetCalculatorILi1EjESD_NS0_6memory15LoadWithoutCastENSE_16StoreWithoutCastEEEviS7_T0_T2_T3_T4_T5_.kd
    .uniform_work_group_size: 1
    .uses_dynamic_stack: false
    .vgpr_count:     8
    .vgpr_spill_count: 0
    .wavefront_size: 64
  - .args:
      - .offset:         0
        .size:           4
        .value_kind:     by_value
      - .offset:         8
        .size:           352
        .value_kind:     by_value
    .group_segment_fixed_size: 0
    .kernarg_segment_align: 8
    .kernarg_segment_size: 360
    .language:       OpenCL C
    .language_version:
      - 2
      - 0
    .max_flat_workgroup_size: 128
    .name:           _ZN2at6native32elementwise_kernel_manual_unrollILi128ELi8EZNS0_22gpu_kernel_impl_nocastIZNS0_21compare_scalar_kernelIaEEvRNS_18TensorIteratorBaseENS0_12_GLOBAL__N_16OpTypeET_EUlaE_EEvS5_RKS8_EUlibE_EEviT1_
    .private_segment_fixed_size: 0
    .sgpr_count:     66
    .sgpr_spill_count: 0
    .symbol:         _ZN2at6native32elementwise_kernel_manual_unrollILi128ELi8EZNS0_22gpu_kernel_impl_nocastIZNS0_21compare_scalar_kernelIaEEvRNS_18TensorIteratorBaseENS0_12_GLOBAL__N_16OpTypeET_EUlaE_EEvS5_RKS8_EUlibE_EEviT1_.kd
    .uniform_work_group_size: 1
    .uses_dynamic_stack: false
    .vgpr_count:     26
    .vgpr_spill_count: 0
    .wavefront_size: 64
  - .args:
      - .offset:         0
        .size:           4
        .value_kind:     by_value
      - .offset:         8
        .size:           40
        .value_kind:     by_value
    .group_segment_fixed_size: 0
    .kernarg_segment_align: 8
    .kernarg_segment_size: 48
    .language:       OpenCL C
    .language_version:
      - 2
      - 0
    .max_flat_workgroup_size: 128
    .name:           _ZN2at6native32elementwise_kernel_manual_unrollILi128ELi4EZNS0_15gpu_kernel_implIZNS0_21compare_scalar_kernelIaEEvRNS_18TensorIteratorBaseENS0_12_GLOBAL__N_16OpTypeET_EUlaE_EEvS5_RKS8_EUlibE_EEviT1_
    .private_segment_fixed_size: 0
    .sgpr_count:     50
    .sgpr_spill_count: 0
    .symbol:         _ZN2at6native32elementwise_kernel_manual_unrollILi128ELi4EZNS0_15gpu_kernel_implIZNS0_21compare_scalar_kernelIaEEvRNS_18TensorIteratorBaseENS0_12_GLOBAL__N_16OpTypeET_EUlaE_EEvS5_RKS8_EUlibE_EEviT1_.kd
    .uniform_work_group_size: 1
    .uses_dynamic_stack: false
    .vgpr_count:     10
    .vgpr_spill_count: 0
    .wavefront_size: 64
  - .args:
      - .offset:         0
        .size:           4
        .value_kind:     by_value
      - .offset:         8
        .size:           360
        .value_kind:     by_value
    .group_segment_fixed_size: 0
    .kernarg_segment_align: 8
    .kernarg_segment_size: 368
    .language:       OpenCL C
    .language_version:
      - 2
      - 0
    .max_flat_workgroup_size: 128
    .name:           _ZN2at6native32elementwise_kernel_manual_unrollILi128ELi4EZNS0_15gpu_kernel_implIZNS0_21compare_scalar_kernelIaEEvRNS_18TensorIteratorBaseENS0_12_GLOBAL__N_16OpTypeET_EUlaE_EEvS5_RKS8_EUlibE0_EEviT1_
    .private_segment_fixed_size: 0
    .sgpr_count:     84
    .sgpr_spill_count: 0
    .symbol:         _ZN2at6native32elementwise_kernel_manual_unrollILi128ELi4EZNS0_15gpu_kernel_implIZNS0_21compare_scalar_kernelIaEEvRNS_18TensorIteratorBaseENS0_12_GLOBAL__N_16OpTypeET_EUlaE_EEvS5_RKS8_EUlibE0_EEviT1_.kd
    .uniform_work_group_size: 1
    .uses_dynamic_stack: false
    .vgpr_count:     18
    .vgpr_spill_count: 0
    .wavefront_size: 64
  - .args:
      - .offset:         0
        .size:           4
        .value_kind:     by_value
      - .offset:         4
        .size:           4
        .value_kind:     by_value
      - .offset:         8
        .size:           24
        .value_kind:     by_value
    .group_segment_fixed_size: 0
    .kernarg_segment_align: 8
    .kernarg_segment_size: 32
    .language:       OpenCL C
    .language_version:
      - 2
      - 0
    .max_flat_workgroup_size: 256
    .name:           _ZN2at6native29vectorized_elementwise_kernelILi16ENS0_12_GLOBAL__N_114CompareFunctorIaEESt5arrayIPcLm3EEEEviT0_T1_
    .private_segment_fixed_size: 0
    .sgpr_count:     53
    .sgpr_spill_count: 0
    .symbol:         _ZN2at6native29vectorized_elementwise_kernelILi16ENS0_12_GLOBAL__N_114CompareFunctorIaEESt5arrayIPcLm3EEEEviT0_T1_.kd
    .uniform_work_group_size: 1
    .uses_dynamic_stack: false
    .vgpr_count:     39
    .vgpr_spill_count: 0
    .wavefront_size: 64
  - .args:
      - .offset:         0
        .size:           4
        .value_kind:     by_value
      - .offset:         4
        .size:           4
        .value_kind:     by_value
      - .offset:         8
        .size:           24
        .value_kind:     by_value
    .group_segment_fixed_size: 0
    .kernarg_segment_align: 8
    .kernarg_segment_size: 32
    .language:       OpenCL C
    .language_version:
      - 2
      - 0
    .max_flat_workgroup_size: 256
    .name:           _ZN2at6native29vectorized_elementwise_kernelILi8ENS0_12_GLOBAL__N_114CompareFunctorIaEESt5arrayIPcLm3EEEEviT0_T1_
    .private_segment_fixed_size: 0
    .sgpr_count:     53
    .sgpr_spill_count: 0
    .symbol:         _ZN2at6native29vectorized_elementwise_kernelILi8ENS0_12_GLOBAL__N_114CompareFunctorIaEESt5arrayIPcLm3EEEEviT0_T1_.kd
    .uniform_work_group_size: 1
    .uses_dynamic_stack: false
    .vgpr_count:     39
    .vgpr_spill_count: 0
    .wavefront_size: 64
  - .args:
      - .offset:         0
        .size:           4
        .value_kind:     by_value
      - .offset:         4
        .size:           4
        .value_kind:     by_value
      - .offset:         8
        .size:           24
        .value_kind:     by_value
    .group_segment_fixed_size: 0
    .kernarg_segment_align: 8
    .kernarg_segment_size: 32
    .language:       OpenCL C
    .language_version:
      - 2
      - 0
    .max_flat_workgroup_size: 256
    .name:           _ZN2at6native29vectorized_elementwise_kernelILi4ENS0_12_GLOBAL__N_114CompareFunctorIaEESt5arrayIPcLm3EEEEviT0_T1_
    .private_segment_fixed_size: 0
    .sgpr_count:     53
    .sgpr_spill_count: 0
    .symbol:         _ZN2at6native29vectorized_elementwise_kernelILi4ENS0_12_GLOBAL__N_114CompareFunctorIaEESt5arrayIPcLm3EEEEviT0_T1_.kd
    .uniform_work_group_size: 1
    .uses_dynamic_stack: false
    .vgpr_count:     39
    .vgpr_spill_count: 0
    .wavefront_size: 64
  - .args:
      - .offset:         0
        .size:           4
        .value_kind:     by_value
      - .offset:         4
        .size:           4
        .value_kind:     by_value
      - .offset:         8
        .size:           24
        .value_kind:     by_value
    .group_segment_fixed_size: 0
    .kernarg_segment_align: 8
    .kernarg_segment_size: 32
    .language:       OpenCL C
    .language_version:
      - 2
      - 0
    .max_flat_workgroup_size: 256
    .name:           _ZN2at6native29vectorized_elementwise_kernelILi2ENS0_12_GLOBAL__N_114CompareFunctorIaEESt5arrayIPcLm3EEEEviT0_T1_
    .private_segment_fixed_size: 0
    .sgpr_count:     53
    .sgpr_spill_count: 0
    .symbol:         _ZN2at6native29vectorized_elementwise_kernelILi2ENS0_12_GLOBAL__N_114CompareFunctorIaEESt5arrayIPcLm3EEEEviT0_T1_.kd
    .uniform_work_group_size: 1
    .uses_dynamic_stack: false
    .vgpr_count:     39
    .vgpr_spill_count: 0
    .wavefront_size: 64
  - .args:
      - .offset:         0
        .size:           4
        .value_kind:     by_value
      - .offset:         4
        .size:           4
        .value_kind:     by_value
      - .offset:         8
        .size:           24
        .value_kind:     by_value
      - .offset:         32
        .size:           1
        .value_kind:     by_value
      - .offset:         33
        .size:           1
        .value_kind:     by_value
      - .offset:         34
        .size:           1
        .value_kind:     by_value
      - .offset:         35
        .size:           1
        .value_kind:     by_value
    .group_segment_fixed_size: 0
    .kernarg_segment_align: 8
    .kernarg_segment_size: 36
    .language:       OpenCL C
    .language_version:
      - 2
      - 0
    .max_flat_workgroup_size: 256
    .name:           _ZN2at6native27unrolled_elementwise_kernelINS0_12_GLOBAL__N_114CompareFunctorIaEESt5arrayIPcLm3EELi4E23TrivialOffsetCalculatorILi2EjES8_ILi1EjENS0_6memory15LoadWithoutCastENSB_16StoreWithoutCastEEEviT_T0_T2_T3_T4_T5_
    .private_segment_fixed_size: 0
    .sgpr_count:     23
    .sgpr_spill_count: 0
    .symbol:         _ZN2at6native27unrolled_elementwise_kernelINS0_12_GLOBAL__N_114CompareFunctorIaEESt5arrayIPcLm3EELi4E23TrivialOffsetCalculatorILi2EjES8_ILi1EjENS0_6memory15LoadWithoutCastENSB_16StoreWithoutCastEEEviT_T0_T2_T3_T4_T5_.kd
    .uniform_work_group_size: 1
    .uses_dynamic_stack: false
    .vgpr_count:     12
    .vgpr_spill_count: 0
    .wavefront_size: 64
  - .args:
      - .offset:         0
        .size:           4
        .value_kind:     by_value
      - .offset:         8
        .size:           424
        .value_kind:     by_value
    .group_segment_fixed_size: 0
    .kernarg_segment_align: 8
    .kernarg_segment_size: 432
    .language:       OpenCL C
    .language_version:
      - 2
      - 0
    .max_flat_workgroup_size: 128
    .name:           _ZN2at6native32elementwise_kernel_manual_unrollILi128ELi8EZNS0_22gpu_kernel_impl_nocastINS0_12_GLOBAL__N_114CompareFunctorIaEEEEvRNS_18TensorIteratorBaseERKT_EUlibE_EEviT1_
    .private_segment_fixed_size: 0
    .sgpr_count:     56
    .sgpr_spill_count: 0
    .symbol:         _ZN2at6native32elementwise_kernel_manual_unrollILi128ELi8EZNS0_22gpu_kernel_impl_nocastINS0_12_GLOBAL__N_114CompareFunctorIaEEEEvRNS_18TensorIteratorBaseERKT_EUlibE_EEviT1_.kd
    .uniform_work_group_size: 1
    .uses_dynamic_stack: false
    .vgpr_count:     38
    .vgpr_spill_count: 0
    .wavefront_size: 64
  - .args:
      - .offset:         0
        .size:           4
        .value_kind:     by_value
      - .offset:         8
        .size:           48
        .value_kind:     by_value
    .group_segment_fixed_size: 0
    .kernarg_segment_align: 8
    .kernarg_segment_size: 56
    .language:       OpenCL C
    .language_version:
      - 2
      - 0
    .max_flat_workgroup_size: 128
    .name:           _ZN2at6native32elementwise_kernel_manual_unrollILi128ELi4EZNS0_15gpu_kernel_implINS0_12_GLOBAL__N_114CompareFunctorIaEEEEvRNS_18TensorIteratorBaseERKT_EUlibE_EEviT1_
    .private_segment_fixed_size: 0
    .sgpr_count:     61
    .sgpr_spill_count: 0
    .symbol:         _ZN2at6native32elementwise_kernel_manual_unrollILi128ELi4EZNS0_15gpu_kernel_implINS0_12_GLOBAL__N_114CompareFunctorIaEEEEvRNS_18TensorIteratorBaseERKT_EUlibE_EEviT1_.kd
    .uniform_work_group_size: 1
    .uses_dynamic_stack: false
    .vgpr_count:     12
    .vgpr_spill_count: 0
    .wavefront_size: 64
  - .args:
      - .offset:         0
        .size:           4
        .value_kind:     by_value
      - .offset:         8
        .size:           424
        .value_kind:     by_value
    .group_segment_fixed_size: 0
    .kernarg_segment_align: 8
    .kernarg_segment_size: 432
    .language:       OpenCL C
    .language_version:
      - 2
      - 0
    .max_flat_workgroup_size: 128
    .name:           _ZN2at6native32elementwise_kernel_manual_unrollILi128ELi4EZNS0_15gpu_kernel_implINS0_12_GLOBAL__N_114CompareFunctorIaEEEEvRNS_18TensorIteratorBaseERKT_EUlibE0_EEviT1_
    .private_segment_fixed_size: 0
    .sgpr_count:     84
    .sgpr_spill_count: 0
    .symbol:         _ZN2at6native32elementwise_kernel_manual_unrollILi128ELi4EZNS0_15gpu_kernel_implINS0_12_GLOBAL__N_114CompareFunctorIaEEEEvRNS_18TensorIteratorBaseERKT_EUlibE0_EEviT1_.kd
    .uniform_work_group_size: 1
    .uses_dynamic_stack: false
    .vgpr_count:     24
    .vgpr_spill_count: 0
    .wavefront_size: 64
  - .args:
      - .offset:         0
        .size:           4
        .value_kind:     by_value
      - .offset:         4
        .size:           8
        .value_kind:     by_value
      - .offset:         16
        .size:           16
        .value_kind:     by_value
    .group_segment_fixed_size: 0
    .kernarg_segment_align: 8
    .kernarg_segment_size: 32
    .language:       OpenCL C
    .language_version:
      - 2
      - 0
    .max_flat_workgroup_size: 256
    .name:           _ZN2at6native29vectorized_elementwise_kernelILi16EZNS0_21compare_scalar_kernelIiEEvRNS_18TensorIteratorBaseENS0_12_GLOBAL__N_16OpTypeET_EUliE_St5arrayIPcLm2EEEEviT0_T1_
    .private_segment_fixed_size: 0
    .sgpr_count:     54
    .sgpr_spill_count: 0
    .symbol:         _ZN2at6native29vectorized_elementwise_kernelILi16EZNS0_21compare_scalar_kernelIiEEvRNS_18TensorIteratorBaseENS0_12_GLOBAL__N_16OpTypeET_EUliE_St5arrayIPcLm2EEEEviT0_T1_.kd
    .uniform_work_group_size: 1
    .uses_dynamic_stack: false
    .vgpr_count:     21
    .vgpr_spill_count: 0
    .wavefront_size: 64
  - .args:
      - .offset:         0
        .size:           4
        .value_kind:     by_value
      - .offset:         4
        .size:           8
        .value_kind:     by_value
      - .offset:         16
        .size:           16
        .value_kind:     by_value
    .group_segment_fixed_size: 0
    .kernarg_segment_align: 8
    .kernarg_segment_size: 32
    .language:       OpenCL C
    .language_version:
      - 2
      - 0
    .max_flat_workgroup_size: 256
    .name:           _ZN2at6native29vectorized_elementwise_kernelILi8EZNS0_21compare_scalar_kernelIiEEvRNS_18TensorIteratorBaseENS0_12_GLOBAL__N_16OpTypeET_EUliE_St5arrayIPcLm2EEEEviT0_T1_
    .private_segment_fixed_size: 0
    .sgpr_count:     54
    .sgpr_spill_count: 0
    .symbol:         _ZN2at6native29vectorized_elementwise_kernelILi8EZNS0_21compare_scalar_kernelIiEEvRNS_18TensorIteratorBaseENS0_12_GLOBAL__N_16OpTypeET_EUliE_St5arrayIPcLm2EEEEviT0_T1_.kd
    .uniform_work_group_size: 1
    .uses_dynamic_stack: false
    .vgpr_count:     21
    .vgpr_spill_count: 0
    .wavefront_size: 64
  - .args:
      - .offset:         0
        .size:           4
        .value_kind:     by_value
      - .offset:         4
        .size:           8
        .value_kind:     by_value
      - .offset:         16
        .size:           16
        .value_kind:     by_value
    .group_segment_fixed_size: 0
    .kernarg_segment_align: 8
    .kernarg_segment_size: 32
    .language:       OpenCL C
    .language_version:
      - 2
      - 0
    .max_flat_workgroup_size: 256
    .name:           _ZN2at6native29vectorized_elementwise_kernelILi4EZNS0_21compare_scalar_kernelIiEEvRNS_18TensorIteratorBaseENS0_12_GLOBAL__N_16OpTypeET_EUliE_St5arrayIPcLm2EEEEviT0_T1_
    .private_segment_fixed_size: 0
    .sgpr_count:     54
    .sgpr_spill_count: 0
    .symbol:         _ZN2at6native29vectorized_elementwise_kernelILi4EZNS0_21compare_scalar_kernelIiEEvRNS_18TensorIteratorBaseENS0_12_GLOBAL__N_16OpTypeET_EUliE_St5arrayIPcLm2EEEEviT0_T1_.kd
    .uniform_work_group_size: 1
    .uses_dynamic_stack: false
    .vgpr_count:     21
    .vgpr_spill_count: 0
    .wavefront_size: 64
  - .args:
      - .offset:         0
        .size:           4
        .value_kind:     by_value
      - .offset:         4
        .size:           8
        .value_kind:     by_value
      - .offset:         16
        .size:           16
        .value_kind:     by_value
    .group_segment_fixed_size: 0
    .kernarg_segment_align: 8
    .kernarg_segment_size: 32
    .language:       OpenCL C
    .language_version:
      - 2
      - 0
    .max_flat_workgroup_size: 256
    .name:           _ZN2at6native29vectorized_elementwise_kernelILi2EZNS0_21compare_scalar_kernelIiEEvRNS_18TensorIteratorBaseENS0_12_GLOBAL__N_16OpTypeET_EUliE_St5arrayIPcLm2EEEEviT0_T1_
    .private_segment_fixed_size: 0
    .sgpr_count:     54
    .sgpr_spill_count: 0
    .symbol:         _ZN2at6native29vectorized_elementwise_kernelILi2EZNS0_21compare_scalar_kernelIiEEvRNS_18TensorIteratorBaseENS0_12_GLOBAL__N_16OpTypeET_EUliE_St5arrayIPcLm2EEEEviT0_T1_.kd
    .uniform_work_group_size: 1
    .uses_dynamic_stack: false
    .vgpr_count:     21
    .vgpr_spill_count: 0
    .wavefront_size: 64
  - .args:
      - .offset:         0
        .size:           4
        .value_kind:     by_value
      - .offset:         4
        .size:           8
        .value_kind:     by_value
      - .offset:         16
        .size:           16
        .value_kind:     by_value
      - .offset:         32
        .size:           1
        .value_kind:     by_value
      - .offset:         33
        .size:           1
        .value_kind:     by_value
      - .offset:         34
        .size:           1
        .value_kind:     by_value
      - .offset:         35
        .size:           1
        .value_kind:     by_value
    .group_segment_fixed_size: 0
    .kernarg_segment_align: 8
    .kernarg_segment_size: 36
    .language:       OpenCL C
    .language_version:
      - 2
      - 0
    .max_flat_workgroup_size: 256
    .name:           _ZN2at6native27unrolled_elementwise_kernelIZNS0_21compare_scalar_kernelIiEEvRNS_18TensorIteratorBaseENS0_12_GLOBAL__N_16OpTypeET_EUliE_St5arrayIPcLm2EELi4E23TrivialOffsetCalculatorILi1EjESD_NS0_6memory15LoadWithoutCastENSE_16StoreWithoutCastEEEviS7_T0_T2_T3_T4_T5_
    .private_segment_fixed_size: 0
    .sgpr_count:     22
    .sgpr_spill_count: 0
    .symbol:         _ZN2at6native27unrolled_elementwise_kernelIZNS0_21compare_scalar_kernelIiEEvRNS_18TensorIteratorBaseENS0_12_GLOBAL__N_16OpTypeET_EUliE_St5arrayIPcLm2EELi4E23TrivialOffsetCalculatorILi1EjESD_NS0_6memory15LoadWithoutCastENSE_16StoreWithoutCastEEEviS7_T0_T2_T3_T4_T5_.kd
    .uniform_work_group_size: 1
    .uses_dynamic_stack: false
    .vgpr_count:     9
    .vgpr_spill_count: 0
    .wavefront_size: 64
  - .args:
      - .offset:         0
        .size:           4
        .value_kind:     by_value
      - .offset:         8
        .size:           352
        .value_kind:     by_value
    .group_segment_fixed_size: 0
    .kernarg_segment_align: 8
    .kernarg_segment_size: 360
    .language:       OpenCL C
    .language_version:
      - 2
      - 0
    .max_flat_workgroup_size: 128
    .name:           _ZN2at6native32elementwise_kernel_manual_unrollILi128ELi8EZNS0_22gpu_kernel_impl_nocastIZNS0_21compare_scalar_kernelIiEEvRNS_18TensorIteratorBaseENS0_12_GLOBAL__N_16OpTypeET_EUliE_EEvS5_RKS8_EUlibE_EEviT1_
    .private_segment_fixed_size: 0
    .sgpr_count:     66
    .sgpr_spill_count: 0
    .symbol:         _ZN2at6native32elementwise_kernel_manual_unrollILi128ELi8EZNS0_22gpu_kernel_impl_nocastIZNS0_21compare_scalar_kernelIiEEvRNS_18TensorIteratorBaseENS0_12_GLOBAL__N_16OpTypeET_EUliE_EEvS5_RKS8_EUlibE_EEviT1_.kd
    .uniform_work_group_size: 1
    .uses_dynamic_stack: false
    .vgpr_count:     26
    .vgpr_spill_count: 0
    .wavefront_size: 64
  - .args:
      - .offset:         0
        .size:           4
        .value_kind:     by_value
      - .offset:         8
        .size:           40
        .value_kind:     by_value
    .group_segment_fixed_size: 0
    .kernarg_segment_align: 8
    .kernarg_segment_size: 48
    .language:       OpenCL C
    .language_version:
      - 2
      - 0
    .max_flat_workgroup_size: 128
    .name:           _ZN2at6native32elementwise_kernel_manual_unrollILi128ELi4EZNS0_15gpu_kernel_implIZNS0_21compare_scalar_kernelIiEEvRNS_18TensorIteratorBaseENS0_12_GLOBAL__N_16OpTypeET_EUliE_EEvS5_RKS8_EUlibE_EEviT1_
    .private_segment_fixed_size: 0
    .sgpr_count:     52
    .sgpr_spill_count: 0
    .symbol:         _ZN2at6native32elementwise_kernel_manual_unrollILi128ELi4EZNS0_15gpu_kernel_implIZNS0_21compare_scalar_kernelIiEEvRNS_18TensorIteratorBaseENS0_12_GLOBAL__N_16OpTypeET_EUliE_EEvS5_RKS8_EUlibE_EEviT1_.kd
    .uniform_work_group_size: 1
    .uses_dynamic_stack: false
    .vgpr_count:     10
    .vgpr_spill_count: 0
    .wavefront_size: 64
  - .args:
      - .offset:         0
        .size:           4
        .value_kind:     by_value
      - .offset:         8
        .size:           360
        .value_kind:     by_value
    .group_segment_fixed_size: 0
    .kernarg_segment_align: 8
    .kernarg_segment_size: 368
    .language:       OpenCL C
    .language_version:
      - 2
      - 0
    .max_flat_workgroup_size: 128
    .name:           _ZN2at6native32elementwise_kernel_manual_unrollILi128ELi4EZNS0_15gpu_kernel_implIZNS0_21compare_scalar_kernelIiEEvRNS_18TensorIteratorBaseENS0_12_GLOBAL__N_16OpTypeET_EUliE_EEvS5_RKS8_EUlibE0_EEviT1_
    .private_segment_fixed_size: 0
    .sgpr_count:     84
    .sgpr_spill_count: 0
    .symbol:         _ZN2at6native32elementwise_kernel_manual_unrollILi128ELi4EZNS0_15gpu_kernel_implIZNS0_21compare_scalar_kernelIiEEvRNS_18TensorIteratorBaseENS0_12_GLOBAL__N_16OpTypeET_EUliE_EEvS5_RKS8_EUlibE0_EEviT1_.kd
    .uniform_work_group_size: 1
    .uses_dynamic_stack: false
    .vgpr_count:     18
    .vgpr_spill_count: 0
    .wavefront_size: 64
  - .args:
      - .offset:         0
        .size:           4
        .value_kind:     by_value
      - .offset:         4
        .size:           4
        .value_kind:     by_value
      - .offset:         8
        .size:           24
        .value_kind:     by_value
    .group_segment_fixed_size: 0
    .kernarg_segment_align: 8
    .kernarg_segment_size: 32
    .language:       OpenCL C
    .language_version:
      - 2
      - 0
    .max_flat_workgroup_size: 256
    .name:           _ZN2at6native29vectorized_elementwise_kernelILi16ENS0_12_GLOBAL__N_114CompareFunctorIiEESt5arrayIPcLm3EEEEviT0_T1_
    .private_segment_fixed_size: 0
    .sgpr_count:     54
    .sgpr_spill_count: 0
    .symbol:         _ZN2at6native29vectorized_elementwise_kernelILi16ENS0_12_GLOBAL__N_114CompareFunctorIiEESt5arrayIPcLm3EEEEviT0_T1_.kd
    .uniform_work_group_size: 1
    .uses_dynamic_stack: false
    .vgpr_count:     38
    .vgpr_spill_count: 0
    .wavefront_size: 64
  - .args:
      - .offset:         0
        .size:           4
        .value_kind:     by_value
      - .offset:         4
        .size:           4
        .value_kind:     by_value
      - .offset:         8
        .size:           24
        .value_kind:     by_value
    .group_segment_fixed_size: 0
    .kernarg_segment_align: 8
    .kernarg_segment_size: 32
    .language:       OpenCL C
    .language_version:
      - 2
      - 0
    .max_flat_workgroup_size: 256
    .name:           _ZN2at6native29vectorized_elementwise_kernelILi8ENS0_12_GLOBAL__N_114CompareFunctorIiEESt5arrayIPcLm3EEEEviT0_T1_
    .private_segment_fixed_size: 0
    .sgpr_count:     54
    .sgpr_spill_count: 0
    .symbol:         _ZN2at6native29vectorized_elementwise_kernelILi8ENS0_12_GLOBAL__N_114CompareFunctorIiEESt5arrayIPcLm3EEEEviT0_T1_.kd
    .uniform_work_group_size: 1
    .uses_dynamic_stack: false
    .vgpr_count:     38
    .vgpr_spill_count: 0
    .wavefront_size: 64
  - .args:
      - .offset:         0
        .size:           4
        .value_kind:     by_value
      - .offset:         4
        .size:           4
        .value_kind:     by_value
      - .offset:         8
        .size:           24
        .value_kind:     by_value
    .group_segment_fixed_size: 0
    .kernarg_segment_align: 8
    .kernarg_segment_size: 32
    .language:       OpenCL C
    .language_version:
      - 2
      - 0
    .max_flat_workgroup_size: 256
    .name:           _ZN2at6native29vectorized_elementwise_kernelILi4ENS0_12_GLOBAL__N_114CompareFunctorIiEESt5arrayIPcLm3EEEEviT0_T1_
    .private_segment_fixed_size: 0
    .sgpr_count:     54
    .sgpr_spill_count: 0
    .symbol:         _ZN2at6native29vectorized_elementwise_kernelILi4ENS0_12_GLOBAL__N_114CompareFunctorIiEESt5arrayIPcLm3EEEEviT0_T1_.kd
    .uniform_work_group_size: 1
    .uses_dynamic_stack: false
    .vgpr_count:     38
    .vgpr_spill_count: 0
    .wavefront_size: 64
  - .args:
      - .offset:         0
        .size:           4
        .value_kind:     by_value
      - .offset:         4
        .size:           4
        .value_kind:     by_value
      - .offset:         8
        .size:           24
        .value_kind:     by_value
    .group_segment_fixed_size: 0
    .kernarg_segment_align: 8
    .kernarg_segment_size: 32
    .language:       OpenCL C
    .language_version:
      - 2
      - 0
    .max_flat_workgroup_size: 256
    .name:           _ZN2at6native29vectorized_elementwise_kernelILi2ENS0_12_GLOBAL__N_114CompareFunctorIiEESt5arrayIPcLm3EEEEviT0_T1_
    .private_segment_fixed_size: 0
    .sgpr_count:     54
    .sgpr_spill_count: 0
    .symbol:         _ZN2at6native29vectorized_elementwise_kernelILi2ENS0_12_GLOBAL__N_114CompareFunctorIiEESt5arrayIPcLm3EEEEviT0_T1_.kd
    .uniform_work_group_size: 1
    .uses_dynamic_stack: false
    .vgpr_count:     38
    .vgpr_spill_count: 0
    .wavefront_size: 64
  - .args:
      - .offset:         0
        .size:           4
        .value_kind:     by_value
      - .offset:         4
        .size:           4
        .value_kind:     by_value
      - .offset:         8
        .size:           24
        .value_kind:     by_value
      - .offset:         32
        .size:           1
        .value_kind:     by_value
      - .offset:         33
        .size:           1
        .value_kind:     by_value
      - .offset:         34
        .size:           1
        .value_kind:     by_value
      - .offset:         35
        .size:           1
        .value_kind:     by_value
    .group_segment_fixed_size: 0
    .kernarg_segment_align: 8
    .kernarg_segment_size: 36
    .language:       OpenCL C
    .language_version:
      - 2
      - 0
    .max_flat_workgroup_size: 256
    .name:           _ZN2at6native27unrolled_elementwise_kernelINS0_12_GLOBAL__N_114CompareFunctorIiEESt5arrayIPcLm3EELi4E23TrivialOffsetCalculatorILi2EjES8_ILi1EjENS0_6memory15LoadWithoutCastENSB_16StoreWithoutCastEEEviT_T0_T2_T3_T4_T5_
    .private_segment_fixed_size: 0
    .sgpr_count:     23
    .sgpr_spill_count: 0
    .symbol:         _ZN2at6native27unrolled_elementwise_kernelINS0_12_GLOBAL__N_114CompareFunctorIiEESt5arrayIPcLm3EELi4E23TrivialOffsetCalculatorILi2EjES8_ILi1EjENS0_6memory15LoadWithoutCastENSB_16StoreWithoutCastEEEviT_T0_T2_T3_T4_T5_.kd
    .uniform_work_group_size: 1
    .uses_dynamic_stack: false
    .vgpr_count:     15
    .vgpr_spill_count: 0
    .wavefront_size: 64
  - .args:
      - .offset:         0
        .size:           4
        .value_kind:     by_value
      - .offset:         8
        .size:           424
        .value_kind:     by_value
    .group_segment_fixed_size: 0
    .kernarg_segment_align: 8
    .kernarg_segment_size: 432
    .language:       OpenCL C
    .language_version:
      - 2
      - 0
    .max_flat_workgroup_size: 128
    .name:           _ZN2at6native32elementwise_kernel_manual_unrollILi128ELi8EZNS0_22gpu_kernel_impl_nocastINS0_12_GLOBAL__N_114CompareFunctorIiEEEEvRNS_18TensorIteratorBaseERKT_EUlibE_EEviT1_
    .private_segment_fixed_size: 0
    .sgpr_count:     56
    .sgpr_spill_count: 0
    .symbol:         _ZN2at6native32elementwise_kernel_manual_unrollILi128ELi8EZNS0_22gpu_kernel_impl_nocastINS0_12_GLOBAL__N_114CompareFunctorIiEEEEvRNS_18TensorIteratorBaseERKT_EUlibE_EEviT1_.kd
    .uniform_work_group_size: 1
    .uses_dynamic_stack: false
    .vgpr_count:     38
    .vgpr_spill_count: 0
    .wavefront_size: 64
  - .args:
      - .offset:         0
        .size:           4
        .value_kind:     by_value
      - .offset:         8
        .size:           48
        .value_kind:     by_value
    .group_segment_fixed_size: 0
    .kernarg_segment_align: 8
    .kernarg_segment_size: 56
    .language:       OpenCL C
    .language_version:
      - 2
      - 0
    .max_flat_workgroup_size: 128
    .name:           _ZN2at6native32elementwise_kernel_manual_unrollILi128ELi4EZNS0_15gpu_kernel_implINS0_12_GLOBAL__N_114CompareFunctorIiEEEEvRNS_18TensorIteratorBaseERKT_EUlibE_EEviT1_
    .private_segment_fixed_size: 0
    .sgpr_count:     61
    .sgpr_spill_count: 0
    .symbol:         _ZN2at6native32elementwise_kernel_manual_unrollILi128ELi4EZNS0_15gpu_kernel_implINS0_12_GLOBAL__N_114CompareFunctorIiEEEEvRNS_18TensorIteratorBaseERKT_EUlibE_EEviT1_.kd
    .uniform_work_group_size: 1
    .uses_dynamic_stack: false
    .vgpr_count:     12
    .vgpr_spill_count: 0
    .wavefront_size: 64
  - .args:
      - .offset:         0
        .size:           4
        .value_kind:     by_value
      - .offset:         8
        .size:           424
        .value_kind:     by_value
    .group_segment_fixed_size: 0
    .kernarg_segment_align: 8
    .kernarg_segment_size: 432
    .language:       OpenCL C
    .language_version:
      - 2
      - 0
    .max_flat_workgroup_size: 128
    .name:           _ZN2at6native32elementwise_kernel_manual_unrollILi128ELi4EZNS0_15gpu_kernel_implINS0_12_GLOBAL__N_114CompareFunctorIiEEEEvRNS_18TensorIteratorBaseERKT_EUlibE0_EEviT1_
    .private_segment_fixed_size: 0
    .sgpr_count:     84
    .sgpr_spill_count: 0
    .symbol:         _ZN2at6native32elementwise_kernel_manual_unrollILi128ELi4EZNS0_15gpu_kernel_implINS0_12_GLOBAL__N_114CompareFunctorIiEEEEvRNS_18TensorIteratorBaseERKT_EUlibE0_EEviT1_.kd
    .uniform_work_group_size: 1
    .uses_dynamic_stack: false
    .vgpr_count:     24
    .vgpr_spill_count: 0
    .wavefront_size: 64
  - .args:
      - .offset:         0
        .size:           4
        .value_kind:     by_value
      - .offset:         8
        .size:           16
        .value_kind:     by_value
      - .offset:         24
        .size:           16
        .value_kind:     by_value
    .group_segment_fixed_size: 0
    .kernarg_segment_align: 8
    .kernarg_segment_size: 40
    .language:       OpenCL C
    .language_version:
      - 2
      - 0
    .max_flat_workgroup_size: 256
    .name:           _ZN2at6native29vectorized_elementwise_kernelILi16EZNS0_21compare_scalar_kernelIlEEvRNS_18TensorIteratorBaseENS0_12_GLOBAL__N_16OpTypeET_EUllE_St5arrayIPcLm2EEEEviT0_T1_
    .private_segment_fixed_size: 0
    .sgpr_count:     53
    .sgpr_spill_count: 0
    .symbol:         _ZN2at6native29vectorized_elementwise_kernelILi16EZNS0_21compare_scalar_kernelIlEEvRNS_18TensorIteratorBaseENS0_12_GLOBAL__N_16OpTypeET_EUllE_St5arrayIPcLm2EEEEviT0_T1_.kd
    .uniform_work_group_size: 1
    .uses_dynamic_stack: false
    .vgpr_count:     36
    .vgpr_spill_count: 0
    .wavefront_size: 64
  - .args:
      - .offset:         0
        .size:           4
        .value_kind:     by_value
      - .offset:         8
        .size:           16
        .value_kind:     by_value
      - .offset:         24
        .size:           16
        .value_kind:     by_value
    .group_segment_fixed_size: 0
    .kernarg_segment_align: 8
    .kernarg_segment_size: 40
    .language:       OpenCL C
    .language_version:
      - 2
      - 0
    .max_flat_workgroup_size: 256
    .name:           _ZN2at6native29vectorized_elementwise_kernelILi8EZNS0_21compare_scalar_kernelIlEEvRNS_18TensorIteratorBaseENS0_12_GLOBAL__N_16OpTypeET_EUllE_St5arrayIPcLm2EEEEviT0_T1_
    .private_segment_fixed_size: 0
    .sgpr_count:     53
    .sgpr_spill_count: 0
    .symbol:         _ZN2at6native29vectorized_elementwise_kernelILi8EZNS0_21compare_scalar_kernelIlEEvRNS_18TensorIteratorBaseENS0_12_GLOBAL__N_16OpTypeET_EUllE_St5arrayIPcLm2EEEEviT0_T1_.kd
    .uniform_work_group_size: 1
    .uses_dynamic_stack: false
    .vgpr_count:     37
    .vgpr_spill_count: 0
    .wavefront_size: 64
  - .args:
      - .offset:         0
        .size:           4
        .value_kind:     by_value
      - .offset:         8
        .size:           16
        .value_kind:     by_value
      - .offset:         24
        .size:           16
        .value_kind:     by_value
    .group_segment_fixed_size: 0
    .kernarg_segment_align: 8
    .kernarg_segment_size: 40
    .language:       OpenCL C
    .language_version:
      - 2
      - 0
    .max_flat_workgroup_size: 256
    .name:           _ZN2at6native29vectorized_elementwise_kernelILi4EZNS0_21compare_scalar_kernelIlEEvRNS_18TensorIteratorBaseENS0_12_GLOBAL__N_16OpTypeET_EUllE_St5arrayIPcLm2EEEEviT0_T1_
    .private_segment_fixed_size: 0
    .sgpr_count:     53
    .sgpr_spill_count: 0
    .symbol:         _ZN2at6native29vectorized_elementwise_kernelILi4EZNS0_21compare_scalar_kernelIlEEvRNS_18TensorIteratorBaseENS0_12_GLOBAL__N_16OpTypeET_EUllE_St5arrayIPcLm2EEEEviT0_T1_.kd
    .uniform_work_group_size: 1
    .uses_dynamic_stack: false
    .vgpr_count:     37
    .vgpr_spill_count: 0
    .wavefront_size: 64
  - .args:
      - .offset:         0
        .size:           4
        .value_kind:     by_value
      - .offset:         8
        .size:           16
        .value_kind:     by_value
      - .offset:         24
        .size:           16
        .value_kind:     by_value
    .group_segment_fixed_size: 0
    .kernarg_segment_align: 8
    .kernarg_segment_size: 40
    .language:       OpenCL C
    .language_version:
      - 2
      - 0
    .max_flat_workgroup_size: 256
    .name:           _ZN2at6native29vectorized_elementwise_kernelILi2EZNS0_21compare_scalar_kernelIlEEvRNS_18TensorIteratorBaseENS0_12_GLOBAL__N_16OpTypeET_EUllE_St5arrayIPcLm2EEEEviT0_T1_
    .private_segment_fixed_size: 0
    .sgpr_count:     53
    .sgpr_spill_count: 0
    .symbol:         _ZN2at6native29vectorized_elementwise_kernelILi2EZNS0_21compare_scalar_kernelIlEEvRNS_18TensorIteratorBaseENS0_12_GLOBAL__N_16OpTypeET_EUllE_St5arrayIPcLm2EEEEviT0_T1_.kd
    .uniform_work_group_size: 1
    .uses_dynamic_stack: false
    .vgpr_count:     37
    .vgpr_spill_count: 0
    .wavefront_size: 64
  - .args:
      - .offset:         0
        .size:           4
        .value_kind:     by_value
      - .offset:         8
        .size:           16
        .value_kind:     by_value
      - .offset:         24
        .size:           16
        .value_kind:     by_value
      - .offset:         40
        .size:           1
        .value_kind:     by_value
      - .offset:         41
        .size:           1
        .value_kind:     by_value
      - .offset:         42
        .size:           1
        .value_kind:     by_value
      - .offset:         43
        .size:           1
        .value_kind:     by_value
    .group_segment_fixed_size: 0
    .kernarg_segment_align: 8
    .kernarg_segment_size: 44
    .language:       OpenCL C
    .language_version:
      - 2
      - 0
    .max_flat_workgroup_size: 256
    .name:           _ZN2at6native27unrolled_elementwise_kernelIZNS0_21compare_scalar_kernelIlEEvRNS_18TensorIteratorBaseENS0_12_GLOBAL__N_16OpTypeET_EUllE_St5arrayIPcLm2EELi4E23TrivialOffsetCalculatorILi1EjESD_NS0_6memory15LoadWithoutCastENSE_16StoreWithoutCastEEEviS7_T0_T2_T3_T4_T5_
    .private_segment_fixed_size: 0
    .sgpr_count:     23
    .sgpr_spill_count: 0
    .symbol:         _ZN2at6native27unrolled_elementwise_kernelIZNS0_21compare_scalar_kernelIlEEvRNS_18TensorIteratorBaseENS0_12_GLOBAL__N_16OpTypeET_EUllE_St5arrayIPcLm2EELi4E23TrivialOffsetCalculatorILi1EjESD_NS0_6memory15LoadWithoutCastENSE_16StoreWithoutCastEEEviS7_T0_T2_T3_T4_T5_.kd
    .uniform_work_group_size: 1
    .uses_dynamic_stack: false
    .vgpr_count:     12
    .vgpr_spill_count: 0
    .wavefront_size: 64
  - .args:
      - .offset:         0
        .size:           4
        .value_kind:     by_value
      - .offset:         8
        .size:           360
        .value_kind:     by_value
    .group_segment_fixed_size: 0
    .kernarg_segment_align: 8
    .kernarg_segment_size: 368
    .language:       OpenCL C
    .language_version:
      - 2
      - 0
    .max_flat_workgroup_size: 128
    .name:           _ZN2at6native32elementwise_kernel_manual_unrollILi128ELi8EZNS0_22gpu_kernel_impl_nocastIZNS0_21compare_scalar_kernelIlEEvRNS_18TensorIteratorBaseENS0_12_GLOBAL__N_16OpTypeET_EUllE_EEvS5_RKS8_EUlibE_EEviT1_
    .private_segment_fixed_size: 0
    .sgpr_count:     67
    .sgpr_spill_count: 0
    .symbol:         _ZN2at6native32elementwise_kernel_manual_unrollILi128ELi8EZNS0_22gpu_kernel_impl_nocastIZNS0_21compare_scalar_kernelIlEEvRNS_18TensorIteratorBaseENS0_12_GLOBAL__N_16OpTypeET_EUllE_EEvS5_RKS8_EUlibE_EEviT1_.kd
    .uniform_work_group_size: 1
    .uses_dynamic_stack: false
    .vgpr_count:     26
    .vgpr_spill_count: 0
    .wavefront_size: 64
  - .args:
      - .offset:         0
        .size:           4
        .value_kind:     by_value
      - .offset:         8
        .size:           48
        .value_kind:     by_value
    .group_segment_fixed_size: 0
    .kernarg_segment_align: 8
    .kernarg_segment_size: 56
    .language:       OpenCL C
    .language_version:
      - 2
      - 0
    .max_flat_workgroup_size: 128
    .name:           _ZN2at6native32elementwise_kernel_manual_unrollILi128ELi4EZNS0_15gpu_kernel_implIZNS0_21compare_scalar_kernelIlEEvRNS_18TensorIteratorBaseENS0_12_GLOBAL__N_16OpTypeET_EUllE_EEvS5_RKS8_EUlibE_EEviT1_
    .private_segment_fixed_size: 0
    .sgpr_count:     52
    .sgpr_spill_count: 0
    .symbol:         _ZN2at6native32elementwise_kernel_manual_unrollILi128ELi4EZNS0_15gpu_kernel_implIZNS0_21compare_scalar_kernelIlEEvRNS_18TensorIteratorBaseENS0_12_GLOBAL__N_16OpTypeET_EUllE_EEvS5_RKS8_EUlibE_EEviT1_.kd
    .uniform_work_group_size: 1
    .uses_dynamic_stack: false
    .vgpr_count:     10
    .vgpr_spill_count: 0
    .wavefront_size: 64
  - .args:
      - .offset:         0
        .size:           4
        .value_kind:     by_value
      - .offset:         8
        .size:           368
        .value_kind:     by_value
    .group_segment_fixed_size: 0
    .kernarg_segment_align: 8
    .kernarg_segment_size: 376
    .language:       OpenCL C
    .language_version:
      - 2
      - 0
    .max_flat_workgroup_size: 128
    .name:           _ZN2at6native32elementwise_kernel_manual_unrollILi128ELi4EZNS0_15gpu_kernel_implIZNS0_21compare_scalar_kernelIlEEvRNS_18TensorIteratorBaseENS0_12_GLOBAL__N_16OpTypeET_EUllE_EEvS5_RKS8_EUlibE0_EEviT1_
    .private_segment_fixed_size: 0
    .sgpr_count:     85
    .sgpr_spill_count: 0
    .symbol:         _ZN2at6native32elementwise_kernel_manual_unrollILi128ELi4EZNS0_15gpu_kernel_implIZNS0_21compare_scalar_kernelIlEEvRNS_18TensorIteratorBaseENS0_12_GLOBAL__N_16OpTypeET_EUllE_EEvS5_RKS8_EUlibE0_EEviT1_.kd
    .uniform_work_group_size: 1
    .uses_dynamic_stack: false
    .vgpr_count:     20
    .vgpr_spill_count: 0
    .wavefront_size: 64
  - .args:
      - .offset:         0
        .size:           4
        .value_kind:     by_value
      - .offset:         4
        .size:           4
        .value_kind:     by_value
      - .offset:         8
        .size:           24
        .value_kind:     by_value
    .group_segment_fixed_size: 0
    .kernarg_segment_align: 8
    .kernarg_segment_size: 32
    .language:       OpenCL C
    .language_version:
      - 2
      - 0
    .max_flat_workgroup_size: 256
    .name:           _ZN2at6native29vectorized_elementwise_kernelILi16ENS0_12_GLOBAL__N_114CompareFunctorIlEESt5arrayIPcLm3EEEEviT0_T1_
    .private_segment_fixed_size: 0
    .sgpr_count:     54
    .sgpr_spill_count: 0
    .symbol:         _ZN2at6native29vectorized_elementwise_kernelILi16ENS0_12_GLOBAL__N_114CompareFunctorIlEESt5arrayIPcLm3EEEEviT0_T1_.kd
    .uniform_work_group_size: 1
    .uses_dynamic_stack: false
    .vgpr_count:     70
    .vgpr_spill_count: 0
    .wavefront_size: 64
  - .args:
      - .offset:         0
        .size:           4
        .value_kind:     by_value
      - .offset:         4
        .size:           4
        .value_kind:     by_value
      - .offset:         8
        .size:           24
        .value_kind:     by_value
    .group_segment_fixed_size: 0
    .kernarg_segment_align: 8
    .kernarg_segment_size: 32
    .language:       OpenCL C
    .language_version:
      - 2
      - 0
    .max_flat_workgroup_size: 256
    .name:           _ZN2at6native29vectorized_elementwise_kernelILi8ENS0_12_GLOBAL__N_114CompareFunctorIlEESt5arrayIPcLm3EEEEviT0_T1_
    .private_segment_fixed_size: 0
    .sgpr_count:     54
    .sgpr_spill_count: 0
    .symbol:         _ZN2at6native29vectorized_elementwise_kernelILi8ENS0_12_GLOBAL__N_114CompareFunctorIlEESt5arrayIPcLm3EEEEviT0_T1_.kd
    .uniform_work_group_size: 1
    .uses_dynamic_stack: false
    .vgpr_count:     70
    .vgpr_spill_count: 0
    .wavefront_size: 64
  - .args:
      - .offset:         0
        .size:           4
        .value_kind:     by_value
      - .offset:         4
        .size:           4
        .value_kind:     by_value
      - .offset:         8
        .size:           24
        .value_kind:     by_value
    .group_segment_fixed_size: 0
    .kernarg_segment_align: 8
    .kernarg_segment_size: 32
    .language:       OpenCL C
    .language_version:
      - 2
      - 0
    .max_flat_workgroup_size: 256
    .name:           _ZN2at6native29vectorized_elementwise_kernelILi4ENS0_12_GLOBAL__N_114CompareFunctorIlEESt5arrayIPcLm3EEEEviT0_T1_
    .private_segment_fixed_size: 0
    .sgpr_count:     54
    .sgpr_spill_count: 0
    .symbol:         _ZN2at6native29vectorized_elementwise_kernelILi4ENS0_12_GLOBAL__N_114CompareFunctorIlEESt5arrayIPcLm3EEEEviT0_T1_.kd
    .uniform_work_group_size: 1
    .uses_dynamic_stack: false
    .vgpr_count:     70
    .vgpr_spill_count: 0
    .wavefront_size: 64
  - .args:
      - .offset:         0
        .size:           4
        .value_kind:     by_value
      - .offset:         4
        .size:           4
        .value_kind:     by_value
      - .offset:         8
        .size:           24
        .value_kind:     by_value
    .group_segment_fixed_size: 0
    .kernarg_segment_align: 8
    .kernarg_segment_size: 32
    .language:       OpenCL C
    .language_version:
      - 2
      - 0
    .max_flat_workgroup_size: 256
    .name:           _ZN2at6native29vectorized_elementwise_kernelILi2ENS0_12_GLOBAL__N_114CompareFunctorIlEESt5arrayIPcLm3EEEEviT0_T1_
    .private_segment_fixed_size: 0
    .sgpr_count:     54
    .sgpr_spill_count: 0
    .symbol:         _ZN2at6native29vectorized_elementwise_kernelILi2ENS0_12_GLOBAL__N_114CompareFunctorIlEESt5arrayIPcLm3EEEEviT0_T1_.kd
    .uniform_work_group_size: 1
    .uses_dynamic_stack: false
    .vgpr_count:     70
    .vgpr_spill_count: 0
    .wavefront_size: 64
  - .args:
      - .offset:         0
        .size:           4
        .value_kind:     by_value
      - .offset:         4
        .size:           4
        .value_kind:     by_value
      - .offset:         8
        .size:           24
        .value_kind:     by_value
      - .offset:         32
        .size:           1
        .value_kind:     by_value
      - .offset:         33
        .size:           1
        .value_kind:     by_value
      - .offset:         34
        .size:           1
        .value_kind:     by_value
      - .offset:         35
        .size:           1
        .value_kind:     by_value
    .group_segment_fixed_size: 0
    .kernarg_segment_align: 8
    .kernarg_segment_size: 36
    .language:       OpenCL C
    .language_version:
      - 2
      - 0
    .max_flat_workgroup_size: 256
    .name:           _ZN2at6native27unrolled_elementwise_kernelINS0_12_GLOBAL__N_114CompareFunctorIlEESt5arrayIPcLm3EELi4E23TrivialOffsetCalculatorILi2EjES8_ILi1EjENS0_6memory15LoadWithoutCastENSB_16StoreWithoutCastEEEviT_T0_T2_T3_T4_T5_
    .private_segment_fixed_size: 0
    .sgpr_count:     21
    .sgpr_spill_count: 0
    .symbol:         _ZN2at6native27unrolled_elementwise_kernelINS0_12_GLOBAL__N_114CompareFunctorIlEESt5arrayIPcLm3EELi4E23TrivialOffsetCalculatorILi2EjES8_ILi1EjENS0_6memory15LoadWithoutCastENSB_16StoreWithoutCastEEEviT_T0_T2_T3_T4_T5_.kd
    .uniform_work_group_size: 1
    .uses_dynamic_stack: false
    .vgpr_count:     22
    .vgpr_spill_count: 0
    .wavefront_size: 64
  - .args:
      - .offset:         0
        .size:           4
        .value_kind:     by_value
      - .offset:         8
        .size:           424
        .value_kind:     by_value
    .group_segment_fixed_size: 0
    .kernarg_segment_align: 8
    .kernarg_segment_size: 432
    .language:       OpenCL C
    .language_version:
      - 2
      - 0
    .max_flat_workgroup_size: 128
    .name:           _ZN2at6native32elementwise_kernel_manual_unrollILi128ELi8EZNS0_22gpu_kernel_impl_nocastINS0_12_GLOBAL__N_114CompareFunctorIlEEEEvRNS_18TensorIteratorBaseERKT_EUlibE_EEviT1_
    .private_segment_fixed_size: 0
    .sgpr_count:     56
    .sgpr_spill_count: 0
    .symbol:         _ZN2at6native32elementwise_kernel_manual_unrollILi128ELi8EZNS0_22gpu_kernel_impl_nocastINS0_12_GLOBAL__N_114CompareFunctorIlEEEEvRNS_18TensorIteratorBaseERKT_EUlibE_EEviT1_.kd
    .uniform_work_group_size: 1
    .uses_dynamic_stack: false
    .vgpr_count:     40
    .vgpr_spill_count: 0
    .wavefront_size: 64
  - .args:
      - .offset:         0
        .size:           4
        .value_kind:     by_value
      - .offset:         8
        .size:           48
        .value_kind:     by_value
    .group_segment_fixed_size: 0
    .kernarg_segment_align: 8
    .kernarg_segment_size: 56
    .language:       OpenCL C
    .language_version:
      - 2
      - 0
    .max_flat_workgroup_size: 128
    .name:           _ZN2at6native32elementwise_kernel_manual_unrollILi128ELi4EZNS0_15gpu_kernel_implINS0_12_GLOBAL__N_114CompareFunctorIlEEEEvRNS_18TensorIteratorBaseERKT_EUlibE_EEviT1_
    .private_segment_fixed_size: 0
    .sgpr_count:     61
    .sgpr_spill_count: 0
    .symbol:         _ZN2at6native32elementwise_kernel_manual_unrollILi128ELi4EZNS0_15gpu_kernel_implINS0_12_GLOBAL__N_114CompareFunctorIlEEEEvRNS_18TensorIteratorBaseERKT_EUlibE_EEviT1_.kd
    .uniform_work_group_size: 1
    .uses_dynamic_stack: false
    .vgpr_count:     13
    .vgpr_spill_count: 0
    .wavefront_size: 64
  - .args:
      - .offset:         0
        .size:           4
        .value_kind:     by_value
      - .offset:         8
        .size:           424
        .value_kind:     by_value
    .group_segment_fixed_size: 0
    .kernarg_segment_align: 8
    .kernarg_segment_size: 432
    .language:       OpenCL C
    .language_version:
      - 2
      - 0
    .max_flat_workgroup_size: 128
    .name:           _ZN2at6native32elementwise_kernel_manual_unrollILi128ELi4EZNS0_15gpu_kernel_implINS0_12_GLOBAL__N_114CompareFunctorIlEEEEvRNS_18TensorIteratorBaseERKT_EUlibE0_EEviT1_
    .private_segment_fixed_size: 0
    .sgpr_count:     84
    .sgpr_spill_count: 0
    .symbol:         _ZN2at6native32elementwise_kernel_manual_unrollILi128ELi4EZNS0_15gpu_kernel_implINS0_12_GLOBAL__N_114CompareFunctorIlEEEEvRNS_18TensorIteratorBaseERKT_EUlibE0_EEviT1_.kd
    .uniform_work_group_size: 1
    .uses_dynamic_stack: false
    .vgpr_count:     28
    .vgpr_spill_count: 0
    .wavefront_size: 64
  - .args:
      - .offset:         0
        .size:           4
        .value_kind:     by_value
      - .offset:         4
        .size:           8
        .value_kind:     by_value
      - .offset:         16
        .size:           16
        .value_kind:     by_value
    .group_segment_fixed_size: 0
    .kernarg_segment_align: 8
    .kernarg_segment_size: 32
    .language:       OpenCL C
    .language_version:
      - 2
      - 0
    .max_flat_workgroup_size: 256
    .name:           _ZN2at6native29vectorized_elementwise_kernelILi16EZNS0_21compare_scalar_kernelIsEEvRNS_18TensorIteratorBaseENS0_12_GLOBAL__N_16OpTypeET_EUlsE_St5arrayIPcLm2EEEEviT0_T1_
    .private_segment_fixed_size: 0
    .sgpr_count:     54
    .sgpr_spill_count: 0
    .symbol:         _ZN2at6native29vectorized_elementwise_kernelILi16EZNS0_21compare_scalar_kernelIsEEvRNS_18TensorIteratorBaseENS0_12_GLOBAL__N_16OpTypeET_EUlsE_St5arrayIPcLm2EEEEviT0_T1_.kd
    .uniform_work_group_size: 1
    .uses_dynamic_stack: false
    .vgpr_count:     22
    .vgpr_spill_count: 0
    .wavefront_size: 64
  - .args:
      - .offset:         0
        .size:           4
        .value_kind:     by_value
      - .offset:         4
        .size:           8
        .value_kind:     by_value
      - .offset:         16
        .size:           16
        .value_kind:     by_value
    .group_segment_fixed_size: 0
    .kernarg_segment_align: 8
    .kernarg_segment_size: 32
    .language:       OpenCL C
    .language_version:
      - 2
      - 0
    .max_flat_workgroup_size: 256
    .name:           _ZN2at6native29vectorized_elementwise_kernelILi8EZNS0_21compare_scalar_kernelIsEEvRNS_18TensorIteratorBaseENS0_12_GLOBAL__N_16OpTypeET_EUlsE_St5arrayIPcLm2EEEEviT0_T1_
    .private_segment_fixed_size: 0
    .sgpr_count:     54
    .sgpr_spill_count: 0
    .symbol:         _ZN2at6native29vectorized_elementwise_kernelILi8EZNS0_21compare_scalar_kernelIsEEvRNS_18TensorIteratorBaseENS0_12_GLOBAL__N_16OpTypeET_EUlsE_St5arrayIPcLm2EEEEviT0_T1_.kd
    .uniform_work_group_size: 1
    .uses_dynamic_stack: false
    .vgpr_count:     22
    .vgpr_spill_count: 0
    .wavefront_size: 64
  - .args:
      - .offset:         0
        .size:           4
        .value_kind:     by_value
      - .offset:         4
        .size:           8
        .value_kind:     by_value
      - .offset:         16
        .size:           16
        .value_kind:     by_value
    .group_segment_fixed_size: 0
    .kernarg_segment_align: 8
    .kernarg_segment_size: 32
    .language:       OpenCL C
    .language_version:
      - 2
      - 0
    .max_flat_workgroup_size: 256
    .name:           _ZN2at6native29vectorized_elementwise_kernelILi4EZNS0_21compare_scalar_kernelIsEEvRNS_18TensorIteratorBaseENS0_12_GLOBAL__N_16OpTypeET_EUlsE_St5arrayIPcLm2EEEEviT0_T1_
    .private_segment_fixed_size: 0
    .sgpr_count:     54
    .sgpr_spill_count: 0
    .symbol:         _ZN2at6native29vectorized_elementwise_kernelILi4EZNS0_21compare_scalar_kernelIsEEvRNS_18TensorIteratorBaseENS0_12_GLOBAL__N_16OpTypeET_EUlsE_St5arrayIPcLm2EEEEviT0_T1_.kd
    .uniform_work_group_size: 1
    .uses_dynamic_stack: false
    .vgpr_count:     22
    .vgpr_spill_count: 0
    .wavefront_size: 64
  - .args:
      - .offset:         0
        .size:           4
        .value_kind:     by_value
      - .offset:         4
        .size:           8
        .value_kind:     by_value
      - .offset:         16
        .size:           16
        .value_kind:     by_value
    .group_segment_fixed_size: 0
    .kernarg_segment_align: 8
    .kernarg_segment_size: 32
    .language:       OpenCL C
    .language_version:
      - 2
      - 0
    .max_flat_workgroup_size: 256
    .name:           _ZN2at6native29vectorized_elementwise_kernelILi2EZNS0_21compare_scalar_kernelIsEEvRNS_18TensorIteratorBaseENS0_12_GLOBAL__N_16OpTypeET_EUlsE_St5arrayIPcLm2EEEEviT0_T1_
    .private_segment_fixed_size: 0
    .sgpr_count:     54
    .sgpr_spill_count: 0
    .symbol:         _ZN2at6native29vectorized_elementwise_kernelILi2EZNS0_21compare_scalar_kernelIsEEvRNS_18TensorIteratorBaseENS0_12_GLOBAL__N_16OpTypeET_EUlsE_St5arrayIPcLm2EEEEviT0_T1_.kd
    .uniform_work_group_size: 1
    .uses_dynamic_stack: false
    .vgpr_count:     22
    .vgpr_spill_count: 0
    .wavefront_size: 64
  - .args:
      - .offset:         0
        .size:           4
        .value_kind:     by_value
      - .offset:         4
        .size:           8
        .value_kind:     by_value
      - .offset:         16
        .size:           16
        .value_kind:     by_value
      - .offset:         32
        .size:           1
        .value_kind:     by_value
      - .offset:         33
        .size:           1
        .value_kind:     by_value
      - .offset:         34
        .size:           1
        .value_kind:     by_value
      - .offset:         35
        .size:           1
        .value_kind:     by_value
    .group_segment_fixed_size: 0
    .kernarg_segment_align: 8
    .kernarg_segment_size: 36
    .language:       OpenCL C
    .language_version:
      - 2
      - 0
    .max_flat_workgroup_size: 256
    .name:           _ZN2at6native27unrolled_elementwise_kernelIZNS0_21compare_scalar_kernelIsEEvRNS_18TensorIteratorBaseENS0_12_GLOBAL__N_16OpTypeET_EUlsE_St5arrayIPcLm2EELi4E23TrivialOffsetCalculatorILi1EjESD_NS0_6memory15LoadWithoutCastENSE_16StoreWithoutCastEEEviS7_T0_T2_T3_T4_T5_
    .private_segment_fixed_size: 0
    .sgpr_count:     22
    .sgpr_spill_count: 0
    .symbol:         _ZN2at6native27unrolled_elementwise_kernelIZNS0_21compare_scalar_kernelIsEEvRNS_18TensorIteratorBaseENS0_12_GLOBAL__N_16OpTypeET_EUlsE_St5arrayIPcLm2EELi4E23TrivialOffsetCalculatorILi1EjESD_NS0_6memory15LoadWithoutCastENSE_16StoreWithoutCastEEEviS7_T0_T2_T3_T4_T5_.kd
    .uniform_work_group_size: 1
    .uses_dynamic_stack: false
    .vgpr_count:     9
    .vgpr_spill_count: 0
    .wavefront_size: 64
  - .args:
      - .offset:         0
        .size:           4
        .value_kind:     by_value
      - .offset:         8
        .size:           352
        .value_kind:     by_value
    .group_segment_fixed_size: 0
    .kernarg_segment_align: 8
    .kernarg_segment_size: 360
    .language:       OpenCL C
    .language_version:
      - 2
      - 0
    .max_flat_workgroup_size: 128
    .name:           _ZN2at6native32elementwise_kernel_manual_unrollILi128ELi8EZNS0_22gpu_kernel_impl_nocastIZNS0_21compare_scalar_kernelIsEEvRNS_18TensorIteratorBaseENS0_12_GLOBAL__N_16OpTypeET_EUlsE_EEvS5_RKS8_EUlibE_EEviT1_
    .private_segment_fixed_size: 0
    .sgpr_count:     66
    .sgpr_spill_count: 0
    .symbol:         _ZN2at6native32elementwise_kernel_manual_unrollILi128ELi8EZNS0_22gpu_kernel_impl_nocastIZNS0_21compare_scalar_kernelIsEEvRNS_18TensorIteratorBaseENS0_12_GLOBAL__N_16OpTypeET_EUlsE_EEvS5_RKS8_EUlibE_EEviT1_.kd
    .uniform_work_group_size: 1
    .uses_dynamic_stack: false
    .vgpr_count:     26
    .vgpr_spill_count: 0
    .wavefront_size: 64
  - .args:
      - .offset:         0
        .size:           4
        .value_kind:     by_value
      - .offset:         8
        .size:           40
        .value_kind:     by_value
    .group_segment_fixed_size: 0
    .kernarg_segment_align: 8
    .kernarg_segment_size: 48
    .language:       OpenCL C
    .language_version:
      - 2
      - 0
    .max_flat_workgroup_size: 128
    .name:           _ZN2at6native32elementwise_kernel_manual_unrollILi128ELi4EZNS0_15gpu_kernel_implIZNS0_21compare_scalar_kernelIsEEvRNS_18TensorIteratorBaseENS0_12_GLOBAL__N_16OpTypeET_EUlsE_EEvS5_RKS8_EUlibE_EEviT1_
    .private_segment_fixed_size: 0
    .sgpr_count:     50
    .sgpr_spill_count: 0
    .symbol:         _ZN2at6native32elementwise_kernel_manual_unrollILi128ELi4EZNS0_15gpu_kernel_implIZNS0_21compare_scalar_kernelIsEEvRNS_18TensorIteratorBaseENS0_12_GLOBAL__N_16OpTypeET_EUlsE_EEvS5_RKS8_EUlibE_EEviT1_.kd
    .uniform_work_group_size: 1
    .uses_dynamic_stack: false
    .vgpr_count:     10
    .vgpr_spill_count: 0
    .wavefront_size: 64
  - .args:
      - .offset:         0
        .size:           4
        .value_kind:     by_value
      - .offset:         8
        .size:           360
        .value_kind:     by_value
    .group_segment_fixed_size: 0
    .kernarg_segment_align: 8
    .kernarg_segment_size: 368
    .language:       OpenCL C
    .language_version:
      - 2
      - 0
    .max_flat_workgroup_size: 128
    .name:           _ZN2at6native32elementwise_kernel_manual_unrollILi128ELi4EZNS0_15gpu_kernel_implIZNS0_21compare_scalar_kernelIsEEvRNS_18TensorIteratorBaseENS0_12_GLOBAL__N_16OpTypeET_EUlsE_EEvS5_RKS8_EUlibE0_EEviT1_
    .private_segment_fixed_size: 0
    .sgpr_count:     84
    .sgpr_spill_count: 0
    .symbol:         _ZN2at6native32elementwise_kernel_manual_unrollILi128ELi4EZNS0_15gpu_kernel_implIZNS0_21compare_scalar_kernelIsEEvRNS_18TensorIteratorBaseENS0_12_GLOBAL__N_16OpTypeET_EUlsE_EEvS5_RKS8_EUlibE0_EEviT1_.kd
    .uniform_work_group_size: 1
    .uses_dynamic_stack: false
    .vgpr_count:     18
    .vgpr_spill_count: 0
    .wavefront_size: 64
  - .args:
      - .offset:         0
        .size:           4
        .value_kind:     by_value
      - .offset:         4
        .size:           4
        .value_kind:     by_value
      - .offset:         8
        .size:           24
        .value_kind:     by_value
    .group_segment_fixed_size: 0
    .kernarg_segment_align: 8
    .kernarg_segment_size: 32
    .language:       OpenCL C
    .language_version:
      - 2
      - 0
    .max_flat_workgroup_size: 256
    .name:           _ZN2at6native29vectorized_elementwise_kernelILi16ENS0_12_GLOBAL__N_114CompareFunctorIsEESt5arrayIPcLm3EEEEviT0_T1_
    .private_segment_fixed_size: 0
    .sgpr_count:     54
    .sgpr_spill_count: 0
    .symbol:         _ZN2at6native29vectorized_elementwise_kernelILi16ENS0_12_GLOBAL__N_114CompareFunctorIsEESt5arrayIPcLm3EEEEviT0_T1_.kd
    .uniform_work_group_size: 1
    .uses_dynamic_stack: false
    .vgpr_count:     39
    .vgpr_spill_count: 0
    .wavefront_size: 64
  - .args:
      - .offset:         0
        .size:           4
        .value_kind:     by_value
      - .offset:         4
        .size:           4
        .value_kind:     by_value
      - .offset:         8
        .size:           24
        .value_kind:     by_value
    .group_segment_fixed_size: 0
    .kernarg_segment_align: 8
    .kernarg_segment_size: 32
    .language:       OpenCL C
    .language_version:
      - 2
      - 0
    .max_flat_workgroup_size: 256
    .name:           _ZN2at6native29vectorized_elementwise_kernelILi8ENS0_12_GLOBAL__N_114CompareFunctorIsEESt5arrayIPcLm3EEEEviT0_T1_
    .private_segment_fixed_size: 0
    .sgpr_count:     54
    .sgpr_spill_count: 0
    .symbol:         _ZN2at6native29vectorized_elementwise_kernelILi8ENS0_12_GLOBAL__N_114CompareFunctorIsEESt5arrayIPcLm3EEEEviT0_T1_.kd
    .uniform_work_group_size: 1
    .uses_dynamic_stack: false
    .vgpr_count:     39
    .vgpr_spill_count: 0
    .wavefront_size: 64
  - .args:
      - .offset:         0
        .size:           4
        .value_kind:     by_value
      - .offset:         4
        .size:           4
        .value_kind:     by_value
      - .offset:         8
        .size:           24
        .value_kind:     by_value
    .group_segment_fixed_size: 0
    .kernarg_segment_align: 8
    .kernarg_segment_size: 32
    .language:       OpenCL C
    .language_version:
      - 2
      - 0
    .max_flat_workgroup_size: 256
    .name:           _ZN2at6native29vectorized_elementwise_kernelILi4ENS0_12_GLOBAL__N_114CompareFunctorIsEESt5arrayIPcLm3EEEEviT0_T1_
    .private_segment_fixed_size: 0
    .sgpr_count:     54
    .sgpr_spill_count: 0
    .symbol:         _ZN2at6native29vectorized_elementwise_kernelILi4ENS0_12_GLOBAL__N_114CompareFunctorIsEESt5arrayIPcLm3EEEEviT0_T1_.kd
    .uniform_work_group_size: 1
    .uses_dynamic_stack: false
    .vgpr_count:     39
    .vgpr_spill_count: 0
    .wavefront_size: 64
  - .args:
      - .offset:         0
        .size:           4
        .value_kind:     by_value
      - .offset:         4
        .size:           4
        .value_kind:     by_value
      - .offset:         8
        .size:           24
        .value_kind:     by_value
    .group_segment_fixed_size: 0
    .kernarg_segment_align: 8
    .kernarg_segment_size: 32
    .language:       OpenCL C
    .language_version:
      - 2
      - 0
    .max_flat_workgroup_size: 256
    .name:           _ZN2at6native29vectorized_elementwise_kernelILi2ENS0_12_GLOBAL__N_114CompareFunctorIsEESt5arrayIPcLm3EEEEviT0_T1_
    .private_segment_fixed_size: 0
    .sgpr_count:     54
    .sgpr_spill_count: 0
    .symbol:         _ZN2at6native29vectorized_elementwise_kernelILi2ENS0_12_GLOBAL__N_114CompareFunctorIsEESt5arrayIPcLm3EEEEviT0_T1_.kd
    .uniform_work_group_size: 1
    .uses_dynamic_stack: false
    .vgpr_count:     39
    .vgpr_spill_count: 0
    .wavefront_size: 64
  - .args:
      - .offset:         0
        .size:           4
        .value_kind:     by_value
      - .offset:         4
        .size:           4
        .value_kind:     by_value
      - .offset:         8
        .size:           24
        .value_kind:     by_value
      - .offset:         32
        .size:           1
        .value_kind:     by_value
      - .offset:         33
        .size:           1
        .value_kind:     by_value
      - .offset:         34
        .size:           1
        .value_kind:     by_value
      - .offset:         35
        .size:           1
        .value_kind:     by_value
    .group_segment_fixed_size: 0
    .kernarg_segment_align: 8
    .kernarg_segment_size: 36
    .language:       OpenCL C
    .language_version:
      - 2
      - 0
    .max_flat_workgroup_size: 256
    .name:           _ZN2at6native27unrolled_elementwise_kernelINS0_12_GLOBAL__N_114CompareFunctorIsEESt5arrayIPcLm3EELi4E23TrivialOffsetCalculatorILi2EjES8_ILi1EjENS0_6memory15LoadWithoutCastENSB_16StoreWithoutCastEEEviT_T0_T2_T3_T4_T5_
    .private_segment_fixed_size: 0
    .sgpr_count:     21
    .sgpr_spill_count: 0
    .symbol:         _ZN2at6native27unrolled_elementwise_kernelINS0_12_GLOBAL__N_114CompareFunctorIsEESt5arrayIPcLm3EELi4E23TrivialOffsetCalculatorILi2EjES8_ILi1EjENS0_6memory15LoadWithoutCastENSB_16StoreWithoutCastEEEviT_T0_T2_T3_T4_T5_.kd
    .uniform_work_group_size: 1
    .uses_dynamic_stack: false
    .vgpr_count:     15
    .vgpr_spill_count: 0
    .wavefront_size: 64
  - .args:
      - .offset:         0
        .size:           4
        .value_kind:     by_value
      - .offset:         8
        .size:           424
        .value_kind:     by_value
    .group_segment_fixed_size: 0
    .kernarg_segment_align: 8
    .kernarg_segment_size: 432
    .language:       OpenCL C
    .language_version:
      - 2
      - 0
    .max_flat_workgroup_size: 128
    .name:           _ZN2at6native32elementwise_kernel_manual_unrollILi128ELi8EZNS0_22gpu_kernel_impl_nocastINS0_12_GLOBAL__N_114CompareFunctorIsEEEEvRNS_18TensorIteratorBaseERKT_EUlibE_EEviT1_
    .private_segment_fixed_size: 0
    .sgpr_count:     56
    .sgpr_spill_count: 0
    .symbol:         _ZN2at6native32elementwise_kernel_manual_unrollILi128ELi8EZNS0_22gpu_kernel_impl_nocastINS0_12_GLOBAL__N_114CompareFunctorIsEEEEvRNS_18TensorIteratorBaseERKT_EUlibE_EEviT1_.kd
    .uniform_work_group_size: 1
    .uses_dynamic_stack: false
    .vgpr_count:     38
    .vgpr_spill_count: 0
    .wavefront_size: 64
  - .args:
      - .offset:         0
        .size:           4
        .value_kind:     by_value
      - .offset:         8
        .size:           48
        .value_kind:     by_value
    .group_segment_fixed_size: 0
    .kernarg_segment_align: 8
    .kernarg_segment_size: 56
    .language:       OpenCL C
    .language_version:
      - 2
      - 0
    .max_flat_workgroup_size: 128
    .name:           _ZN2at6native32elementwise_kernel_manual_unrollILi128ELi4EZNS0_15gpu_kernel_implINS0_12_GLOBAL__N_114CompareFunctorIsEEEEvRNS_18TensorIteratorBaseERKT_EUlibE_EEviT1_
    .private_segment_fixed_size: 0
    .sgpr_count:     61
    .sgpr_spill_count: 0
    .symbol:         _ZN2at6native32elementwise_kernel_manual_unrollILi128ELi4EZNS0_15gpu_kernel_implINS0_12_GLOBAL__N_114CompareFunctorIsEEEEvRNS_18TensorIteratorBaseERKT_EUlibE_EEviT1_.kd
    .uniform_work_group_size: 1
    .uses_dynamic_stack: false
    .vgpr_count:     12
    .vgpr_spill_count: 0
    .wavefront_size: 64
  - .args:
      - .offset:         0
        .size:           4
        .value_kind:     by_value
      - .offset:         8
        .size:           424
        .value_kind:     by_value
    .group_segment_fixed_size: 0
    .kernarg_segment_align: 8
    .kernarg_segment_size: 432
    .language:       OpenCL C
    .language_version:
      - 2
      - 0
    .max_flat_workgroup_size: 128
    .name:           _ZN2at6native32elementwise_kernel_manual_unrollILi128ELi4EZNS0_15gpu_kernel_implINS0_12_GLOBAL__N_114CompareFunctorIsEEEEvRNS_18TensorIteratorBaseERKT_EUlibE0_EEviT1_
    .private_segment_fixed_size: 0
    .sgpr_count:     84
    .sgpr_spill_count: 0
    .symbol:         _ZN2at6native32elementwise_kernel_manual_unrollILi128ELi4EZNS0_15gpu_kernel_implINS0_12_GLOBAL__N_114CompareFunctorIsEEEEvRNS_18TensorIteratorBaseERKT_EUlibE0_EEviT1_.kd
    .uniform_work_group_size: 1
    .uses_dynamic_stack: false
    .vgpr_count:     24
    .vgpr_spill_count: 0
    .wavefront_size: 64
  - .args:
      - .offset:         0
        .size:           4
        .value_kind:     by_value
      - .offset:         8
        .size:           16
        .value_kind:     by_value
      - .offset:         24
        .size:           16
        .value_kind:     by_value
    .group_segment_fixed_size: 0
    .kernarg_segment_align: 8
    .kernarg_segment_size: 40
    .language:       OpenCL C
    .language_version:
      - 2
      - 0
    .max_flat_workgroup_size: 256
    .name:           _ZN2at6native29vectorized_elementwise_kernelILi16EZNS0_21compare_scalar_kernelIdEEvRNS_18TensorIteratorBaseENS0_12_GLOBAL__N_16OpTypeET_EUldE_St5arrayIPcLm2EEEEviT0_T1_
    .private_segment_fixed_size: 0
    .sgpr_count:     53
    .sgpr_spill_count: 0
    .symbol:         _ZN2at6native29vectorized_elementwise_kernelILi16EZNS0_21compare_scalar_kernelIdEEvRNS_18TensorIteratorBaseENS0_12_GLOBAL__N_16OpTypeET_EUldE_St5arrayIPcLm2EEEEviT0_T1_.kd
    .uniform_work_group_size: 1
    .uses_dynamic_stack: false
    .vgpr_count:     36
    .vgpr_spill_count: 0
    .wavefront_size: 64
  - .args:
      - .offset:         0
        .size:           4
        .value_kind:     by_value
      - .offset:         8
        .size:           16
        .value_kind:     by_value
      - .offset:         24
        .size:           16
        .value_kind:     by_value
    .group_segment_fixed_size: 0
    .kernarg_segment_align: 8
    .kernarg_segment_size: 40
    .language:       OpenCL C
    .language_version:
      - 2
      - 0
    .max_flat_workgroup_size: 256
    .name:           _ZN2at6native29vectorized_elementwise_kernelILi8EZNS0_21compare_scalar_kernelIdEEvRNS_18TensorIteratorBaseENS0_12_GLOBAL__N_16OpTypeET_EUldE_St5arrayIPcLm2EEEEviT0_T1_
    .private_segment_fixed_size: 0
    .sgpr_count:     53
    .sgpr_spill_count: 0
    .symbol:         _ZN2at6native29vectorized_elementwise_kernelILi8EZNS0_21compare_scalar_kernelIdEEvRNS_18TensorIteratorBaseENS0_12_GLOBAL__N_16OpTypeET_EUldE_St5arrayIPcLm2EEEEviT0_T1_.kd
    .uniform_work_group_size: 1
    .uses_dynamic_stack: false
    .vgpr_count:     37
    .vgpr_spill_count: 0
    .wavefront_size: 64
  - .args:
      - .offset:         0
        .size:           4
        .value_kind:     by_value
      - .offset:         8
        .size:           16
        .value_kind:     by_value
      - .offset:         24
        .size:           16
        .value_kind:     by_value
    .group_segment_fixed_size: 0
    .kernarg_segment_align: 8
    .kernarg_segment_size: 40
    .language:       OpenCL C
    .language_version:
      - 2
      - 0
    .max_flat_workgroup_size: 256
    .name:           _ZN2at6native29vectorized_elementwise_kernelILi4EZNS0_21compare_scalar_kernelIdEEvRNS_18TensorIteratorBaseENS0_12_GLOBAL__N_16OpTypeET_EUldE_St5arrayIPcLm2EEEEviT0_T1_
    .private_segment_fixed_size: 0
    .sgpr_count:     53
    .sgpr_spill_count: 0
    .symbol:         _ZN2at6native29vectorized_elementwise_kernelILi4EZNS0_21compare_scalar_kernelIdEEvRNS_18TensorIteratorBaseENS0_12_GLOBAL__N_16OpTypeET_EUldE_St5arrayIPcLm2EEEEviT0_T1_.kd
    .uniform_work_group_size: 1
    .uses_dynamic_stack: false
    .vgpr_count:     37
    .vgpr_spill_count: 0
    .wavefront_size: 64
  - .args:
      - .offset:         0
        .size:           4
        .value_kind:     by_value
      - .offset:         8
        .size:           16
        .value_kind:     by_value
      - .offset:         24
        .size:           16
        .value_kind:     by_value
    .group_segment_fixed_size: 0
    .kernarg_segment_align: 8
    .kernarg_segment_size: 40
    .language:       OpenCL C
    .language_version:
      - 2
      - 0
    .max_flat_workgroup_size: 256
    .name:           _ZN2at6native29vectorized_elementwise_kernelILi2EZNS0_21compare_scalar_kernelIdEEvRNS_18TensorIteratorBaseENS0_12_GLOBAL__N_16OpTypeET_EUldE_St5arrayIPcLm2EEEEviT0_T1_
    .private_segment_fixed_size: 0
    .sgpr_count:     53
    .sgpr_spill_count: 0
    .symbol:         _ZN2at6native29vectorized_elementwise_kernelILi2EZNS0_21compare_scalar_kernelIdEEvRNS_18TensorIteratorBaseENS0_12_GLOBAL__N_16OpTypeET_EUldE_St5arrayIPcLm2EEEEviT0_T1_.kd
    .uniform_work_group_size: 1
    .uses_dynamic_stack: false
    .vgpr_count:     37
    .vgpr_spill_count: 0
    .wavefront_size: 64
  - .args:
      - .offset:         0
        .size:           4
        .value_kind:     by_value
      - .offset:         8
        .size:           16
        .value_kind:     by_value
      - .offset:         24
        .size:           16
        .value_kind:     by_value
      - .offset:         40
        .size:           1
        .value_kind:     by_value
      - .offset:         41
        .size:           1
        .value_kind:     by_value
      - .offset:         42
        .size:           1
        .value_kind:     by_value
      - .offset:         43
        .size:           1
        .value_kind:     by_value
    .group_segment_fixed_size: 0
    .kernarg_segment_align: 8
    .kernarg_segment_size: 44
    .language:       OpenCL C
    .language_version:
      - 2
      - 0
    .max_flat_workgroup_size: 256
    .name:           _ZN2at6native27unrolled_elementwise_kernelIZNS0_21compare_scalar_kernelIdEEvRNS_18TensorIteratorBaseENS0_12_GLOBAL__N_16OpTypeET_EUldE_St5arrayIPcLm2EELi4E23TrivialOffsetCalculatorILi1EjESD_NS0_6memory15LoadWithoutCastENSE_16StoreWithoutCastEEEviS7_T0_T2_T3_T4_T5_
    .private_segment_fixed_size: 0
    .sgpr_count:     23
    .sgpr_spill_count: 0
    .symbol:         _ZN2at6native27unrolled_elementwise_kernelIZNS0_21compare_scalar_kernelIdEEvRNS_18TensorIteratorBaseENS0_12_GLOBAL__N_16OpTypeET_EUldE_St5arrayIPcLm2EELi4E23TrivialOffsetCalculatorILi1EjESD_NS0_6memory15LoadWithoutCastENSE_16StoreWithoutCastEEEviS7_T0_T2_T3_T4_T5_.kd
    .uniform_work_group_size: 1
    .uses_dynamic_stack: false
    .vgpr_count:     12
    .vgpr_spill_count: 0
    .wavefront_size: 64
  - .args:
      - .offset:         0
        .size:           4
        .value_kind:     by_value
      - .offset:         8
        .size:           360
        .value_kind:     by_value
    .group_segment_fixed_size: 0
    .kernarg_segment_align: 8
    .kernarg_segment_size: 368
    .language:       OpenCL C
    .language_version:
      - 2
      - 0
    .max_flat_workgroup_size: 128
    .name:           _ZN2at6native32elementwise_kernel_manual_unrollILi128ELi8EZNS0_22gpu_kernel_impl_nocastIZNS0_21compare_scalar_kernelIdEEvRNS_18TensorIteratorBaseENS0_12_GLOBAL__N_16OpTypeET_EUldE_EEvS5_RKS8_EUlibE_EEviT1_
    .private_segment_fixed_size: 0
    .sgpr_count:     67
    .sgpr_spill_count: 0
    .symbol:         _ZN2at6native32elementwise_kernel_manual_unrollILi128ELi8EZNS0_22gpu_kernel_impl_nocastIZNS0_21compare_scalar_kernelIdEEvRNS_18TensorIteratorBaseENS0_12_GLOBAL__N_16OpTypeET_EUldE_EEvS5_RKS8_EUlibE_EEviT1_.kd
    .uniform_work_group_size: 1
    .uses_dynamic_stack: false
    .vgpr_count:     26
    .vgpr_spill_count: 0
    .wavefront_size: 64
  - .args:
      - .offset:         0
        .size:           4
        .value_kind:     by_value
      - .offset:         8
        .size:           48
        .value_kind:     by_value
    .group_segment_fixed_size: 0
    .kernarg_segment_align: 8
    .kernarg_segment_size: 56
    .language:       OpenCL C
    .language_version:
      - 2
      - 0
    .max_flat_workgroup_size: 128
    .name:           _ZN2at6native32elementwise_kernel_manual_unrollILi128ELi4EZNS0_15gpu_kernel_implIZNS0_21compare_scalar_kernelIdEEvRNS_18TensorIteratorBaseENS0_12_GLOBAL__N_16OpTypeET_EUldE_EEvS5_RKS8_EUlibE_EEviT1_
    .private_segment_fixed_size: 0
    .sgpr_count:     52
    .sgpr_spill_count: 0
    .symbol:         _ZN2at6native32elementwise_kernel_manual_unrollILi128ELi4EZNS0_15gpu_kernel_implIZNS0_21compare_scalar_kernelIdEEvRNS_18TensorIteratorBaseENS0_12_GLOBAL__N_16OpTypeET_EUldE_EEvS5_RKS8_EUlibE_EEviT1_.kd
    .uniform_work_group_size: 1
    .uses_dynamic_stack: false
    .vgpr_count:     10
    .vgpr_spill_count: 0
    .wavefront_size: 64
  - .args:
      - .offset:         0
        .size:           4
        .value_kind:     by_value
      - .offset:         8
        .size:           368
        .value_kind:     by_value
    .group_segment_fixed_size: 0
    .kernarg_segment_align: 8
    .kernarg_segment_size: 376
    .language:       OpenCL C
    .language_version:
      - 2
      - 0
    .max_flat_workgroup_size: 128
    .name:           _ZN2at6native32elementwise_kernel_manual_unrollILi128ELi4EZNS0_15gpu_kernel_implIZNS0_21compare_scalar_kernelIdEEvRNS_18TensorIteratorBaseENS0_12_GLOBAL__N_16OpTypeET_EUldE_EEvS5_RKS8_EUlibE0_EEviT1_
    .private_segment_fixed_size: 0
    .sgpr_count:     85
    .sgpr_spill_count: 0
    .symbol:         _ZN2at6native32elementwise_kernel_manual_unrollILi128ELi4EZNS0_15gpu_kernel_implIZNS0_21compare_scalar_kernelIdEEvRNS_18TensorIteratorBaseENS0_12_GLOBAL__N_16OpTypeET_EUldE_EEvS5_RKS8_EUlibE0_EEviT1_.kd
    .uniform_work_group_size: 1
    .uses_dynamic_stack: false
    .vgpr_count:     19
    .vgpr_spill_count: 0
    .wavefront_size: 64
  - .args:
      - .offset:         0
        .size:           4
        .value_kind:     by_value
      - .offset:         4
        .size:           4
        .value_kind:     by_value
      - .offset:         8
        .size:           24
        .value_kind:     by_value
    .group_segment_fixed_size: 0
    .kernarg_segment_align: 8
    .kernarg_segment_size: 32
    .language:       OpenCL C
    .language_version:
      - 2
      - 0
    .max_flat_workgroup_size: 256
    .name:           _ZN2at6native29vectorized_elementwise_kernelILi16ENS0_12_GLOBAL__N_114CompareFunctorIdEESt5arrayIPcLm3EEEEviT0_T1_
    .private_segment_fixed_size: 0
    .sgpr_count:     54
    .sgpr_spill_count: 0
    .symbol:         _ZN2at6native29vectorized_elementwise_kernelILi16ENS0_12_GLOBAL__N_114CompareFunctorIdEESt5arrayIPcLm3EEEEviT0_T1_.kd
    .uniform_work_group_size: 1
    .uses_dynamic_stack: false
    .vgpr_count:     70
    .vgpr_spill_count: 0
    .wavefront_size: 64
  - .args:
      - .offset:         0
        .size:           4
        .value_kind:     by_value
      - .offset:         4
        .size:           4
        .value_kind:     by_value
      - .offset:         8
        .size:           24
        .value_kind:     by_value
    .group_segment_fixed_size: 0
    .kernarg_segment_align: 8
    .kernarg_segment_size: 32
    .language:       OpenCL C
    .language_version:
      - 2
      - 0
    .max_flat_workgroup_size: 256
    .name:           _ZN2at6native29vectorized_elementwise_kernelILi8ENS0_12_GLOBAL__N_114CompareFunctorIdEESt5arrayIPcLm3EEEEviT0_T1_
    .private_segment_fixed_size: 0
    .sgpr_count:     54
    .sgpr_spill_count: 0
    .symbol:         _ZN2at6native29vectorized_elementwise_kernelILi8ENS0_12_GLOBAL__N_114CompareFunctorIdEESt5arrayIPcLm3EEEEviT0_T1_.kd
    .uniform_work_group_size: 1
    .uses_dynamic_stack: false
    .vgpr_count:     70
    .vgpr_spill_count: 0
    .wavefront_size: 64
  - .args:
      - .offset:         0
        .size:           4
        .value_kind:     by_value
      - .offset:         4
        .size:           4
        .value_kind:     by_value
      - .offset:         8
        .size:           24
        .value_kind:     by_value
    .group_segment_fixed_size: 0
    .kernarg_segment_align: 8
    .kernarg_segment_size: 32
    .language:       OpenCL C
    .language_version:
      - 2
      - 0
    .max_flat_workgroup_size: 256
    .name:           _ZN2at6native29vectorized_elementwise_kernelILi4ENS0_12_GLOBAL__N_114CompareFunctorIdEESt5arrayIPcLm3EEEEviT0_T1_
    .private_segment_fixed_size: 0
    .sgpr_count:     54
    .sgpr_spill_count: 0
    .symbol:         _ZN2at6native29vectorized_elementwise_kernelILi4ENS0_12_GLOBAL__N_114CompareFunctorIdEESt5arrayIPcLm3EEEEviT0_T1_.kd
    .uniform_work_group_size: 1
    .uses_dynamic_stack: false
    .vgpr_count:     70
    .vgpr_spill_count: 0
    .wavefront_size: 64
  - .args:
      - .offset:         0
        .size:           4
        .value_kind:     by_value
      - .offset:         4
        .size:           4
        .value_kind:     by_value
      - .offset:         8
        .size:           24
        .value_kind:     by_value
    .group_segment_fixed_size: 0
    .kernarg_segment_align: 8
    .kernarg_segment_size: 32
    .language:       OpenCL C
    .language_version:
      - 2
      - 0
    .max_flat_workgroup_size: 256
    .name:           _ZN2at6native29vectorized_elementwise_kernelILi2ENS0_12_GLOBAL__N_114CompareFunctorIdEESt5arrayIPcLm3EEEEviT0_T1_
    .private_segment_fixed_size: 0
    .sgpr_count:     54
    .sgpr_spill_count: 0
    .symbol:         _ZN2at6native29vectorized_elementwise_kernelILi2ENS0_12_GLOBAL__N_114CompareFunctorIdEESt5arrayIPcLm3EEEEviT0_T1_.kd
    .uniform_work_group_size: 1
    .uses_dynamic_stack: false
    .vgpr_count:     70
    .vgpr_spill_count: 0
    .wavefront_size: 64
  - .args:
      - .offset:         0
        .size:           4
        .value_kind:     by_value
      - .offset:         4
        .size:           4
        .value_kind:     by_value
      - .offset:         8
        .size:           24
        .value_kind:     by_value
      - .offset:         32
        .size:           1
        .value_kind:     by_value
      - .offset:         33
        .size:           1
        .value_kind:     by_value
      - .offset:         34
        .size:           1
        .value_kind:     by_value
      - .offset:         35
        .size:           1
        .value_kind:     by_value
    .group_segment_fixed_size: 0
    .kernarg_segment_align: 8
    .kernarg_segment_size: 36
    .language:       OpenCL C
    .language_version:
      - 2
      - 0
    .max_flat_workgroup_size: 256
    .name:           _ZN2at6native27unrolled_elementwise_kernelINS0_12_GLOBAL__N_114CompareFunctorIdEESt5arrayIPcLm3EELi4E23TrivialOffsetCalculatorILi2EjES8_ILi1EjENS0_6memory15LoadWithoutCastENSB_16StoreWithoutCastEEEviT_T0_T2_T3_T4_T5_
    .private_segment_fixed_size: 0
    .sgpr_count:     21
    .sgpr_spill_count: 0
    .symbol:         _ZN2at6native27unrolled_elementwise_kernelINS0_12_GLOBAL__N_114CompareFunctorIdEESt5arrayIPcLm3EELi4E23TrivialOffsetCalculatorILi2EjES8_ILi1EjENS0_6memory15LoadWithoutCastENSB_16StoreWithoutCastEEEviT_T0_T2_T3_T4_T5_.kd
    .uniform_work_group_size: 1
    .uses_dynamic_stack: false
    .vgpr_count:     22
    .vgpr_spill_count: 0
    .wavefront_size: 64
  - .args:
      - .offset:         0
        .size:           4
        .value_kind:     by_value
      - .offset:         8
        .size:           424
        .value_kind:     by_value
    .group_segment_fixed_size: 0
    .kernarg_segment_align: 8
    .kernarg_segment_size: 432
    .language:       OpenCL C
    .language_version:
      - 2
      - 0
    .max_flat_workgroup_size: 128
    .name:           _ZN2at6native32elementwise_kernel_manual_unrollILi128ELi8EZNS0_22gpu_kernel_impl_nocastINS0_12_GLOBAL__N_114CompareFunctorIdEEEEvRNS_18TensorIteratorBaseERKT_EUlibE_EEviT1_
    .private_segment_fixed_size: 0
    .sgpr_count:     56
    .sgpr_spill_count: 0
    .symbol:         _ZN2at6native32elementwise_kernel_manual_unrollILi128ELi8EZNS0_22gpu_kernel_impl_nocastINS0_12_GLOBAL__N_114CompareFunctorIdEEEEvRNS_18TensorIteratorBaseERKT_EUlibE_EEviT1_.kd
    .uniform_work_group_size: 1
    .uses_dynamic_stack: false
    .vgpr_count:     40
    .vgpr_spill_count: 0
    .wavefront_size: 64
  - .args:
      - .offset:         0
        .size:           4
        .value_kind:     by_value
      - .offset:         8
        .size:           48
        .value_kind:     by_value
    .group_segment_fixed_size: 0
    .kernarg_segment_align: 8
    .kernarg_segment_size: 56
    .language:       OpenCL C
    .language_version:
      - 2
      - 0
    .max_flat_workgroup_size: 128
    .name:           _ZN2at6native32elementwise_kernel_manual_unrollILi128ELi4EZNS0_15gpu_kernel_implINS0_12_GLOBAL__N_114CompareFunctorIdEEEEvRNS_18TensorIteratorBaseERKT_EUlibE_EEviT1_
    .private_segment_fixed_size: 0
    .sgpr_count:     61
    .sgpr_spill_count: 0
    .symbol:         _ZN2at6native32elementwise_kernel_manual_unrollILi128ELi4EZNS0_15gpu_kernel_implINS0_12_GLOBAL__N_114CompareFunctorIdEEEEvRNS_18TensorIteratorBaseERKT_EUlibE_EEviT1_.kd
    .uniform_work_group_size: 1
    .uses_dynamic_stack: false
    .vgpr_count:     13
    .vgpr_spill_count: 0
    .wavefront_size: 64
  - .args:
      - .offset:         0
        .size:           4
        .value_kind:     by_value
      - .offset:         8
        .size:           424
        .value_kind:     by_value
    .group_segment_fixed_size: 0
    .kernarg_segment_align: 8
    .kernarg_segment_size: 432
    .language:       OpenCL C
    .language_version:
      - 2
      - 0
    .max_flat_workgroup_size: 128
    .name:           _ZN2at6native32elementwise_kernel_manual_unrollILi128ELi4EZNS0_15gpu_kernel_implINS0_12_GLOBAL__N_114CompareFunctorIdEEEEvRNS_18TensorIteratorBaseERKT_EUlibE0_EEviT1_
    .private_segment_fixed_size: 0
    .sgpr_count:     84
    .sgpr_spill_count: 0
    .symbol:         _ZN2at6native32elementwise_kernel_manual_unrollILi128ELi4EZNS0_15gpu_kernel_implINS0_12_GLOBAL__N_114CompareFunctorIdEEEEvRNS_18TensorIteratorBaseERKT_EUlibE0_EEviT1_.kd
    .uniform_work_group_size: 1
    .uses_dynamic_stack: false
    .vgpr_count:     27
    .vgpr_spill_count: 0
    .wavefront_size: 64
  - .args:
      - .offset:         0
        .size:           4
        .value_kind:     by_value
      - .offset:         4
        .size:           8
        .value_kind:     by_value
      - .offset:         16
        .size:           16
        .value_kind:     by_value
    .group_segment_fixed_size: 0
    .kernarg_segment_align: 8
    .kernarg_segment_size: 32
    .language:       OpenCL C
    .language_version:
      - 2
      - 0
    .max_flat_workgroup_size: 256
    .name:           _ZN2at6native29vectorized_elementwise_kernelILi16EZNS0_21compare_scalar_kernelIfEEvRNS_18TensorIteratorBaseENS0_12_GLOBAL__N_16OpTypeET_EUlfE_St5arrayIPcLm2EEEEviT0_T1_
    .private_segment_fixed_size: 0
    .sgpr_count:     54
    .sgpr_spill_count: 0
    .symbol:         _ZN2at6native29vectorized_elementwise_kernelILi16EZNS0_21compare_scalar_kernelIfEEvRNS_18TensorIteratorBaseENS0_12_GLOBAL__N_16OpTypeET_EUlfE_St5arrayIPcLm2EEEEviT0_T1_.kd
    .uniform_work_group_size: 1
    .uses_dynamic_stack: false
    .vgpr_count:     22
    .vgpr_spill_count: 0
    .wavefront_size: 64
  - .args:
      - .offset:         0
        .size:           4
        .value_kind:     by_value
      - .offset:         4
        .size:           8
        .value_kind:     by_value
      - .offset:         16
        .size:           16
        .value_kind:     by_value
    .group_segment_fixed_size: 0
    .kernarg_segment_align: 8
    .kernarg_segment_size: 32
    .language:       OpenCL C
    .language_version:
      - 2
      - 0
    .max_flat_workgroup_size: 256
    .name:           _ZN2at6native29vectorized_elementwise_kernelILi8EZNS0_21compare_scalar_kernelIfEEvRNS_18TensorIteratorBaseENS0_12_GLOBAL__N_16OpTypeET_EUlfE_St5arrayIPcLm2EEEEviT0_T1_
    .private_segment_fixed_size: 0
    .sgpr_count:     54
    .sgpr_spill_count: 0
    .symbol:         _ZN2at6native29vectorized_elementwise_kernelILi8EZNS0_21compare_scalar_kernelIfEEvRNS_18TensorIteratorBaseENS0_12_GLOBAL__N_16OpTypeET_EUlfE_St5arrayIPcLm2EEEEviT0_T1_.kd
    .uniform_work_group_size: 1
    .uses_dynamic_stack: false
    .vgpr_count:     22
    .vgpr_spill_count: 0
    .wavefront_size: 64
  - .args:
      - .offset:         0
        .size:           4
        .value_kind:     by_value
      - .offset:         4
        .size:           8
        .value_kind:     by_value
      - .offset:         16
        .size:           16
        .value_kind:     by_value
    .group_segment_fixed_size: 0
    .kernarg_segment_align: 8
    .kernarg_segment_size: 32
    .language:       OpenCL C
    .language_version:
      - 2
      - 0
    .max_flat_workgroup_size: 256
    .name:           _ZN2at6native29vectorized_elementwise_kernelILi4EZNS0_21compare_scalar_kernelIfEEvRNS_18TensorIteratorBaseENS0_12_GLOBAL__N_16OpTypeET_EUlfE_St5arrayIPcLm2EEEEviT0_T1_
    .private_segment_fixed_size: 0
    .sgpr_count:     54
    .sgpr_spill_count: 0
    .symbol:         _ZN2at6native29vectorized_elementwise_kernelILi4EZNS0_21compare_scalar_kernelIfEEvRNS_18TensorIteratorBaseENS0_12_GLOBAL__N_16OpTypeET_EUlfE_St5arrayIPcLm2EEEEviT0_T1_.kd
    .uniform_work_group_size: 1
    .uses_dynamic_stack: false
    .vgpr_count:     22
    .vgpr_spill_count: 0
    .wavefront_size: 64
  - .args:
      - .offset:         0
        .size:           4
        .value_kind:     by_value
      - .offset:         4
        .size:           8
        .value_kind:     by_value
      - .offset:         16
        .size:           16
        .value_kind:     by_value
    .group_segment_fixed_size: 0
    .kernarg_segment_align: 8
    .kernarg_segment_size: 32
    .language:       OpenCL C
    .language_version:
      - 2
      - 0
    .max_flat_workgroup_size: 256
    .name:           _ZN2at6native29vectorized_elementwise_kernelILi2EZNS0_21compare_scalar_kernelIfEEvRNS_18TensorIteratorBaseENS0_12_GLOBAL__N_16OpTypeET_EUlfE_St5arrayIPcLm2EEEEviT0_T1_
    .private_segment_fixed_size: 0
    .sgpr_count:     54
    .sgpr_spill_count: 0
    .symbol:         _ZN2at6native29vectorized_elementwise_kernelILi2EZNS0_21compare_scalar_kernelIfEEvRNS_18TensorIteratorBaseENS0_12_GLOBAL__N_16OpTypeET_EUlfE_St5arrayIPcLm2EEEEviT0_T1_.kd
    .uniform_work_group_size: 1
    .uses_dynamic_stack: false
    .vgpr_count:     22
    .vgpr_spill_count: 0
    .wavefront_size: 64
  - .args:
      - .offset:         0
        .size:           4
        .value_kind:     by_value
      - .offset:         4
        .size:           8
        .value_kind:     by_value
      - .offset:         16
        .size:           16
        .value_kind:     by_value
      - .offset:         32
        .size:           1
        .value_kind:     by_value
      - .offset:         33
        .size:           1
        .value_kind:     by_value
      - .offset:         34
        .size:           1
        .value_kind:     by_value
      - .offset:         35
        .size:           1
        .value_kind:     by_value
    .group_segment_fixed_size: 0
    .kernarg_segment_align: 8
    .kernarg_segment_size: 36
    .language:       OpenCL C
    .language_version:
      - 2
      - 0
    .max_flat_workgroup_size: 256
    .name:           _ZN2at6native27unrolled_elementwise_kernelIZNS0_21compare_scalar_kernelIfEEvRNS_18TensorIteratorBaseENS0_12_GLOBAL__N_16OpTypeET_EUlfE_St5arrayIPcLm2EELi4E23TrivialOffsetCalculatorILi1EjESD_NS0_6memory15LoadWithoutCastENSE_16StoreWithoutCastEEEviS7_T0_T2_T3_T4_T5_
    .private_segment_fixed_size: 0
    .sgpr_count:     22
    .sgpr_spill_count: 0
    .symbol:         _ZN2at6native27unrolled_elementwise_kernelIZNS0_21compare_scalar_kernelIfEEvRNS_18TensorIteratorBaseENS0_12_GLOBAL__N_16OpTypeET_EUlfE_St5arrayIPcLm2EELi4E23TrivialOffsetCalculatorILi1EjESD_NS0_6memory15LoadWithoutCastENSE_16StoreWithoutCastEEEviS7_T0_T2_T3_T4_T5_.kd
    .uniform_work_group_size: 1
    .uses_dynamic_stack: false
    .vgpr_count:     9
    .vgpr_spill_count: 0
    .wavefront_size: 64
  - .args:
      - .offset:         0
        .size:           4
        .value_kind:     by_value
      - .offset:         8
        .size:           352
        .value_kind:     by_value
    .group_segment_fixed_size: 0
    .kernarg_segment_align: 8
    .kernarg_segment_size: 360
    .language:       OpenCL C
    .language_version:
      - 2
      - 0
    .max_flat_workgroup_size: 128
    .name:           _ZN2at6native32elementwise_kernel_manual_unrollILi128ELi8EZNS0_22gpu_kernel_impl_nocastIZNS0_21compare_scalar_kernelIfEEvRNS_18TensorIteratorBaseENS0_12_GLOBAL__N_16OpTypeET_EUlfE_EEvS5_RKS8_EUlibE_EEviT1_
    .private_segment_fixed_size: 0
    .sgpr_count:     66
    .sgpr_spill_count: 0
    .symbol:         _ZN2at6native32elementwise_kernel_manual_unrollILi128ELi8EZNS0_22gpu_kernel_impl_nocastIZNS0_21compare_scalar_kernelIfEEvRNS_18TensorIteratorBaseENS0_12_GLOBAL__N_16OpTypeET_EUlfE_EEvS5_RKS8_EUlibE_EEviT1_.kd
    .uniform_work_group_size: 1
    .uses_dynamic_stack: false
    .vgpr_count:     26
    .vgpr_spill_count: 0
    .wavefront_size: 64
  - .args:
      - .offset:         0
        .size:           4
        .value_kind:     by_value
      - .offset:         8
        .size:           40
        .value_kind:     by_value
    .group_segment_fixed_size: 0
    .kernarg_segment_align: 8
    .kernarg_segment_size: 48
    .language:       OpenCL C
    .language_version:
      - 2
      - 0
    .max_flat_workgroup_size: 128
    .name:           _ZN2at6native32elementwise_kernel_manual_unrollILi128ELi4EZNS0_15gpu_kernel_implIZNS0_21compare_scalar_kernelIfEEvRNS_18TensorIteratorBaseENS0_12_GLOBAL__N_16OpTypeET_EUlfE_EEvS5_RKS8_EUlibE_EEviT1_
    .private_segment_fixed_size: 0
    .sgpr_count:     52
    .sgpr_spill_count: 0
    .symbol:         _ZN2at6native32elementwise_kernel_manual_unrollILi128ELi4EZNS0_15gpu_kernel_implIZNS0_21compare_scalar_kernelIfEEvRNS_18TensorIteratorBaseENS0_12_GLOBAL__N_16OpTypeET_EUlfE_EEvS5_RKS8_EUlibE_EEviT1_.kd
    .uniform_work_group_size: 1
    .uses_dynamic_stack: false
    .vgpr_count:     10
    .vgpr_spill_count: 0
    .wavefront_size: 64
  - .args:
      - .offset:         0
        .size:           4
        .value_kind:     by_value
      - .offset:         8
        .size:           360
        .value_kind:     by_value
    .group_segment_fixed_size: 0
    .kernarg_segment_align: 8
    .kernarg_segment_size: 368
    .language:       OpenCL C
    .language_version:
      - 2
      - 0
    .max_flat_workgroup_size: 128
    .name:           _ZN2at6native32elementwise_kernel_manual_unrollILi128ELi4EZNS0_15gpu_kernel_implIZNS0_21compare_scalar_kernelIfEEvRNS_18TensorIteratorBaseENS0_12_GLOBAL__N_16OpTypeET_EUlfE_EEvS5_RKS8_EUlibE0_EEviT1_
    .private_segment_fixed_size: 0
    .sgpr_count:     84
    .sgpr_spill_count: 0
    .symbol:         _ZN2at6native32elementwise_kernel_manual_unrollILi128ELi4EZNS0_15gpu_kernel_implIZNS0_21compare_scalar_kernelIfEEvRNS_18TensorIteratorBaseENS0_12_GLOBAL__N_16OpTypeET_EUlfE_EEvS5_RKS8_EUlibE0_EEviT1_.kd
    .uniform_work_group_size: 1
    .uses_dynamic_stack: false
    .vgpr_count:     18
    .vgpr_spill_count: 0
    .wavefront_size: 64
  - .args:
      - .offset:         0
        .size:           4
        .value_kind:     by_value
      - .offset:         4
        .size:           4
        .value_kind:     by_value
      - .offset:         8
        .size:           24
        .value_kind:     by_value
    .group_segment_fixed_size: 0
    .kernarg_segment_align: 8
    .kernarg_segment_size: 32
    .language:       OpenCL C
    .language_version:
      - 2
      - 0
    .max_flat_workgroup_size: 256
    .name:           _ZN2at6native29vectorized_elementwise_kernelILi16ENS0_12_GLOBAL__N_114CompareFunctorIfEESt5arrayIPcLm3EEEEviT0_T1_
    .private_segment_fixed_size: 0
    .sgpr_count:     54
    .sgpr_spill_count: 0
    .symbol:         _ZN2at6native29vectorized_elementwise_kernelILi16ENS0_12_GLOBAL__N_114CompareFunctorIfEESt5arrayIPcLm3EEEEviT0_T1_.kd
    .uniform_work_group_size: 1
    .uses_dynamic_stack: false
    .vgpr_count:     39
    .vgpr_spill_count: 0
    .wavefront_size: 64
  - .args:
      - .offset:         0
        .size:           4
        .value_kind:     by_value
      - .offset:         4
        .size:           4
        .value_kind:     by_value
      - .offset:         8
        .size:           24
        .value_kind:     by_value
    .group_segment_fixed_size: 0
    .kernarg_segment_align: 8
    .kernarg_segment_size: 32
    .language:       OpenCL C
    .language_version:
      - 2
      - 0
    .max_flat_workgroup_size: 256
    .name:           _ZN2at6native29vectorized_elementwise_kernelILi8ENS0_12_GLOBAL__N_114CompareFunctorIfEESt5arrayIPcLm3EEEEviT0_T1_
    .private_segment_fixed_size: 0
    .sgpr_count:     54
    .sgpr_spill_count: 0
    .symbol:         _ZN2at6native29vectorized_elementwise_kernelILi8ENS0_12_GLOBAL__N_114CompareFunctorIfEESt5arrayIPcLm3EEEEviT0_T1_.kd
    .uniform_work_group_size: 1
    .uses_dynamic_stack: false
    .vgpr_count:     39
    .vgpr_spill_count: 0
    .wavefront_size: 64
  - .args:
      - .offset:         0
        .size:           4
        .value_kind:     by_value
      - .offset:         4
        .size:           4
        .value_kind:     by_value
      - .offset:         8
        .size:           24
        .value_kind:     by_value
    .group_segment_fixed_size: 0
    .kernarg_segment_align: 8
    .kernarg_segment_size: 32
    .language:       OpenCL C
    .language_version:
      - 2
      - 0
    .max_flat_workgroup_size: 256
    .name:           _ZN2at6native29vectorized_elementwise_kernelILi4ENS0_12_GLOBAL__N_114CompareFunctorIfEESt5arrayIPcLm3EEEEviT0_T1_
    .private_segment_fixed_size: 0
    .sgpr_count:     54
    .sgpr_spill_count: 0
    .symbol:         _ZN2at6native29vectorized_elementwise_kernelILi4ENS0_12_GLOBAL__N_114CompareFunctorIfEESt5arrayIPcLm3EEEEviT0_T1_.kd
    .uniform_work_group_size: 1
    .uses_dynamic_stack: false
    .vgpr_count:     39
    .vgpr_spill_count: 0
    .wavefront_size: 64
  - .args:
      - .offset:         0
        .size:           4
        .value_kind:     by_value
      - .offset:         4
        .size:           4
        .value_kind:     by_value
      - .offset:         8
        .size:           24
        .value_kind:     by_value
    .group_segment_fixed_size: 0
    .kernarg_segment_align: 8
    .kernarg_segment_size: 32
    .language:       OpenCL C
    .language_version:
      - 2
      - 0
    .max_flat_workgroup_size: 256
    .name:           _ZN2at6native29vectorized_elementwise_kernelILi2ENS0_12_GLOBAL__N_114CompareFunctorIfEESt5arrayIPcLm3EEEEviT0_T1_
    .private_segment_fixed_size: 0
    .sgpr_count:     54
    .sgpr_spill_count: 0
    .symbol:         _ZN2at6native29vectorized_elementwise_kernelILi2ENS0_12_GLOBAL__N_114CompareFunctorIfEESt5arrayIPcLm3EEEEviT0_T1_.kd
    .uniform_work_group_size: 1
    .uses_dynamic_stack: false
    .vgpr_count:     39
    .vgpr_spill_count: 0
    .wavefront_size: 64
  - .args:
      - .offset:         0
        .size:           4
        .value_kind:     by_value
      - .offset:         4
        .size:           4
        .value_kind:     by_value
      - .offset:         8
        .size:           24
        .value_kind:     by_value
      - .offset:         32
        .size:           1
        .value_kind:     by_value
      - .offset:         33
        .size:           1
        .value_kind:     by_value
      - .offset:         34
        .size:           1
        .value_kind:     by_value
      - .offset:         35
        .size:           1
        .value_kind:     by_value
    .group_segment_fixed_size: 0
    .kernarg_segment_align: 8
    .kernarg_segment_size: 36
    .language:       OpenCL C
    .language_version:
      - 2
      - 0
    .max_flat_workgroup_size: 256
    .name:           _ZN2at6native27unrolled_elementwise_kernelINS0_12_GLOBAL__N_114CompareFunctorIfEESt5arrayIPcLm3EELi4E23TrivialOffsetCalculatorILi2EjES8_ILi1EjENS0_6memory15LoadWithoutCastENSB_16StoreWithoutCastEEEviT_T0_T2_T3_T4_T5_
    .private_segment_fixed_size: 0
    .sgpr_count:     21
    .sgpr_spill_count: 0
    .symbol:         _ZN2at6native27unrolled_elementwise_kernelINS0_12_GLOBAL__N_114CompareFunctorIfEESt5arrayIPcLm3EELi4E23TrivialOffsetCalculatorILi2EjES8_ILi1EjENS0_6memory15LoadWithoutCastENSB_16StoreWithoutCastEEEviT_T0_T2_T3_T4_T5_.kd
    .uniform_work_group_size: 1
    .uses_dynamic_stack: false
    .vgpr_count:     15
    .vgpr_spill_count: 0
    .wavefront_size: 64
  - .args:
      - .offset:         0
        .size:           4
        .value_kind:     by_value
      - .offset:         8
        .size:           424
        .value_kind:     by_value
    .group_segment_fixed_size: 0
    .kernarg_segment_align: 8
    .kernarg_segment_size: 432
    .language:       OpenCL C
    .language_version:
      - 2
      - 0
    .max_flat_workgroup_size: 128
    .name:           _ZN2at6native32elementwise_kernel_manual_unrollILi128ELi8EZNS0_22gpu_kernel_impl_nocastINS0_12_GLOBAL__N_114CompareFunctorIfEEEEvRNS_18TensorIteratorBaseERKT_EUlibE_EEviT1_
    .private_segment_fixed_size: 0
    .sgpr_count:     56
    .sgpr_spill_count: 0
    .symbol:         _ZN2at6native32elementwise_kernel_manual_unrollILi128ELi8EZNS0_22gpu_kernel_impl_nocastINS0_12_GLOBAL__N_114CompareFunctorIfEEEEvRNS_18TensorIteratorBaseERKT_EUlibE_EEviT1_.kd
    .uniform_work_group_size: 1
    .uses_dynamic_stack: false
    .vgpr_count:     38
    .vgpr_spill_count: 0
    .wavefront_size: 64
  - .args:
      - .offset:         0
        .size:           4
        .value_kind:     by_value
      - .offset:         8
        .size:           48
        .value_kind:     by_value
    .group_segment_fixed_size: 0
    .kernarg_segment_align: 8
    .kernarg_segment_size: 56
    .language:       OpenCL C
    .language_version:
      - 2
      - 0
    .max_flat_workgroup_size: 128
    .name:           _ZN2at6native32elementwise_kernel_manual_unrollILi128ELi4EZNS0_15gpu_kernel_implINS0_12_GLOBAL__N_114CompareFunctorIfEEEEvRNS_18TensorIteratorBaseERKT_EUlibE_EEviT1_
    .private_segment_fixed_size: 0
    .sgpr_count:     61
    .sgpr_spill_count: 0
    .symbol:         _ZN2at6native32elementwise_kernel_manual_unrollILi128ELi4EZNS0_15gpu_kernel_implINS0_12_GLOBAL__N_114CompareFunctorIfEEEEvRNS_18TensorIteratorBaseERKT_EUlibE_EEviT1_.kd
    .uniform_work_group_size: 1
    .uses_dynamic_stack: false
    .vgpr_count:     12
    .vgpr_spill_count: 0
    .wavefront_size: 64
  - .args:
      - .offset:         0
        .size:           4
        .value_kind:     by_value
      - .offset:         8
        .size:           424
        .value_kind:     by_value
    .group_segment_fixed_size: 0
    .kernarg_segment_align: 8
    .kernarg_segment_size: 432
    .language:       OpenCL C
    .language_version:
      - 2
      - 0
    .max_flat_workgroup_size: 128
    .name:           _ZN2at6native32elementwise_kernel_manual_unrollILi128ELi4EZNS0_15gpu_kernel_implINS0_12_GLOBAL__N_114CompareFunctorIfEEEEvRNS_18TensorIteratorBaseERKT_EUlibE0_EEviT1_
    .private_segment_fixed_size: 0
    .sgpr_count:     84
    .sgpr_spill_count: 0
    .symbol:         _ZN2at6native32elementwise_kernel_manual_unrollILi128ELi4EZNS0_15gpu_kernel_implINS0_12_GLOBAL__N_114CompareFunctorIfEEEEvRNS_18TensorIteratorBaseERKT_EUlibE0_EEviT1_.kd
    .uniform_work_group_size: 1
    .uses_dynamic_stack: false
    .vgpr_count:     24
    .vgpr_spill_count: 0
    .wavefront_size: 64
  - .args:
      - .offset:         0
        .size:           4
        .value_kind:     by_value
      - .offset:         4
        .size:           8
        .value_kind:     by_value
      - .offset:         16
        .size:           16
        .value_kind:     by_value
    .group_segment_fixed_size: 0
    .kernarg_segment_align: 8
    .kernarg_segment_size: 32
    .language:       OpenCL C
    .language_version:
      - 2
      - 0
    .max_flat_workgroup_size: 256
    .name:           _ZN2at6native29vectorized_elementwise_kernelILi16EZNS0_21compare_scalar_kernelIN3c104HalfEEEvRNS_18TensorIteratorBaseENS0_12_GLOBAL__N_16OpTypeET_EUlS4_E_St5arrayIPcLm2EEEEviT0_T1_
    .private_segment_fixed_size: 0
    .sgpr_count:     54
    .sgpr_spill_count: 0
    .symbol:         _ZN2at6native29vectorized_elementwise_kernelILi16EZNS0_21compare_scalar_kernelIN3c104HalfEEEvRNS_18TensorIteratorBaseENS0_12_GLOBAL__N_16OpTypeET_EUlS4_E_St5arrayIPcLm2EEEEviT0_T1_.kd
    .uniform_work_group_size: 1
    .uses_dynamic_stack: false
    .vgpr_count:     22
    .vgpr_spill_count: 0
    .wavefront_size: 64
  - .args:
      - .offset:         0
        .size:           4
        .value_kind:     by_value
      - .offset:         4
        .size:           8
        .value_kind:     by_value
      - .offset:         16
        .size:           16
        .value_kind:     by_value
    .group_segment_fixed_size: 0
    .kernarg_segment_align: 8
    .kernarg_segment_size: 32
    .language:       OpenCL C
    .language_version:
      - 2
      - 0
    .max_flat_workgroup_size: 256
    .name:           _ZN2at6native29vectorized_elementwise_kernelILi8EZNS0_21compare_scalar_kernelIN3c104HalfEEEvRNS_18TensorIteratorBaseENS0_12_GLOBAL__N_16OpTypeET_EUlS4_E_St5arrayIPcLm2EEEEviT0_T1_
    .private_segment_fixed_size: 0
    .sgpr_count:     54
    .sgpr_spill_count: 0
    .symbol:         _ZN2at6native29vectorized_elementwise_kernelILi8EZNS0_21compare_scalar_kernelIN3c104HalfEEEvRNS_18TensorIteratorBaseENS0_12_GLOBAL__N_16OpTypeET_EUlS4_E_St5arrayIPcLm2EEEEviT0_T1_.kd
    .uniform_work_group_size: 1
    .uses_dynamic_stack: false
    .vgpr_count:     22
    .vgpr_spill_count: 0
    .wavefront_size: 64
  - .args:
      - .offset:         0
        .size:           4
        .value_kind:     by_value
      - .offset:         4
        .size:           8
        .value_kind:     by_value
      - .offset:         16
        .size:           16
        .value_kind:     by_value
    .group_segment_fixed_size: 0
    .kernarg_segment_align: 8
    .kernarg_segment_size: 32
    .language:       OpenCL C
    .language_version:
      - 2
      - 0
    .max_flat_workgroup_size: 256
    .name:           _ZN2at6native29vectorized_elementwise_kernelILi4EZNS0_21compare_scalar_kernelIN3c104HalfEEEvRNS_18TensorIteratorBaseENS0_12_GLOBAL__N_16OpTypeET_EUlS4_E_St5arrayIPcLm2EEEEviT0_T1_
    .private_segment_fixed_size: 0
    .sgpr_count:     54
    .sgpr_spill_count: 0
    .symbol:         _ZN2at6native29vectorized_elementwise_kernelILi4EZNS0_21compare_scalar_kernelIN3c104HalfEEEvRNS_18TensorIteratorBaseENS0_12_GLOBAL__N_16OpTypeET_EUlS4_E_St5arrayIPcLm2EEEEviT0_T1_.kd
    .uniform_work_group_size: 1
    .uses_dynamic_stack: false
    .vgpr_count:     22
    .vgpr_spill_count: 0
    .wavefront_size: 64
  - .args:
      - .offset:         0
        .size:           4
        .value_kind:     by_value
      - .offset:         4
        .size:           8
        .value_kind:     by_value
      - .offset:         16
        .size:           16
        .value_kind:     by_value
    .group_segment_fixed_size: 0
    .kernarg_segment_align: 8
    .kernarg_segment_size: 32
    .language:       OpenCL C
    .language_version:
      - 2
      - 0
    .max_flat_workgroup_size: 256
    .name:           _ZN2at6native29vectorized_elementwise_kernelILi2EZNS0_21compare_scalar_kernelIN3c104HalfEEEvRNS_18TensorIteratorBaseENS0_12_GLOBAL__N_16OpTypeET_EUlS4_E_St5arrayIPcLm2EEEEviT0_T1_
    .private_segment_fixed_size: 0
    .sgpr_count:     54
    .sgpr_spill_count: 0
    .symbol:         _ZN2at6native29vectorized_elementwise_kernelILi2EZNS0_21compare_scalar_kernelIN3c104HalfEEEvRNS_18TensorIteratorBaseENS0_12_GLOBAL__N_16OpTypeET_EUlS4_E_St5arrayIPcLm2EEEEviT0_T1_.kd
    .uniform_work_group_size: 1
    .uses_dynamic_stack: false
    .vgpr_count:     22
    .vgpr_spill_count: 0
    .wavefront_size: 64
  - .args:
      - .offset:         0
        .size:           4
        .value_kind:     by_value
      - .offset:         4
        .size:           8
        .value_kind:     by_value
      - .offset:         16
        .size:           16
        .value_kind:     by_value
      - .offset:         32
        .size:           1
        .value_kind:     by_value
      - .offset:         33
        .size:           1
        .value_kind:     by_value
      - .offset:         34
        .size:           1
        .value_kind:     by_value
      - .offset:         35
        .size:           1
        .value_kind:     by_value
    .group_segment_fixed_size: 0
    .kernarg_segment_align: 8
    .kernarg_segment_size: 36
    .language:       OpenCL C
    .language_version:
      - 2
      - 0
    .max_flat_workgroup_size: 256
    .name:           _ZN2at6native27unrolled_elementwise_kernelIZNS0_21compare_scalar_kernelIN3c104HalfEEEvRNS_18TensorIteratorBaseENS0_12_GLOBAL__N_16OpTypeET_EUlS4_E_St5arrayIPcLm2EELi4E23TrivialOffsetCalculatorILi1EjESF_NS0_6memory15LoadWithoutCastENSG_16StoreWithoutCastEEEviS9_T0_T2_T3_T4_T5_
    .private_segment_fixed_size: 0
    .sgpr_count:     22
    .sgpr_spill_count: 0
    .symbol:         _ZN2at6native27unrolled_elementwise_kernelIZNS0_21compare_scalar_kernelIN3c104HalfEEEvRNS_18TensorIteratorBaseENS0_12_GLOBAL__N_16OpTypeET_EUlS4_E_St5arrayIPcLm2EELi4E23TrivialOffsetCalculatorILi1EjESF_NS0_6memory15LoadWithoutCastENSG_16StoreWithoutCastEEEviS9_T0_T2_T3_T4_T5_.kd
    .uniform_work_group_size: 1
    .uses_dynamic_stack: false
    .vgpr_count:     9
    .vgpr_spill_count: 0
    .wavefront_size: 64
  - .args:
      - .offset:         0
        .size:           4
        .value_kind:     by_value
      - .offset:         8
        .size:           352
        .value_kind:     by_value
    .group_segment_fixed_size: 0
    .kernarg_segment_align: 8
    .kernarg_segment_size: 360
    .language:       OpenCL C
    .language_version:
      - 2
      - 0
    .max_flat_workgroup_size: 128
    .name:           _ZN2at6native32elementwise_kernel_manual_unrollILi128ELi8EZNS0_22gpu_kernel_impl_nocastIZNS0_21compare_scalar_kernelIN3c104HalfEEEvRNS_18TensorIteratorBaseENS0_12_GLOBAL__N_16OpTypeET_EUlS5_E_EEvS7_RKSA_EUlibE_EEviT1_
    .private_segment_fixed_size: 0
    .sgpr_count:     66
    .sgpr_spill_count: 0
    .symbol:         _ZN2at6native32elementwise_kernel_manual_unrollILi128ELi8EZNS0_22gpu_kernel_impl_nocastIZNS0_21compare_scalar_kernelIN3c104HalfEEEvRNS_18TensorIteratorBaseENS0_12_GLOBAL__N_16OpTypeET_EUlS5_E_EEvS7_RKSA_EUlibE_EEviT1_.kd
    .uniform_work_group_size: 1
    .uses_dynamic_stack: false
    .vgpr_count:     26
    .vgpr_spill_count: 0
    .wavefront_size: 64
  - .args:
      - .offset:         0
        .size:           4
        .value_kind:     by_value
      - .offset:         8
        .size:           40
        .value_kind:     by_value
    .group_segment_fixed_size: 0
    .kernarg_segment_align: 8
    .kernarg_segment_size: 48
    .language:       OpenCL C
    .language_version:
      - 2
      - 0
    .max_flat_workgroup_size: 128
    .name:           _ZN2at6native32elementwise_kernel_manual_unrollILi128ELi4EZNS0_15gpu_kernel_implIZNS0_21compare_scalar_kernelIN3c104HalfEEEvRNS_18TensorIteratorBaseENS0_12_GLOBAL__N_16OpTypeET_EUlS5_E_EEvS7_RKSA_EUlibE_EEviT1_
    .private_segment_fixed_size: 0
    .sgpr_count:     50
    .sgpr_spill_count: 0
    .symbol:         _ZN2at6native32elementwise_kernel_manual_unrollILi128ELi4EZNS0_15gpu_kernel_implIZNS0_21compare_scalar_kernelIN3c104HalfEEEvRNS_18TensorIteratorBaseENS0_12_GLOBAL__N_16OpTypeET_EUlS5_E_EEvS7_RKSA_EUlibE_EEviT1_.kd
    .uniform_work_group_size: 1
    .uses_dynamic_stack: false
    .vgpr_count:     12
    .vgpr_spill_count: 0
    .wavefront_size: 64
  - .args:
      - .offset:         0
        .size:           4
        .value_kind:     by_value
      - .offset:         8
        .size:           360
        .value_kind:     by_value
    .group_segment_fixed_size: 0
    .kernarg_segment_align: 8
    .kernarg_segment_size: 368
    .language:       OpenCL C
    .language_version:
      - 2
      - 0
    .max_flat_workgroup_size: 128
    .name:           _ZN2at6native32elementwise_kernel_manual_unrollILi128ELi4EZNS0_15gpu_kernel_implIZNS0_21compare_scalar_kernelIN3c104HalfEEEvRNS_18TensorIteratorBaseENS0_12_GLOBAL__N_16OpTypeET_EUlS5_E_EEvS7_RKSA_EUlibE0_EEviT1_
    .private_segment_fixed_size: 0
    .sgpr_count:     84
    .sgpr_spill_count: 0
    .symbol:         _ZN2at6native32elementwise_kernel_manual_unrollILi128ELi4EZNS0_15gpu_kernel_implIZNS0_21compare_scalar_kernelIN3c104HalfEEEvRNS_18TensorIteratorBaseENS0_12_GLOBAL__N_16OpTypeET_EUlS5_E_EEvS7_RKSA_EUlibE0_EEviT1_.kd
    .uniform_work_group_size: 1
    .uses_dynamic_stack: false
    .vgpr_count:     18
    .vgpr_spill_count: 0
    .wavefront_size: 64
  - .args:
      - .offset:         0
        .size:           4
        .value_kind:     by_value
      - .offset:         4
        .size:           4
        .value_kind:     by_value
      - .offset:         8
        .size:           24
        .value_kind:     by_value
    .group_segment_fixed_size: 0
    .kernarg_segment_align: 8
    .kernarg_segment_size: 32
    .language:       OpenCL C
    .language_version:
      - 2
      - 0
    .max_flat_workgroup_size: 256
    .name:           _ZN2at6native29vectorized_elementwise_kernelILi16ENS0_12_GLOBAL__N_114CompareFunctorIN3c104HalfEEESt5arrayIPcLm3EEEEviT0_T1_
    .private_segment_fixed_size: 0
    .sgpr_count:     54
    .sgpr_spill_count: 0
    .symbol:         _ZN2at6native29vectorized_elementwise_kernelILi16ENS0_12_GLOBAL__N_114CompareFunctorIN3c104HalfEEESt5arrayIPcLm3EEEEviT0_T1_.kd
    .uniform_work_group_size: 1
    .uses_dynamic_stack: false
    .vgpr_count:     39
    .vgpr_spill_count: 0
    .wavefront_size: 64
  - .args:
      - .offset:         0
        .size:           4
        .value_kind:     by_value
      - .offset:         4
        .size:           4
        .value_kind:     by_value
      - .offset:         8
        .size:           24
        .value_kind:     by_value
    .group_segment_fixed_size: 0
    .kernarg_segment_align: 8
    .kernarg_segment_size: 32
    .language:       OpenCL C
    .language_version:
      - 2
      - 0
    .max_flat_workgroup_size: 256
    .name:           _ZN2at6native29vectorized_elementwise_kernelILi8ENS0_12_GLOBAL__N_114CompareFunctorIN3c104HalfEEESt5arrayIPcLm3EEEEviT0_T1_
    .private_segment_fixed_size: 0
    .sgpr_count:     54
    .sgpr_spill_count: 0
    .symbol:         _ZN2at6native29vectorized_elementwise_kernelILi8ENS0_12_GLOBAL__N_114CompareFunctorIN3c104HalfEEESt5arrayIPcLm3EEEEviT0_T1_.kd
    .uniform_work_group_size: 1
    .uses_dynamic_stack: false
    .vgpr_count:     39
    .vgpr_spill_count: 0
    .wavefront_size: 64
  - .args:
      - .offset:         0
        .size:           4
        .value_kind:     by_value
      - .offset:         4
        .size:           4
        .value_kind:     by_value
      - .offset:         8
        .size:           24
        .value_kind:     by_value
    .group_segment_fixed_size: 0
    .kernarg_segment_align: 8
    .kernarg_segment_size: 32
    .language:       OpenCL C
    .language_version:
      - 2
      - 0
    .max_flat_workgroup_size: 256
    .name:           _ZN2at6native29vectorized_elementwise_kernelILi4ENS0_12_GLOBAL__N_114CompareFunctorIN3c104HalfEEESt5arrayIPcLm3EEEEviT0_T1_
    .private_segment_fixed_size: 0
    .sgpr_count:     54
    .sgpr_spill_count: 0
    .symbol:         _ZN2at6native29vectorized_elementwise_kernelILi4ENS0_12_GLOBAL__N_114CompareFunctorIN3c104HalfEEESt5arrayIPcLm3EEEEviT0_T1_.kd
    .uniform_work_group_size: 1
    .uses_dynamic_stack: false
    .vgpr_count:     39
    .vgpr_spill_count: 0
    .wavefront_size: 64
  - .args:
      - .offset:         0
        .size:           4
        .value_kind:     by_value
      - .offset:         4
        .size:           4
        .value_kind:     by_value
      - .offset:         8
        .size:           24
        .value_kind:     by_value
    .group_segment_fixed_size: 0
    .kernarg_segment_align: 8
    .kernarg_segment_size: 32
    .language:       OpenCL C
    .language_version:
      - 2
      - 0
    .max_flat_workgroup_size: 256
    .name:           _ZN2at6native29vectorized_elementwise_kernelILi2ENS0_12_GLOBAL__N_114CompareFunctorIN3c104HalfEEESt5arrayIPcLm3EEEEviT0_T1_
    .private_segment_fixed_size: 0
    .sgpr_count:     54
    .sgpr_spill_count: 0
    .symbol:         _ZN2at6native29vectorized_elementwise_kernelILi2ENS0_12_GLOBAL__N_114CompareFunctorIN3c104HalfEEESt5arrayIPcLm3EEEEviT0_T1_.kd
    .uniform_work_group_size: 1
    .uses_dynamic_stack: false
    .vgpr_count:     39
    .vgpr_spill_count: 0
    .wavefront_size: 64
  - .args:
      - .offset:         0
        .size:           4
        .value_kind:     by_value
      - .offset:         4
        .size:           4
        .value_kind:     by_value
      - .offset:         8
        .size:           24
        .value_kind:     by_value
      - .offset:         32
        .size:           1
        .value_kind:     by_value
      - .offset:         33
        .size:           1
        .value_kind:     by_value
      - .offset:         34
        .size:           1
        .value_kind:     by_value
      - .offset:         35
        .size:           1
        .value_kind:     by_value
    .group_segment_fixed_size: 0
    .kernarg_segment_align: 8
    .kernarg_segment_size: 36
    .language:       OpenCL C
    .language_version:
      - 2
      - 0
    .max_flat_workgroup_size: 256
    .name:           _ZN2at6native27unrolled_elementwise_kernelINS0_12_GLOBAL__N_114CompareFunctorIN3c104HalfEEESt5arrayIPcLm3EELi4E23TrivialOffsetCalculatorILi2EjESA_ILi1EjENS0_6memory15LoadWithoutCastENSD_16StoreWithoutCastEEEviT_T0_T2_T3_T4_T5_
    .private_segment_fixed_size: 0
    .sgpr_count:     21
    .sgpr_spill_count: 0
    .symbol:         _ZN2at6native27unrolled_elementwise_kernelINS0_12_GLOBAL__N_114CompareFunctorIN3c104HalfEEESt5arrayIPcLm3EELi4E23TrivialOffsetCalculatorILi2EjESA_ILi1EjENS0_6memory15LoadWithoutCastENSD_16StoreWithoutCastEEEviT_T0_T2_T3_T4_T5_.kd
    .uniform_work_group_size: 1
    .uses_dynamic_stack: false
    .vgpr_count:     15
    .vgpr_spill_count: 0
    .wavefront_size: 64
  - .args:
      - .offset:         0
        .size:           4
        .value_kind:     by_value
      - .offset:         8
        .size:           424
        .value_kind:     by_value
    .group_segment_fixed_size: 0
    .kernarg_segment_align: 8
    .kernarg_segment_size: 432
    .language:       OpenCL C
    .language_version:
      - 2
      - 0
    .max_flat_workgroup_size: 128
    .name:           _ZN2at6native32elementwise_kernel_manual_unrollILi128ELi8EZNS0_22gpu_kernel_impl_nocastINS0_12_GLOBAL__N_114CompareFunctorIN3c104HalfEEEEEvRNS_18TensorIteratorBaseERKT_EUlibE_EEviT1_
    .private_segment_fixed_size: 0
    .sgpr_count:     56
    .sgpr_spill_count: 0
    .symbol:         _ZN2at6native32elementwise_kernel_manual_unrollILi128ELi8EZNS0_22gpu_kernel_impl_nocastINS0_12_GLOBAL__N_114CompareFunctorIN3c104HalfEEEEEvRNS_18TensorIteratorBaseERKT_EUlibE_EEviT1_.kd
    .uniform_work_group_size: 1
    .uses_dynamic_stack: false
    .vgpr_count:     38
    .vgpr_spill_count: 0
    .wavefront_size: 64
  - .args:
      - .offset:         0
        .size:           4
        .value_kind:     by_value
      - .offset:         8
        .size:           48
        .value_kind:     by_value
    .group_segment_fixed_size: 0
    .kernarg_segment_align: 8
    .kernarg_segment_size: 56
    .language:       OpenCL C
    .language_version:
      - 2
      - 0
    .max_flat_workgroup_size: 128
    .name:           _ZN2at6native32elementwise_kernel_manual_unrollILi128ELi4EZNS0_15gpu_kernel_implINS0_12_GLOBAL__N_114CompareFunctorIN3c104HalfEEEEEvRNS_18TensorIteratorBaseERKT_EUlibE_EEviT1_
    .private_segment_fixed_size: 0
    .sgpr_count:     61
    .sgpr_spill_count: 0
    .symbol:         _ZN2at6native32elementwise_kernel_manual_unrollILi128ELi4EZNS0_15gpu_kernel_implINS0_12_GLOBAL__N_114CompareFunctorIN3c104HalfEEEEEvRNS_18TensorIteratorBaseERKT_EUlibE_EEviT1_.kd
    .uniform_work_group_size: 1
    .uses_dynamic_stack: false
    .vgpr_count:     14
    .vgpr_spill_count: 0
    .wavefront_size: 64
  - .args:
      - .offset:         0
        .size:           4
        .value_kind:     by_value
      - .offset:         8
        .size:           424
        .value_kind:     by_value
    .group_segment_fixed_size: 0
    .kernarg_segment_align: 8
    .kernarg_segment_size: 432
    .language:       OpenCL C
    .language_version:
      - 2
      - 0
    .max_flat_workgroup_size: 128
    .name:           _ZN2at6native32elementwise_kernel_manual_unrollILi128ELi4EZNS0_15gpu_kernel_implINS0_12_GLOBAL__N_114CompareFunctorIN3c104HalfEEEEEvRNS_18TensorIteratorBaseERKT_EUlibE0_EEviT1_
    .private_segment_fixed_size: 0
    .sgpr_count:     84
    .sgpr_spill_count: 0
    .symbol:         _ZN2at6native32elementwise_kernel_manual_unrollILi128ELi4EZNS0_15gpu_kernel_implINS0_12_GLOBAL__N_114CompareFunctorIN3c104HalfEEEEEvRNS_18TensorIteratorBaseERKT_EUlibE0_EEviT1_.kd
    .uniform_work_group_size: 1
    .uses_dynamic_stack: false
    .vgpr_count:     24
    .vgpr_spill_count: 0
    .wavefront_size: 64
  - .args:
      - .offset:         0
        .size:           4
        .value_kind:     by_value
      - .offset:         4
        .size:           8
        .value_kind:     by_value
      - .offset:         16
        .size:           16
        .value_kind:     by_value
    .group_segment_fixed_size: 0
    .kernarg_segment_align: 8
    .kernarg_segment_size: 32
    .language:       OpenCL C
    .language_version:
      - 2
      - 0
    .max_flat_workgroup_size: 256
    .name:           _ZN2at6native29vectorized_elementwise_kernelILi16EZNS0_21compare_scalar_kernelIN3c108BFloat16EEEvRNS_18TensorIteratorBaseENS0_12_GLOBAL__N_16OpTypeET_EUlS4_E_St5arrayIPcLm2EEEEviT0_T1_
    .private_segment_fixed_size: 0
    .sgpr_count:     54
    .sgpr_spill_count: 0
    .symbol:         _ZN2at6native29vectorized_elementwise_kernelILi16EZNS0_21compare_scalar_kernelIN3c108BFloat16EEEvRNS_18TensorIteratorBaseENS0_12_GLOBAL__N_16OpTypeET_EUlS4_E_St5arrayIPcLm2EEEEviT0_T1_.kd
    .uniform_work_group_size: 1
    .uses_dynamic_stack: false
    .vgpr_count:     22
    .vgpr_spill_count: 0
    .wavefront_size: 64
  - .args:
      - .offset:         0
        .size:           4
        .value_kind:     by_value
      - .offset:         4
        .size:           8
        .value_kind:     by_value
      - .offset:         16
        .size:           16
        .value_kind:     by_value
    .group_segment_fixed_size: 0
    .kernarg_segment_align: 8
    .kernarg_segment_size: 32
    .language:       OpenCL C
    .language_version:
      - 2
      - 0
    .max_flat_workgroup_size: 256
    .name:           _ZN2at6native29vectorized_elementwise_kernelILi8EZNS0_21compare_scalar_kernelIN3c108BFloat16EEEvRNS_18TensorIteratorBaseENS0_12_GLOBAL__N_16OpTypeET_EUlS4_E_St5arrayIPcLm2EEEEviT0_T1_
    .private_segment_fixed_size: 0
    .sgpr_count:     54
    .sgpr_spill_count: 0
    .symbol:         _ZN2at6native29vectorized_elementwise_kernelILi8EZNS0_21compare_scalar_kernelIN3c108BFloat16EEEvRNS_18TensorIteratorBaseENS0_12_GLOBAL__N_16OpTypeET_EUlS4_E_St5arrayIPcLm2EEEEviT0_T1_.kd
    .uniform_work_group_size: 1
    .uses_dynamic_stack: false
    .vgpr_count:     22
    .vgpr_spill_count: 0
    .wavefront_size: 64
  - .args:
      - .offset:         0
        .size:           4
        .value_kind:     by_value
      - .offset:         4
        .size:           8
        .value_kind:     by_value
      - .offset:         16
        .size:           16
        .value_kind:     by_value
    .group_segment_fixed_size: 0
    .kernarg_segment_align: 8
    .kernarg_segment_size: 32
    .language:       OpenCL C
    .language_version:
      - 2
      - 0
    .max_flat_workgroup_size: 256
    .name:           _ZN2at6native29vectorized_elementwise_kernelILi4EZNS0_21compare_scalar_kernelIN3c108BFloat16EEEvRNS_18TensorIteratorBaseENS0_12_GLOBAL__N_16OpTypeET_EUlS4_E_St5arrayIPcLm2EEEEviT0_T1_
    .private_segment_fixed_size: 0
    .sgpr_count:     54
    .sgpr_spill_count: 0
    .symbol:         _ZN2at6native29vectorized_elementwise_kernelILi4EZNS0_21compare_scalar_kernelIN3c108BFloat16EEEvRNS_18TensorIteratorBaseENS0_12_GLOBAL__N_16OpTypeET_EUlS4_E_St5arrayIPcLm2EEEEviT0_T1_.kd
    .uniform_work_group_size: 1
    .uses_dynamic_stack: false
    .vgpr_count:     22
    .vgpr_spill_count: 0
    .wavefront_size: 64
  - .args:
      - .offset:         0
        .size:           4
        .value_kind:     by_value
      - .offset:         4
        .size:           8
        .value_kind:     by_value
      - .offset:         16
        .size:           16
        .value_kind:     by_value
    .group_segment_fixed_size: 0
    .kernarg_segment_align: 8
    .kernarg_segment_size: 32
    .language:       OpenCL C
    .language_version:
      - 2
      - 0
    .max_flat_workgroup_size: 256
    .name:           _ZN2at6native29vectorized_elementwise_kernelILi2EZNS0_21compare_scalar_kernelIN3c108BFloat16EEEvRNS_18TensorIteratorBaseENS0_12_GLOBAL__N_16OpTypeET_EUlS4_E_St5arrayIPcLm2EEEEviT0_T1_
    .private_segment_fixed_size: 0
    .sgpr_count:     54
    .sgpr_spill_count: 0
    .symbol:         _ZN2at6native29vectorized_elementwise_kernelILi2EZNS0_21compare_scalar_kernelIN3c108BFloat16EEEvRNS_18TensorIteratorBaseENS0_12_GLOBAL__N_16OpTypeET_EUlS4_E_St5arrayIPcLm2EEEEviT0_T1_.kd
    .uniform_work_group_size: 1
    .uses_dynamic_stack: false
    .vgpr_count:     22
    .vgpr_spill_count: 0
    .wavefront_size: 64
  - .args:
      - .offset:         0
        .size:           4
        .value_kind:     by_value
      - .offset:         4
        .size:           8
        .value_kind:     by_value
      - .offset:         16
        .size:           16
        .value_kind:     by_value
      - .offset:         32
        .size:           1
        .value_kind:     by_value
      - .offset:         33
        .size:           1
        .value_kind:     by_value
      - .offset:         34
        .size:           1
        .value_kind:     by_value
      - .offset:         35
        .size:           1
        .value_kind:     by_value
    .group_segment_fixed_size: 0
    .kernarg_segment_align: 8
    .kernarg_segment_size: 36
    .language:       OpenCL C
    .language_version:
      - 2
      - 0
    .max_flat_workgroup_size: 256
    .name:           _ZN2at6native27unrolled_elementwise_kernelIZNS0_21compare_scalar_kernelIN3c108BFloat16EEEvRNS_18TensorIteratorBaseENS0_12_GLOBAL__N_16OpTypeET_EUlS4_E_St5arrayIPcLm2EELi4E23TrivialOffsetCalculatorILi1EjESF_NS0_6memory15LoadWithoutCastENSG_16StoreWithoutCastEEEviS9_T0_T2_T3_T4_T5_
    .private_segment_fixed_size: 0
    .sgpr_count:     22
    .sgpr_spill_count: 0
    .symbol:         _ZN2at6native27unrolled_elementwise_kernelIZNS0_21compare_scalar_kernelIN3c108BFloat16EEEvRNS_18TensorIteratorBaseENS0_12_GLOBAL__N_16OpTypeET_EUlS4_E_St5arrayIPcLm2EELi4E23TrivialOffsetCalculatorILi1EjESF_NS0_6memory15LoadWithoutCastENSG_16StoreWithoutCastEEEviS9_T0_T2_T3_T4_T5_.kd
    .uniform_work_group_size: 1
    .uses_dynamic_stack: false
    .vgpr_count:     9
    .vgpr_spill_count: 0
    .wavefront_size: 64
  - .args:
      - .offset:         0
        .size:           4
        .value_kind:     by_value
      - .offset:         8
        .size:           352
        .value_kind:     by_value
    .group_segment_fixed_size: 0
    .kernarg_segment_align: 8
    .kernarg_segment_size: 360
    .language:       OpenCL C
    .language_version:
      - 2
      - 0
    .max_flat_workgroup_size: 128
    .name:           _ZN2at6native32elementwise_kernel_manual_unrollILi128ELi8EZNS0_22gpu_kernel_impl_nocastIZNS0_21compare_scalar_kernelIN3c108BFloat16EEEvRNS_18TensorIteratorBaseENS0_12_GLOBAL__N_16OpTypeET_EUlS5_E_EEvS7_RKSA_EUlibE_EEviT1_
    .private_segment_fixed_size: 0
    .sgpr_count:     66
    .sgpr_spill_count: 0
    .symbol:         _ZN2at6native32elementwise_kernel_manual_unrollILi128ELi8EZNS0_22gpu_kernel_impl_nocastIZNS0_21compare_scalar_kernelIN3c108BFloat16EEEvRNS_18TensorIteratorBaseENS0_12_GLOBAL__N_16OpTypeET_EUlS5_E_EEvS7_RKSA_EUlibE_EEviT1_.kd
    .uniform_work_group_size: 1
    .uses_dynamic_stack: false
    .vgpr_count:     26
    .vgpr_spill_count: 0
    .wavefront_size: 64
  - .args:
      - .offset:         0
        .size:           4
        .value_kind:     by_value
      - .offset:         8
        .size:           40
        .value_kind:     by_value
    .group_segment_fixed_size: 0
    .kernarg_segment_align: 8
    .kernarg_segment_size: 48
    .language:       OpenCL C
    .language_version:
      - 2
      - 0
    .max_flat_workgroup_size: 128
    .name:           _ZN2at6native32elementwise_kernel_manual_unrollILi128ELi4EZNS0_15gpu_kernel_implIZNS0_21compare_scalar_kernelIN3c108BFloat16EEEvRNS_18TensorIteratorBaseENS0_12_GLOBAL__N_16OpTypeET_EUlS5_E_EEvS7_RKSA_EUlibE_EEviT1_
    .private_segment_fixed_size: 0
    .sgpr_count:     52
    .sgpr_spill_count: 0
    .symbol:         _ZN2at6native32elementwise_kernel_manual_unrollILi128ELi4EZNS0_15gpu_kernel_implIZNS0_21compare_scalar_kernelIN3c108BFloat16EEEvRNS_18TensorIteratorBaseENS0_12_GLOBAL__N_16OpTypeET_EUlS5_E_EEvS7_RKSA_EUlibE_EEviT1_.kd
    .uniform_work_group_size: 1
    .uses_dynamic_stack: false
    .vgpr_count:     10
    .vgpr_spill_count: 0
    .wavefront_size: 64
  - .args:
      - .offset:         0
        .size:           4
        .value_kind:     by_value
      - .offset:         8
        .size:           360
        .value_kind:     by_value
    .group_segment_fixed_size: 0
    .kernarg_segment_align: 8
    .kernarg_segment_size: 368
    .language:       OpenCL C
    .language_version:
      - 2
      - 0
    .max_flat_workgroup_size: 128
    .name:           _ZN2at6native32elementwise_kernel_manual_unrollILi128ELi4EZNS0_15gpu_kernel_implIZNS0_21compare_scalar_kernelIN3c108BFloat16EEEvRNS_18TensorIteratorBaseENS0_12_GLOBAL__N_16OpTypeET_EUlS5_E_EEvS7_RKSA_EUlibE0_EEviT1_
    .private_segment_fixed_size: 0
    .sgpr_count:     84
    .sgpr_spill_count: 0
    .symbol:         _ZN2at6native32elementwise_kernel_manual_unrollILi128ELi4EZNS0_15gpu_kernel_implIZNS0_21compare_scalar_kernelIN3c108BFloat16EEEvRNS_18TensorIteratorBaseENS0_12_GLOBAL__N_16OpTypeET_EUlS5_E_EEvS7_RKSA_EUlibE0_EEviT1_.kd
    .uniform_work_group_size: 1
    .uses_dynamic_stack: false
    .vgpr_count:     18
    .vgpr_spill_count: 0
    .wavefront_size: 64
  - .args:
      - .offset:         0
        .size:           4
        .value_kind:     by_value
      - .offset:         4
        .size:           4
        .value_kind:     by_value
      - .offset:         8
        .size:           24
        .value_kind:     by_value
    .group_segment_fixed_size: 0
    .kernarg_segment_align: 8
    .kernarg_segment_size: 32
    .language:       OpenCL C
    .language_version:
      - 2
      - 0
    .max_flat_workgroup_size: 256
    .name:           _ZN2at6native29vectorized_elementwise_kernelILi16ENS0_12_GLOBAL__N_114CompareFunctorIN3c108BFloat16EEESt5arrayIPcLm3EEEEviT0_T1_
    .private_segment_fixed_size: 0
    .sgpr_count:     54
    .sgpr_spill_count: 0
    .symbol:         _ZN2at6native29vectorized_elementwise_kernelILi16ENS0_12_GLOBAL__N_114CompareFunctorIN3c108BFloat16EEESt5arrayIPcLm3EEEEviT0_T1_.kd
    .uniform_work_group_size: 1
    .uses_dynamic_stack: false
    .vgpr_count:     38
    .vgpr_spill_count: 0
    .wavefront_size: 64
  - .args:
      - .offset:         0
        .size:           4
        .value_kind:     by_value
      - .offset:         4
        .size:           4
        .value_kind:     by_value
      - .offset:         8
        .size:           24
        .value_kind:     by_value
    .group_segment_fixed_size: 0
    .kernarg_segment_align: 8
    .kernarg_segment_size: 32
    .language:       OpenCL C
    .language_version:
      - 2
      - 0
    .max_flat_workgroup_size: 256
    .name:           _ZN2at6native29vectorized_elementwise_kernelILi8ENS0_12_GLOBAL__N_114CompareFunctorIN3c108BFloat16EEESt5arrayIPcLm3EEEEviT0_T1_
    .private_segment_fixed_size: 0
    .sgpr_count:     54
    .sgpr_spill_count: 0
    .symbol:         _ZN2at6native29vectorized_elementwise_kernelILi8ENS0_12_GLOBAL__N_114CompareFunctorIN3c108BFloat16EEESt5arrayIPcLm3EEEEviT0_T1_.kd
    .uniform_work_group_size: 1
    .uses_dynamic_stack: false
    .vgpr_count:     38
    .vgpr_spill_count: 0
    .wavefront_size: 64
  - .args:
      - .offset:         0
        .size:           4
        .value_kind:     by_value
      - .offset:         4
        .size:           4
        .value_kind:     by_value
      - .offset:         8
        .size:           24
        .value_kind:     by_value
    .group_segment_fixed_size: 0
    .kernarg_segment_align: 8
    .kernarg_segment_size: 32
    .language:       OpenCL C
    .language_version:
      - 2
      - 0
    .max_flat_workgroup_size: 256
    .name:           _ZN2at6native29vectorized_elementwise_kernelILi4ENS0_12_GLOBAL__N_114CompareFunctorIN3c108BFloat16EEESt5arrayIPcLm3EEEEviT0_T1_
    .private_segment_fixed_size: 0
    .sgpr_count:     54
    .sgpr_spill_count: 0
    .symbol:         _ZN2at6native29vectorized_elementwise_kernelILi4ENS0_12_GLOBAL__N_114CompareFunctorIN3c108BFloat16EEESt5arrayIPcLm3EEEEviT0_T1_.kd
    .uniform_work_group_size: 1
    .uses_dynamic_stack: false
    .vgpr_count:     38
    .vgpr_spill_count: 0
    .wavefront_size: 64
  - .args:
      - .offset:         0
        .size:           4
        .value_kind:     by_value
      - .offset:         4
        .size:           4
        .value_kind:     by_value
      - .offset:         8
        .size:           24
        .value_kind:     by_value
    .group_segment_fixed_size: 0
    .kernarg_segment_align: 8
    .kernarg_segment_size: 32
    .language:       OpenCL C
    .language_version:
      - 2
      - 0
    .max_flat_workgroup_size: 256
    .name:           _ZN2at6native29vectorized_elementwise_kernelILi2ENS0_12_GLOBAL__N_114CompareFunctorIN3c108BFloat16EEESt5arrayIPcLm3EEEEviT0_T1_
    .private_segment_fixed_size: 0
    .sgpr_count:     54
    .sgpr_spill_count: 0
    .symbol:         _ZN2at6native29vectorized_elementwise_kernelILi2ENS0_12_GLOBAL__N_114CompareFunctorIN3c108BFloat16EEESt5arrayIPcLm3EEEEviT0_T1_.kd
    .uniform_work_group_size: 1
    .uses_dynamic_stack: false
    .vgpr_count:     38
    .vgpr_spill_count: 0
    .wavefront_size: 64
  - .args:
      - .offset:         0
        .size:           4
        .value_kind:     by_value
      - .offset:         4
        .size:           4
        .value_kind:     by_value
      - .offset:         8
        .size:           24
        .value_kind:     by_value
      - .offset:         32
        .size:           1
        .value_kind:     by_value
      - .offset:         33
        .size:           1
        .value_kind:     by_value
      - .offset:         34
        .size:           1
        .value_kind:     by_value
      - .offset:         35
        .size:           1
        .value_kind:     by_value
    .group_segment_fixed_size: 0
    .kernarg_segment_align: 8
    .kernarg_segment_size: 36
    .language:       OpenCL C
    .language_version:
      - 2
      - 0
    .max_flat_workgroup_size: 256
    .name:           _ZN2at6native27unrolled_elementwise_kernelINS0_12_GLOBAL__N_114CompareFunctorIN3c108BFloat16EEESt5arrayIPcLm3EELi4E23TrivialOffsetCalculatorILi2EjESA_ILi1EjENS0_6memory15LoadWithoutCastENSD_16StoreWithoutCastEEEviT_T0_T2_T3_T4_T5_
    .private_segment_fixed_size: 0
    .sgpr_count:     21
    .sgpr_spill_count: 0
    .symbol:         _ZN2at6native27unrolled_elementwise_kernelINS0_12_GLOBAL__N_114CompareFunctorIN3c108BFloat16EEESt5arrayIPcLm3EELi4E23TrivialOffsetCalculatorILi2EjESA_ILi1EjENS0_6memory15LoadWithoutCastENSD_16StoreWithoutCastEEEviT_T0_T2_T3_T4_T5_.kd
    .uniform_work_group_size: 1
    .uses_dynamic_stack: false
    .vgpr_count:     14
    .vgpr_spill_count: 0
    .wavefront_size: 64
  - .args:
      - .offset:         0
        .size:           4
        .value_kind:     by_value
      - .offset:         8
        .size:           424
        .value_kind:     by_value
    .group_segment_fixed_size: 0
    .kernarg_segment_align: 8
    .kernarg_segment_size: 432
    .language:       OpenCL C
    .language_version:
      - 2
      - 0
    .max_flat_workgroup_size: 128
    .name:           _ZN2at6native32elementwise_kernel_manual_unrollILi128ELi8EZNS0_22gpu_kernel_impl_nocastINS0_12_GLOBAL__N_114CompareFunctorIN3c108BFloat16EEEEEvRNS_18TensorIteratorBaseERKT_EUlibE_EEviT1_
    .private_segment_fixed_size: 0
    .sgpr_count:     56
    .sgpr_spill_count: 0
    .symbol:         _ZN2at6native32elementwise_kernel_manual_unrollILi128ELi8EZNS0_22gpu_kernel_impl_nocastINS0_12_GLOBAL__N_114CompareFunctorIN3c108BFloat16EEEEEvRNS_18TensorIteratorBaseERKT_EUlibE_EEviT1_.kd
    .uniform_work_group_size: 1
    .uses_dynamic_stack: false
    .vgpr_count:     38
    .vgpr_spill_count: 0
    .wavefront_size: 64
  - .args:
      - .offset:         0
        .size:           4
        .value_kind:     by_value
      - .offset:         8
        .size:           48
        .value_kind:     by_value
    .group_segment_fixed_size: 0
    .kernarg_segment_align: 8
    .kernarg_segment_size: 56
    .language:       OpenCL C
    .language_version:
      - 2
      - 0
    .max_flat_workgroup_size: 128
    .name:           _ZN2at6native32elementwise_kernel_manual_unrollILi128ELi4EZNS0_15gpu_kernel_implINS0_12_GLOBAL__N_114CompareFunctorIN3c108BFloat16EEEEEvRNS_18TensorIteratorBaseERKT_EUlibE_EEviT1_
    .private_segment_fixed_size: 0
    .sgpr_count:     61
    .sgpr_spill_count: 0
    .symbol:         _ZN2at6native32elementwise_kernel_manual_unrollILi128ELi4EZNS0_15gpu_kernel_implINS0_12_GLOBAL__N_114CompareFunctorIN3c108BFloat16EEEEEvRNS_18TensorIteratorBaseERKT_EUlibE_EEviT1_.kd
    .uniform_work_group_size: 1
    .uses_dynamic_stack: false
    .vgpr_count:     12
    .vgpr_spill_count: 0
    .wavefront_size: 64
  - .args:
      - .offset:         0
        .size:           4
        .value_kind:     by_value
      - .offset:         8
        .size:           424
        .value_kind:     by_value
    .group_segment_fixed_size: 0
    .kernarg_segment_align: 8
    .kernarg_segment_size: 432
    .language:       OpenCL C
    .language_version:
      - 2
      - 0
    .max_flat_workgroup_size: 128
    .name:           _ZN2at6native32elementwise_kernel_manual_unrollILi128ELi4EZNS0_15gpu_kernel_implINS0_12_GLOBAL__N_114CompareFunctorIN3c108BFloat16EEEEEvRNS_18TensorIteratorBaseERKT_EUlibE0_EEviT1_
    .private_segment_fixed_size: 0
    .sgpr_count:     84
    .sgpr_spill_count: 0
    .symbol:         _ZN2at6native32elementwise_kernel_manual_unrollILi128ELi4EZNS0_15gpu_kernel_implINS0_12_GLOBAL__N_114CompareFunctorIN3c108BFloat16EEEEEvRNS_18TensorIteratorBaseERKT_EUlibE0_EEviT1_.kd
    .uniform_work_group_size: 1
    .uses_dynamic_stack: false
    .vgpr_count:     24
    .vgpr_spill_count: 0
    .wavefront_size: 64
  - .args:
      - .offset:         0
        .size:           4
        .value_kind:     by_value
      - .offset:         4
        .size:           8
        .value_kind:     by_value
      - .offset:         16
        .size:           16
        .value_kind:     by_value
    .group_segment_fixed_size: 0
    .kernarg_segment_align: 8
    .kernarg_segment_size: 32
    .language:       OpenCL C
    .language_version:
      - 2
      - 0
    .max_flat_workgroup_size: 256
    .name:           _ZN2at6native29vectorized_elementwise_kernelILi16EZNS0_21compare_scalar_kernelIbEEvRNS_18TensorIteratorBaseENS0_12_GLOBAL__N_16OpTypeET_EUlbE_St5arrayIPcLm2EEEEviT0_T1_
    .private_segment_fixed_size: 0
    .sgpr_count:     58
    .sgpr_spill_count: 0
    .symbol:         _ZN2at6native29vectorized_elementwise_kernelILi16EZNS0_21compare_scalar_kernelIbEEvRNS_18TensorIteratorBaseENS0_12_GLOBAL__N_16OpTypeET_EUlbE_St5arrayIPcLm2EEEEviT0_T1_.kd
    .uniform_work_group_size: 1
    .uses_dynamic_stack: false
    .vgpr_count:     11
    .vgpr_spill_count: 0
    .wavefront_size: 64
  - .args:
      - .offset:         0
        .size:           4
        .value_kind:     by_value
      - .offset:         4
        .size:           8
        .value_kind:     by_value
      - .offset:         16
        .size:           16
        .value_kind:     by_value
    .group_segment_fixed_size: 0
    .kernarg_segment_align: 8
    .kernarg_segment_size: 32
    .language:       OpenCL C
    .language_version:
      - 2
      - 0
    .max_flat_workgroup_size: 256
    .name:           _ZN2at6native29vectorized_elementwise_kernelILi8EZNS0_21compare_scalar_kernelIbEEvRNS_18TensorIteratorBaseENS0_12_GLOBAL__N_16OpTypeET_EUlbE_St5arrayIPcLm2EEEEviT0_T1_
    .private_segment_fixed_size: 0
    .sgpr_count:     58
    .sgpr_spill_count: 0
    .symbol:         _ZN2at6native29vectorized_elementwise_kernelILi8EZNS0_21compare_scalar_kernelIbEEvRNS_18TensorIteratorBaseENS0_12_GLOBAL__N_16OpTypeET_EUlbE_St5arrayIPcLm2EEEEviT0_T1_.kd
    .uniform_work_group_size: 1
    .uses_dynamic_stack: false
    .vgpr_count:     9
    .vgpr_spill_count: 0
    .wavefront_size: 64
  - .args:
      - .offset:         0
        .size:           4
        .value_kind:     by_value
      - .offset:         4
        .size:           8
        .value_kind:     by_value
      - .offset:         16
        .size:           16
        .value_kind:     by_value
    .group_segment_fixed_size: 0
    .kernarg_segment_align: 8
    .kernarg_segment_size: 32
    .language:       OpenCL C
    .language_version:
      - 2
      - 0
    .max_flat_workgroup_size: 256
    .name:           _ZN2at6native29vectorized_elementwise_kernelILi4EZNS0_21compare_scalar_kernelIbEEvRNS_18TensorIteratorBaseENS0_12_GLOBAL__N_16OpTypeET_EUlbE_St5arrayIPcLm2EEEEviT0_T1_
    .private_segment_fixed_size: 0
    .sgpr_count:     58
    .sgpr_spill_count: 0
    .symbol:         _ZN2at6native29vectorized_elementwise_kernelILi4EZNS0_21compare_scalar_kernelIbEEvRNS_18TensorIteratorBaseENS0_12_GLOBAL__N_16OpTypeET_EUlbE_St5arrayIPcLm2EEEEviT0_T1_.kd
    .uniform_work_group_size: 1
    .uses_dynamic_stack: false
    .vgpr_count:     9
    .vgpr_spill_count: 0
    .wavefront_size: 64
  - .args:
      - .offset:         0
        .size:           4
        .value_kind:     by_value
      - .offset:         4
        .size:           8
        .value_kind:     by_value
      - .offset:         16
        .size:           16
        .value_kind:     by_value
    .group_segment_fixed_size: 0
    .kernarg_segment_align: 8
    .kernarg_segment_size: 32
    .language:       OpenCL C
    .language_version:
      - 2
      - 0
    .max_flat_workgroup_size: 256
    .name:           _ZN2at6native29vectorized_elementwise_kernelILi2EZNS0_21compare_scalar_kernelIbEEvRNS_18TensorIteratorBaseENS0_12_GLOBAL__N_16OpTypeET_EUlbE_St5arrayIPcLm2EEEEviT0_T1_
    .private_segment_fixed_size: 0
    .sgpr_count:     58
    .sgpr_spill_count: 0
    .symbol:         _ZN2at6native29vectorized_elementwise_kernelILi2EZNS0_21compare_scalar_kernelIbEEvRNS_18TensorIteratorBaseENS0_12_GLOBAL__N_16OpTypeET_EUlbE_St5arrayIPcLm2EEEEviT0_T1_.kd
    .uniform_work_group_size: 1
    .uses_dynamic_stack: false
    .vgpr_count:     11
    .vgpr_spill_count: 0
    .wavefront_size: 64
  - .args:
      - .offset:         0
        .size:           4
        .value_kind:     by_value
      - .offset:         4
        .size:           8
        .value_kind:     by_value
      - .offset:         16
        .size:           16
        .value_kind:     by_value
      - .offset:         32
        .size:           1
        .value_kind:     by_value
      - .offset:         33
        .size:           1
        .value_kind:     by_value
      - .offset:         34
        .size:           1
        .value_kind:     by_value
      - .offset:         35
        .size:           1
        .value_kind:     by_value
    .group_segment_fixed_size: 0
    .kernarg_segment_align: 8
    .kernarg_segment_size: 36
    .language:       OpenCL C
    .language_version:
      - 2
      - 0
    .max_flat_workgroup_size: 256
    .name:           _ZN2at6native27unrolled_elementwise_kernelIZNS0_21compare_scalar_kernelIbEEvRNS_18TensorIteratorBaseENS0_12_GLOBAL__N_16OpTypeET_EUlbE_St5arrayIPcLm2EELi4E23TrivialOffsetCalculatorILi1EjESD_NS0_6memory15LoadWithoutCastENSE_16StoreWithoutCastEEEviS7_T0_T2_T3_T4_T5_
    .private_segment_fixed_size: 0
    .sgpr_count:     33
    .sgpr_spill_count: 0
    .symbol:         _ZN2at6native27unrolled_elementwise_kernelIZNS0_21compare_scalar_kernelIbEEvRNS_18TensorIteratorBaseENS0_12_GLOBAL__N_16OpTypeET_EUlbE_St5arrayIPcLm2EELi4E23TrivialOffsetCalculatorILi1EjESD_NS0_6memory15LoadWithoutCastENSE_16StoreWithoutCastEEEviS7_T0_T2_T3_T4_T5_.kd
    .uniform_work_group_size: 1
    .uses_dynamic_stack: false
    .vgpr_count:     5
    .vgpr_spill_count: 0
    .wavefront_size: 64
  - .args:
      - .offset:         0
        .size:           4
        .value_kind:     by_value
      - .offset:         8
        .size:           352
        .value_kind:     by_value
    .group_segment_fixed_size: 0
    .kernarg_segment_align: 8
    .kernarg_segment_size: 360
    .language:       OpenCL C
    .language_version:
      - 2
      - 0
    .max_flat_workgroup_size: 128
    .name:           _ZN2at6native32elementwise_kernel_manual_unrollILi128ELi8EZNS0_22gpu_kernel_impl_nocastIZNS0_21compare_scalar_kernelIbEEvRNS_18TensorIteratorBaseENS0_12_GLOBAL__N_16OpTypeET_EUlbE_EEvS5_RKS8_EUlibE_EEviT1_
    .private_segment_fixed_size: 0
    .sgpr_count:     69
    .sgpr_spill_count: 0
    .symbol:         _ZN2at6native32elementwise_kernel_manual_unrollILi128ELi8EZNS0_22gpu_kernel_impl_nocastIZNS0_21compare_scalar_kernelIbEEvRNS_18TensorIteratorBaseENS0_12_GLOBAL__N_16OpTypeET_EUlbE_EEvS5_RKS8_EUlibE_EEviT1_.kd
    .uniform_work_group_size: 1
    .uses_dynamic_stack: false
    .vgpr_count:     26
    .vgpr_spill_count: 0
    .wavefront_size: 64
  - .args:
      - .offset:         0
        .size:           4
        .value_kind:     by_value
      - .offset:         8
        .size:           40
        .value_kind:     by_value
    .group_segment_fixed_size: 0
    .kernarg_segment_align: 8
    .kernarg_segment_size: 48
    .language:       OpenCL C
    .language_version:
      - 2
      - 0
    .max_flat_workgroup_size: 128
    .name:           _ZN2at6native32elementwise_kernel_manual_unrollILi128ELi4EZNS0_15gpu_kernel_implIZNS0_21compare_scalar_kernelIbEEvRNS_18TensorIteratorBaseENS0_12_GLOBAL__N_16OpTypeET_EUlbE_EEvS5_RKS8_EUlibE_EEviT1_
    .private_segment_fixed_size: 0
    .sgpr_count:     56
    .sgpr_spill_count: 0
    .symbol:         _ZN2at6native32elementwise_kernel_manual_unrollILi128ELi4EZNS0_15gpu_kernel_implIZNS0_21compare_scalar_kernelIbEEvRNS_18TensorIteratorBaseENS0_12_GLOBAL__N_16OpTypeET_EUlbE_EEvS5_RKS8_EUlibE_EEviT1_.kd
    .uniform_work_group_size: 1
    .uses_dynamic_stack: false
    .vgpr_count:     8
    .vgpr_spill_count: 0
    .wavefront_size: 64
  - .args:
      - .offset:         0
        .size:           4
        .value_kind:     by_value
      - .offset:         8
        .size:           360
        .value_kind:     by_value
    .group_segment_fixed_size: 0
    .kernarg_segment_align: 8
    .kernarg_segment_size: 368
    .language:       OpenCL C
    .language_version:
      - 2
      - 0
    .max_flat_workgroup_size: 128
    .name:           _ZN2at6native32elementwise_kernel_manual_unrollILi128ELi4EZNS0_15gpu_kernel_implIZNS0_21compare_scalar_kernelIbEEvRNS_18TensorIteratorBaseENS0_12_GLOBAL__N_16OpTypeET_EUlbE_EEvS5_RKS8_EUlibE0_EEviT1_
    .private_segment_fixed_size: 0
    .sgpr_count:     87
    .sgpr_spill_count: 0
    .symbol:         _ZN2at6native32elementwise_kernel_manual_unrollILi128ELi4EZNS0_15gpu_kernel_implIZNS0_21compare_scalar_kernelIbEEvRNS_18TensorIteratorBaseENS0_12_GLOBAL__N_16OpTypeET_EUlbE_EEvS5_RKS8_EUlibE0_EEviT1_.kd
    .uniform_work_group_size: 1
    .uses_dynamic_stack: false
    .vgpr_count:     18
    .vgpr_spill_count: 0
    .wavefront_size: 64
  - .args:
      - .offset:         0
        .size:           4
        .value_kind:     by_value
      - .offset:         4
        .size:           4
        .value_kind:     by_value
      - .offset:         8
        .size:           24
        .value_kind:     by_value
    .group_segment_fixed_size: 0
    .kernarg_segment_align: 8
    .kernarg_segment_size: 32
    .language:       OpenCL C
    .language_version:
      - 2
      - 0
    .max_flat_workgroup_size: 256
    .name:           _ZN2at6native29vectorized_elementwise_kernelILi16ENS0_12_GLOBAL__N_114CompareFunctorIbEESt5arrayIPcLm3EEEEviT0_T1_
    .private_segment_fixed_size: 0
    .sgpr_count:     86
    .sgpr_spill_count: 0
    .symbol:         _ZN2at6native29vectorized_elementwise_kernelILi16ENS0_12_GLOBAL__N_114CompareFunctorIbEESt5arrayIPcLm3EEEEviT0_T1_.kd
    .uniform_work_group_size: 1
    .uses_dynamic_stack: false
    .vgpr_count:     19
    .vgpr_spill_count: 0
    .wavefront_size: 64
  - .args:
      - .offset:         0
        .size:           4
        .value_kind:     by_value
      - .offset:         4
        .size:           4
        .value_kind:     by_value
      - .offset:         8
        .size:           24
        .value_kind:     by_value
    .group_segment_fixed_size: 0
    .kernarg_segment_align: 8
    .kernarg_segment_size: 32
    .language:       OpenCL C
    .language_version:
      - 2
      - 0
    .max_flat_workgroup_size: 256
    .name:           _ZN2at6native29vectorized_elementwise_kernelILi8ENS0_12_GLOBAL__N_114CompareFunctorIbEESt5arrayIPcLm3EEEEviT0_T1_
    .private_segment_fixed_size: 0
    .sgpr_count:     86
    .sgpr_spill_count: 0
    .symbol:         _ZN2at6native29vectorized_elementwise_kernelILi8ENS0_12_GLOBAL__N_114CompareFunctorIbEESt5arrayIPcLm3EEEEviT0_T1_.kd
    .uniform_work_group_size: 1
    .uses_dynamic_stack: false
    .vgpr_count:     11
    .vgpr_spill_count: 0
    .wavefront_size: 64
  - .args:
      - .offset:         0
        .size:           4
        .value_kind:     by_value
      - .offset:         4
        .size:           4
        .value_kind:     by_value
      - .offset:         8
        .size:           24
        .value_kind:     by_value
    .group_segment_fixed_size: 0
    .kernarg_segment_align: 8
    .kernarg_segment_size: 32
    .language:       OpenCL C
    .language_version:
      - 2
      - 0
    .max_flat_workgroup_size: 256
    .name:           _ZN2at6native29vectorized_elementwise_kernelILi4ENS0_12_GLOBAL__N_114CompareFunctorIbEESt5arrayIPcLm3EEEEviT0_T1_
    .private_segment_fixed_size: 0
    .sgpr_count:     86
    .sgpr_spill_count: 0
    .symbol:         _ZN2at6native29vectorized_elementwise_kernelILi4ENS0_12_GLOBAL__N_114CompareFunctorIbEESt5arrayIPcLm3EEEEviT0_T1_.kd
    .uniform_work_group_size: 1
    .uses_dynamic_stack: false
    .vgpr_count:     11
    .vgpr_spill_count: 0
    .wavefront_size: 64
  - .args:
      - .offset:         0
        .size:           4
        .value_kind:     by_value
      - .offset:         4
        .size:           4
        .value_kind:     by_value
      - .offset:         8
        .size:           24
        .value_kind:     by_value
    .group_segment_fixed_size: 0
    .kernarg_segment_align: 8
    .kernarg_segment_size: 32
    .language:       OpenCL C
    .language_version:
      - 2
      - 0
    .max_flat_workgroup_size: 256
    .name:           _ZN2at6native29vectorized_elementwise_kernelILi2ENS0_12_GLOBAL__N_114CompareFunctorIbEESt5arrayIPcLm3EEEEviT0_T1_
    .private_segment_fixed_size: 0
    .sgpr_count:     86
    .sgpr_spill_count: 0
    .symbol:         _ZN2at6native29vectorized_elementwise_kernelILi2ENS0_12_GLOBAL__N_114CompareFunctorIbEESt5arrayIPcLm3EEEEviT0_T1_.kd
    .uniform_work_group_size: 1
    .uses_dynamic_stack: false
    .vgpr_count:     19
    .vgpr_spill_count: 0
    .wavefront_size: 64
  - .args:
      - .offset:         0
        .size:           4
        .value_kind:     by_value
      - .offset:         4
        .size:           4
        .value_kind:     by_value
      - .offset:         8
        .size:           24
        .value_kind:     by_value
      - .offset:         32
        .size:           1
        .value_kind:     by_value
      - .offset:         33
        .size:           1
        .value_kind:     by_value
      - .offset:         34
        .size:           1
        .value_kind:     by_value
      - .offset:         35
        .size:           1
        .value_kind:     by_value
    .group_segment_fixed_size: 0
    .kernarg_segment_align: 8
    .kernarg_segment_size: 36
    .language:       OpenCL C
    .language_version:
      - 2
      - 0
    .max_flat_workgroup_size: 256
    .name:           _ZN2at6native27unrolled_elementwise_kernelINS0_12_GLOBAL__N_114CompareFunctorIbEESt5arrayIPcLm3EELi4E23TrivialOffsetCalculatorILi2EjES8_ILi1EjENS0_6memory15LoadWithoutCastENSB_16StoreWithoutCastEEEviT_T0_T2_T3_T4_T5_
    .private_segment_fixed_size: 0
    .sgpr_count:     38
    .sgpr_spill_count: 0
    .symbol:         _ZN2at6native27unrolled_elementwise_kernelINS0_12_GLOBAL__N_114CompareFunctorIbEESt5arrayIPcLm3EELi4E23TrivialOffsetCalculatorILi2EjES8_ILi1EjENS0_6memory15LoadWithoutCastENSB_16StoreWithoutCastEEEviT_T0_T2_T3_T4_T5_.kd
    .uniform_work_group_size: 1
    .uses_dynamic_stack: false
    .vgpr_count:     6
    .vgpr_spill_count: 0
    .wavefront_size: 64
  - .args:
      - .offset:         0
        .size:           4
        .value_kind:     by_value
      - .offset:         8
        .size:           424
        .value_kind:     by_value
    .group_segment_fixed_size: 0
    .kernarg_segment_align: 8
    .kernarg_segment_size: 432
    .language:       OpenCL C
    .language_version:
      - 2
      - 0
    .max_flat_workgroup_size: 128
    .name:           _ZN2at6native32elementwise_kernel_manual_unrollILi128ELi8EZNS0_22gpu_kernel_impl_nocastINS0_12_GLOBAL__N_114CompareFunctorIbEEEEvRNS_18TensorIteratorBaseERKT_EUlibE_EEviT1_
    .private_segment_fixed_size: 0
    .sgpr_count:     56
    .sgpr_spill_count: 0
    .symbol:         _ZN2at6native32elementwise_kernel_manual_unrollILi128ELi8EZNS0_22gpu_kernel_impl_nocastINS0_12_GLOBAL__N_114CompareFunctorIbEEEEvRNS_18TensorIteratorBaseERKT_EUlibE_EEviT1_.kd
    .uniform_work_group_size: 1
    .uses_dynamic_stack: false
    .vgpr_count:     38
    .vgpr_spill_count: 0
    .wavefront_size: 64
  - .args:
      - .offset:         0
        .size:           4
        .value_kind:     by_value
      - .offset:         8
        .size:           48
        .value_kind:     by_value
    .group_segment_fixed_size: 0
    .kernarg_segment_align: 8
    .kernarg_segment_size: 56
    .language:       OpenCL C
    .language_version:
      - 2
      - 0
    .max_flat_workgroup_size: 128
    .name:           _ZN2at6native32elementwise_kernel_manual_unrollILi128ELi4EZNS0_15gpu_kernel_implINS0_12_GLOBAL__N_114CompareFunctorIbEEEEvRNS_18TensorIteratorBaseERKT_EUlibE_EEviT1_
    .private_segment_fixed_size: 0
    .sgpr_count:     63
    .sgpr_spill_count: 0
    .symbol:         _ZN2at6native32elementwise_kernel_manual_unrollILi128ELi4EZNS0_15gpu_kernel_implINS0_12_GLOBAL__N_114CompareFunctorIbEEEEvRNS_18TensorIteratorBaseERKT_EUlibE_EEviT1_.kd
    .uniform_work_group_size: 1
    .uses_dynamic_stack: false
    .vgpr_count:     9
    .vgpr_spill_count: 0
    .wavefront_size: 64
  - .args:
      - .offset:         0
        .size:           4
        .value_kind:     by_value
      - .offset:         8
        .size:           424
        .value_kind:     by_value
    .group_segment_fixed_size: 0
    .kernarg_segment_align: 8
    .kernarg_segment_size: 432
    .language:       OpenCL C
    .language_version:
      - 2
      - 0
    .max_flat_workgroup_size: 128
    .name:           _ZN2at6native32elementwise_kernel_manual_unrollILi128ELi4EZNS0_15gpu_kernel_implINS0_12_GLOBAL__N_114CompareFunctorIbEEEEvRNS_18TensorIteratorBaseERKT_EUlibE0_EEviT1_
    .private_segment_fixed_size: 0
    .sgpr_count:     84
    .sgpr_spill_count: 0
    .symbol:         _ZN2at6native32elementwise_kernel_manual_unrollILi128ELi4EZNS0_15gpu_kernel_implINS0_12_GLOBAL__N_114CompareFunctorIbEEEEvRNS_18TensorIteratorBaseERKT_EUlibE0_EEviT1_.kd
    .uniform_work_group_size: 1
    .uses_dynamic_stack: false
    .vgpr_count:     26
    .vgpr_spill_count: 0
    .wavefront_size: 64
amdhsa.target:   amdgcn-amd-amdhsa--gfx906
amdhsa.version:
  - 1
  - 2
...

	.end_amdgpu_metadata
